;; amdgpu-corpus repo=pytorch/pytorch kind=compiled arch=gfx1030 opt=O3
	.amdgcn_target "amdgcn-amd-amdhsa--gfx1030"
	.amdhsa_code_object_version 6
	.section	.text._ZN12_GLOBAL__N_120softmax_warp_forwardIdddLi0ELb1ELb0ELi64EEEvPT0_PKT_iiiPKbib,"axG",@progbits,_ZN12_GLOBAL__N_120softmax_warp_forwardIdddLi0ELb1ELb0ELi64EEEvPT0_PKT_iiiPKbib,comdat
	.globl	_ZN12_GLOBAL__N_120softmax_warp_forwardIdddLi0ELb1ELb0ELi64EEEvPT0_PKT_iiiPKbib ; -- Begin function _ZN12_GLOBAL__N_120softmax_warp_forwardIdddLi0ELb1ELb0ELi64EEEvPT0_PKT_iiiPKbib
	.p2align	8
	.type	_ZN12_GLOBAL__N_120softmax_warp_forwardIdddLi0ELb1ELb0ELi64EEEvPT0_PKT_iiiPKbib,@function
_ZN12_GLOBAL__N_120softmax_warp_forwardIdddLi0ELb1ELb0ELi64EEEvPT0_PKT_iiiPKbib: ; @_ZN12_GLOBAL__N_120softmax_warp_forwardIdddLi0ELb1ELb0ELi64EEEvPT0_PKT_iiiPKbib
; %bb.0:
	s_clause 0x1
	s_load_dword s0, s[4:5], 0x3c
	s_load_dwordx8 s[8:15], s[4:5], 0x0
	v_mov_b32_e32 v6, 0
	v_mov_b32_e32 v7, 0xfff00000
	s_waitcnt lgkmcnt(0)
	s_lshr_b32 s0, s0, 16
	v_cmp_gt_i32_e32 vcc_lo, s14, v0
	s_and_b32 s0, s0, 0xffff
	s_mul_i32 s6, s6, s0
	v_add_lshl_u32 v3, s6, v1, 1
	v_mad_u64_u32 v[1:2], null, v3, s13, v[0:1]
	v_sub_nc_u32_e32 v8, s12, v3
	v_cmp_lt_i32_e64 s0, 0, v8
	v_ashrrev_i32_e32 v2, 31, v1
	s_and_b32 s2, vcc_lo, s0
	v_lshlrev_b64 v[4:5], 3, v[1:2]
	v_mov_b32_e32 v2, 0
	v_mov_b32_e32 v3, 0xfff00000
	v_add_co_u32 v0, s1, s10, v4
	v_add_co_ci_u32_e64 v1, null, s11, v5, s1
	s_and_saveexec_b32 s1, s2
	s_cbranch_execz .LBB0_2
; %bb.1:
	global_load_dwordx2 v[6:7], v[0:1], off
.LBB0_2:
	s_or_b32 exec_lo, exec_lo, s1
	v_cmp_lt_i32_e64 s1, 1, v8
	s_and_b32 s1, vcc_lo, s1
	s_and_saveexec_b32 s2, s1
	s_cbranch_execz .LBB0_4
; %bb.3:
	s_mov_b32 s15, 0
	s_lshl_b64 s[4:5], s[14:15], 3
	v_add_co_u32 v0, s1, v0, s4
	v_add_co_ci_u32_e64 v1, null, s5, v1, s1
	global_load_dwordx2 v[2:3], v[0:1], off
.LBB0_4:
	s_or_b32 exec_lo, exec_lo, s2
	s_and_saveexec_b32 s1, s0
	s_cbranch_execz .LBB0_9
; %bb.5:
	v_add_co_u32 v0, s0, s8, v4
	v_add_co_ci_u32_e64 v1, null, s9, v5, s0
	s_and_saveexec_b32 s6, vcc_lo
	s_cbranch_execz .LBB0_7
; %bb.6:
	s_waitcnt vmcnt(0)
	v_add_f64 v[4:5], v[6:7], -v[6:7]
	s_mov_b32 s0, 0x652b82fe
	s_mov_b32 s1, 0x3ff71547
	;; [unrolled: 1-line block ×10, first 2 shown]
	v_mul_f64 v[6:7], v[4:5], s[0:1]
	s_mov_b32 s0, 0xfca7ab0c
	s_mov_b32 s1, 0x3e928af3
	v_rndne_f64_e32 v[6:7], v[6:7]
	v_fma_f64 v[9:10], v[6:7], s[2:3], v[4:5]
	v_cvt_i32_f64_e32 v13, v[6:7]
	s_mov_b32 s3, 0x3fe62e42
	v_fma_f64 v[9:10], v[6:7], s[4:5], v[9:10]
	s_mov_b32 s5, 0x3c7abc9e
	v_fma_f64 v[11:12], v[9:10], s[8:9], s[0:1]
	s_mov_b32 s0, 0x623fde64
	s_mov_b32 s1, 0x3ec71dee
	;; [unrolled: 1-line block ×4, first 2 shown]
	v_fma_f64 v[11:12], v[9:10], v[11:12], s[0:1]
	s_mov_b32 s0, 0x7c89e6b0
	s_mov_b32 s1, 0x3efa0199
	v_fma_f64 v[11:12], v[9:10], v[11:12], s[0:1]
	s_mov_b32 s0, 0x14761f6e
	s_mov_b32 s1, 0x3f2a01a0
	;; [unrolled: 3-line block ×7, first 2 shown]
	v_fma_f64 v[11:12], v[9:10], v[11:12], s[0:1]
	v_cmp_nlt_f64_e64 s0, 0x40900000, v[4:5]
	v_cmp_ngt_f64_e64 s1, 0xc090cc00, v[4:5]
	v_fma_f64 v[11:12], v[9:10], v[11:12], 1.0
	v_fma_f64 v[6:7], v[9:10], v[11:12], 1.0
	v_ldexp_f64 v[6:7], v[6:7], v13
	v_add_f64 v[6:7], v[6:7], 0
	v_cndmask_b32_e64 v7, 0x7ff00000, v7, s0
	s_and_b32 s0, s1, s0
	v_cndmask_b32_e64 v6, 0, v6, s0
	s_mov_b32 s0, 0x55555555
	v_cndmask_b32_e64 v7, 0, v7, s1
	s_mov_b32 s1, 0x3fe55555
	v_frexp_mant_f64_e32 v[9:10], v[6:7]
	v_frexp_exp_i32_f64_e32 v11, v[6:7]
	v_cmp_gt_f64_e64 s0, s[0:1], v[9:10]
	v_subrev_co_ci_u32_e64 v23, null, 0, v11, s0
	v_cndmask_b32_e64 v11, 0, 1, s0
	s_mov_b32 s0, 0x55555780
	v_ldexp_f64 v[9:10], v[9:10], v11
	v_add_f64 v[11:12], v[9:10], 1.0
	v_add_f64 v[17:18], v[9:10], -1.0
	v_rcp_f64_e32 v[13:14], v[11:12]
	v_add_f64 v[19:20], v[11:12], -1.0
	v_add_f64 v[9:10], v[9:10], -v[19:20]
	v_fma_f64 v[15:16], -v[11:12], v[13:14], 1.0
	v_fma_f64 v[13:14], v[15:16], v[13:14], v[13:14]
	v_fma_f64 v[15:16], -v[11:12], v[13:14], 1.0
	v_fma_f64 v[13:14], v[15:16], v[13:14], v[13:14]
	v_mul_f64 v[15:16], v[17:18], v[13:14]
	v_mul_f64 v[21:22], v[11:12], v[15:16]
	v_fma_f64 v[11:12], v[15:16], v[11:12], -v[21:22]
	v_fma_f64 v[9:10], v[15:16], v[9:10], v[11:12]
	v_add_f64 v[11:12], v[21:22], v[9:10]
	v_add_f64 v[19:20], v[17:18], -v[11:12]
	v_add_f64 v[21:22], v[11:12], -v[21:22]
	v_add_f64 v[17:18], v[17:18], -v[19:20]
	v_add_f64 v[9:10], v[21:22], -v[9:10]
	v_add_f64 v[11:12], v[17:18], -v[11:12]
	v_add_f64 v[9:10], v[9:10], v[11:12]
	v_add_f64 v[9:10], v[19:20], v[9:10]
	v_mul_f64 v[9:10], v[13:14], v[9:10]
	v_add_f64 v[11:12], v[15:16], v[9:10]
	v_mul_f64 v[13:14], v[11:12], v[11:12]
	v_fma_f64 v[17:18], v[13:14], s[10:11], s[8:9]
	s_mov_b32 s8, 0xd7f4df2e
	s_mov_b32 s9, 0x3fc7474d
	v_mul_f64 v[19:20], v[11:12], v[13:14]
	v_fma_f64 v[17:18], v[13:14], v[17:18], s[8:9]
	s_mov_b32 s8, 0x16291751
	s_mov_b32 s9, 0x3fcc71c0
	v_fma_f64 v[17:18], v[13:14], v[17:18], s[8:9]
	s_mov_b32 s8, 0x9b27acf1
	s_mov_b32 s9, 0x3fd24924
	;; [unrolled: 3-line block ×3, first 2 shown]
	v_fma_f64 v[17:18], v[13:14], v[17:18], s[8:9]
	v_fma_f64 v[13:14], v[13:14], v[17:18], s[0:1]
	v_ldexp_f64 v[17:18], v[11:12], 1
	v_add_f64 v[11:12], v[11:12], -v[15:16]
	v_cmp_class_f64_e64 s0, v[6:7], 0x204
	v_mul_f64 v[13:14], v[19:20], v[13:14]
	v_cvt_f64_i32_e32 v[19:20], v23
	v_add_f64 v[9:10], v[9:10], -v[11:12]
	v_add_f64 v[15:16], v[17:18], v[13:14]
	v_mul_f64 v[21:22], v[19:20], s[2:3]
	v_ldexp_f64 v[9:10], v[9:10], 1
	v_add_f64 v[11:12], v[15:16], -v[17:18]
	v_fma_f64 v[17:18], v[19:20], s[2:3], -v[21:22]
	v_add_f64 v[11:12], v[13:14], -v[11:12]
	v_fma_f64 v[13:14], v[19:20], s[4:5], v[17:18]
	v_add_f64 v[9:10], v[9:10], v[11:12]
	v_add_f64 v[11:12], v[21:22], v[13:14]
	;; [unrolled: 1-line block ×3, first 2 shown]
	v_add_f64 v[21:22], v[11:12], -v[21:22]
	v_add_f64 v[19:20], v[11:12], v[17:18]
	v_add_f64 v[15:16], v[17:18], -v[15:16]
	v_add_f64 v[13:14], v[13:14], -v[21:22]
	;; [unrolled: 1-line block ×6, first 2 shown]
	v_add_f64 v[17:18], v[13:14], v[9:10]
	v_add_f64 v[11:12], v[11:12], -v[25:26]
	v_add_f64 v[11:12], v[15:16], v[11:12]
	v_add_f64 v[15:16], v[17:18], -v[13:14]
	;; [unrolled: 2-line block ×3, first 2 shown]
	v_add_f64 v[9:10], v[9:10], -v[15:16]
	v_add_f64 v[21:22], v[19:20], v[11:12]
	v_add_f64 v[13:14], v[13:14], -v[17:18]
	v_add_f64 v[15:16], v[21:22], -v[19:20]
	v_add_f64 v[9:10], v[9:10], v[13:14]
	v_add_f64 v[11:12], v[11:12], -v[15:16]
	v_add_f64 v[9:10], v[9:10], v[11:12]
	v_add_f64 v[9:10], v[21:22], v[9:10]
	v_cndmask_b32_e64 v9, v9, v6, s0
	v_cndmask_b32_e64 v10, v10, v7, s0
	v_cmp_ngt_f64_e64 s0, 0, v[6:7]
	v_cndmask_b32_e64 v10, 0x7ff80000, v10, s0
	v_cmp_nge_f64_e64 s0, 0, v[6:7]
	v_cndmask_b32_e64 v9, 0, v9, s0
	v_cmp_neq_f64_e64 s0, 0, v[6:7]
	v_cndmask_b32_e64 v10, 0xfff00000, v10, s0
	v_add_f64 v[4:5], v[4:5], -v[9:10]
	global_store_dwordx2 v[0:1], v[4:5], off
.LBB0_7:
	s_or_b32 exec_lo, exec_lo, s6
	v_cmp_ne_u32_e64 s0, 1, v8
	s_and_b32 s0, s0, vcc_lo
	s_and_b32 exec_lo, exec_lo, s0
	s_cbranch_execz .LBB0_9
; %bb.8:
	s_waitcnt vmcnt(0)
	v_add_f64 v[2:3], v[2:3], -v[2:3]
	s_mov_b32 s0, 0x652b82fe
	s_mov_b32 s1, 0x3ff71547
	;; [unrolled: 1-line block ×11, first 2 shown]
	v_mul_f64 v[4:5], v[2:3], s[0:1]
	s_mov_b32 s0, 0xfca7ab0c
	s_mov_b32 s1, 0x3e928af3
	v_cmp_nlt_f64_e32 vcc_lo, 0x40900000, v[2:3]
	v_rndne_f64_e32 v[4:5], v[4:5]
	v_fma_f64 v[6:7], v[4:5], s[2:3], v[2:3]
	v_cvt_i32_f64_e32 v10, v[4:5]
	s_mov_b32 s3, 0x3fe62e42
	v_fma_f64 v[6:7], v[4:5], s[4:5], v[6:7]
	s_mov_b32 s5, 0x3c7abc9e
	v_fma_f64 v[8:9], v[6:7], s[6:7], s[0:1]
	s_mov_b32 s0, 0x623fde64
	s_mov_b32 s1, 0x3ec71dee
	;; [unrolled: 1-line block ×4, first 2 shown]
	v_fma_f64 v[8:9], v[6:7], v[8:9], s[0:1]
	s_mov_b32 s0, 0x7c89e6b0
	s_mov_b32 s1, 0x3efa0199
	v_fma_f64 v[8:9], v[6:7], v[8:9], s[0:1]
	s_mov_b32 s0, 0x14761f6e
	s_mov_b32 s1, 0x3f2a01a0
	;; [unrolled: 3-line block ×7, first 2 shown]
	v_fma_f64 v[8:9], v[6:7], v[8:9], s[0:1]
	v_cmp_ngt_f64_e64 s0, 0xc090cc00, v[2:3]
	s_mov_b32 s1, 0x3fe55555
	v_fma_f64 v[8:9], v[6:7], v[8:9], 1.0
	v_fma_f64 v[4:5], v[6:7], v[8:9], 1.0
	v_ldexp_f64 v[4:5], v[4:5], v10
	v_add_f64 v[4:5], v[4:5], 0
	v_cndmask_b32_e32 v5, 0x7ff00000, v5, vcc_lo
	s_and_b32 vcc_lo, s0, vcc_lo
	v_cndmask_b32_e32 v4, 0, v4, vcc_lo
	v_cndmask_b32_e64 v5, 0, v5, s0
	s_mov_b32 s0, 0x55555555
	v_frexp_mant_f64_e32 v[6:7], v[4:5]
	v_frexp_exp_i32_f64_e32 v8, v[4:5]
	v_cmp_gt_f64_e32 vcc_lo, s[0:1], v[6:7]
	s_mov_b32 s0, 0x55555780
	v_subrev_co_ci_u32_e64 v20, null, 0, v8, vcc_lo
	v_cndmask_b32_e64 v8, 0, 1, vcc_lo
	v_cmp_class_f64_e64 vcc_lo, v[4:5], 0x204
	v_ldexp_f64 v[6:7], v[6:7], v8
	v_add_f64 v[8:9], v[6:7], 1.0
	v_add_f64 v[14:15], v[6:7], -1.0
	v_rcp_f64_e32 v[10:11], v[8:9]
	v_add_f64 v[16:17], v[8:9], -1.0
	v_add_f64 v[6:7], v[6:7], -v[16:17]
	v_fma_f64 v[12:13], -v[8:9], v[10:11], 1.0
	v_fma_f64 v[10:11], v[12:13], v[10:11], v[10:11]
	v_fma_f64 v[12:13], -v[8:9], v[10:11], 1.0
	v_fma_f64 v[10:11], v[12:13], v[10:11], v[10:11]
	v_mul_f64 v[12:13], v[14:15], v[10:11]
	v_mul_f64 v[18:19], v[8:9], v[12:13]
	v_fma_f64 v[8:9], v[12:13], v[8:9], -v[18:19]
	v_fma_f64 v[6:7], v[12:13], v[6:7], v[8:9]
	v_add_f64 v[8:9], v[18:19], v[6:7]
	v_add_f64 v[16:17], v[14:15], -v[8:9]
	v_add_f64 v[18:19], v[8:9], -v[18:19]
	;; [unrolled: 1-line block ×5, first 2 shown]
	v_add_f64 v[6:7], v[6:7], v[8:9]
	v_add_f64 v[6:7], v[16:17], v[6:7]
	v_mul_f64 v[6:7], v[10:11], v[6:7]
	v_add_f64 v[8:9], v[12:13], v[6:7]
	v_mul_f64 v[10:11], v[8:9], v[8:9]
	v_fma_f64 v[14:15], v[10:11], s[8:9], s[6:7]
	s_mov_b32 s6, 0xd7f4df2e
	s_mov_b32 s7, 0x3fc7474d
	v_mul_f64 v[16:17], v[8:9], v[10:11]
	v_fma_f64 v[14:15], v[10:11], v[14:15], s[6:7]
	s_mov_b32 s6, 0x16291751
	s_mov_b32 s7, 0x3fcc71c0
	v_fma_f64 v[14:15], v[10:11], v[14:15], s[6:7]
	s_mov_b32 s6, 0x9b27acf1
	s_mov_b32 s7, 0x3fd24924
	;; [unrolled: 3-line block ×3, first 2 shown]
	v_fma_f64 v[14:15], v[10:11], v[14:15], s[6:7]
	v_fma_f64 v[10:11], v[10:11], v[14:15], s[0:1]
	v_ldexp_f64 v[14:15], v[8:9], 1
	v_add_f64 v[8:9], v[8:9], -v[12:13]
	s_lshl_b64 s[0:1], s[14:15], 3
	v_mul_f64 v[10:11], v[16:17], v[10:11]
	v_cvt_f64_i32_e32 v[16:17], v20
	v_add_f64 v[6:7], v[6:7], -v[8:9]
	v_add_f64 v[12:13], v[14:15], v[10:11]
	v_mul_f64 v[18:19], v[16:17], s[2:3]
	v_ldexp_f64 v[6:7], v[6:7], 1
	v_add_f64 v[8:9], v[12:13], -v[14:15]
	v_fma_f64 v[14:15], v[16:17], s[2:3], -v[18:19]
	v_add_f64 v[8:9], v[10:11], -v[8:9]
	v_fma_f64 v[10:11], v[16:17], s[4:5], v[14:15]
	v_add_f64 v[6:7], v[6:7], v[8:9]
	v_add_f64 v[8:9], v[18:19], v[10:11]
	v_add_f64 v[14:15], v[12:13], v[6:7]
	v_add_f64 v[18:19], v[8:9], -v[18:19]
	v_add_f64 v[16:17], v[8:9], v[14:15]
	v_add_f64 v[12:13], v[14:15], -v[12:13]
	v_add_f64 v[10:11], v[10:11], -v[18:19]
	;; [unrolled: 1-line block ×6, first 2 shown]
	v_add_f64 v[14:15], v[10:11], v[6:7]
	v_add_f64 v[8:9], v[8:9], -v[22:23]
	v_add_f64 v[8:9], v[12:13], v[8:9]
	v_add_f64 v[12:13], v[14:15], -v[10:11]
	;; [unrolled: 2-line block ×3, first 2 shown]
	v_add_f64 v[6:7], v[6:7], -v[12:13]
	v_add_f64 v[18:19], v[16:17], v[8:9]
	v_add_f64 v[10:11], v[10:11], -v[14:15]
	v_add_f64 v[12:13], v[18:19], -v[16:17]
	v_add_f64 v[6:7], v[6:7], v[10:11]
	v_add_f64 v[8:9], v[8:9], -v[12:13]
	v_add_f64 v[6:7], v[6:7], v[8:9]
	v_add_f64 v[6:7], v[18:19], v[6:7]
	v_cndmask_b32_e32 v6, v6, v4, vcc_lo
	v_cndmask_b32_e32 v7, v7, v5, vcc_lo
	v_cmp_ngt_f64_e32 vcc_lo, 0, v[4:5]
	v_cndmask_b32_e32 v7, 0x7ff80000, v7, vcc_lo
	v_cmp_nge_f64_e32 vcc_lo, 0, v[4:5]
	v_cndmask_b32_e32 v6, 0, v6, vcc_lo
	v_cmp_neq_f64_e32 vcc_lo, 0, v[4:5]
	v_cndmask_b32_e32 v7, 0xfff00000, v7, vcc_lo
	v_add_co_u32 v0, vcc_lo, v0, s0
	v_add_co_ci_u32_e64 v1, null, s1, v1, vcc_lo
	v_add_f64 v[2:3], v[2:3], -v[6:7]
	global_store_dwordx2 v[0:1], v[2:3], off
.LBB0_9:
	s_endpgm
	.section	.rodata,"a",@progbits
	.p2align	6, 0x0
	.amdhsa_kernel _ZN12_GLOBAL__N_120softmax_warp_forwardIdddLi0ELb1ELb0ELi64EEEvPT0_PKT_iiiPKbib
		.amdhsa_group_segment_fixed_size 0
		.amdhsa_private_segment_fixed_size 0
		.amdhsa_kernarg_size 304
		.amdhsa_user_sgpr_count 6
		.amdhsa_user_sgpr_private_segment_buffer 1
		.amdhsa_user_sgpr_dispatch_ptr 0
		.amdhsa_user_sgpr_queue_ptr 0
		.amdhsa_user_sgpr_kernarg_segment_ptr 1
		.amdhsa_user_sgpr_dispatch_id 0
		.amdhsa_user_sgpr_flat_scratch_init 0
		.amdhsa_user_sgpr_private_segment_size 0
		.amdhsa_wavefront_size32 1
		.amdhsa_uses_dynamic_stack 0
		.amdhsa_system_sgpr_private_segment_wavefront_offset 0
		.amdhsa_system_sgpr_workgroup_id_x 1
		.amdhsa_system_sgpr_workgroup_id_y 0
		.amdhsa_system_sgpr_workgroup_id_z 0
		.amdhsa_system_sgpr_workgroup_info 0
		.amdhsa_system_vgpr_workitem_id 1
		.amdhsa_next_free_vgpr 27
		.amdhsa_next_free_sgpr 16
		.amdhsa_reserve_vcc 1
		.amdhsa_reserve_flat_scratch 0
		.amdhsa_float_round_mode_32 0
		.amdhsa_float_round_mode_16_64 0
		.amdhsa_float_denorm_mode_32 3
		.amdhsa_float_denorm_mode_16_64 3
		.amdhsa_dx10_clamp 1
		.amdhsa_ieee_mode 1
		.amdhsa_fp16_overflow 0
		.amdhsa_workgroup_processor_mode 1
		.amdhsa_memory_ordered 1
		.amdhsa_forward_progress 1
		.amdhsa_shared_vgpr_count 0
		.amdhsa_exception_fp_ieee_invalid_op 0
		.amdhsa_exception_fp_denorm_src 0
		.amdhsa_exception_fp_ieee_div_zero 0
		.amdhsa_exception_fp_ieee_overflow 0
		.amdhsa_exception_fp_ieee_underflow 0
		.amdhsa_exception_fp_ieee_inexact 0
		.amdhsa_exception_int_div_zero 0
	.end_amdhsa_kernel
	.section	.text._ZN12_GLOBAL__N_120softmax_warp_forwardIdddLi0ELb1ELb0ELi64EEEvPT0_PKT_iiiPKbib,"axG",@progbits,_ZN12_GLOBAL__N_120softmax_warp_forwardIdddLi0ELb1ELb0ELi64EEEvPT0_PKT_iiiPKbib,comdat
.Lfunc_end0:
	.size	_ZN12_GLOBAL__N_120softmax_warp_forwardIdddLi0ELb1ELb0ELi64EEEvPT0_PKT_iiiPKbib, .Lfunc_end0-_ZN12_GLOBAL__N_120softmax_warp_forwardIdddLi0ELb1ELb0ELi64EEEvPT0_PKT_iiiPKbib
                                        ; -- End function
	.set _ZN12_GLOBAL__N_120softmax_warp_forwardIdddLi0ELb1ELb0ELi64EEEvPT0_PKT_iiiPKbib.num_vgpr, 27
	.set _ZN12_GLOBAL__N_120softmax_warp_forwardIdddLi0ELb1ELb0ELi64EEEvPT0_PKT_iiiPKbib.num_agpr, 0
	.set _ZN12_GLOBAL__N_120softmax_warp_forwardIdddLi0ELb1ELb0ELi64EEEvPT0_PKT_iiiPKbib.numbered_sgpr, 16
	.set _ZN12_GLOBAL__N_120softmax_warp_forwardIdddLi0ELb1ELb0ELi64EEEvPT0_PKT_iiiPKbib.num_named_barrier, 0
	.set _ZN12_GLOBAL__N_120softmax_warp_forwardIdddLi0ELb1ELb0ELi64EEEvPT0_PKT_iiiPKbib.private_seg_size, 0
	.set _ZN12_GLOBAL__N_120softmax_warp_forwardIdddLi0ELb1ELb0ELi64EEEvPT0_PKT_iiiPKbib.uses_vcc, 1
	.set _ZN12_GLOBAL__N_120softmax_warp_forwardIdddLi0ELb1ELb0ELi64EEEvPT0_PKT_iiiPKbib.uses_flat_scratch, 0
	.set _ZN12_GLOBAL__N_120softmax_warp_forwardIdddLi0ELb1ELb0ELi64EEEvPT0_PKT_iiiPKbib.has_dyn_sized_stack, 0
	.set _ZN12_GLOBAL__N_120softmax_warp_forwardIdddLi0ELb1ELb0ELi64EEEvPT0_PKT_iiiPKbib.has_recursion, 0
	.set _ZN12_GLOBAL__N_120softmax_warp_forwardIdddLi0ELb1ELb0ELi64EEEvPT0_PKT_iiiPKbib.has_indirect_call, 0
	.section	.AMDGPU.csdata,"",@progbits
; Kernel info:
; codeLenInByte = 2680
; TotalNumSgprs: 18
; NumVgprs: 27
; ScratchSize: 0
; MemoryBound: 1
; FloatMode: 240
; IeeeMode: 1
; LDSByteSize: 0 bytes/workgroup (compile time only)
; SGPRBlocks: 0
; VGPRBlocks: 3
; NumSGPRsForWavesPerEU: 18
; NumVGPRsForWavesPerEU: 27
; Occupancy: 16
; WaveLimiterHint : 0
; COMPUTE_PGM_RSRC2:SCRATCH_EN: 0
; COMPUTE_PGM_RSRC2:USER_SGPR: 6
; COMPUTE_PGM_RSRC2:TRAP_HANDLER: 0
; COMPUTE_PGM_RSRC2:TGID_X_EN: 1
; COMPUTE_PGM_RSRC2:TGID_Y_EN: 0
; COMPUTE_PGM_RSRC2:TGID_Z_EN: 0
; COMPUTE_PGM_RSRC2:TIDIG_COMP_CNT: 1
	.section	.text._ZN12_GLOBAL__N_120softmax_warp_forwardIdddLi0ELb1ELb0ELi32EEEvPT0_PKT_iiiPKbib,"axG",@progbits,_ZN12_GLOBAL__N_120softmax_warp_forwardIdddLi0ELb1ELb0ELi32EEEvPT0_PKT_iiiPKbib,comdat
	.globl	_ZN12_GLOBAL__N_120softmax_warp_forwardIdddLi0ELb1ELb0ELi32EEEvPT0_PKT_iiiPKbib ; -- Begin function _ZN12_GLOBAL__N_120softmax_warp_forwardIdddLi0ELb1ELb0ELi32EEEvPT0_PKT_iiiPKbib
	.p2align	8
	.type	_ZN12_GLOBAL__N_120softmax_warp_forwardIdddLi0ELb1ELb0ELi32EEEvPT0_PKT_iiiPKbib,@function
_ZN12_GLOBAL__N_120softmax_warp_forwardIdddLi0ELb1ELb0ELi32EEEvPT0_PKT_iiiPKbib: ; @_ZN12_GLOBAL__N_120softmax_warp_forwardIdddLi0ELb1ELb0ELi32EEEvPT0_PKT_iiiPKbib
; %bb.0:
	s_clause 0x1
	s_load_dword s0, s[4:5], 0x3c
	s_load_dwordx8 s[8:15], s[4:5], 0x0
	v_mov_b32_e32 v6, 0
	v_mov_b32_e32 v7, 0xfff00000
	s_waitcnt lgkmcnt(0)
	s_lshr_b32 s0, s0, 16
	v_cmp_gt_i32_e32 vcc_lo, s14, v0
	s_and_b32 s0, s0, 0xffff
	s_mul_i32 s6, s6, s0
	v_add_lshl_u32 v3, s6, v1, 1
	v_mad_u64_u32 v[1:2], null, v3, s13, v[0:1]
	v_sub_nc_u32_e32 v8, s12, v3
	v_cmp_lt_i32_e64 s0, 0, v8
	v_ashrrev_i32_e32 v2, 31, v1
	s_and_b32 s2, vcc_lo, s0
	v_lshlrev_b64 v[4:5], 3, v[1:2]
	v_mov_b32_e32 v2, 0
	v_mov_b32_e32 v3, 0xfff00000
	v_add_co_u32 v0, s1, s10, v4
	v_add_co_ci_u32_e64 v1, null, s11, v5, s1
	s_and_saveexec_b32 s1, s2
	s_cbranch_execz .LBB1_2
; %bb.1:
	global_load_dwordx2 v[6:7], v[0:1], off
.LBB1_2:
	s_or_b32 exec_lo, exec_lo, s1
	v_cmp_lt_i32_e64 s1, 1, v8
	s_and_b32 s1, vcc_lo, s1
	s_and_saveexec_b32 s2, s1
	s_cbranch_execz .LBB1_4
; %bb.3:
	s_mov_b32 s15, 0
	s_lshl_b64 s[4:5], s[14:15], 3
	v_add_co_u32 v0, s1, v0, s4
	v_add_co_ci_u32_e64 v1, null, s5, v1, s1
	global_load_dwordx2 v[2:3], v[0:1], off
.LBB1_4:
	s_or_b32 exec_lo, exec_lo, s2
	s_and_saveexec_b32 s1, s0
	s_cbranch_execz .LBB1_9
; %bb.5:
	v_add_co_u32 v0, s0, s8, v4
	v_add_co_ci_u32_e64 v1, null, s9, v5, s0
	s_and_saveexec_b32 s6, vcc_lo
	s_cbranch_execz .LBB1_7
; %bb.6:
	s_waitcnt vmcnt(0)
	v_add_f64 v[4:5], v[6:7], -v[6:7]
	s_mov_b32 s0, 0x652b82fe
	s_mov_b32 s1, 0x3ff71547
	;; [unrolled: 1-line block ×10, first 2 shown]
	v_mul_f64 v[6:7], v[4:5], s[0:1]
	s_mov_b32 s0, 0xfca7ab0c
	s_mov_b32 s1, 0x3e928af3
	v_rndne_f64_e32 v[6:7], v[6:7]
	v_fma_f64 v[9:10], v[6:7], s[2:3], v[4:5]
	v_cvt_i32_f64_e32 v13, v[6:7]
	s_mov_b32 s3, 0x3fe62e42
	v_fma_f64 v[9:10], v[6:7], s[4:5], v[9:10]
	s_mov_b32 s5, 0x3c7abc9e
	v_fma_f64 v[11:12], v[9:10], s[8:9], s[0:1]
	s_mov_b32 s0, 0x623fde64
	s_mov_b32 s1, 0x3ec71dee
	;; [unrolled: 1-line block ×4, first 2 shown]
	v_fma_f64 v[11:12], v[9:10], v[11:12], s[0:1]
	s_mov_b32 s0, 0x7c89e6b0
	s_mov_b32 s1, 0x3efa0199
	v_fma_f64 v[11:12], v[9:10], v[11:12], s[0:1]
	s_mov_b32 s0, 0x14761f6e
	s_mov_b32 s1, 0x3f2a01a0
	;; [unrolled: 3-line block ×7, first 2 shown]
	v_fma_f64 v[11:12], v[9:10], v[11:12], s[0:1]
	v_cmp_nlt_f64_e64 s0, 0x40900000, v[4:5]
	v_cmp_ngt_f64_e64 s1, 0xc090cc00, v[4:5]
	v_fma_f64 v[11:12], v[9:10], v[11:12], 1.0
	v_fma_f64 v[6:7], v[9:10], v[11:12], 1.0
	v_ldexp_f64 v[6:7], v[6:7], v13
	v_add_f64 v[6:7], v[6:7], 0
	v_cndmask_b32_e64 v7, 0x7ff00000, v7, s0
	s_and_b32 s0, s1, s0
	v_cndmask_b32_e64 v6, 0, v6, s0
	s_mov_b32 s0, 0x55555555
	v_cndmask_b32_e64 v7, 0, v7, s1
	s_mov_b32 s1, 0x3fe55555
	v_frexp_mant_f64_e32 v[9:10], v[6:7]
	v_frexp_exp_i32_f64_e32 v11, v[6:7]
	v_cmp_gt_f64_e64 s0, s[0:1], v[9:10]
	v_subrev_co_ci_u32_e64 v23, null, 0, v11, s0
	v_cndmask_b32_e64 v11, 0, 1, s0
	s_mov_b32 s0, 0x55555780
	v_ldexp_f64 v[9:10], v[9:10], v11
	v_add_f64 v[11:12], v[9:10], 1.0
	v_add_f64 v[17:18], v[9:10], -1.0
	v_rcp_f64_e32 v[13:14], v[11:12]
	v_add_f64 v[19:20], v[11:12], -1.0
	v_add_f64 v[9:10], v[9:10], -v[19:20]
	v_fma_f64 v[15:16], -v[11:12], v[13:14], 1.0
	v_fma_f64 v[13:14], v[15:16], v[13:14], v[13:14]
	v_fma_f64 v[15:16], -v[11:12], v[13:14], 1.0
	v_fma_f64 v[13:14], v[15:16], v[13:14], v[13:14]
	v_mul_f64 v[15:16], v[17:18], v[13:14]
	v_mul_f64 v[21:22], v[11:12], v[15:16]
	v_fma_f64 v[11:12], v[15:16], v[11:12], -v[21:22]
	v_fma_f64 v[9:10], v[15:16], v[9:10], v[11:12]
	v_add_f64 v[11:12], v[21:22], v[9:10]
	v_add_f64 v[19:20], v[17:18], -v[11:12]
	v_add_f64 v[21:22], v[11:12], -v[21:22]
	;; [unrolled: 1-line block ×5, first 2 shown]
	v_add_f64 v[9:10], v[9:10], v[11:12]
	v_add_f64 v[9:10], v[19:20], v[9:10]
	v_mul_f64 v[9:10], v[13:14], v[9:10]
	v_add_f64 v[11:12], v[15:16], v[9:10]
	v_mul_f64 v[13:14], v[11:12], v[11:12]
	v_fma_f64 v[17:18], v[13:14], s[10:11], s[8:9]
	s_mov_b32 s8, 0xd7f4df2e
	s_mov_b32 s9, 0x3fc7474d
	v_mul_f64 v[19:20], v[11:12], v[13:14]
	v_fma_f64 v[17:18], v[13:14], v[17:18], s[8:9]
	s_mov_b32 s8, 0x16291751
	s_mov_b32 s9, 0x3fcc71c0
	v_fma_f64 v[17:18], v[13:14], v[17:18], s[8:9]
	s_mov_b32 s8, 0x9b27acf1
	s_mov_b32 s9, 0x3fd24924
	;; [unrolled: 3-line block ×3, first 2 shown]
	v_fma_f64 v[17:18], v[13:14], v[17:18], s[8:9]
	v_fma_f64 v[13:14], v[13:14], v[17:18], s[0:1]
	v_ldexp_f64 v[17:18], v[11:12], 1
	v_add_f64 v[11:12], v[11:12], -v[15:16]
	v_cmp_class_f64_e64 s0, v[6:7], 0x204
	v_mul_f64 v[13:14], v[19:20], v[13:14]
	v_cvt_f64_i32_e32 v[19:20], v23
	v_add_f64 v[9:10], v[9:10], -v[11:12]
	v_add_f64 v[15:16], v[17:18], v[13:14]
	v_mul_f64 v[21:22], v[19:20], s[2:3]
	v_ldexp_f64 v[9:10], v[9:10], 1
	v_add_f64 v[11:12], v[15:16], -v[17:18]
	v_fma_f64 v[17:18], v[19:20], s[2:3], -v[21:22]
	v_add_f64 v[11:12], v[13:14], -v[11:12]
	v_fma_f64 v[13:14], v[19:20], s[4:5], v[17:18]
	v_add_f64 v[9:10], v[9:10], v[11:12]
	v_add_f64 v[11:12], v[21:22], v[13:14]
	v_add_f64 v[17:18], v[15:16], v[9:10]
	v_add_f64 v[21:22], v[11:12], -v[21:22]
	v_add_f64 v[19:20], v[11:12], v[17:18]
	v_add_f64 v[15:16], v[17:18], -v[15:16]
	v_add_f64 v[13:14], v[13:14], -v[21:22]
	;; [unrolled: 1-line block ×6, first 2 shown]
	v_add_f64 v[17:18], v[13:14], v[9:10]
	v_add_f64 v[11:12], v[11:12], -v[25:26]
	v_add_f64 v[11:12], v[15:16], v[11:12]
	v_add_f64 v[15:16], v[17:18], -v[13:14]
	;; [unrolled: 2-line block ×3, first 2 shown]
	v_add_f64 v[9:10], v[9:10], -v[15:16]
	v_add_f64 v[21:22], v[19:20], v[11:12]
	v_add_f64 v[13:14], v[13:14], -v[17:18]
	v_add_f64 v[15:16], v[21:22], -v[19:20]
	v_add_f64 v[9:10], v[9:10], v[13:14]
	v_add_f64 v[11:12], v[11:12], -v[15:16]
	v_add_f64 v[9:10], v[9:10], v[11:12]
	v_add_f64 v[9:10], v[21:22], v[9:10]
	v_cndmask_b32_e64 v9, v9, v6, s0
	v_cndmask_b32_e64 v10, v10, v7, s0
	v_cmp_ngt_f64_e64 s0, 0, v[6:7]
	v_cndmask_b32_e64 v10, 0x7ff80000, v10, s0
	v_cmp_nge_f64_e64 s0, 0, v[6:7]
	v_cndmask_b32_e64 v9, 0, v9, s0
	v_cmp_neq_f64_e64 s0, 0, v[6:7]
	v_cndmask_b32_e64 v10, 0xfff00000, v10, s0
	v_add_f64 v[4:5], v[4:5], -v[9:10]
	global_store_dwordx2 v[0:1], v[4:5], off
.LBB1_7:
	s_or_b32 exec_lo, exec_lo, s6
	v_cmp_ne_u32_e64 s0, 1, v8
	s_and_b32 s0, s0, vcc_lo
	s_and_b32 exec_lo, exec_lo, s0
	s_cbranch_execz .LBB1_9
; %bb.8:
	s_waitcnt vmcnt(0)
	v_add_f64 v[2:3], v[2:3], -v[2:3]
	s_mov_b32 s0, 0x652b82fe
	s_mov_b32 s1, 0x3ff71547
	;; [unrolled: 1-line block ×11, first 2 shown]
	v_mul_f64 v[4:5], v[2:3], s[0:1]
	s_mov_b32 s0, 0xfca7ab0c
	s_mov_b32 s1, 0x3e928af3
	v_cmp_nlt_f64_e32 vcc_lo, 0x40900000, v[2:3]
	v_rndne_f64_e32 v[4:5], v[4:5]
	v_fma_f64 v[6:7], v[4:5], s[2:3], v[2:3]
	v_cvt_i32_f64_e32 v10, v[4:5]
	s_mov_b32 s3, 0x3fe62e42
	v_fma_f64 v[6:7], v[4:5], s[4:5], v[6:7]
	s_mov_b32 s5, 0x3c7abc9e
	v_fma_f64 v[8:9], v[6:7], s[6:7], s[0:1]
	s_mov_b32 s0, 0x623fde64
	s_mov_b32 s1, 0x3ec71dee
	;; [unrolled: 1-line block ×4, first 2 shown]
	v_fma_f64 v[8:9], v[6:7], v[8:9], s[0:1]
	s_mov_b32 s0, 0x7c89e6b0
	s_mov_b32 s1, 0x3efa0199
	v_fma_f64 v[8:9], v[6:7], v[8:9], s[0:1]
	s_mov_b32 s0, 0x14761f6e
	s_mov_b32 s1, 0x3f2a01a0
	;; [unrolled: 3-line block ×7, first 2 shown]
	v_fma_f64 v[8:9], v[6:7], v[8:9], s[0:1]
	v_cmp_ngt_f64_e64 s0, 0xc090cc00, v[2:3]
	s_mov_b32 s1, 0x3fe55555
	v_fma_f64 v[8:9], v[6:7], v[8:9], 1.0
	v_fma_f64 v[4:5], v[6:7], v[8:9], 1.0
	v_ldexp_f64 v[4:5], v[4:5], v10
	v_add_f64 v[4:5], v[4:5], 0
	v_cndmask_b32_e32 v5, 0x7ff00000, v5, vcc_lo
	s_and_b32 vcc_lo, s0, vcc_lo
	v_cndmask_b32_e32 v4, 0, v4, vcc_lo
	v_cndmask_b32_e64 v5, 0, v5, s0
	s_mov_b32 s0, 0x55555555
	v_frexp_mant_f64_e32 v[6:7], v[4:5]
	v_frexp_exp_i32_f64_e32 v8, v[4:5]
	v_cmp_gt_f64_e32 vcc_lo, s[0:1], v[6:7]
	s_mov_b32 s0, 0x55555780
	v_subrev_co_ci_u32_e64 v20, null, 0, v8, vcc_lo
	v_cndmask_b32_e64 v8, 0, 1, vcc_lo
	v_cmp_class_f64_e64 vcc_lo, v[4:5], 0x204
	v_ldexp_f64 v[6:7], v[6:7], v8
	v_add_f64 v[8:9], v[6:7], 1.0
	v_add_f64 v[14:15], v[6:7], -1.0
	v_rcp_f64_e32 v[10:11], v[8:9]
	v_add_f64 v[16:17], v[8:9], -1.0
	v_add_f64 v[6:7], v[6:7], -v[16:17]
	v_fma_f64 v[12:13], -v[8:9], v[10:11], 1.0
	v_fma_f64 v[10:11], v[12:13], v[10:11], v[10:11]
	v_fma_f64 v[12:13], -v[8:9], v[10:11], 1.0
	v_fma_f64 v[10:11], v[12:13], v[10:11], v[10:11]
	v_mul_f64 v[12:13], v[14:15], v[10:11]
	v_mul_f64 v[18:19], v[8:9], v[12:13]
	v_fma_f64 v[8:9], v[12:13], v[8:9], -v[18:19]
	v_fma_f64 v[6:7], v[12:13], v[6:7], v[8:9]
	v_add_f64 v[8:9], v[18:19], v[6:7]
	v_add_f64 v[16:17], v[14:15], -v[8:9]
	v_add_f64 v[18:19], v[8:9], -v[18:19]
	;; [unrolled: 1-line block ×5, first 2 shown]
	v_add_f64 v[6:7], v[6:7], v[8:9]
	v_add_f64 v[6:7], v[16:17], v[6:7]
	v_mul_f64 v[6:7], v[10:11], v[6:7]
	v_add_f64 v[8:9], v[12:13], v[6:7]
	v_mul_f64 v[10:11], v[8:9], v[8:9]
	v_fma_f64 v[14:15], v[10:11], s[8:9], s[6:7]
	s_mov_b32 s6, 0xd7f4df2e
	s_mov_b32 s7, 0x3fc7474d
	v_mul_f64 v[16:17], v[8:9], v[10:11]
	v_fma_f64 v[14:15], v[10:11], v[14:15], s[6:7]
	s_mov_b32 s6, 0x16291751
	s_mov_b32 s7, 0x3fcc71c0
	v_fma_f64 v[14:15], v[10:11], v[14:15], s[6:7]
	s_mov_b32 s6, 0x9b27acf1
	s_mov_b32 s7, 0x3fd24924
	;; [unrolled: 3-line block ×3, first 2 shown]
	v_fma_f64 v[14:15], v[10:11], v[14:15], s[6:7]
	v_fma_f64 v[10:11], v[10:11], v[14:15], s[0:1]
	v_ldexp_f64 v[14:15], v[8:9], 1
	v_add_f64 v[8:9], v[8:9], -v[12:13]
	s_lshl_b64 s[0:1], s[14:15], 3
	v_mul_f64 v[10:11], v[16:17], v[10:11]
	v_cvt_f64_i32_e32 v[16:17], v20
	v_add_f64 v[6:7], v[6:7], -v[8:9]
	v_add_f64 v[12:13], v[14:15], v[10:11]
	v_mul_f64 v[18:19], v[16:17], s[2:3]
	v_ldexp_f64 v[6:7], v[6:7], 1
	v_add_f64 v[8:9], v[12:13], -v[14:15]
	v_fma_f64 v[14:15], v[16:17], s[2:3], -v[18:19]
	v_add_f64 v[8:9], v[10:11], -v[8:9]
	v_fma_f64 v[10:11], v[16:17], s[4:5], v[14:15]
	v_add_f64 v[6:7], v[6:7], v[8:9]
	v_add_f64 v[8:9], v[18:19], v[10:11]
	;; [unrolled: 1-line block ×3, first 2 shown]
	v_add_f64 v[18:19], v[8:9], -v[18:19]
	v_add_f64 v[16:17], v[8:9], v[14:15]
	v_add_f64 v[12:13], v[14:15], -v[12:13]
	v_add_f64 v[10:11], v[10:11], -v[18:19]
	;; [unrolled: 1-line block ×6, first 2 shown]
	v_add_f64 v[14:15], v[10:11], v[6:7]
	v_add_f64 v[8:9], v[8:9], -v[22:23]
	v_add_f64 v[8:9], v[12:13], v[8:9]
	v_add_f64 v[12:13], v[14:15], -v[10:11]
	v_add_f64 v[8:9], v[14:15], v[8:9]
	v_add_f64 v[14:15], v[14:15], -v[12:13]
	v_add_f64 v[6:7], v[6:7], -v[12:13]
	v_add_f64 v[18:19], v[16:17], v[8:9]
	v_add_f64 v[10:11], v[10:11], -v[14:15]
	v_add_f64 v[12:13], v[18:19], -v[16:17]
	v_add_f64 v[6:7], v[6:7], v[10:11]
	v_add_f64 v[8:9], v[8:9], -v[12:13]
	v_add_f64 v[6:7], v[6:7], v[8:9]
	v_add_f64 v[6:7], v[18:19], v[6:7]
	v_cndmask_b32_e32 v6, v6, v4, vcc_lo
	v_cndmask_b32_e32 v7, v7, v5, vcc_lo
	v_cmp_ngt_f64_e32 vcc_lo, 0, v[4:5]
	v_cndmask_b32_e32 v7, 0x7ff80000, v7, vcc_lo
	v_cmp_nge_f64_e32 vcc_lo, 0, v[4:5]
	v_cndmask_b32_e32 v6, 0, v6, vcc_lo
	v_cmp_neq_f64_e32 vcc_lo, 0, v[4:5]
	v_cndmask_b32_e32 v7, 0xfff00000, v7, vcc_lo
	v_add_co_u32 v0, vcc_lo, v0, s0
	v_add_co_ci_u32_e64 v1, null, s1, v1, vcc_lo
	v_add_f64 v[2:3], v[2:3], -v[6:7]
	global_store_dwordx2 v[0:1], v[2:3], off
.LBB1_9:
	s_endpgm
	.section	.rodata,"a",@progbits
	.p2align	6, 0x0
	.amdhsa_kernel _ZN12_GLOBAL__N_120softmax_warp_forwardIdddLi0ELb1ELb0ELi32EEEvPT0_PKT_iiiPKbib
		.amdhsa_group_segment_fixed_size 0
		.amdhsa_private_segment_fixed_size 0
		.amdhsa_kernarg_size 304
		.amdhsa_user_sgpr_count 6
		.amdhsa_user_sgpr_private_segment_buffer 1
		.amdhsa_user_sgpr_dispatch_ptr 0
		.amdhsa_user_sgpr_queue_ptr 0
		.amdhsa_user_sgpr_kernarg_segment_ptr 1
		.amdhsa_user_sgpr_dispatch_id 0
		.amdhsa_user_sgpr_flat_scratch_init 0
		.amdhsa_user_sgpr_private_segment_size 0
		.amdhsa_wavefront_size32 1
		.amdhsa_uses_dynamic_stack 0
		.amdhsa_system_sgpr_private_segment_wavefront_offset 0
		.amdhsa_system_sgpr_workgroup_id_x 1
		.amdhsa_system_sgpr_workgroup_id_y 0
		.amdhsa_system_sgpr_workgroup_id_z 0
		.amdhsa_system_sgpr_workgroup_info 0
		.amdhsa_system_vgpr_workitem_id 1
		.amdhsa_next_free_vgpr 27
		.amdhsa_next_free_sgpr 16
		.amdhsa_reserve_vcc 1
		.amdhsa_reserve_flat_scratch 0
		.amdhsa_float_round_mode_32 0
		.amdhsa_float_round_mode_16_64 0
		.amdhsa_float_denorm_mode_32 3
		.amdhsa_float_denorm_mode_16_64 3
		.amdhsa_dx10_clamp 1
		.amdhsa_ieee_mode 1
		.amdhsa_fp16_overflow 0
		.amdhsa_workgroup_processor_mode 1
		.amdhsa_memory_ordered 1
		.amdhsa_forward_progress 1
		.amdhsa_shared_vgpr_count 0
		.amdhsa_exception_fp_ieee_invalid_op 0
		.amdhsa_exception_fp_denorm_src 0
		.amdhsa_exception_fp_ieee_div_zero 0
		.amdhsa_exception_fp_ieee_overflow 0
		.amdhsa_exception_fp_ieee_underflow 0
		.amdhsa_exception_fp_ieee_inexact 0
		.amdhsa_exception_int_div_zero 0
	.end_amdhsa_kernel
	.section	.text._ZN12_GLOBAL__N_120softmax_warp_forwardIdddLi0ELb1ELb0ELi32EEEvPT0_PKT_iiiPKbib,"axG",@progbits,_ZN12_GLOBAL__N_120softmax_warp_forwardIdddLi0ELb1ELb0ELi32EEEvPT0_PKT_iiiPKbib,comdat
.Lfunc_end1:
	.size	_ZN12_GLOBAL__N_120softmax_warp_forwardIdddLi0ELb1ELb0ELi32EEEvPT0_PKT_iiiPKbib, .Lfunc_end1-_ZN12_GLOBAL__N_120softmax_warp_forwardIdddLi0ELb1ELb0ELi32EEEvPT0_PKT_iiiPKbib
                                        ; -- End function
	.set _ZN12_GLOBAL__N_120softmax_warp_forwardIdddLi0ELb1ELb0ELi32EEEvPT0_PKT_iiiPKbib.num_vgpr, 27
	.set _ZN12_GLOBAL__N_120softmax_warp_forwardIdddLi0ELb1ELb0ELi32EEEvPT0_PKT_iiiPKbib.num_agpr, 0
	.set _ZN12_GLOBAL__N_120softmax_warp_forwardIdddLi0ELb1ELb0ELi32EEEvPT0_PKT_iiiPKbib.numbered_sgpr, 16
	.set _ZN12_GLOBAL__N_120softmax_warp_forwardIdddLi0ELb1ELb0ELi32EEEvPT0_PKT_iiiPKbib.num_named_barrier, 0
	.set _ZN12_GLOBAL__N_120softmax_warp_forwardIdddLi0ELb1ELb0ELi32EEEvPT0_PKT_iiiPKbib.private_seg_size, 0
	.set _ZN12_GLOBAL__N_120softmax_warp_forwardIdddLi0ELb1ELb0ELi32EEEvPT0_PKT_iiiPKbib.uses_vcc, 1
	.set _ZN12_GLOBAL__N_120softmax_warp_forwardIdddLi0ELb1ELb0ELi32EEEvPT0_PKT_iiiPKbib.uses_flat_scratch, 0
	.set _ZN12_GLOBAL__N_120softmax_warp_forwardIdddLi0ELb1ELb0ELi32EEEvPT0_PKT_iiiPKbib.has_dyn_sized_stack, 0
	.set _ZN12_GLOBAL__N_120softmax_warp_forwardIdddLi0ELb1ELb0ELi32EEEvPT0_PKT_iiiPKbib.has_recursion, 0
	.set _ZN12_GLOBAL__N_120softmax_warp_forwardIdddLi0ELb1ELb0ELi32EEEvPT0_PKT_iiiPKbib.has_indirect_call, 0
	.section	.AMDGPU.csdata,"",@progbits
; Kernel info:
; codeLenInByte = 2680
; TotalNumSgprs: 18
; NumVgprs: 27
; ScratchSize: 0
; MemoryBound: 1
; FloatMode: 240
; IeeeMode: 1
; LDSByteSize: 0 bytes/workgroup (compile time only)
; SGPRBlocks: 0
; VGPRBlocks: 3
; NumSGPRsForWavesPerEU: 18
; NumVGPRsForWavesPerEU: 27
; Occupancy: 16
; WaveLimiterHint : 0
; COMPUTE_PGM_RSRC2:SCRATCH_EN: 0
; COMPUTE_PGM_RSRC2:USER_SGPR: 6
; COMPUTE_PGM_RSRC2:TRAP_HANDLER: 0
; COMPUTE_PGM_RSRC2:TGID_X_EN: 1
; COMPUTE_PGM_RSRC2:TGID_Y_EN: 0
; COMPUTE_PGM_RSRC2:TGID_Z_EN: 0
; COMPUTE_PGM_RSRC2:TIDIG_COMP_CNT: 1
	.section	.text._ZN12_GLOBAL__N_120softmax_warp_forwardIdddLi1ELb1ELb0ELi64EEEvPT0_PKT_iiiPKbib,"axG",@progbits,_ZN12_GLOBAL__N_120softmax_warp_forwardIdddLi1ELb1ELb0ELi64EEEvPT0_PKT_iiiPKbib,comdat
	.globl	_ZN12_GLOBAL__N_120softmax_warp_forwardIdddLi1ELb1ELb0ELi64EEEvPT0_PKT_iiiPKbib ; -- Begin function _ZN12_GLOBAL__N_120softmax_warp_forwardIdddLi1ELb1ELb0ELi64EEEvPT0_PKT_iiiPKbib
	.p2align	8
	.type	_ZN12_GLOBAL__N_120softmax_warp_forwardIdddLi1ELb1ELb0ELi64EEEvPT0_PKT_iiiPKbib,@function
_ZN12_GLOBAL__N_120softmax_warp_forwardIdddLi1ELb1ELb0ELi64EEEvPT0_PKT_iiiPKbib: ; @_ZN12_GLOBAL__N_120softmax_warp_forwardIdddLi1ELb1ELb0ELi64EEEvPT0_PKT_iiiPKbib
; %bb.0:
	s_clause 0x1
	s_load_dword s0, s[4:5], 0x3c
	s_load_dwordx8 s[8:15], s[4:5], 0x0
	v_mov_b32_e32 v6, 0
	v_mov_b32_e32 v4, 0
	;; [unrolled: 1-line block ×4, first 2 shown]
	s_waitcnt lgkmcnt(0)
	s_lshr_b32 s0, s0, 16
	v_cmp_gt_i32_e32 vcc_lo, s14, v0
	s_and_b32 s0, s0, 0xffff
	s_mul_i32 s6, s6, s0
	v_add_lshl_u32 v3, s6, v1, 1
	v_mad_u64_u32 v[1:2], null, v3, s13, v[0:1]
	v_sub_nc_u32_e32 v13, s12, v3
	v_cmp_lt_i32_e64 s0, 0, v13
	v_ashrrev_i32_e32 v2, 31, v1
	s_and_b32 s2, vcc_lo, s0
	v_lshlrev_b64 v[2:3], 3, v[1:2]
	v_add_co_u32 v0, s1, s10, v2
	v_add_co_ci_u32_e64 v1, null, s11, v3, s1
	s_and_saveexec_b32 s1, s2
	s_cbranch_execz .LBB2_2
; %bb.1:
	global_load_dwordx2 v[4:5], v[0:1], off
.LBB2_2:
	s_or_b32 exec_lo, exec_lo, s1
	v_cmp_lt_i32_e64 s1, 1, v13
	s_and_b32 s1, vcc_lo, s1
	s_and_saveexec_b32 s2, s1
	s_cbranch_execz .LBB2_4
; %bb.3:
	s_mov_b32 s15, 0
	s_lshl_b64 s[4:5], s[14:15], 3
	v_add_co_u32 v0, s1, v0, s4
	v_add_co_ci_u32_e64 v1, null, s5, v1, s1
	global_load_dwordx2 v[6:7], v[0:1], off
.LBB2_4:
	s_or_b32 exec_lo, exec_lo, s2
	v_mbcnt_lo_u32_b32 v0, -1, 0
	s_mov_b32 s4, 0x6a5dcb37
	s_mov_b32 s5, 0x3e5ade15
	v_and_b32_e32 v1, 30, v0
	v_xor_b32_e32 v8, 1, v0
	v_add_nc_u32_e32 v1, 2, v1
	v_cmp_lt_i32_e64 s1, v8, v1
	v_cndmask_b32_e64 v0, v0, v8, s1
	v_lshlrev_b32_e32 v20, 2, v0
	s_waitcnt vmcnt(0)
	ds_bpermute_b32 v0, v20, v4
	ds_bpermute_b32 v1, v20, v5
	;; [unrolled: 1-line block ×4, first 2 shown]
	s_waitcnt lgkmcnt(2)
	v_cmp_lt_f64_e64 s1, v[4:5], v[0:1]
	s_waitcnt lgkmcnt(0)
	v_cmp_lt_f64_e64 s2, v[6:7], v[8:9]
	v_cndmask_b32_e64 v1, v5, v1, s1
	v_cndmask_b32_e64 v0, v4, v0, s1
	;; [unrolled: 1-line block ×4, first 2 shown]
	s_mov_b32 s2, 0x652b82fe
	s_mov_b32 s3, 0x3ff71547
	v_add_f64 v[4:5], v[4:5], -v[0:1]
	v_add_f64 v[0:1], v[6:7], -v[8:9]
	v_mul_f64 v[6:7], v[4:5], s[2:3]
	v_cmp_nlt_f64_e64 s1, 0x40900000, v[4:5]
	v_mul_f64 v[8:9], v[0:1], s[2:3]
	s_mov_b32 s2, 0xfefa39ef
	s_mov_b32 s3, 0xbfe62e42
	v_rndne_f64_e32 v[6:7], v[6:7]
	v_rndne_f64_e32 v[8:9], v[8:9]
	v_fma_f64 v[10:11], v[6:7], s[2:3], v[4:5]
	v_cvt_i32_f64_e32 v12, v[6:7]
	v_fma_f64 v[14:15], v[8:9], s[2:3], v[0:1]
	s_mov_b32 s2, 0x3b39803f
	s_mov_b32 s3, 0xbc7abc9e
	v_fma_f64 v[10:11], v[6:7], s[2:3], v[10:11]
	v_fma_f64 v[14:15], v[8:9], s[2:3], v[14:15]
	s_mov_b32 s2, 0xfca7ab0c
	s_mov_b32 s3, 0x3e928af3
	v_fma_f64 v[16:17], v[10:11], s[4:5], s[2:3]
	v_fma_f64 v[18:19], v[14:15], s[4:5], s[2:3]
	s_mov_b32 s2, 0x623fde64
	s_mov_b32 s3, 0x3ec71dee
	v_cmp_ngt_f64_e64 s4, 0xc090cc00, v[0:1]
	v_fma_f64 v[16:17], v[10:11], v[16:17], s[2:3]
	v_fma_f64 v[18:19], v[14:15], v[18:19], s[2:3]
	s_mov_b32 s2, 0x7c89e6b0
	s_mov_b32 s3, 0x3efa0199
	v_fma_f64 v[16:17], v[10:11], v[16:17], s[2:3]
	v_fma_f64 v[18:19], v[14:15], v[18:19], s[2:3]
	s_mov_b32 s2, 0x14761f6e
	s_mov_b32 s3, 0x3f2a01a0
	;; [unrolled: 4-line block ×7, first 2 shown]
	v_fma_f64 v[16:17], v[10:11], v[16:17], s[2:3]
	v_fma_f64 v[18:19], v[14:15], v[18:19], s[2:3]
	v_cmp_nlt_f64_e64 s3, 0x40900000, v[0:1]
	v_cmp_ngt_f64_e64 s2, 0xc090cc00, v[4:5]
	v_fma_f64 v[16:17], v[10:11], v[16:17], 1.0
	v_fma_f64 v[18:19], v[14:15], v[18:19], 1.0
	;; [unrolled: 1-line block ×3, first 2 shown]
	v_cvt_i32_f64_e32 v10, v[8:9]
	v_fma_f64 v[8:9], v[14:15], v[18:19], 1.0
	v_ldexp_f64 v[6:7], v[6:7], v12
	v_ldexp_f64 v[8:9], v[8:9], v10
	v_add_f64 v[6:7], v[6:7], 0
	v_add_f64 v[8:9], v[8:9], 0
	v_cndmask_b32_e64 v7, 0x7ff00000, v7, s1
	s_and_b32 s1, s2, s1
	v_cndmask_b32_e64 v9, 0x7ff00000, v9, s3
	v_cndmask_b32_e64 v10, 0, v7, s2
	;; [unrolled: 1-line block ×4, first 2 shown]
	s_and_b32 s1, s4, s3
	ds_bpermute_b32 v12, v20, v10
	v_cndmask_b32_e64 v6, 0, v8, s1
	ds_bpermute_b32 v14, v20, v7
	ds_bpermute_b32 v11, v20, v9
	;; [unrolled: 1-line block ×3, first 2 shown]
	s_and_saveexec_b32 s1, s0
	s_cbranch_execz .LBB2_9
; %bb.5:
	v_add_co_u32 v2, s0, s8, v2
	v_add_co_ci_u32_e64 v3, null, s9, v3, s0
	s_and_saveexec_b32 s1, vcc_lo
	s_cbranch_execz .LBB2_7
; %bb.6:
	s_waitcnt lgkmcnt(1)
	v_add_f64 v[9:10], v[9:10], v[11:12]
	s_mov_b32 s3, 0x3fe55555
	s_mov_b32 s2, 0x55555555
	s_mov_b32 s4, 0x6b47b09a
	s_mov_b32 s6, 0xbf559e2b
	s_mov_b32 s5, 0x3fc38538
	s_mov_b32 s7, 0x3fc3ab76
	v_frexp_mant_f64_e32 v[11:12], v[9:10]
	v_frexp_exp_i32_f64_e32 v15, v[9:10]
	v_cmp_gt_f64_e64 s0, s[2:3], v[11:12]
	s_mov_b32 s2, 0x55555780
	v_subrev_co_ci_u32_e64 v27, null, 0, v15, s0
	v_cndmask_b32_e64 v15, 0, 1, s0
	v_cmp_class_f64_e64 s0, v[9:10], 0x204
	v_ldexp_f64 v[11:12], v[11:12], v15
	v_add_f64 v[15:16], v[11:12], 1.0
	v_add_f64 v[21:22], v[11:12], -1.0
	v_rcp_f64_e32 v[17:18], v[15:16]
	v_add_f64 v[23:24], v[15:16], -1.0
	v_add_f64 v[11:12], v[11:12], -v[23:24]
	v_fma_f64 v[19:20], -v[15:16], v[17:18], 1.0
	v_fma_f64 v[17:18], v[19:20], v[17:18], v[17:18]
	v_fma_f64 v[19:20], -v[15:16], v[17:18], 1.0
	v_fma_f64 v[17:18], v[19:20], v[17:18], v[17:18]
	v_mul_f64 v[19:20], v[21:22], v[17:18]
	v_mul_f64 v[25:26], v[15:16], v[19:20]
	v_fma_f64 v[15:16], v[19:20], v[15:16], -v[25:26]
	v_fma_f64 v[11:12], v[19:20], v[11:12], v[15:16]
	v_add_f64 v[15:16], v[25:26], v[11:12]
	v_add_f64 v[23:24], v[21:22], -v[15:16]
	v_add_f64 v[25:26], v[15:16], -v[25:26]
	;; [unrolled: 1-line block ×5, first 2 shown]
	v_add_f64 v[11:12], v[11:12], v[15:16]
	v_add_f64 v[11:12], v[23:24], v[11:12]
	v_mul_f64 v[11:12], v[17:18], v[11:12]
	v_add_f64 v[15:16], v[19:20], v[11:12]
	v_mul_f64 v[17:18], v[15:16], v[15:16]
	v_fma_f64 v[21:22], v[17:18], s[6:7], s[4:5]
	s_mov_b32 s4, 0xd7f4df2e
	s_mov_b32 s5, 0x3fc7474d
	v_mul_f64 v[23:24], v[15:16], v[17:18]
	v_fma_f64 v[21:22], v[17:18], v[21:22], s[4:5]
	s_mov_b32 s4, 0x16291751
	s_mov_b32 s5, 0x3fcc71c0
	v_fma_f64 v[21:22], v[17:18], v[21:22], s[4:5]
	s_mov_b32 s4, 0x9b27acf1
	s_mov_b32 s5, 0x3fd24924
	;; [unrolled: 3-line block ×3, first 2 shown]
	v_fma_f64 v[21:22], v[17:18], v[21:22], s[4:5]
	v_fma_f64 v[17:18], v[17:18], v[21:22], s[2:3]
	v_ldexp_f64 v[21:22], v[15:16], 1
	v_add_f64 v[15:16], v[15:16], -v[19:20]
	s_mov_b32 s2, 0xfefa39ef
	s_mov_b32 s3, 0x3fe62e42
	v_mul_f64 v[17:18], v[23:24], v[17:18]
	v_cvt_f64_i32_e32 v[23:24], v27
	v_add_f64 v[11:12], v[11:12], -v[15:16]
	v_add_f64 v[19:20], v[21:22], v[17:18]
	v_mul_f64 v[25:26], v[23:24], s[2:3]
	v_ldexp_f64 v[11:12], v[11:12], 1
	v_add_f64 v[15:16], v[19:20], -v[21:22]
	v_fma_f64 v[21:22], v[23:24], s[2:3], -v[25:26]
	s_mov_b32 s2, 0x3b39803f
	s_mov_b32 s3, 0x3c7abc9e
	v_add_f64 v[15:16], v[17:18], -v[15:16]
	v_fma_f64 v[17:18], v[23:24], s[2:3], v[21:22]
	v_add_f64 v[11:12], v[11:12], v[15:16]
	v_add_f64 v[15:16], v[25:26], v[17:18]
	;; [unrolled: 1-line block ×3, first 2 shown]
	v_add_f64 v[25:26], v[15:16], -v[25:26]
	v_add_f64 v[23:24], v[15:16], v[21:22]
	v_add_f64 v[19:20], v[21:22], -v[19:20]
	v_add_f64 v[17:18], v[17:18], -v[25:26]
	;; [unrolled: 1-line block ×6, first 2 shown]
	v_add_f64 v[21:22], v[17:18], v[11:12]
	v_add_f64 v[15:16], v[15:16], -v[29:30]
	v_add_f64 v[15:16], v[19:20], v[15:16]
	v_add_f64 v[19:20], v[21:22], -v[17:18]
	;; [unrolled: 2-line block ×3, first 2 shown]
	v_add_f64 v[11:12], v[11:12], -v[19:20]
	v_add_f64 v[25:26], v[23:24], v[15:16]
	v_add_f64 v[17:18], v[17:18], -v[21:22]
	v_add_f64 v[19:20], v[25:26], -v[23:24]
	v_add_f64 v[11:12], v[11:12], v[17:18]
	v_add_f64 v[15:16], v[15:16], -v[19:20]
	v_add_f64 v[11:12], v[11:12], v[15:16]
	v_add_f64 v[11:12], v[25:26], v[11:12]
	v_cndmask_b32_e64 v11, v11, v9, s0
	v_cndmask_b32_e64 v12, v12, v10, s0
	v_cmp_ngt_f64_e64 s0, 0, v[9:10]
	v_cndmask_b32_e64 v12, 0x7ff80000, v12, s0
	v_cmp_nge_f64_e64 s0, 0, v[9:10]
	v_cndmask_b32_e64 v11, 0, v11, s0
	v_cmp_neq_f64_e64 s0, 0, v[9:10]
	v_cndmask_b32_e64 v12, 0xfff00000, v12, s0
	v_add_f64 v[4:5], v[4:5], -v[11:12]
	global_store_dwordx2 v[2:3], v[4:5], off
.LBB2_7:
	s_or_b32 exec_lo, exec_lo, s1
	v_cmp_ne_u32_e64 s0, 1, v13
	s_and_b32 s0, s0, vcc_lo
	s_and_b32 exec_lo, exec_lo, s0
	s_cbranch_execz .LBB2_9
; %bb.8:
	s_waitcnt lgkmcnt(2)
	v_mov_b32_e32 v9, v14
	s_mov_b32 s1, 0x3fe55555
	s_mov_b32 s0, 0x55555555
	;; [unrolled: 1-line block ×4, first 2 shown]
	s_waitcnt lgkmcnt(0)
	v_add_f64 v[4:5], v[6:7], v[8:9]
	s_mov_b32 s3, 0x3fc38538
	s_mov_b32 s5, 0x3fc3ab76
	;; [unrolled: 1-line block ×3, first 2 shown]
	v_frexp_mant_f64_e32 v[6:7], v[4:5]
	v_frexp_exp_i32_f64_e32 v8, v[4:5]
	v_cmp_gt_f64_e32 vcc_lo, s[0:1], v[6:7]
	s_mov_b32 s0, 0x55555780
	v_subrev_co_ci_u32_e64 v20, null, 0, v8, vcc_lo
	v_cndmask_b32_e64 v8, 0, 1, vcc_lo
	v_cmp_class_f64_e64 vcc_lo, v[4:5], 0x204
	v_ldexp_f64 v[6:7], v[6:7], v8
	v_add_f64 v[8:9], v[6:7], 1.0
	v_add_f64 v[14:15], v[6:7], -1.0
	v_rcp_f64_e32 v[10:11], v[8:9]
	v_add_f64 v[16:17], v[8:9], -1.0
	v_add_f64 v[6:7], v[6:7], -v[16:17]
	v_fma_f64 v[12:13], -v[8:9], v[10:11], 1.0
	v_fma_f64 v[10:11], v[12:13], v[10:11], v[10:11]
	v_fma_f64 v[12:13], -v[8:9], v[10:11], 1.0
	v_fma_f64 v[10:11], v[12:13], v[10:11], v[10:11]
	v_mul_f64 v[12:13], v[14:15], v[10:11]
	v_mul_f64 v[18:19], v[8:9], v[12:13]
	v_fma_f64 v[8:9], v[12:13], v[8:9], -v[18:19]
	v_fma_f64 v[6:7], v[12:13], v[6:7], v[8:9]
	v_add_f64 v[8:9], v[18:19], v[6:7]
	v_add_f64 v[16:17], v[14:15], -v[8:9]
	v_add_f64 v[18:19], v[8:9], -v[18:19]
	;; [unrolled: 1-line block ×5, first 2 shown]
	v_add_f64 v[6:7], v[6:7], v[8:9]
	v_add_f64 v[6:7], v[16:17], v[6:7]
	v_mul_f64 v[6:7], v[10:11], v[6:7]
	v_add_f64 v[8:9], v[12:13], v[6:7]
	v_mul_f64 v[10:11], v[8:9], v[8:9]
	v_fma_f64 v[14:15], v[10:11], s[4:5], s[2:3]
	s_mov_b32 s2, 0xd7f4df2e
	s_mov_b32 s3, 0x3fc7474d
	v_mul_f64 v[16:17], v[8:9], v[10:11]
	v_fma_f64 v[14:15], v[10:11], v[14:15], s[2:3]
	s_mov_b32 s2, 0x16291751
	s_mov_b32 s3, 0x3fcc71c0
	v_fma_f64 v[14:15], v[10:11], v[14:15], s[2:3]
	s_mov_b32 s2, 0x9b27acf1
	s_mov_b32 s3, 0x3fd24924
	;; [unrolled: 3-line block ×3, first 2 shown]
	v_fma_f64 v[14:15], v[10:11], v[14:15], s[2:3]
	v_fma_f64 v[10:11], v[10:11], v[14:15], s[0:1]
	v_ldexp_f64 v[14:15], v[8:9], 1
	v_add_f64 v[8:9], v[8:9], -v[12:13]
	s_mov_b32 s0, 0xfefa39ef
	s_mov_b32 s1, 0x3fe62e42
	v_mul_f64 v[10:11], v[16:17], v[10:11]
	v_cvt_f64_i32_e32 v[16:17], v20
	v_add_f64 v[6:7], v[6:7], -v[8:9]
	v_add_f64 v[12:13], v[14:15], v[10:11]
	v_mul_f64 v[18:19], v[16:17], s[0:1]
	v_ldexp_f64 v[6:7], v[6:7], 1
	v_add_f64 v[8:9], v[12:13], -v[14:15]
	v_fma_f64 v[14:15], v[16:17], s[0:1], -v[18:19]
	s_mov_b32 s0, 0x3b39803f
	s_mov_b32 s1, 0x3c7abc9e
	v_add_f64 v[8:9], v[10:11], -v[8:9]
	v_fma_f64 v[10:11], v[16:17], s[0:1], v[14:15]
	s_lshl_b64 s[0:1], s[14:15], 3
	v_add_f64 v[6:7], v[6:7], v[8:9]
	v_add_f64 v[8:9], v[18:19], v[10:11]
	;; [unrolled: 1-line block ×3, first 2 shown]
	v_add_f64 v[18:19], v[8:9], -v[18:19]
	v_add_f64 v[16:17], v[8:9], v[14:15]
	v_add_f64 v[12:13], v[14:15], -v[12:13]
	v_add_f64 v[10:11], v[10:11], -v[18:19]
	v_add_f64 v[20:21], v[16:17], -v[8:9]
	v_add_f64 v[6:7], v[6:7], -v[12:13]
	v_add_f64 v[22:23], v[16:17], -v[20:21]
	v_add_f64 v[12:13], v[14:15], -v[20:21]
	v_add_f64 v[14:15], v[10:11], v[6:7]
	v_add_f64 v[8:9], v[8:9], -v[22:23]
	v_add_f64 v[8:9], v[12:13], v[8:9]
	v_add_f64 v[12:13], v[14:15], -v[10:11]
	;; [unrolled: 2-line block ×3, first 2 shown]
	v_add_f64 v[6:7], v[6:7], -v[12:13]
	v_add_f64 v[18:19], v[16:17], v[8:9]
	v_add_f64 v[10:11], v[10:11], -v[14:15]
	v_add_f64 v[12:13], v[18:19], -v[16:17]
	v_add_f64 v[6:7], v[6:7], v[10:11]
	v_add_f64 v[8:9], v[8:9], -v[12:13]
	v_add_f64 v[6:7], v[6:7], v[8:9]
	v_add_f64 v[6:7], v[18:19], v[6:7]
	v_cndmask_b32_e32 v6, v6, v4, vcc_lo
	v_cndmask_b32_e32 v7, v7, v5, vcc_lo
	v_cmp_ngt_f64_e32 vcc_lo, 0, v[4:5]
	v_cndmask_b32_e32 v7, 0x7ff80000, v7, vcc_lo
	v_cmp_nge_f64_e32 vcc_lo, 0, v[4:5]
	v_cndmask_b32_e32 v6, 0, v6, vcc_lo
	v_cmp_neq_f64_e32 vcc_lo, 0, v[4:5]
	v_cndmask_b32_e32 v7, 0xfff00000, v7, vcc_lo
	v_add_co_u32 v2, vcc_lo, v2, s0
	v_add_co_ci_u32_e64 v3, null, s1, v3, vcc_lo
	v_add_f64 v[0:1], v[0:1], -v[6:7]
	global_store_dwordx2 v[2:3], v[0:1], off
.LBB2_9:
	s_endpgm
	.section	.rodata,"a",@progbits
	.p2align	6, 0x0
	.amdhsa_kernel _ZN12_GLOBAL__N_120softmax_warp_forwardIdddLi1ELb1ELb0ELi64EEEvPT0_PKT_iiiPKbib
		.amdhsa_group_segment_fixed_size 0
		.amdhsa_private_segment_fixed_size 0
		.amdhsa_kernarg_size 304
		.amdhsa_user_sgpr_count 6
		.amdhsa_user_sgpr_private_segment_buffer 1
		.amdhsa_user_sgpr_dispatch_ptr 0
		.amdhsa_user_sgpr_queue_ptr 0
		.amdhsa_user_sgpr_kernarg_segment_ptr 1
		.amdhsa_user_sgpr_dispatch_id 0
		.amdhsa_user_sgpr_flat_scratch_init 0
		.amdhsa_user_sgpr_private_segment_size 0
		.amdhsa_wavefront_size32 1
		.amdhsa_uses_dynamic_stack 0
		.amdhsa_system_sgpr_private_segment_wavefront_offset 0
		.amdhsa_system_sgpr_workgroup_id_x 1
		.amdhsa_system_sgpr_workgroup_id_y 0
		.amdhsa_system_sgpr_workgroup_id_z 0
		.amdhsa_system_sgpr_workgroup_info 0
		.amdhsa_system_vgpr_workitem_id 1
		.amdhsa_next_free_vgpr 31
		.amdhsa_next_free_sgpr 16
		.amdhsa_reserve_vcc 1
		.amdhsa_reserve_flat_scratch 0
		.amdhsa_float_round_mode_32 0
		.amdhsa_float_round_mode_16_64 0
		.amdhsa_float_denorm_mode_32 3
		.amdhsa_float_denorm_mode_16_64 3
		.amdhsa_dx10_clamp 1
		.amdhsa_ieee_mode 1
		.amdhsa_fp16_overflow 0
		.amdhsa_workgroup_processor_mode 1
		.amdhsa_memory_ordered 1
		.amdhsa_forward_progress 1
		.amdhsa_shared_vgpr_count 0
		.amdhsa_exception_fp_ieee_invalid_op 0
		.amdhsa_exception_fp_denorm_src 0
		.amdhsa_exception_fp_ieee_div_zero 0
		.amdhsa_exception_fp_ieee_overflow 0
		.amdhsa_exception_fp_ieee_underflow 0
		.amdhsa_exception_fp_ieee_inexact 0
		.amdhsa_exception_int_div_zero 0
	.end_amdhsa_kernel
	.section	.text._ZN12_GLOBAL__N_120softmax_warp_forwardIdddLi1ELb1ELb0ELi64EEEvPT0_PKT_iiiPKbib,"axG",@progbits,_ZN12_GLOBAL__N_120softmax_warp_forwardIdddLi1ELb1ELb0ELi64EEEvPT0_PKT_iiiPKbib,comdat
.Lfunc_end2:
	.size	_ZN12_GLOBAL__N_120softmax_warp_forwardIdddLi1ELb1ELb0ELi64EEEvPT0_PKT_iiiPKbib, .Lfunc_end2-_ZN12_GLOBAL__N_120softmax_warp_forwardIdddLi1ELb1ELb0ELi64EEEvPT0_PKT_iiiPKbib
                                        ; -- End function
	.set _ZN12_GLOBAL__N_120softmax_warp_forwardIdddLi1ELb1ELb0ELi64EEEvPT0_PKT_iiiPKbib.num_vgpr, 31
	.set _ZN12_GLOBAL__N_120softmax_warp_forwardIdddLi1ELb1ELb0ELi64EEEvPT0_PKT_iiiPKbib.num_agpr, 0
	.set _ZN12_GLOBAL__N_120softmax_warp_forwardIdddLi1ELb1ELb0ELi64EEEvPT0_PKT_iiiPKbib.numbered_sgpr, 16
	.set _ZN12_GLOBAL__N_120softmax_warp_forwardIdddLi1ELb1ELb0ELi64EEEvPT0_PKT_iiiPKbib.num_named_barrier, 0
	.set _ZN12_GLOBAL__N_120softmax_warp_forwardIdddLi1ELb1ELb0ELi64EEEvPT0_PKT_iiiPKbib.private_seg_size, 0
	.set _ZN12_GLOBAL__N_120softmax_warp_forwardIdddLi1ELb1ELb0ELi64EEEvPT0_PKT_iiiPKbib.uses_vcc, 1
	.set _ZN12_GLOBAL__N_120softmax_warp_forwardIdddLi1ELb1ELb0ELi64EEEvPT0_PKT_iiiPKbib.uses_flat_scratch, 0
	.set _ZN12_GLOBAL__N_120softmax_warp_forwardIdddLi1ELb1ELb0ELi64EEEvPT0_PKT_iiiPKbib.has_dyn_sized_stack, 0
	.set _ZN12_GLOBAL__N_120softmax_warp_forwardIdddLi1ELb1ELb0ELi64EEEvPT0_PKT_iiiPKbib.has_recursion, 0
	.set _ZN12_GLOBAL__N_120softmax_warp_forwardIdddLi1ELb1ELb0ELi64EEEvPT0_PKT_iiiPKbib.has_indirect_call, 0
	.section	.AMDGPU.csdata,"",@progbits
; Kernel info:
; codeLenInByte = 2708
; TotalNumSgprs: 18
; NumVgprs: 31
; ScratchSize: 0
; MemoryBound: 1
; FloatMode: 240
; IeeeMode: 1
; LDSByteSize: 0 bytes/workgroup (compile time only)
; SGPRBlocks: 0
; VGPRBlocks: 3
; NumSGPRsForWavesPerEU: 18
; NumVGPRsForWavesPerEU: 31
; Occupancy: 16
; WaveLimiterHint : 0
; COMPUTE_PGM_RSRC2:SCRATCH_EN: 0
; COMPUTE_PGM_RSRC2:USER_SGPR: 6
; COMPUTE_PGM_RSRC2:TRAP_HANDLER: 0
; COMPUTE_PGM_RSRC2:TGID_X_EN: 1
; COMPUTE_PGM_RSRC2:TGID_Y_EN: 0
; COMPUTE_PGM_RSRC2:TGID_Z_EN: 0
; COMPUTE_PGM_RSRC2:TIDIG_COMP_CNT: 1
	.section	.text._ZN12_GLOBAL__N_120softmax_warp_forwardIdddLi1ELb1ELb0ELi32EEEvPT0_PKT_iiiPKbib,"axG",@progbits,_ZN12_GLOBAL__N_120softmax_warp_forwardIdddLi1ELb1ELb0ELi32EEEvPT0_PKT_iiiPKbib,comdat
	.globl	_ZN12_GLOBAL__N_120softmax_warp_forwardIdddLi1ELb1ELb0ELi32EEEvPT0_PKT_iiiPKbib ; -- Begin function _ZN12_GLOBAL__N_120softmax_warp_forwardIdddLi1ELb1ELb0ELi32EEEvPT0_PKT_iiiPKbib
	.p2align	8
	.type	_ZN12_GLOBAL__N_120softmax_warp_forwardIdddLi1ELb1ELb0ELi32EEEvPT0_PKT_iiiPKbib,@function
_ZN12_GLOBAL__N_120softmax_warp_forwardIdddLi1ELb1ELb0ELi32EEEvPT0_PKT_iiiPKbib: ; @_ZN12_GLOBAL__N_120softmax_warp_forwardIdddLi1ELb1ELb0ELi32EEEvPT0_PKT_iiiPKbib
; %bb.0:
	s_clause 0x1
	s_load_dword s0, s[4:5], 0x3c
	s_load_dwordx8 s[8:15], s[4:5], 0x0
	v_mov_b32_e32 v6, 0
	v_mov_b32_e32 v4, 0
	;; [unrolled: 1-line block ×4, first 2 shown]
	s_waitcnt lgkmcnt(0)
	s_lshr_b32 s0, s0, 16
	v_cmp_gt_i32_e32 vcc_lo, s14, v0
	s_and_b32 s0, s0, 0xffff
	s_mul_i32 s6, s6, s0
	v_add_lshl_u32 v3, s6, v1, 1
	v_mad_u64_u32 v[1:2], null, v3, s13, v[0:1]
	v_sub_nc_u32_e32 v13, s12, v3
	v_cmp_lt_i32_e64 s0, 0, v13
	v_ashrrev_i32_e32 v2, 31, v1
	s_and_b32 s2, vcc_lo, s0
	v_lshlrev_b64 v[2:3], 3, v[1:2]
	v_add_co_u32 v0, s1, s10, v2
	v_add_co_ci_u32_e64 v1, null, s11, v3, s1
	s_and_saveexec_b32 s1, s2
	s_cbranch_execz .LBB3_2
; %bb.1:
	global_load_dwordx2 v[4:5], v[0:1], off
.LBB3_2:
	s_or_b32 exec_lo, exec_lo, s1
	v_cmp_lt_i32_e64 s1, 1, v13
	s_and_b32 s1, vcc_lo, s1
	s_and_saveexec_b32 s2, s1
	s_cbranch_execz .LBB3_4
; %bb.3:
	s_mov_b32 s15, 0
	s_lshl_b64 s[4:5], s[14:15], 3
	v_add_co_u32 v0, s1, v0, s4
	v_add_co_ci_u32_e64 v1, null, s5, v1, s1
	global_load_dwordx2 v[6:7], v[0:1], off
.LBB3_4:
	s_or_b32 exec_lo, exec_lo, s2
	v_mbcnt_lo_u32_b32 v0, -1, 0
	s_mov_b32 s4, 0x6a5dcb37
	s_mov_b32 s5, 0x3e5ade15
	v_and_b32_e32 v1, 30, v0
	v_xor_b32_e32 v8, 1, v0
	v_add_nc_u32_e32 v1, 2, v1
	v_cmp_lt_i32_e64 s1, v8, v1
	v_cndmask_b32_e64 v0, v0, v8, s1
	v_lshlrev_b32_e32 v20, 2, v0
	s_waitcnt vmcnt(0)
	ds_bpermute_b32 v0, v20, v4
	ds_bpermute_b32 v1, v20, v5
	;; [unrolled: 1-line block ×4, first 2 shown]
	s_waitcnt lgkmcnt(2)
	v_cmp_lt_f64_e64 s1, v[4:5], v[0:1]
	s_waitcnt lgkmcnt(0)
	v_cmp_lt_f64_e64 s2, v[6:7], v[8:9]
	v_cndmask_b32_e64 v1, v5, v1, s1
	v_cndmask_b32_e64 v0, v4, v0, s1
	;; [unrolled: 1-line block ×4, first 2 shown]
	s_mov_b32 s2, 0x652b82fe
	s_mov_b32 s3, 0x3ff71547
	v_add_f64 v[4:5], v[4:5], -v[0:1]
	v_add_f64 v[0:1], v[6:7], -v[8:9]
	v_mul_f64 v[6:7], v[4:5], s[2:3]
	v_cmp_nlt_f64_e64 s1, 0x40900000, v[4:5]
	v_mul_f64 v[8:9], v[0:1], s[2:3]
	s_mov_b32 s2, 0xfefa39ef
	s_mov_b32 s3, 0xbfe62e42
	v_rndne_f64_e32 v[6:7], v[6:7]
	v_rndne_f64_e32 v[8:9], v[8:9]
	v_fma_f64 v[10:11], v[6:7], s[2:3], v[4:5]
	v_cvt_i32_f64_e32 v12, v[6:7]
	v_fma_f64 v[14:15], v[8:9], s[2:3], v[0:1]
	s_mov_b32 s2, 0x3b39803f
	s_mov_b32 s3, 0xbc7abc9e
	v_fma_f64 v[10:11], v[6:7], s[2:3], v[10:11]
	v_fma_f64 v[14:15], v[8:9], s[2:3], v[14:15]
	s_mov_b32 s2, 0xfca7ab0c
	s_mov_b32 s3, 0x3e928af3
	v_fma_f64 v[16:17], v[10:11], s[4:5], s[2:3]
	v_fma_f64 v[18:19], v[14:15], s[4:5], s[2:3]
	s_mov_b32 s2, 0x623fde64
	s_mov_b32 s3, 0x3ec71dee
	v_cmp_ngt_f64_e64 s4, 0xc090cc00, v[0:1]
	v_fma_f64 v[16:17], v[10:11], v[16:17], s[2:3]
	v_fma_f64 v[18:19], v[14:15], v[18:19], s[2:3]
	s_mov_b32 s2, 0x7c89e6b0
	s_mov_b32 s3, 0x3efa0199
	v_fma_f64 v[16:17], v[10:11], v[16:17], s[2:3]
	v_fma_f64 v[18:19], v[14:15], v[18:19], s[2:3]
	s_mov_b32 s2, 0x14761f6e
	s_mov_b32 s3, 0x3f2a01a0
	;; [unrolled: 4-line block ×7, first 2 shown]
	v_fma_f64 v[16:17], v[10:11], v[16:17], s[2:3]
	v_fma_f64 v[18:19], v[14:15], v[18:19], s[2:3]
	v_cmp_nlt_f64_e64 s3, 0x40900000, v[0:1]
	v_cmp_ngt_f64_e64 s2, 0xc090cc00, v[4:5]
	v_fma_f64 v[16:17], v[10:11], v[16:17], 1.0
	v_fma_f64 v[18:19], v[14:15], v[18:19], 1.0
	;; [unrolled: 1-line block ×3, first 2 shown]
	v_cvt_i32_f64_e32 v10, v[8:9]
	v_fma_f64 v[8:9], v[14:15], v[18:19], 1.0
	v_ldexp_f64 v[6:7], v[6:7], v12
	v_ldexp_f64 v[8:9], v[8:9], v10
	v_add_f64 v[6:7], v[6:7], 0
	v_add_f64 v[8:9], v[8:9], 0
	v_cndmask_b32_e64 v7, 0x7ff00000, v7, s1
	s_and_b32 s1, s2, s1
	v_cndmask_b32_e64 v9, 0x7ff00000, v9, s3
	v_cndmask_b32_e64 v10, 0, v7, s2
	v_cndmask_b32_e64 v7, 0, v9, s4
	v_cndmask_b32_e64 v9, 0, v6, s1
	s_and_b32 s1, s4, s3
	ds_bpermute_b32 v12, v20, v10
	v_cndmask_b32_e64 v6, 0, v8, s1
	ds_bpermute_b32 v14, v20, v7
	ds_bpermute_b32 v11, v20, v9
	;; [unrolled: 1-line block ×3, first 2 shown]
	s_and_saveexec_b32 s1, s0
	s_cbranch_execz .LBB3_9
; %bb.5:
	v_add_co_u32 v2, s0, s8, v2
	v_add_co_ci_u32_e64 v3, null, s9, v3, s0
	s_and_saveexec_b32 s1, vcc_lo
	s_cbranch_execz .LBB3_7
; %bb.6:
	s_waitcnt lgkmcnt(1)
	v_add_f64 v[9:10], v[9:10], v[11:12]
	s_mov_b32 s3, 0x3fe55555
	s_mov_b32 s2, 0x55555555
	;; [unrolled: 1-line block ×6, first 2 shown]
	v_frexp_mant_f64_e32 v[11:12], v[9:10]
	v_frexp_exp_i32_f64_e32 v15, v[9:10]
	v_cmp_gt_f64_e64 s0, s[2:3], v[11:12]
	s_mov_b32 s2, 0x55555780
	v_subrev_co_ci_u32_e64 v27, null, 0, v15, s0
	v_cndmask_b32_e64 v15, 0, 1, s0
	v_cmp_class_f64_e64 s0, v[9:10], 0x204
	v_ldexp_f64 v[11:12], v[11:12], v15
	v_add_f64 v[15:16], v[11:12], 1.0
	v_add_f64 v[21:22], v[11:12], -1.0
	v_rcp_f64_e32 v[17:18], v[15:16]
	v_add_f64 v[23:24], v[15:16], -1.0
	v_add_f64 v[11:12], v[11:12], -v[23:24]
	v_fma_f64 v[19:20], -v[15:16], v[17:18], 1.0
	v_fma_f64 v[17:18], v[19:20], v[17:18], v[17:18]
	v_fma_f64 v[19:20], -v[15:16], v[17:18], 1.0
	v_fma_f64 v[17:18], v[19:20], v[17:18], v[17:18]
	v_mul_f64 v[19:20], v[21:22], v[17:18]
	v_mul_f64 v[25:26], v[15:16], v[19:20]
	v_fma_f64 v[15:16], v[19:20], v[15:16], -v[25:26]
	v_fma_f64 v[11:12], v[19:20], v[11:12], v[15:16]
	v_add_f64 v[15:16], v[25:26], v[11:12]
	v_add_f64 v[23:24], v[21:22], -v[15:16]
	v_add_f64 v[25:26], v[15:16], -v[25:26]
	;; [unrolled: 1-line block ×5, first 2 shown]
	v_add_f64 v[11:12], v[11:12], v[15:16]
	v_add_f64 v[11:12], v[23:24], v[11:12]
	v_mul_f64 v[11:12], v[17:18], v[11:12]
	v_add_f64 v[15:16], v[19:20], v[11:12]
	v_mul_f64 v[17:18], v[15:16], v[15:16]
	v_fma_f64 v[21:22], v[17:18], s[6:7], s[4:5]
	s_mov_b32 s4, 0xd7f4df2e
	s_mov_b32 s5, 0x3fc7474d
	v_mul_f64 v[23:24], v[15:16], v[17:18]
	v_fma_f64 v[21:22], v[17:18], v[21:22], s[4:5]
	s_mov_b32 s4, 0x16291751
	s_mov_b32 s5, 0x3fcc71c0
	v_fma_f64 v[21:22], v[17:18], v[21:22], s[4:5]
	s_mov_b32 s4, 0x9b27acf1
	s_mov_b32 s5, 0x3fd24924
	;; [unrolled: 3-line block ×3, first 2 shown]
	v_fma_f64 v[21:22], v[17:18], v[21:22], s[4:5]
	v_fma_f64 v[17:18], v[17:18], v[21:22], s[2:3]
	v_ldexp_f64 v[21:22], v[15:16], 1
	v_add_f64 v[15:16], v[15:16], -v[19:20]
	s_mov_b32 s2, 0xfefa39ef
	s_mov_b32 s3, 0x3fe62e42
	v_mul_f64 v[17:18], v[23:24], v[17:18]
	v_cvt_f64_i32_e32 v[23:24], v27
	v_add_f64 v[11:12], v[11:12], -v[15:16]
	v_add_f64 v[19:20], v[21:22], v[17:18]
	v_mul_f64 v[25:26], v[23:24], s[2:3]
	v_ldexp_f64 v[11:12], v[11:12], 1
	v_add_f64 v[15:16], v[19:20], -v[21:22]
	v_fma_f64 v[21:22], v[23:24], s[2:3], -v[25:26]
	s_mov_b32 s2, 0x3b39803f
	s_mov_b32 s3, 0x3c7abc9e
	v_add_f64 v[15:16], v[17:18], -v[15:16]
	v_fma_f64 v[17:18], v[23:24], s[2:3], v[21:22]
	v_add_f64 v[11:12], v[11:12], v[15:16]
	v_add_f64 v[15:16], v[25:26], v[17:18]
	;; [unrolled: 1-line block ×3, first 2 shown]
	v_add_f64 v[25:26], v[15:16], -v[25:26]
	v_add_f64 v[23:24], v[15:16], v[21:22]
	v_add_f64 v[19:20], v[21:22], -v[19:20]
	v_add_f64 v[17:18], v[17:18], -v[25:26]
	;; [unrolled: 1-line block ×6, first 2 shown]
	v_add_f64 v[21:22], v[17:18], v[11:12]
	v_add_f64 v[15:16], v[15:16], -v[29:30]
	v_add_f64 v[15:16], v[19:20], v[15:16]
	v_add_f64 v[19:20], v[21:22], -v[17:18]
	;; [unrolled: 2-line block ×3, first 2 shown]
	v_add_f64 v[11:12], v[11:12], -v[19:20]
	v_add_f64 v[25:26], v[23:24], v[15:16]
	v_add_f64 v[17:18], v[17:18], -v[21:22]
	v_add_f64 v[19:20], v[25:26], -v[23:24]
	v_add_f64 v[11:12], v[11:12], v[17:18]
	v_add_f64 v[15:16], v[15:16], -v[19:20]
	v_add_f64 v[11:12], v[11:12], v[15:16]
	v_add_f64 v[11:12], v[25:26], v[11:12]
	v_cndmask_b32_e64 v11, v11, v9, s0
	v_cndmask_b32_e64 v12, v12, v10, s0
	v_cmp_ngt_f64_e64 s0, 0, v[9:10]
	v_cndmask_b32_e64 v12, 0x7ff80000, v12, s0
	v_cmp_nge_f64_e64 s0, 0, v[9:10]
	v_cndmask_b32_e64 v11, 0, v11, s0
	v_cmp_neq_f64_e64 s0, 0, v[9:10]
	v_cndmask_b32_e64 v12, 0xfff00000, v12, s0
	v_add_f64 v[4:5], v[4:5], -v[11:12]
	global_store_dwordx2 v[2:3], v[4:5], off
.LBB3_7:
	s_or_b32 exec_lo, exec_lo, s1
	v_cmp_ne_u32_e64 s0, 1, v13
	s_and_b32 s0, s0, vcc_lo
	s_and_b32 exec_lo, exec_lo, s0
	s_cbranch_execz .LBB3_9
; %bb.8:
	s_waitcnt lgkmcnt(2)
	v_mov_b32_e32 v9, v14
	s_mov_b32 s1, 0x3fe55555
	s_mov_b32 s0, 0x55555555
	;; [unrolled: 1-line block ×4, first 2 shown]
	s_waitcnt lgkmcnt(0)
	v_add_f64 v[4:5], v[6:7], v[8:9]
	s_mov_b32 s3, 0x3fc38538
	s_mov_b32 s5, 0x3fc3ab76
	;; [unrolled: 1-line block ×3, first 2 shown]
	v_frexp_mant_f64_e32 v[6:7], v[4:5]
	v_frexp_exp_i32_f64_e32 v8, v[4:5]
	v_cmp_gt_f64_e32 vcc_lo, s[0:1], v[6:7]
	s_mov_b32 s0, 0x55555780
	v_subrev_co_ci_u32_e64 v20, null, 0, v8, vcc_lo
	v_cndmask_b32_e64 v8, 0, 1, vcc_lo
	v_cmp_class_f64_e64 vcc_lo, v[4:5], 0x204
	v_ldexp_f64 v[6:7], v[6:7], v8
	v_add_f64 v[8:9], v[6:7], 1.0
	v_add_f64 v[14:15], v[6:7], -1.0
	v_rcp_f64_e32 v[10:11], v[8:9]
	v_add_f64 v[16:17], v[8:9], -1.0
	v_add_f64 v[6:7], v[6:7], -v[16:17]
	v_fma_f64 v[12:13], -v[8:9], v[10:11], 1.0
	v_fma_f64 v[10:11], v[12:13], v[10:11], v[10:11]
	v_fma_f64 v[12:13], -v[8:9], v[10:11], 1.0
	v_fma_f64 v[10:11], v[12:13], v[10:11], v[10:11]
	v_mul_f64 v[12:13], v[14:15], v[10:11]
	v_mul_f64 v[18:19], v[8:9], v[12:13]
	v_fma_f64 v[8:9], v[12:13], v[8:9], -v[18:19]
	v_fma_f64 v[6:7], v[12:13], v[6:7], v[8:9]
	v_add_f64 v[8:9], v[18:19], v[6:7]
	v_add_f64 v[16:17], v[14:15], -v[8:9]
	v_add_f64 v[18:19], v[8:9], -v[18:19]
	;; [unrolled: 1-line block ×5, first 2 shown]
	v_add_f64 v[6:7], v[6:7], v[8:9]
	v_add_f64 v[6:7], v[16:17], v[6:7]
	v_mul_f64 v[6:7], v[10:11], v[6:7]
	v_add_f64 v[8:9], v[12:13], v[6:7]
	v_mul_f64 v[10:11], v[8:9], v[8:9]
	v_fma_f64 v[14:15], v[10:11], s[4:5], s[2:3]
	s_mov_b32 s2, 0xd7f4df2e
	s_mov_b32 s3, 0x3fc7474d
	v_mul_f64 v[16:17], v[8:9], v[10:11]
	v_fma_f64 v[14:15], v[10:11], v[14:15], s[2:3]
	s_mov_b32 s2, 0x16291751
	s_mov_b32 s3, 0x3fcc71c0
	v_fma_f64 v[14:15], v[10:11], v[14:15], s[2:3]
	s_mov_b32 s2, 0x9b27acf1
	s_mov_b32 s3, 0x3fd24924
	;; [unrolled: 3-line block ×3, first 2 shown]
	v_fma_f64 v[14:15], v[10:11], v[14:15], s[2:3]
	v_fma_f64 v[10:11], v[10:11], v[14:15], s[0:1]
	v_ldexp_f64 v[14:15], v[8:9], 1
	v_add_f64 v[8:9], v[8:9], -v[12:13]
	s_mov_b32 s0, 0xfefa39ef
	s_mov_b32 s1, 0x3fe62e42
	v_mul_f64 v[10:11], v[16:17], v[10:11]
	v_cvt_f64_i32_e32 v[16:17], v20
	v_add_f64 v[6:7], v[6:7], -v[8:9]
	v_add_f64 v[12:13], v[14:15], v[10:11]
	v_mul_f64 v[18:19], v[16:17], s[0:1]
	v_ldexp_f64 v[6:7], v[6:7], 1
	v_add_f64 v[8:9], v[12:13], -v[14:15]
	v_fma_f64 v[14:15], v[16:17], s[0:1], -v[18:19]
	s_mov_b32 s0, 0x3b39803f
	s_mov_b32 s1, 0x3c7abc9e
	v_add_f64 v[8:9], v[10:11], -v[8:9]
	v_fma_f64 v[10:11], v[16:17], s[0:1], v[14:15]
	s_lshl_b64 s[0:1], s[14:15], 3
	v_add_f64 v[6:7], v[6:7], v[8:9]
	v_add_f64 v[8:9], v[18:19], v[10:11]
	;; [unrolled: 1-line block ×3, first 2 shown]
	v_add_f64 v[18:19], v[8:9], -v[18:19]
	v_add_f64 v[16:17], v[8:9], v[14:15]
	v_add_f64 v[12:13], v[14:15], -v[12:13]
	v_add_f64 v[10:11], v[10:11], -v[18:19]
	;; [unrolled: 1-line block ×6, first 2 shown]
	v_add_f64 v[14:15], v[10:11], v[6:7]
	v_add_f64 v[8:9], v[8:9], -v[22:23]
	v_add_f64 v[8:9], v[12:13], v[8:9]
	v_add_f64 v[12:13], v[14:15], -v[10:11]
	;; [unrolled: 2-line block ×3, first 2 shown]
	v_add_f64 v[6:7], v[6:7], -v[12:13]
	v_add_f64 v[18:19], v[16:17], v[8:9]
	v_add_f64 v[10:11], v[10:11], -v[14:15]
	v_add_f64 v[12:13], v[18:19], -v[16:17]
	v_add_f64 v[6:7], v[6:7], v[10:11]
	v_add_f64 v[8:9], v[8:9], -v[12:13]
	v_add_f64 v[6:7], v[6:7], v[8:9]
	v_add_f64 v[6:7], v[18:19], v[6:7]
	v_cndmask_b32_e32 v6, v6, v4, vcc_lo
	v_cndmask_b32_e32 v7, v7, v5, vcc_lo
	v_cmp_ngt_f64_e32 vcc_lo, 0, v[4:5]
	v_cndmask_b32_e32 v7, 0x7ff80000, v7, vcc_lo
	v_cmp_nge_f64_e32 vcc_lo, 0, v[4:5]
	v_cndmask_b32_e32 v6, 0, v6, vcc_lo
	v_cmp_neq_f64_e32 vcc_lo, 0, v[4:5]
	v_cndmask_b32_e32 v7, 0xfff00000, v7, vcc_lo
	v_add_co_u32 v2, vcc_lo, v2, s0
	v_add_co_ci_u32_e64 v3, null, s1, v3, vcc_lo
	v_add_f64 v[0:1], v[0:1], -v[6:7]
	global_store_dwordx2 v[2:3], v[0:1], off
.LBB3_9:
	s_endpgm
	.section	.rodata,"a",@progbits
	.p2align	6, 0x0
	.amdhsa_kernel _ZN12_GLOBAL__N_120softmax_warp_forwardIdddLi1ELb1ELb0ELi32EEEvPT0_PKT_iiiPKbib
		.amdhsa_group_segment_fixed_size 0
		.amdhsa_private_segment_fixed_size 0
		.amdhsa_kernarg_size 304
		.amdhsa_user_sgpr_count 6
		.amdhsa_user_sgpr_private_segment_buffer 1
		.amdhsa_user_sgpr_dispatch_ptr 0
		.amdhsa_user_sgpr_queue_ptr 0
		.amdhsa_user_sgpr_kernarg_segment_ptr 1
		.amdhsa_user_sgpr_dispatch_id 0
		.amdhsa_user_sgpr_flat_scratch_init 0
		.amdhsa_user_sgpr_private_segment_size 0
		.amdhsa_wavefront_size32 1
		.amdhsa_uses_dynamic_stack 0
		.amdhsa_system_sgpr_private_segment_wavefront_offset 0
		.amdhsa_system_sgpr_workgroup_id_x 1
		.amdhsa_system_sgpr_workgroup_id_y 0
		.amdhsa_system_sgpr_workgroup_id_z 0
		.amdhsa_system_sgpr_workgroup_info 0
		.amdhsa_system_vgpr_workitem_id 1
		.amdhsa_next_free_vgpr 31
		.amdhsa_next_free_sgpr 16
		.amdhsa_reserve_vcc 1
		.amdhsa_reserve_flat_scratch 0
		.amdhsa_float_round_mode_32 0
		.amdhsa_float_round_mode_16_64 0
		.amdhsa_float_denorm_mode_32 3
		.amdhsa_float_denorm_mode_16_64 3
		.amdhsa_dx10_clamp 1
		.amdhsa_ieee_mode 1
		.amdhsa_fp16_overflow 0
		.amdhsa_workgroup_processor_mode 1
		.amdhsa_memory_ordered 1
		.amdhsa_forward_progress 1
		.amdhsa_shared_vgpr_count 0
		.amdhsa_exception_fp_ieee_invalid_op 0
		.amdhsa_exception_fp_denorm_src 0
		.amdhsa_exception_fp_ieee_div_zero 0
		.amdhsa_exception_fp_ieee_overflow 0
		.amdhsa_exception_fp_ieee_underflow 0
		.amdhsa_exception_fp_ieee_inexact 0
		.amdhsa_exception_int_div_zero 0
	.end_amdhsa_kernel
	.section	.text._ZN12_GLOBAL__N_120softmax_warp_forwardIdddLi1ELb1ELb0ELi32EEEvPT0_PKT_iiiPKbib,"axG",@progbits,_ZN12_GLOBAL__N_120softmax_warp_forwardIdddLi1ELb1ELb0ELi32EEEvPT0_PKT_iiiPKbib,comdat
.Lfunc_end3:
	.size	_ZN12_GLOBAL__N_120softmax_warp_forwardIdddLi1ELb1ELb0ELi32EEEvPT0_PKT_iiiPKbib, .Lfunc_end3-_ZN12_GLOBAL__N_120softmax_warp_forwardIdddLi1ELb1ELb0ELi32EEEvPT0_PKT_iiiPKbib
                                        ; -- End function
	.set _ZN12_GLOBAL__N_120softmax_warp_forwardIdddLi1ELb1ELb0ELi32EEEvPT0_PKT_iiiPKbib.num_vgpr, 31
	.set _ZN12_GLOBAL__N_120softmax_warp_forwardIdddLi1ELb1ELb0ELi32EEEvPT0_PKT_iiiPKbib.num_agpr, 0
	.set _ZN12_GLOBAL__N_120softmax_warp_forwardIdddLi1ELb1ELb0ELi32EEEvPT0_PKT_iiiPKbib.numbered_sgpr, 16
	.set _ZN12_GLOBAL__N_120softmax_warp_forwardIdddLi1ELb1ELb0ELi32EEEvPT0_PKT_iiiPKbib.num_named_barrier, 0
	.set _ZN12_GLOBAL__N_120softmax_warp_forwardIdddLi1ELb1ELb0ELi32EEEvPT0_PKT_iiiPKbib.private_seg_size, 0
	.set _ZN12_GLOBAL__N_120softmax_warp_forwardIdddLi1ELb1ELb0ELi32EEEvPT0_PKT_iiiPKbib.uses_vcc, 1
	.set _ZN12_GLOBAL__N_120softmax_warp_forwardIdddLi1ELb1ELb0ELi32EEEvPT0_PKT_iiiPKbib.uses_flat_scratch, 0
	.set _ZN12_GLOBAL__N_120softmax_warp_forwardIdddLi1ELb1ELb0ELi32EEEvPT0_PKT_iiiPKbib.has_dyn_sized_stack, 0
	.set _ZN12_GLOBAL__N_120softmax_warp_forwardIdddLi1ELb1ELb0ELi32EEEvPT0_PKT_iiiPKbib.has_recursion, 0
	.set _ZN12_GLOBAL__N_120softmax_warp_forwardIdddLi1ELb1ELb0ELi32EEEvPT0_PKT_iiiPKbib.has_indirect_call, 0
	.section	.AMDGPU.csdata,"",@progbits
; Kernel info:
; codeLenInByte = 2708
; TotalNumSgprs: 18
; NumVgprs: 31
; ScratchSize: 0
; MemoryBound: 1
; FloatMode: 240
; IeeeMode: 1
; LDSByteSize: 0 bytes/workgroup (compile time only)
; SGPRBlocks: 0
; VGPRBlocks: 3
; NumSGPRsForWavesPerEU: 18
; NumVGPRsForWavesPerEU: 31
; Occupancy: 16
; WaveLimiterHint : 0
; COMPUTE_PGM_RSRC2:SCRATCH_EN: 0
; COMPUTE_PGM_RSRC2:USER_SGPR: 6
; COMPUTE_PGM_RSRC2:TRAP_HANDLER: 0
; COMPUTE_PGM_RSRC2:TGID_X_EN: 1
; COMPUTE_PGM_RSRC2:TGID_Y_EN: 0
; COMPUTE_PGM_RSRC2:TGID_Z_EN: 0
; COMPUTE_PGM_RSRC2:TIDIG_COMP_CNT: 1
	.section	.text._ZN12_GLOBAL__N_120softmax_warp_forwardIdddLi2ELb1ELb0ELi64EEEvPT0_PKT_iiiPKbib,"axG",@progbits,_ZN12_GLOBAL__N_120softmax_warp_forwardIdddLi2ELb1ELb0ELi64EEEvPT0_PKT_iiiPKbib,comdat
	.globl	_ZN12_GLOBAL__N_120softmax_warp_forwardIdddLi2ELb1ELb0ELi64EEEvPT0_PKT_iiiPKbib ; -- Begin function _ZN12_GLOBAL__N_120softmax_warp_forwardIdddLi2ELb1ELb0ELi64EEEvPT0_PKT_iiiPKbib
	.p2align	8
	.type	_ZN12_GLOBAL__N_120softmax_warp_forwardIdddLi2ELb1ELb0ELi64EEEvPT0_PKT_iiiPKbib,@function
_ZN12_GLOBAL__N_120softmax_warp_forwardIdddLi2ELb1ELb0ELi64EEEvPT0_PKT_iiiPKbib: ; @_ZN12_GLOBAL__N_120softmax_warp_forwardIdddLi2ELb1ELb0ELi64EEEvPT0_PKT_iiiPKbib
; %bb.0:
	s_clause 0x1
	s_load_dword s0, s[4:5], 0x3c
	s_load_dwordx8 s[8:15], s[4:5], 0x0
	v_mov_b32_e32 v6, 0
	v_mov_b32_e32 v7, 0xfff00000
	s_waitcnt lgkmcnt(0)
	s_lshr_b32 s0, s0, 16
	v_cmp_gt_i32_e32 vcc_lo, s14, v0
	s_and_b32 s0, s0, 0xffff
	s_mul_i32 s6, s6, s0
	v_add_lshl_u32 v3, s6, v1, 1
	v_mad_u64_u32 v[1:2], null, v3, s13, v[0:1]
	v_sub_nc_u32_e32 v13, s12, v3
	v_cmp_lt_i32_e64 s0, 0, v13
	v_ashrrev_i32_e32 v2, 31, v1
	s_and_b32 s2, vcc_lo, s0
	v_lshlrev_b64 v[4:5], 3, v[1:2]
	v_mov_b32_e32 v1, 0
	v_mov_b32_e32 v2, 0xfff00000
	v_add_co_u32 v8, s1, s10, v4
	v_add_co_ci_u32_e64 v9, null, s11, v5, s1
	s_and_saveexec_b32 s1, s2
	s_cbranch_execz .LBB4_2
; %bb.1:
	global_load_dwordx2 v[1:2], v[8:9], off
.LBB4_2:
	s_or_b32 exec_lo, exec_lo, s1
	v_cmp_lt_i32_e64 s1, 1, v13
	s_and_b32 s1, vcc_lo, s1
	s_and_saveexec_b32 s2, s1
	s_cbranch_execz .LBB4_4
; %bb.3:
	s_mov_b32 s15, 0
	s_lshl_b64 s[4:5], s[14:15], 3
	v_add_co_u32 v6, s1, v8, s4
	v_add_co_ci_u32_e64 v7, null, s5, v9, s1
	global_load_dwordx2 v[6:7], v[6:7], off
.LBB4_4:
	s_or_b32 exec_lo, exec_lo, s2
	v_mbcnt_lo_u32_b32 v0, -1, 0
	s_mov_b32 s4, 0x6a5dcb37
	s_mov_b32 s5, 0x3e5ade15
	v_and_b32_e32 v3, 28, v0
	v_xor_b32_e32 v8, 2, v0
	v_xor_b32_e32 v12, 1, v0
	v_add_nc_u32_e32 v3, 4, v3
	v_cmp_lt_i32_e64 s1, v8, v3
	v_cmp_lt_i32_e64 s3, v12, v3
	v_cndmask_b32_e64 v8, v0, v8, s1
	v_cndmask_b32_e64 v0, v0, v12, s3
	v_lshlrev_b32_e32 v20, 2, v8
	v_lshlrev_b32_e32 v21, 2, v0
	s_waitcnt vmcnt(0)
	ds_bpermute_b32 v8, v20, v1
	ds_bpermute_b32 v9, v20, v2
	;; [unrolled: 1-line block ×4, first 2 shown]
	s_waitcnt lgkmcnt(2)
	v_cmp_lt_f64_e64 s1, v[1:2], v[8:9]
	s_waitcnt lgkmcnt(0)
	v_cmp_lt_f64_e64 s2, v[6:7], v[10:11]
	v_cndmask_b32_e64 v9, v2, v9, s1
	v_cndmask_b32_e64 v8, v1, v8, s1
	;; [unrolled: 1-line block ×4, first 2 shown]
	ds_bpermute_b32 v15, v21, v9
	ds_bpermute_b32 v14, v21, v8
	ds_bpermute_b32 v17, v21, v11
	ds_bpermute_b32 v16, v21, v10
	s_waitcnt lgkmcnt(2)
	v_cmp_lt_f64_e64 s1, v[8:9], v[14:15]
	s_waitcnt lgkmcnt(0)
	v_cmp_lt_f64_e64 s2, v[10:11], v[16:17]
	v_cndmask_b32_e64 v9, v9, v15, s1
	v_cndmask_b32_e64 v8, v8, v14, s1
	;; [unrolled: 1-line block ×4, first 2 shown]
	s_mov_b32 s2, 0x652b82fe
	s_mov_b32 s3, 0x3ff71547
	v_add_f64 v[2:3], v[1:2], -v[8:9]
	v_add_f64 v[0:1], v[6:7], -v[10:11]
	v_mul_f64 v[6:7], v[2:3], s[2:3]
	v_cmp_nlt_f64_e64 s1, 0x40900000, v[2:3]
	v_mul_f64 v[8:9], v[0:1], s[2:3]
	s_mov_b32 s2, 0xfefa39ef
	s_mov_b32 s3, 0xbfe62e42
	v_rndne_f64_e32 v[6:7], v[6:7]
	v_rndne_f64_e32 v[8:9], v[8:9]
	v_fma_f64 v[10:11], v[6:7], s[2:3], v[2:3]
	v_cvt_i32_f64_e32 v12, v[6:7]
	v_fma_f64 v[14:15], v[8:9], s[2:3], v[0:1]
	s_mov_b32 s2, 0x3b39803f
	s_mov_b32 s3, 0xbc7abc9e
	v_fma_f64 v[10:11], v[6:7], s[2:3], v[10:11]
	v_fma_f64 v[14:15], v[8:9], s[2:3], v[14:15]
	s_mov_b32 s2, 0xfca7ab0c
	s_mov_b32 s3, 0x3e928af3
	v_fma_f64 v[16:17], v[10:11], s[4:5], s[2:3]
	v_fma_f64 v[18:19], v[14:15], s[4:5], s[2:3]
	s_mov_b32 s2, 0x623fde64
	s_mov_b32 s3, 0x3ec71dee
	v_cmp_ngt_f64_e64 s4, 0xc090cc00, v[0:1]
	v_fma_f64 v[16:17], v[10:11], v[16:17], s[2:3]
	v_fma_f64 v[18:19], v[14:15], v[18:19], s[2:3]
	s_mov_b32 s2, 0x7c89e6b0
	s_mov_b32 s3, 0x3efa0199
	v_fma_f64 v[16:17], v[10:11], v[16:17], s[2:3]
	v_fma_f64 v[18:19], v[14:15], v[18:19], s[2:3]
	s_mov_b32 s2, 0x14761f6e
	s_mov_b32 s3, 0x3f2a01a0
	;; [unrolled: 4-line block ×7, first 2 shown]
	v_fma_f64 v[16:17], v[10:11], v[16:17], s[2:3]
	v_fma_f64 v[18:19], v[14:15], v[18:19], s[2:3]
	v_cmp_nlt_f64_e64 s3, 0x40900000, v[0:1]
	v_cmp_ngt_f64_e64 s2, 0xc090cc00, v[2:3]
	v_fma_f64 v[16:17], v[10:11], v[16:17], 1.0
	v_fma_f64 v[18:19], v[14:15], v[18:19], 1.0
	;; [unrolled: 1-line block ×3, first 2 shown]
	v_cvt_i32_f64_e32 v10, v[8:9]
	v_fma_f64 v[8:9], v[14:15], v[18:19], 1.0
	v_ldexp_f64 v[6:7], v[6:7], v12
	v_ldexp_f64 v[8:9], v[8:9], v10
	v_add_f64 v[6:7], v[6:7], 0
	v_add_f64 v[8:9], v[8:9], 0
	v_cndmask_b32_e64 v7, 0x7ff00000, v7, s1
	s_and_b32 s1, s2, s1
	v_cndmask_b32_e64 v9, 0x7ff00000, v9, s3
	v_cndmask_b32_e64 v6, 0, v6, s1
	s_and_b32 s1, s4, s3
	v_cndmask_b32_e64 v7, 0, v7, s2
	v_cndmask_b32_e64 v11, 0, v8, s1
	;; [unrolled: 1-line block ×3, first 2 shown]
	ds_bpermute_b32 v8, v20, v6
	ds_bpermute_b32 v9, v20, v7
	;; [unrolled: 1-line block ×4, first 2 shown]
	s_waitcnt lgkmcnt(2)
	v_add_f64 v[9:10], v[6:7], v[8:9]
	s_waitcnt lgkmcnt(0)
	v_add_f64 v[6:7], v[11:12], v[14:15]
	ds_bpermute_b32 v11, v21, v9
	ds_bpermute_b32 v12, v21, v10
	;; [unrolled: 1-line block ×4, first 2 shown]
	s_and_saveexec_b32 s1, s0
	s_cbranch_execz .LBB4_9
; %bb.5:
	v_add_co_u32 v4, s0, s8, v4
	v_add_co_ci_u32_e64 v5, null, s9, v5, s0
	s_and_saveexec_b32 s1, vcc_lo
	s_cbranch_execz .LBB4_7
; %bb.6:
	s_waitcnt lgkmcnt(2)
	v_add_f64 v[9:10], v[9:10], v[11:12]
	s_mov_b32 s3, 0x3fe55555
	s_mov_b32 s2, 0x55555555
	;; [unrolled: 1-line block ×6, first 2 shown]
	v_frexp_mant_f64_e32 v[11:12], v[9:10]
	v_frexp_exp_i32_f64_e32 v15, v[9:10]
	v_cmp_gt_f64_e64 s0, s[2:3], v[11:12]
	s_mov_b32 s2, 0x55555780
	v_subrev_co_ci_u32_e64 v27, null, 0, v15, s0
	v_cndmask_b32_e64 v15, 0, 1, s0
	v_cmp_class_f64_e64 s0, v[9:10], 0x204
	v_ldexp_f64 v[11:12], v[11:12], v15
	v_add_f64 v[15:16], v[11:12], 1.0
	v_add_f64 v[21:22], v[11:12], -1.0
	v_rcp_f64_e32 v[17:18], v[15:16]
	v_add_f64 v[23:24], v[15:16], -1.0
	v_add_f64 v[11:12], v[11:12], -v[23:24]
	v_fma_f64 v[19:20], -v[15:16], v[17:18], 1.0
	v_fma_f64 v[17:18], v[19:20], v[17:18], v[17:18]
	v_fma_f64 v[19:20], -v[15:16], v[17:18], 1.0
	v_fma_f64 v[17:18], v[19:20], v[17:18], v[17:18]
	v_mul_f64 v[19:20], v[21:22], v[17:18]
	v_mul_f64 v[25:26], v[15:16], v[19:20]
	v_fma_f64 v[15:16], v[19:20], v[15:16], -v[25:26]
	v_fma_f64 v[11:12], v[19:20], v[11:12], v[15:16]
	v_add_f64 v[15:16], v[25:26], v[11:12]
	v_add_f64 v[23:24], v[21:22], -v[15:16]
	v_add_f64 v[25:26], v[15:16], -v[25:26]
	;; [unrolled: 1-line block ×5, first 2 shown]
	v_add_f64 v[11:12], v[11:12], v[15:16]
	v_add_f64 v[11:12], v[23:24], v[11:12]
	v_mul_f64 v[11:12], v[17:18], v[11:12]
	v_add_f64 v[15:16], v[19:20], v[11:12]
	v_mul_f64 v[17:18], v[15:16], v[15:16]
	v_fma_f64 v[21:22], v[17:18], s[6:7], s[4:5]
	s_mov_b32 s4, 0xd7f4df2e
	s_mov_b32 s5, 0x3fc7474d
	v_mul_f64 v[23:24], v[15:16], v[17:18]
	v_fma_f64 v[21:22], v[17:18], v[21:22], s[4:5]
	s_mov_b32 s4, 0x16291751
	s_mov_b32 s5, 0x3fcc71c0
	v_fma_f64 v[21:22], v[17:18], v[21:22], s[4:5]
	s_mov_b32 s4, 0x9b27acf1
	s_mov_b32 s5, 0x3fd24924
	;; [unrolled: 3-line block ×3, first 2 shown]
	v_fma_f64 v[21:22], v[17:18], v[21:22], s[4:5]
	v_fma_f64 v[17:18], v[17:18], v[21:22], s[2:3]
	v_ldexp_f64 v[21:22], v[15:16], 1
	v_add_f64 v[15:16], v[15:16], -v[19:20]
	s_mov_b32 s2, 0xfefa39ef
	s_mov_b32 s3, 0x3fe62e42
	v_mul_f64 v[17:18], v[23:24], v[17:18]
	v_cvt_f64_i32_e32 v[23:24], v27
	v_add_f64 v[11:12], v[11:12], -v[15:16]
	v_add_f64 v[19:20], v[21:22], v[17:18]
	v_mul_f64 v[25:26], v[23:24], s[2:3]
	v_ldexp_f64 v[11:12], v[11:12], 1
	v_add_f64 v[15:16], v[19:20], -v[21:22]
	v_fma_f64 v[21:22], v[23:24], s[2:3], -v[25:26]
	s_mov_b32 s2, 0x3b39803f
	s_mov_b32 s3, 0x3c7abc9e
	v_add_f64 v[15:16], v[17:18], -v[15:16]
	v_fma_f64 v[17:18], v[23:24], s[2:3], v[21:22]
	v_add_f64 v[11:12], v[11:12], v[15:16]
	v_add_f64 v[15:16], v[25:26], v[17:18]
	;; [unrolled: 1-line block ×3, first 2 shown]
	v_add_f64 v[25:26], v[15:16], -v[25:26]
	v_add_f64 v[23:24], v[15:16], v[21:22]
	v_add_f64 v[19:20], v[21:22], -v[19:20]
	v_add_f64 v[17:18], v[17:18], -v[25:26]
	;; [unrolled: 1-line block ×6, first 2 shown]
	v_add_f64 v[21:22], v[17:18], v[11:12]
	v_add_f64 v[15:16], v[15:16], -v[29:30]
	v_add_f64 v[15:16], v[19:20], v[15:16]
	v_add_f64 v[19:20], v[21:22], -v[17:18]
	;; [unrolled: 2-line block ×3, first 2 shown]
	v_add_f64 v[11:12], v[11:12], -v[19:20]
	v_add_f64 v[25:26], v[23:24], v[15:16]
	v_add_f64 v[17:18], v[17:18], -v[21:22]
	v_add_f64 v[19:20], v[25:26], -v[23:24]
	v_add_f64 v[11:12], v[11:12], v[17:18]
	v_add_f64 v[15:16], v[15:16], -v[19:20]
	v_add_f64 v[11:12], v[11:12], v[15:16]
	v_add_f64 v[11:12], v[25:26], v[11:12]
	v_cndmask_b32_e64 v11, v11, v9, s0
	v_cndmask_b32_e64 v12, v12, v10, s0
	v_cmp_ngt_f64_e64 s0, 0, v[9:10]
	v_cndmask_b32_e64 v12, 0x7ff80000, v12, s0
	v_cmp_nge_f64_e64 s0, 0, v[9:10]
	v_cndmask_b32_e64 v11, 0, v11, s0
	v_cmp_neq_f64_e64 s0, 0, v[9:10]
	v_cndmask_b32_e64 v12, 0xfff00000, v12, s0
	v_add_f64 v[2:3], v[2:3], -v[11:12]
	global_store_dwordx2 v[4:5], v[2:3], off
.LBB4_7:
	s_or_b32 exec_lo, exec_lo, s1
	v_cmp_ne_u32_e64 s0, 1, v13
	s_and_b32 s0, s0, vcc_lo
	s_and_b32 exec_lo, exec_lo, s0
	s_cbranch_execz .LBB4_9
; %bb.8:
	s_waitcnt lgkmcnt(0)
	v_mov_b32_e32 v9, v14
	s_mov_b32 s1, 0x3fe55555
	s_mov_b32 s0, 0x55555555
	;; [unrolled: 1-line block ×4, first 2 shown]
	v_add_f64 v[2:3], v[6:7], v[8:9]
	s_mov_b32 s3, 0x3fc38538
	s_mov_b32 s5, 0x3fc3ab76
	;; [unrolled: 1-line block ×3, first 2 shown]
	v_frexp_mant_f64_e32 v[6:7], v[2:3]
	v_frexp_exp_i32_f64_e32 v8, v[2:3]
	v_cmp_gt_f64_e32 vcc_lo, s[0:1], v[6:7]
	s_mov_b32 s0, 0x55555780
	v_subrev_co_ci_u32_e64 v20, null, 0, v8, vcc_lo
	v_cndmask_b32_e64 v8, 0, 1, vcc_lo
	v_cmp_class_f64_e64 vcc_lo, v[2:3], 0x204
	v_ldexp_f64 v[6:7], v[6:7], v8
	v_add_f64 v[8:9], v[6:7], 1.0
	v_add_f64 v[14:15], v[6:7], -1.0
	v_rcp_f64_e32 v[10:11], v[8:9]
	v_add_f64 v[16:17], v[8:9], -1.0
	v_add_f64 v[6:7], v[6:7], -v[16:17]
	v_fma_f64 v[12:13], -v[8:9], v[10:11], 1.0
	v_fma_f64 v[10:11], v[12:13], v[10:11], v[10:11]
	v_fma_f64 v[12:13], -v[8:9], v[10:11], 1.0
	v_fma_f64 v[10:11], v[12:13], v[10:11], v[10:11]
	v_mul_f64 v[12:13], v[14:15], v[10:11]
	v_mul_f64 v[18:19], v[8:9], v[12:13]
	v_fma_f64 v[8:9], v[12:13], v[8:9], -v[18:19]
	v_fma_f64 v[6:7], v[12:13], v[6:7], v[8:9]
	v_add_f64 v[8:9], v[18:19], v[6:7]
	v_add_f64 v[16:17], v[14:15], -v[8:9]
	v_add_f64 v[18:19], v[8:9], -v[18:19]
	;; [unrolled: 1-line block ×5, first 2 shown]
	v_add_f64 v[6:7], v[6:7], v[8:9]
	v_add_f64 v[6:7], v[16:17], v[6:7]
	v_mul_f64 v[6:7], v[10:11], v[6:7]
	v_add_f64 v[8:9], v[12:13], v[6:7]
	v_mul_f64 v[10:11], v[8:9], v[8:9]
	v_fma_f64 v[14:15], v[10:11], s[4:5], s[2:3]
	s_mov_b32 s2, 0xd7f4df2e
	s_mov_b32 s3, 0x3fc7474d
	v_mul_f64 v[16:17], v[8:9], v[10:11]
	v_fma_f64 v[14:15], v[10:11], v[14:15], s[2:3]
	s_mov_b32 s2, 0x16291751
	s_mov_b32 s3, 0x3fcc71c0
	v_fma_f64 v[14:15], v[10:11], v[14:15], s[2:3]
	s_mov_b32 s2, 0x9b27acf1
	s_mov_b32 s3, 0x3fd24924
	;; [unrolled: 3-line block ×3, first 2 shown]
	v_fma_f64 v[14:15], v[10:11], v[14:15], s[2:3]
	v_fma_f64 v[10:11], v[10:11], v[14:15], s[0:1]
	v_ldexp_f64 v[14:15], v[8:9], 1
	v_add_f64 v[8:9], v[8:9], -v[12:13]
	s_mov_b32 s0, 0xfefa39ef
	s_mov_b32 s1, 0x3fe62e42
	v_mul_f64 v[10:11], v[16:17], v[10:11]
	v_cvt_f64_i32_e32 v[16:17], v20
	v_add_f64 v[6:7], v[6:7], -v[8:9]
	v_add_f64 v[12:13], v[14:15], v[10:11]
	v_mul_f64 v[18:19], v[16:17], s[0:1]
	v_ldexp_f64 v[6:7], v[6:7], 1
	v_add_f64 v[8:9], v[12:13], -v[14:15]
	v_fma_f64 v[14:15], v[16:17], s[0:1], -v[18:19]
	s_mov_b32 s0, 0x3b39803f
	s_mov_b32 s1, 0x3c7abc9e
	v_add_f64 v[8:9], v[10:11], -v[8:9]
	v_fma_f64 v[10:11], v[16:17], s[0:1], v[14:15]
	s_lshl_b64 s[0:1], s[14:15], 3
	v_add_f64 v[6:7], v[6:7], v[8:9]
	v_add_f64 v[8:9], v[18:19], v[10:11]
	v_add_f64 v[14:15], v[12:13], v[6:7]
	v_add_f64 v[18:19], v[8:9], -v[18:19]
	v_add_f64 v[16:17], v[8:9], v[14:15]
	v_add_f64 v[12:13], v[14:15], -v[12:13]
	v_add_f64 v[10:11], v[10:11], -v[18:19]
	;; [unrolled: 1-line block ×6, first 2 shown]
	v_add_f64 v[14:15], v[10:11], v[6:7]
	v_add_f64 v[8:9], v[8:9], -v[22:23]
	v_add_f64 v[8:9], v[12:13], v[8:9]
	v_add_f64 v[12:13], v[14:15], -v[10:11]
	;; [unrolled: 2-line block ×3, first 2 shown]
	v_add_f64 v[6:7], v[6:7], -v[12:13]
	v_add_f64 v[18:19], v[16:17], v[8:9]
	v_add_f64 v[10:11], v[10:11], -v[14:15]
	v_add_f64 v[12:13], v[18:19], -v[16:17]
	v_add_f64 v[6:7], v[6:7], v[10:11]
	v_add_f64 v[8:9], v[8:9], -v[12:13]
	v_add_f64 v[6:7], v[6:7], v[8:9]
	v_add_f64 v[6:7], v[18:19], v[6:7]
	v_cndmask_b32_e32 v6, v6, v2, vcc_lo
	v_cndmask_b32_e32 v7, v7, v3, vcc_lo
	v_cmp_ngt_f64_e32 vcc_lo, 0, v[2:3]
	v_cndmask_b32_e32 v7, 0x7ff80000, v7, vcc_lo
	v_cmp_nge_f64_e32 vcc_lo, 0, v[2:3]
	v_cndmask_b32_e32 v6, 0, v6, vcc_lo
	v_cmp_neq_f64_e32 vcc_lo, 0, v[2:3]
	v_cndmask_b32_e32 v7, 0xfff00000, v7, vcc_lo
	v_add_co_u32 v2, vcc_lo, v4, s0
	v_add_co_ci_u32_e64 v3, null, s1, v5, vcc_lo
	v_add_f64 v[0:1], v[0:1], -v[6:7]
	global_store_dwordx2 v[2:3], v[0:1], off
.LBB4_9:
	s_endpgm
	.section	.rodata,"a",@progbits
	.p2align	6, 0x0
	.amdhsa_kernel _ZN12_GLOBAL__N_120softmax_warp_forwardIdddLi2ELb1ELb0ELi64EEEvPT0_PKT_iiiPKbib
		.amdhsa_group_segment_fixed_size 0
		.amdhsa_private_segment_fixed_size 0
		.amdhsa_kernarg_size 304
		.amdhsa_user_sgpr_count 6
		.amdhsa_user_sgpr_private_segment_buffer 1
		.amdhsa_user_sgpr_dispatch_ptr 0
		.amdhsa_user_sgpr_queue_ptr 0
		.amdhsa_user_sgpr_kernarg_segment_ptr 1
		.amdhsa_user_sgpr_dispatch_id 0
		.amdhsa_user_sgpr_flat_scratch_init 0
		.amdhsa_user_sgpr_private_segment_size 0
		.amdhsa_wavefront_size32 1
		.amdhsa_uses_dynamic_stack 0
		.amdhsa_system_sgpr_private_segment_wavefront_offset 0
		.amdhsa_system_sgpr_workgroup_id_x 1
		.amdhsa_system_sgpr_workgroup_id_y 0
		.amdhsa_system_sgpr_workgroup_id_z 0
		.amdhsa_system_sgpr_workgroup_info 0
		.amdhsa_system_vgpr_workitem_id 1
		.amdhsa_next_free_vgpr 31
		.amdhsa_next_free_sgpr 16
		.amdhsa_reserve_vcc 1
		.amdhsa_reserve_flat_scratch 0
		.amdhsa_float_round_mode_32 0
		.amdhsa_float_round_mode_16_64 0
		.amdhsa_float_denorm_mode_32 3
		.amdhsa_float_denorm_mode_16_64 3
		.amdhsa_dx10_clamp 1
		.amdhsa_ieee_mode 1
		.amdhsa_fp16_overflow 0
		.amdhsa_workgroup_processor_mode 1
		.amdhsa_memory_ordered 1
		.amdhsa_forward_progress 1
		.amdhsa_shared_vgpr_count 0
		.amdhsa_exception_fp_ieee_invalid_op 0
		.amdhsa_exception_fp_denorm_src 0
		.amdhsa_exception_fp_ieee_div_zero 0
		.amdhsa_exception_fp_ieee_overflow 0
		.amdhsa_exception_fp_ieee_underflow 0
		.amdhsa_exception_fp_ieee_inexact 0
		.amdhsa_exception_int_div_zero 0
	.end_amdhsa_kernel
	.section	.text._ZN12_GLOBAL__N_120softmax_warp_forwardIdddLi2ELb1ELb0ELi64EEEvPT0_PKT_iiiPKbib,"axG",@progbits,_ZN12_GLOBAL__N_120softmax_warp_forwardIdddLi2ELb1ELb0ELi64EEEvPT0_PKT_iiiPKbib,comdat
.Lfunc_end4:
	.size	_ZN12_GLOBAL__N_120softmax_warp_forwardIdddLi2ELb1ELb0ELi64EEEvPT0_PKT_iiiPKbib, .Lfunc_end4-_ZN12_GLOBAL__N_120softmax_warp_forwardIdddLi2ELb1ELb0ELi64EEEvPT0_PKT_iiiPKbib
                                        ; -- End function
	.set _ZN12_GLOBAL__N_120softmax_warp_forwardIdddLi2ELb1ELb0ELi64EEEvPT0_PKT_iiiPKbib.num_vgpr, 31
	.set _ZN12_GLOBAL__N_120softmax_warp_forwardIdddLi2ELb1ELb0ELi64EEEvPT0_PKT_iiiPKbib.num_agpr, 0
	.set _ZN12_GLOBAL__N_120softmax_warp_forwardIdddLi2ELb1ELb0ELi64EEEvPT0_PKT_iiiPKbib.numbered_sgpr, 16
	.set _ZN12_GLOBAL__N_120softmax_warp_forwardIdddLi2ELb1ELb0ELi64EEEvPT0_PKT_iiiPKbib.num_named_barrier, 0
	.set _ZN12_GLOBAL__N_120softmax_warp_forwardIdddLi2ELb1ELb0ELi64EEEvPT0_PKT_iiiPKbib.private_seg_size, 0
	.set _ZN12_GLOBAL__N_120softmax_warp_forwardIdddLi2ELb1ELb0ELi64EEEvPT0_PKT_iiiPKbib.uses_vcc, 1
	.set _ZN12_GLOBAL__N_120softmax_warp_forwardIdddLi2ELb1ELb0ELi64EEEvPT0_PKT_iiiPKbib.uses_flat_scratch, 0
	.set _ZN12_GLOBAL__N_120softmax_warp_forwardIdddLi2ELb1ELb0ELi64EEEvPT0_PKT_iiiPKbib.has_dyn_sized_stack, 0
	.set _ZN12_GLOBAL__N_120softmax_warp_forwardIdddLi2ELb1ELb0ELi64EEEvPT0_PKT_iiiPKbib.has_recursion, 0
	.set _ZN12_GLOBAL__N_120softmax_warp_forwardIdddLi2ELb1ELb0ELi64EEEvPT0_PKT_iiiPKbib.has_indirect_call, 0
	.section	.AMDGPU.csdata,"",@progbits
; Kernel info:
; codeLenInByte = 2872
; TotalNumSgprs: 18
; NumVgprs: 31
; ScratchSize: 0
; MemoryBound: 1
; FloatMode: 240
; IeeeMode: 1
; LDSByteSize: 0 bytes/workgroup (compile time only)
; SGPRBlocks: 0
; VGPRBlocks: 3
; NumSGPRsForWavesPerEU: 18
; NumVGPRsForWavesPerEU: 31
; Occupancy: 16
; WaveLimiterHint : 0
; COMPUTE_PGM_RSRC2:SCRATCH_EN: 0
; COMPUTE_PGM_RSRC2:USER_SGPR: 6
; COMPUTE_PGM_RSRC2:TRAP_HANDLER: 0
; COMPUTE_PGM_RSRC2:TGID_X_EN: 1
; COMPUTE_PGM_RSRC2:TGID_Y_EN: 0
; COMPUTE_PGM_RSRC2:TGID_Z_EN: 0
; COMPUTE_PGM_RSRC2:TIDIG_COMP_CNT: 1
	.section	.text._ZN12_GLOBAL__N_120softmax_warp_forwardIdddLi2ELb1ELb0ELi32EEEvPT0_PKT_iiiPKbib,"axG",@progbits,_ZN12_GLOBAL__N_120softmax_warp_forwardIdddLi2ELb1ELb0ELi32EEEvPT0_PKT_iiiPKbib,comdat
	.globl	_ZN12_GLOBAL__N_120softmax_warp_forwardIdddLi2ELb1ELb0ELi32EEEvPT0_PKT_iiiPKbib ; -- Begin function _ZN12_GLOBAL__N_120softmax_warp_forwardIdddLi2ELb1ELb0ELi32EEEvPT0_PKT_iiiPKbib
	.p2align	8
	.type	_ZN12_GLOBAL__N_120softmax_warp_forwardIdddLi2ELb1ELb0ELi32EEEvPT0_PKT_iiiPKbib,@function
_ZN12_GLOBAL__N_120softmax_warp_forwardIdddLi2ELb1ELb0ELi32EEEvPT0_PKT_iiiPKbib: ; @_ZN12_GLOBAL__N_120softmax_warp_forwardIdddLi2ELb1ELb0ELi32EEEvPT0_PKT_iiiPKbib
; %bb.0:
	s_clause 0x1
	s_load_dword s0, s[4:5], 0x3c
	s_load_dwordx8 s[8:15], s[4:5], 0x0
	v_mov_b32_e32 v6, 0
	v_mov_b32_e32 v7, 0xfff00000
	s_waitcnt lgkmcnt(0)
	s_lshr_b32 s0, s0, 16
	v_cmp_gt_i32_e32 vcc_lo, s14, v0
	s_and_b32 s0, s0, 0xffff
	s_mul_i32 s6, s6, s0
	v_add_lshl_u32 v3, s6, v1, 1
	v_mad_u64_u32 v[1:2], null, v3, s13, v[0:1]
	v_sub_nc_u32_e32 v13, s12, v3
	v_cmp_lt_i32_e64 s0, 0, v13
	v_ashrrev_i32_e32 v2, 31, v1
	s_and_b32 s2, vcc_lo, s0
	v_lshlrev_b64 v[4:5], 3, v[1:2]
	v_mov_b32_e32 v1, 0
	v_mov_b32_e32 v2, 0xfff00000
	v_add_co_u32 v8, s1, s10, v4
	v_add_co_ci_u32_e64 v9, null, s11, v5, s1
	s_and_saveexec_b32 s1, s2
	s_cbranch_execz .LBB5_2
; %bb.1:
	global_load_dwordx2 v[1:2], v[8:9], off
.LBB5_2:
	s_or_b32 exec_lo, exec_lo, s1
	v_cmp_lt_i32_e64 s1, 1, v13
	s_and_b32 s1, vcc_lo, s1
	s_and_saveexec_b32 s2, s1
	s_cbranch_execz .LBB5_4
; %bb.3:
	s_mov_b32 s15, 0
	s_lshl_b64 s[4:5], s[14:15], 3
	v_add_co_u32 v6, s1, v8, s4
	v_add_co_ci_u32_e64 v7, null, s5, v9, s1
	global_load_dwordx2 v[6:7], v[6:7], off
.LBB5_4:
	s_or_b32 exec_lo, exec_lo, s2
	v_mbcnt_lo_u32_b32 v0, -1, 0
	s_mov_b32 s4, 0x6a5dcb37
	s_mov_b32 s5, 0x3e5ade15
	v_and_b32_e32 v3, 28, v0
	v_xor_b32_e32 v8, 2, v0
	v_xor_b32_e32 v12, 1, v0
	v_add_nc_u32_e32 v3, 4, v3
	v_cmp_lt_i32_e64 s1, v8, v3
	v_cmp_lt_i32_e64 s3, v12, v3
	v_cndmask_b32_e64 v8, v0, v8, s1
	v_cndmask_b32_e64 v0, v0, v12, s3
	v_lshlrev_b32_e32 v20, 2, v8
	v_lshlrev_b32_e32 v21, 2, v0
	s_waitcnt vmcnt(0)
	ds_bpermute_b32 v8, v20, v1
	ds_bpermute_b32 v9, v20, v2
	ds_bpermute_b32 v10, v20, v6
	ds_bpermute_b32 v11, v20, v7
	s_waitcnt lgkmcnt(2)
	v_cmp_lt_f64_e64 s1, v[1:2], v[8:9]
	s_waitcnt lgkmcnt(0)
	v_cmp_lt_f64_e64 s2, v[6:7], v[10:11]
	v_cndmask_b32_e64 v9, v2, v9, s1
	v_cndmask_b32_e64 v8, v1, v8, s1
	;; [unrolled: 1-line block ×4, first 2 shown]
	ds_bpermute_b32 v15, v21, v9
	ds_bpermute_b32 v14, v21, v8
	;; [unrolled: 1-line block ×4, first 2 shown]
	s_waitcnt lgkmcnt(2)
	v_cmp_lt_f64_e64 s1, v[8:9], v[14:15]
	s_waitcnt lgkmcnt(0)
	v_cmp_lt_f64_e64 s2, v[10:11], v[16:17]
	v_cndmask_b32_e64 v9, v9, v15, s1
	v_cndmask_b32_e64 v8, v8, v14, s1
	;; [unrolled: 1-line block ×4, first 2 shown]
	s_mov_b32 s2, 0x652b82fe
	s_mov_b32 s3, 0x3ff71547
	v_add_f64 v[2:3], v[1:2], -v[8:9]
	v_add_f64 v[0:1], v[6:7], -v[10:11]
	v_mul_f64 v[6:7], v[2:3], s[2:3]
	v_cmp_nlt_f64_e64 s1, 0x40900000, v[2:3]
	v_mul_f64 v[8:9], v[0:1], s[2:3]
	s_mov_b32 s2, 0xfefa39ef
	s_mov_b32 s3, 0xbfe62e42
	v_rndne_f64_e32 v[6:7], v[6:7]
	v_rndne_f64_e32 v[8:9], v[8:9]
	v_fma_f64 v[10:11], v[6:7], s[2:3], v[2:3]
	v_cvt_i32_f64_e32 v12, v[6:7]
	v_fma_f64 v[14:15], v[8:9], s[2:3], v[0:1]
	s_mov_b32 s2, 0x3b39803f
	s_mov_b32 s3, 0xbc7abc9e
	v_fma_f64 v[10:11], v[6:7], s[2:3], v[10:11]
	v_fma_f64 v[14:15], v[8:9], s[2:3], v[14:15]
	s_mov_b32 s2, 0xfca7ab0c
	s_mov_b32 s3, 0x3e928af3
	v_fma_f64 v[16:17], v[10:11], s[4:5], s[2:3]
	v_fma_f64 v[18:19], v[14:15], s[4:5], s[2:3]
	s_mov_b32 s2, 0x623fde64
	s_mov_b32 s3, 0x3ec71dee
	v_cmp_ngt_f64_e64 s4, 0xc090cc00, v[0:1]
	v_fma_f64 v[16:17], v[10:11], v[16:17], s[2:3]
	v_fma_f64 v[18:19], v[14:15], v[18:19], s[2:3]
	s_mov_b32 s2, 0x7c89e6b0
	s_mov_b32 s3, 0x3efa0199
	v_fma_f64 v[16:17], v[10:11], v[16:17], s[2:3]
	v_fma_f64 v[18:19], v[14:15], v[18:19], s[2:3]
	s_mov_b32 s2, 0x14761f6e
	s_mov_b32 s3, 0x3f2a01a0
	;; [unrolled: 4-line block ×7, first 2 shown]
	v_fma_f64 v[16:17], v[10:11], v[16:17], s[2:3]
	v_fma_f64 v[18:19], v[14:15], v[18:19], s[2:3]
	v_cmp_nlt_f64_e64 s3, 0x40900000, v[0:1]
	v_cmp_ngt_f64_e64 s2, 0xc090cc00, v[2:3]
	v_fma_f64 v[16:17], v[10:11], v[16:17], 1.0
	v_fma_f64 v[18:19], v[14:15], v[18:19], 1.0
	;; [unrolled: 1-line block ×3, first 2 shown]
	v_cvt_i32_f64_e32 v10, v[8:9]
	v_fma_f64 v[8:9], v[14:15], v[18:19], 1.0
	v_ldexp_f64 v[6:7], v[6:7], v12
	v_ldexp_f64 v[8:9], v[8:9], v10
	v_add_f64 v[6:7], v[6:7], 0
	v_add_f64 v[8:9], v[8:9], 0
	v_cndmask_b32_e64 v7, 0x7ff00000, v7, s1
	s_and_b32 s1, s2, s1
	v_cndmask_b32_e64 v9, 0x7ff00000, v9, s3
	v_cndmask_b32_e64 v6, 0, v6, s1
	s_and_b32 s1, s4, s3
	v_cndmask_b32_e64 v7, 0, v7, s2
	v_cndmask_b32_e64 v11, 0, v8, s1
	;; [unrolled: 1-line block ×3, first 2 shown]
	ds_bpermute_b32 v8, v20, v6
	ds_bpermute_b32 v9, v20, v7
	;; [unrolled: 1-line block ×4, first 2 shown]
	s_waitcnt lgkmcnt(2)
	v_add_f64 v[9:10], v[6:7], v[8:9]
	s_waitcnt lgkmcnt(0)
	v_add_f64 v[6:7], v[11:12], v[14:15]
	ds_bpermute_b32 v11, v21, v9
	ds_bpermute_b32 v12, v21, v10
	;; [unrolled: 1-line block ×4, first 2 shown]
	s_and_saveexec_b32 s1, s0
	s_cbranch_execz .LBB5_9
; %bb.5:
	v_add_co_u32 v4, s0, s8, v4
	v_add_co_ci_u32_e64 v5, null, s9, v5, s0
	s_and_saveexec_b32 s1, vcc_lo
	s_cbranch_execz .LBB5_7
; %bb.6:
	s_waitcnt lgkmcnt(2)
	v_add_f64 v[9:10], v[9:10], v[11:12]
	s_mov_b32 s3, 0x3fe55555
	s_mov_b32 s2, 0x55555555
	;; [unrolled: 1-line block ×6, first 2 shown]
	v_frexp_mant_f64_e32 v[11:12], v[9:10]
	v_frexp_exp_i32_f64_e32 v15, v[9:10]
	v_cmp_gt_f64_e64 s0, s[2:3], v[11:12]
	s_mov_b32 s2, 0x55555780
	v_subrev_co_ci_u32_e64 v27, null, 0, v15, s0
	v_cndmask_b32_e64 v15, 0, 1, s0
	v_cmp_class_f64_e64 s0, v[9:10], 0x204
	v_ldexp_f64 v[11:12], v[11:12], v15
	v_add_f64 v[15:16], v[11:12], 1.0
	v_add_f64 v[21:22], v[11:12], -1.0
	v_rcp_f64_e32 v[17:18], v[15:16]
	v_add_f64 v[23:24], v[15:16], -1.0
	v_add_f64 v[11:12], v[11:12], -v[23:24]
	v_fma_f64 v[19:20], -v[15:16], v[17:18], 1.0
	v_fma_f64 v[17:18], v[19:20], v[17:18], v[17:18]
	v_fma_f64 v[19:20], -v[15:16], v[17:18], 1.0
	v_fma_f64 v[17:18], v[19:20], v[17:18], v[17:18]
	v_mul_f64 v[19:20], v[21:22], v[17:18]
	v_mul_f64 v[25:26], v[15:16], v[19:20]
	v_fma_f64 v[15:16], v[19:20], v[15:16], -v[25:26]
	v_fma_f64 v[11:12], v[19:20], v[11:12], v[15:16]
	v_add_f64 v[15:16], v[25:26], v[11:12]
	v_add_f64 v[23:24], v[21:22], -v[15:16]
	v_add_f64 v[25:26], v[15:16], -v[25:26]
	v_add_f64 v[21:22], v[21:22], -v[23:24]
	v_add_f64 v[11:12], v[25:26], -v[11:12]
	v_add_f64 v[15:16], v[21:22], -v[15:16]
	v_add_f64 v[11:12], v[11:12], v[15:16]
	v_add_f64 v[11:12], v[23:24], v[11:12]
	v_mul_f64 v[11:12], v[17:18], v[11:12]
	v_add_f64 v[15:16], v[19:20], v[11:12]
	v_mul_f64 v[17:18], v[15:16], v[15:16]
	v_fma_f64 v[21:22], v[17:18], s[6:7], s[4:5]
	s_mov_b32 s4, 0xd7f4df2e
	s_mov_b32 s5, 0x3fc7474d
	v_mul_f64 v[23:24], v[15:16], v[17:18]
	v_fma_f64 v[21:22], v[17:18], v[21:22], s[4:5]
	s_mov_b32 s4, 0x16291751
	s_mov_b32 s5, 0x3fcc71c0
	v_fma_f64 v[21:22], v[17:18], v[21:22], s[4:5]
	s_mov_b32 s4, 0x9b27acf1
	s_mov_b32 s5, 0x3fd24924
	;; [unrolled: 3-line block ×3, first 2 shown]
	v_fma_f64 v[21:22], v[17:18], v[21:22], s[4:5]
	v_fma_f64 v[17:18], v[17:18], v[21:22], s[2:3]
	v_ldexp_f64 v[21:22], v[15:16], 1
	v_add_f64 v[15:16], v[15:16], -v[19:20]
	s_mov_b32 s2, 0xfefa39ef
	s_mov_b32 s3, 0x3fe62e42
	v_mul_f64 v[17:18], v[23:24], v[17:18]
	v_cvt_f64_i32_e32 v[23:24], v27
	v_add_f64 v[11:12], v[11:12], -v[15:16]
	v_add_f64 v[19:20], v[21:22], v[17:18]
	v_mul_f64 v[25:26], v[23:24], s[2:3]
	v_ldexp_f64 v[11:12], v[11:12], 1
	v_add_f64 v[15:16], v[19:20], -v[21:22]
	v_fma_f64 v[21:22], v[23:24], s[2:3], -v[25:26]
	s_mov_b32 s2, 0x3b39803f
	s_mov_b32 s3, 0x3c7abc9e
	v_add_f64 v[15:16], v[17:18], -v[15:16]
	v_fma_f64 v[17:18], v[23:24], s[2:3], v[21:22]
	v_add_f64 v[11:12], v[11:12], v[15:16]
	v_add_f64 v[15:16], v[25:26], v[17:18]
	;; [unrolled: 1-line block ×3, first 2 shown]
	v_add_f64 v[25:26], v[15:16], -v[25:26]
	v_add_f64 v[23:24], v[15:16], v[21:22]
	v_add_f64 v[19:20], v[21:22], -v[19:20]
	v_add_f64 v[17:18], v[17:18], -v[25:26]
	;; [unrolled: 1-line block ×6, first 2 shown]
	v_add_f64 v[21:22], v[17:18], v[11:12]
	v_add_f64 v[15:16], v[15:16], -v[29:30]
	v_add_f64 v[15:16], v[19:20], v[15:16]
	v_add_f64 v[19:20], v[21:22], -v[17:18]
	;; [unrolled: 2-line block ×3, first 2 shown]
	v_add_f64 v[11:12], v[11:12], -v[19:20]
	v_add_f64 v[25:26], v[23:24], v[15:16]
	v_add_f64 v[17:18], v[17:18], -v[21:22]
	v_add_f64 v[19:20], v[25:26], -v[23:24]
	v_add_f64 v[11:12], v[11:12], v[17:18]
	v_add_f64 v[15:16], v[15:16], -v[19:20]
	v_add_f64 v[11:12], v[11:12], v[15:16]
	v_add_f64 v[11:12], v[25:26], v[11:12]
	v_cndmask_b32_e64 v11, v11, v9, s0
	v_cndmask_b32_e64 v12, v12, v10, s0
	v_cmp_ngt_f64_e64 s0, 0, v[9:10]
	v_cndmask_b32_e64 v12, 0x7ff80000, v12, s0
	v_cmp_nge_f64_e64 s0, 0, v[9:10]
	v_cndmask_b32_e64 v11, 0, v11, s0
	v_cmp_neq_f64_e64 s0, 0, v[9:10]
	v_cndmask_b32_e64 v12, 0xfff00000, v12, s0
	v_add_f64 v[2:3], v[2:3], -v[11:12]
	global_store_dwordx2 v[4:5], v[2:3], off
.LBB5_7:
	s_or_b32 exec_lo, exec_lo, s1
	v_cmp_ne_u32_e64 s0, 1, v13
	s_and_b32 s0, s0, vcc_lo
	s_and_b32 exec_lo, exec_lo, s0
	s_cbranch_execz .LBB5_9
; %bb.8:
	s_waitcnt lgkmcnt(0)
	v_mov_b32_e32 v9, v14
	s_mov_b32 s1, 0x3fe55555
	s_mov_b32 s0, 0x55555555
	;; [unrolled: 1-line block ×4, first 2 shown]
	v_add_f64 v[2:3], v[6:7], v[8:9]
	s_mov_b32 s3, 0x3fc38538
	s_mov_b32 s5, 0x3fc3ab76
	;; [unrolled: 1-line block ×3, first 2 shown]
	v_frexp_mant_f64_e32 v[6:7], v[2:3]
	v_frexp_exp_i32_f64_e32 v8, v[2:3]
	v_cmp_gt_f64_e32 vcc_lo, s[0:1], v[6:7]
	s_mov_b32 s0, 0x55555780
	v_subrev_co_ci_u32_e64 v20, null, 0, v8, vcc_lo
	v_cndmask_b32_e64 v8, 0, 1, vcc_lo
	v_cmp_class_f64_e64 vcc_lo, v[2:3], 0x204
	v_ldexp_f64 v[6:7], v[6:7], v8
	v_add_f64 v[8:9], v[6:7], 1.0
	v_add_f64 v[14:15], v[6:7], -1.0
	v_rcp_f64_e32 v[10:11], v[8:9]
	v_add_f64 v[16:17], v[8:9], -1.0
	v_add_f64 v[6:7], v[6:7], -v[16:17]
	v_fma_f64 v[12:13], -v[8:9], v[10:11], 1.0
	v_fma_f64 v[10:11], v[12:13], v[10:11], v[10:11]
	v_fma_f64 v[12:13], -v[8:9], v[10:11], 1.0
	v_fma_f64 v[10:11], v[12:13], v[10:11], v[10:11]
	v_mul_f64 v[12:13], v[14:15], v[10:11]
	v_mul_f64 v[18:19], v[8:9], v[12:13]
	v_fma_f64 v[8:9], v[12:13], v[8:9], -v[18:19]
	v_fma_f64 v[6:7], v[12:13], v[6:7], v[8:9]
	v_add_f64 v[8:9], v[18:19], v[6:7]
	v_add_f64 v[16:17], v[14:15], -v[8:9]
	v_add_f64 v[18:19], v[8:9], -v[18:19]
	;; [unrolled: 1-line block ×5, first 2 shown]
	v_add_f64 v[6:7], v[6:7], v[8:9]
	v_add_f64 v[6:7], v[16:17], v[6:7]
	v_mul_f64 v[6:7], v[10:11], v[6:7]
	v_add_f64 v[8:9], v[12:13], v[6:7]
	v_mul_f64 v[10:11], v[8:9], v[8:9]
	v_fma_f64 v[14:15], v[10:11], s[4:5], s[2:3]
	s_mov_b32 s2, 0xd7f4df2e
	s_mov_b32 s3, 0x3fc7474d
	v_mul_f64 v[16:17], v[8:9], v[10:11]
	v_fma_f64 v[14:15], v[10:11], v[14:15], s[2:3]
	s_mov_b32 s2, 0x16291751
	s_mov_b32 s3, 0x3fcc71c0
	v_fma_f64 v[14:15], v[10:11], v[14:15], s[2:3]
	s_mov_b32 s2, 0x9b27acf1
	s_mov_b32 s3, 0x3fd24924
	;; [unrolled: 3-line block ×3, first 2 shown]
	v_fma_f64 v[14:15], v[10:11], v[14:15], s[2:3]
	v_fma_f64 v[10:11], v[10:11], v[14:15], s[0:1]
	v_ldexp_f64 v[14:15], v[8:9], 1
	v_add_f64 v[8:9], v[8:9], -v[12:13]
	s_mov_b32 s0, 0xfefa39ef
	s_mov_b32 s1, 0x3fe62e42
	v_mul_f64 v[10:11], v[16:17], v[10:11]
	v_cvt_f64_i32_e32 v[16:17], v20
	v_add_f64 v[6:7], v[6:7], -v[8:9]
	v_add_f64 v[12:13], v[14:15], v[10:11]
	v_mul_f64 v[18:19], v[16:17], s[0:1]
	v_ldexp_f64 v[6:7], v[6:7], 1
	v_add_f64 v[8:9], v[12:13], -v[14:15]
	v_fma_f64 v[14:15], v[16:17], s[0:1], -v[18:19]
	s_mov_b32 s0, 0x3b39803f
	s_mov_b32 s1, 0x3c7abc9e
	v_add_f64 v[8:9], v[10:11], -v[8:9]
	v_fma_f64 v[10:11], v[16:17], s[0:1], v[14:15]
	s_lshl_b64 s[0:1], s[14:15], 3
	v_add_f64 v[6:7], v[6:7], v[8:9]
	v_add_f64 v[8:9], v[18:19], v[10:11]
	;; [unrolled: 1-line block ×3, first 2 shown]
	v_add_f64 v[18:19], v[8:9], -v[18:19]
	v_add_f64 v[16:17], v[8:9], v[14:15]
	v_add_f64 v[12:13], v[14:15], -v[12:13]
	v_add_f64 v[10:11], v[10:11], -v[18:19]
	;; [unrolled: 1-line block ×6, first 2 shown]
	v_add_f64 v[14:15], v[10:11], v[6:7]
	v_add_f64 v[8:9], v[8:9], -v[22:23]
	v_add_f64 v[8:9], v[12:13], v[8:9]
	v_add_f64 v[12:13], v[14:15], -v[10:11]
	;; [unrolled: 2-line block ×3, first 2 shown]
	v_add_f64 v[6:7], v[6:7], -v[12:13]
	v_add_f64 v[18:19], v[16:17], v[8:9]
	v_add_f64 v[10:11], v[10:11], -v[14:15]
	v_add_f64 v[12:13], v[18:19], -v[16:17]
	v_add_f64 v[6:7], v[6:7], v[10:11]
	v_add_f64 v[8:9], v[8:9], -v[12:13]
	v_add_f64 v[6:7], v[6:7], v[8:9]
	v_add_f64 v[6:7], v[18:19], v[6:7]
	v_cndmask_b32_e32 v6, v6, v2, vcc_lo
	v_cndmask_b32_e32 v7, v7, v3, vcc_lo
	v_cmp_ngt_f64_e32 vcc_lo, 0, v[2:3]
	v_cndmask_b32_e32 v7, 0x7ff80000, v7, vcc_lo
	v_cmp_nge_f64_e32 vcc_lo, 0, v[2:3]
	v_cndmask_b32_e32 v6, 0, v6, vcc_lo
	v_cmp_neq_f64_e32 vcc_lo, 0, v[2:3]
	v_cndmask_b32_e32 v7, 0xfff00000, v7, vcc_lo
	v_add_co_u32 v2, vcc_lo, v4, s0
	v_add_co_ci_u32_e64 v3, null, s1, v5, vcc_lo
	v_add_f64 v[0:1], v[0:1], -v[6:7]
	global_store_dwordx2 v[2:3], v[0:1], off
.LBB5_9:
	s_endpgm
	.section	.rodata,"a",@progbits
	.p2align	6, 0x0
	.amdhsa_kernel _ZN12_GLOBAL__N_120softmax_warp_forwardIdddLi2ELb1ELb0ELi32EEEvPT0_PKT_iiiPKbib
		.amdhsa_group_segment_fixed_size 0
		.amdhsa_private_segment_fixed_size 0
		.amdhsa_kernarg_size 304
		.amdhsa_user_sgpr_count 6
		.amdhsa_user_sgpr_private_segment_buffer 1
		.amdhsa_user_sgpr_dispatch_ptr 0
		.amdhsa_user_sgpr_queue_ptr 0
		.amdhsa_user_sgpr_kernarg_segment_ptr 1
		.amdhsa_user_sgpr_dispatch_id 0
		.amdhsa_user_sgpr_flat_scratch_init 0
		.amdhsa_user_sgpr_private_segment_size 0
		.amdhsa_wavefront_size32 1
		.amdhsa_uses_dynamic_stack 0
		.amdhsa_system_sgpr_private_segment_wavefront_offset 0
		.amdhsa_system_sgpr_workgroup_id_x 1
		.amdhsa_system_sgpr_workgroup_id_y 0
		.amdhsa_system_sgpr_workgroup_id_z 0
		.amdhsa_system_sgpr_workgroup_info 0
		.amdhsa_system_vgpr_workitem_id 1
		.amdhsa_next_free_vgpr 31
		.amdhsa_next_free_sgpr 16
		.amdhsa_reserve_vcc 1
		.amdhsa_reserve_flat_scratch 0
		.amdhsa_float_round_mode_32 0
		.amdhsa_float_round_mode_16_64 0
		.amdhsa_float_denorm_mode_32 3
		.amdhsa_float_denorm_mode_16_64 3
		.amdhsa_dx10_clamp 1
		.amdhsa_ieee_mode 1
		.amdhsa_fp16_overflow 0
		.amdhsa_workgroup_processor_mode 1
		.amdhsa_memory_ordered 1
		.amdhsa_forward_progress 1
		.amdhsa_shared_vgpr_count 0
		.amdhsa_exception_fp_ieee_invalid_op 0
		.amdhsa_exception_fp_denorm_src 0
		.amdhsa_exception_fp_ieee_div_zero 0
		.amdhsa_exception_fp_ieee_overflow 0
		.amdhsa_exception_fp_ieee_underflow 0
		.amdhsa_exception_fp_ieee_inexact 0
		.amdhsa_exception_int_div_zero 0
	.end_amdhsa_kernel
	.section	.text._ZN12_GLOBAL__N_120softmax_warp_forwardIdddLi2ELb1ELb0ELi32EEEvPT0_PKT_iiiPKbib,"axG",@progbits,_ZN12_GLOBAL__N_120softmax_warp_forwardIdddLi2ELb1ELb0ELi32EEEvPT0_PKT_iiiPKbib,comdat
.Lfunc_end5:
	.size	_ZN12_GLOBAL__N_120softmax_warp_forwardIdddLi2ELb1ELb0ELi32EEEvPT0_PKT_iiiPKbib, .Lfunc_end5-_ZN12_GLOBAL__N_120softmax_warp_forwardIdddLi2ELb1ELb0ELi32EEEvPT0_PKT_iiiPKbib
                                        ; -- End function
	.set _ZN12_GLOBAL__N_120softmax_warp_forwardIdddLi2ELb1ELb0ELi32EEEvPT0_PKT_iiiPKbib.num_vgpr, 31
	.set _ZN12_GLOBAL__N_120softmax_warp_forwardIdddLi2ELb1ELb0ELi32EEEvPT0_PKT_iiiPKbib.num_agpr, 0
	.set _ZN12_GLOBAL__N_120softmax_warp_forwardIdddLi2ELb1ELb0ELi32EEEvPT0_PKT_iiiPKbib.numbered_sgpr, 16
	.set _ZN12_GLOBAL__N_120softmax_warp_forwardIdddLi2ELb1ELb0ELi32EEEvPT0_PKT_iiiPKbib.num_named_barrier, 0
	.set _ZN12_GLOBAL__N_120softmax_warp_forwardIdddLi2ELb1ELb0ELi32EEEvPT0_PKT_iiiPKbib.private_seg_size, 0
	.set _ZN12_GLOBAL__N_120softmax_warp_forwardIdddLi2ELb1ELb0ELi32EEEvPT0_PKT_iiiPKbib.uses_vcc, 1
	.set _ZN12_GLOBAL__N_120softmax_warp_forwardIdddLi2ELb1ELb0ELi32EEEvPT0_PKT_iiiPKbib.uses_flat_scratch, 0
	.set _ZN12_GLOBAL__N_120softmax_warp_forwardIdddLi2ELb1ELb0ELi32EEEvPT0_PKT_iiiPKbib.has_dyn_sized_stack, 0
	.set _ZN12_GLOBAL__N_120softmax_warp_forwardIdddLi2ELb1ELb0ELi32EEEvPT0_PKT_iiiPKbib.has_recursion, 0
	.set _ZN12_GLOBAL__N_120softmax_warp_forwardIdddLi2ELb1ELb0ELi32EEEvPT0_PKT_iiiPKbib.has_indirect_call, 0
	.section	.AMDGPU.csdata,"",@progbits
; Kernel info:
; codeLenInByte = 2872
; TotalNumSgprs: 18
; NumVgprs: 31
; ScratchSize: 0
; MemoryBound: 1
; FloatMode: 240
; IeeeMode: 1
; LDSByteSize: 0 bytes/workgroup (compile time only)
; SGPRBlocks: 0
; VGPRBlocks: 3
; NumSGPRsForWavesPerEU: 18
; NumVGPRsForWavesPerEU: 31
; Occupancy: 16
; WaveLimiterHint : 0
; COMPUTE_PGM_RSRC2:SCRATCH_EN: 0
; COMPUTE_PGM_RSRC2:USER_SGPR: 6
; COMPUTE_PGM_RSRC2:TRAP_HANDLER: 0
; COMPUTE_PGM_RSRC2:TGID_X_EN: 1
; COMPUTE_PGM_RSRC2:TGID_Y_EN: 0
; COMPUTE_PGM_RSRC2:TGID_Z_EN: 0
; COMPUTE_PGM_RSRC2:TIDIG_COMP_CNT: 1
	.section	.text._ZN12_GLOBAL__N_120softmax_warp_forwardIdddLi3ELb1ELb0ELi64EEEvPT0_PKT_iiiPKbib,"axG",@progbits,_ZN12_GLOBAL__N_120softmax_warp_forwardIdddLi3ELb1ELb0ELi64EEEvPT0_PKT_iiiPKbib,comdat
	.globl	_ZN12_GLOBAL__N_120softmax_warp_forwardIdddLi3ELb1ELb0ELi64EEEvPT0_PKT_iiiPKbib ; -- Begin function _ZN12_GLOBAL__N_120softmax_warp_forwardIdddLi3ELb1ELb0ELi64EEEvPT0_PKT_iiiPKbib
	.p2align	8
	.type	_ZN12_GLOBAL__N_120softmax_warp_forwardIdddLi3ELb1ELb0ELi64EEEvPT0_PKT_iiiPKbib,@function
_ZN12_GLOBAL__N_120softmax_warp_forwardIdddLi3ELb1ELb0ELi64EEEvPT0_PKT_iiiPKbib: ; @_ZN12_GLOBAL__N_120softmax_warp_forwardIdddLi3ELb1ELb0ELi64EEEvPT0_PKT_iiiPKbib
; %bb.0:
	s_clause 0x1
	s_load_dword s0, s[4:5], 0x3c
	s_load_dwordx8 s[8:15], s[4:5], 0x0
	v_mov_b32_e32 v6, 0
	v_mov_b32_e32 v7, 0xfff00000
	s_waitcnt lgkmcnt(0)
	s_lshr_b32 s0, s0, 16
	v_cmp_gt_i32_e32 vcc_lo, s14, v0
	s_and_b32 s0, s0, 0xffff
	s_mul_i32 s6, s6, s0
	v_add_lshl_u32 v3, s6, v1, 1
	v_mad_u64_u32 v[1:2], null, v3, s13, v[0:1]
	v_sub_nc_u32_e32 v13, s12, v3
	v_cmp_lt_i32_e64 s0, 0, v13
	v_ashrrev_i32_e32 v2, 31, v1
	s_and_b32 s2, vcc_lo, s0
	v_lshlrev_b64 v[4:5], 3, v[1:2]
	v_mov_b32_e32 v1, 0
	v_mov_b32_e32 v2, 0xfff00000
	v_add_co_u32 v8, s1, s10, v4
	v_add_co_ci_u32_e64 v9, null, s11, v5, s1
	s_and_saveexec_b32 s1, s2
	s_cbranch_execz .LBB6_2
; %bb.1:
	global_load_dwordx2 v[1:2], v[8:9], off
.LBB6_2:
	s_or_b32 exec_lo, exec_lo, s1
	v_cmp_lt_i32_e64 s1, 1, v13
	s_and_b32 s1, vcc_lo, s1
	s_and_saveexec_b32 s2, s1
	s_cbranch_execz .LBB6_4
; %bb.3:
	s_mov_b32 s15, 0
	s_lshl_b64 s[4:5], s[14:15], 3
	v_add_co_u32 v6, s1, v8, s4
	v_add_co_ci_u32_e64 v7, null, s5, v9, s1
	global_load_dwordx2 v[6:7], v[6:7], off
.LBB6_4:
	s_or_b32 exec_lo, exec_lo, s2
	v_mbcnt_lo_u32_b32 v0, -1, 0
	s_mov_b32 s4, 0x6a5dcb37
	s_mov_b32 s5, 0x3e5ade15
	v_and_b32_e32 v3, 24, v0
	v_xor_b32_e32 v8, 4, v0
	v_xor_b32_e32 v14, 2, v0
	;; [unrolled: 1-line block ×3, first 2 shown]
	v_add_nc_u32_e32 v3, 8, v3
	v_cmp_lt_i32_e64 s1, v8, v3
	v_cmp_lt_i32_e64 s3, v14, v3
	v_cndmask_b32_e64 v8, v0, v8, s1
	v_cndmask_b32_e64 v14, v0, v14, s3
	v_cmp_lt_i32_e64 s3, v18, v3
	v_lshlrev_b32_e32 v8, 2, v8
	v_lshlrev_b32_e32 v20, 2, v14
	v_cndmask_b32_e64 v0, v0, v18, s3
	s_waitcnt vmcnt(0)
	ds_bpermute_b32 v9, v8, v1
	ds_bpermute_b32 v10, v8, v2
	;; [unrolled: 1-line block ×4, first 2 shown]
	v_lshlrev_b32_e32 v21, 2, v0
	s_waitcnt lgkmcnt(2)
	v_cmp_lt_f64_e64 s1, v[1:2], v[9:10]
	s_waitcnt lgkmcnt(0)
	v_cmp_lt_f64_e64 s2, v[6:7], v[11:12]
	v_cndmask_b32_e64 v10, v2, v10, s1
	v_cndmask_b32_e64 v9, v1, v9, s1
	;; [unrolled: 1-line block ×4, first 2 shown]
	ds_bpermute_b32 v15, v20, v10
	ds_bpermute_b32 v14, v20, v9
	;; [unrolled: 1-line block ×4, first 2 shown]
	s_waitcnt lgkmcnt(2)
	v_cmp_lt_f64_e64 s1, v[9:10], v[14:15]
	s_waitcnt lgkmcnt(0)
	v_cmp_lt_f64_e64 s2, v[11:12], v[16:17]
	v_cndmask_b32_e64 v10, v10, v15, s1
	v_cndmask_b32_e64 v9, v9, v14, s1
	;; [unrolled: 1-line block ×4, first 2 shown]
	ds_bpermute_b32 v15, v21, v10
	ds_bpermute_b32 v14, v21, v9
	;; [unrolled: 1-line block ×4, first 2 shown]
	s_waitcnt lgkmcnt(2)
	v_cmp_lt_f64_e64 s1, v[9:10], v[14:15]
	s_waitcnt lgkmcnt(0)
	v_cmp_lt_f64_e64 s2, v[11:12], v[16:17]
	v_cndmask_b32_e64 v10, v10, v15, s1
	v_cndmask_b32_e64 v9, v9, v14, s1
	;; [unrolled: 1-line block ×4, first 2 shown]
	s_mov_b32 s2, 0x652b82fe
	s_mov_b32 s3, 0x3ff71547
	v_add_f64 v[2:3], v[1:2], -v[9:10]
	v_add_f64 v[0:1], v[6:7], -v[11:12]
	v_mul_f64 v[6:7], v[2:3], s[2:3]
	v_cmp_nlt_f64_e64 s1, 0x40900000, v[2:3]
	v_mul_f64 v[9:10], v[0:1], s[2:3]
	s_mov_b32 s2, 0xfefa39ef
	s_mov_b32 s3, 0xbfe62e42
	v_rndne_f64_e32 v[6:7], v[6:7]
	v_rndne_f64_e32 v[9:10], v[9:10]
	v_fma_f64 v[11:12], v[6:7], s[2:3], v[2:3]
	v_cvt_i32_f64_e32 v22, v[6:7]
	v_fma_f64 v[14:15], v[9:10], s[2:3], v[0:1]
	s_mov_b32 s2, 0x3b39803f
	s_mov_b32 s3, 0xbc7abc9e
	v_fma_f64 v[11:12], v[6:7], s[2:3], v[11:12]
	v_fma_f64 v[14:15], v[9:10], s[2:3], v[14:15]
	s_mov_b32 s2, 0xfca7ab0c
	s_mov_b32 s3, 0x3e928af3
	v_fma_f64 v[16:17], v[11:12], s[4:5], s[2:3]
	v_fma_f64 v[18:19], v[14:15], s[4:5], s[2:3]
	s_mov_b32 s2, 0x623fde64
	s_mov_b32 s3, 0x3ec71dee
	v_cmp_ngt_f64_e64 s4, 0xc090cc00, v[0:1]
	v_fma_f64 v[16:17], v[11:12], v[16:17], s[2:3]
	v_fma_f64 v[18:19], v[14:15], v[18:19], s[2:3]
	s_mov_b32 s2, 0x7c89e6b0
	s_mov_b32 s3, 0x3efa0199
	v_fma_f64 v[16:17], v[11:12], v[16:17], s[2:3]
	v_fma_f64 v[18:19], v[14:15], v[18:19], s[2:3]
	s_mov_b32 s2, 0x14761f6e
	s_mov_b32 s3, 0x3f2a01a0
	v_fma_f64 v[16:17], v[11:12], v[16:17], s[2:3]
	v_fma_f64 v[18:19], v[14:15], v[18:19], s[2:3]
	s_mov_b32 s2, 0x1852b7b0
	s_mov_b32 s3, 0x3f56c16c
	v_fma_f64 v[16:17], v[11:12], v[16:17], s[2:3]
	v_fma_f64 v[18:19], v[14:15], v[18:19], s[2:3]
	s_mov_b32 s2, 0x11122322
	s_mov_b32 s3, 0x3f811111
	v_fma_f64 v[16:17], v[11:12], v[16:17], s[2:3]
	v_fma_f64 v[18:19], v[14:15], v[18:19], s[2:3]
	s_mov_b32 s2, 0x555502a1
	s_mov_b32 s3, 0x3fa55555
	v_fma_f64 v[16:17], v[11:12], v[16:17], s[2:3]
	v_fma_f64 v[18:19], v[14:15], v[18:19], s[2:3]
	s_mov_b32 s2, 0x55555511
	s_mov_b32 s3, 0x3fc55555
	v_fma_f64 v[16:17], v[11:12], v[16:17], s[2:3]
	v_fma_f64 v[18:19], v[14:15], v[18:19], s[2:3]
	s_mov_b32 s2, 11
	s_mov_b32 s3, 0x3fe00000
	v_fma_f64 v[16:17], v[11:12], v[16:17], s[2:3]
	v_fma_f64 v[18:19], v[14:15], v[18:19], s[2:3]
	v_cmp_nlt_f64_e64 s3, 0x40900000, v[0:1]
	v_cmp_ngt_f64_e64 s2, 0xc090cc00, v[2:3]
	v_fma_f64 v[16:17], v[11:12], v[16:17], 1.0
	v_fma_f64 v[18:19], v[14:15], v[18:19], 1.0
	v_fma_f64 v[6:7], v[11:12], v[16:17], 1.0
	v_cvt_i32_f64_e32 v11, v[9:10]
	v_fma_f64 v[9:10], v[14:15], v[18:19], 1.0
	v_ldexp_f64 v[6:7], v[6:7], v22
	v_ldexp_f64 v[9:10], v[9:10], v11
	v_add_f64 v[6:7], v[6:7], 0
	v_add_f64 v[9:10], v[9:10], 0
	v_cndmask_b32_e64 v7, 0x7ff00000, v7, s1
	s_and_b32 s1, s2, s1
	v_cndmask_b32_e64 v10, 0x7ff00000, v10, s3
	v_cndmask_b32_e64 v6, 0, v6, s1
	s_and_b32 s1, s4, s3
	v_cndmask_b32_e64 v7, 0, v7, s2
	v_cndmask_b32_e64 v9, 0, v9, s1
	;; [unrolled: 1-line block ×3, first 2 shown]
	ds_bpermute_b32 v11, v8, v6
	ds_bpermute_b32 v12, v8, v7
	;; [unrolled: 1-line block ×4, first 2 shown]
	s_waitcnt lgkmcnt(2)
	v_add_f64 v[6:7], v[6:7], v[11:12]
	s_waitcnt lgkmcnt(0)
	v_add_f64 v[11:12], v[9:10], v[14:15]
	ds_bpermute_b32 v8, v20, v6
	ds_bpermute_b32 v9, v20, v7
	;; [unrolled: 1-line block ×4, first 2 shown]
	s_waitcnt lgkmcnt(2)
	v_add_f64 v[9:10], v[6:7], v[8:9]
	s_waitcnt lgkmcnt(0)
	v_add_f64 v[6:7], v[11:12], v[14:15]
	ds_bpermute_b32 v11, v21, v9
	ds_bpermute_b32 v12, v21, v10
	;; [unrolled: 1-line block ×4, first 2 shown]
	s_and_saveexec_b32 s1, s0
	s_cbranch_execz .LBB6_9
; %bb.5:
	v_add_co_u32 v4, s0, s8, v4
	v_add_co_ci_u32_e64 v5, null, s9, v5, s0
	s_and_saveexec_b32 s1, vcc_lo
	s_cbranch_execz .LBB6_7
; %bb.6:
	s_waitcnt lgkmcnt(2)
	v_add_f64 v[9:10], v[9:10], v[11:12]
	s_mov_b32 s3, 0x3fe55555
	s_mov_b32 s2, 0x55555555
	;; [unrolled: 1-line block ×6, first 2 shown]
	v_frexp_mant_f64_e32 v[11:12], v[9:10]
	v_frexp_exp_i32_f64_e32 v15, v[9:10]
	v_cmp_gt_f64_e64 s0, s[2:3], v[11:12]
	s_mov_b32 s2, 0x55555780
	v_subrev_co_ci_u32_e64 v27, null, 0, v15, s0
	v_cndmask_b32_e64 v15, 0, 1, s0
	v_cmp_class_f64_e64 s0, v[9:10], 0x204
	v_ldexp_f64 v[11:12], v[11:12], v15
	v_add_f64 v[15:16], v[11:12], 1.0
	v_add_f64 v[21:22], v[11:12], -1.0
	v_rcp_f64_e32 v[17:18], v[15:16]
	v_add_f64 v[23:24], v[15:16], -1.0
	v_add_f64 v[11:12], v[11:12], -v[23:24]
	v_fma_f64 v[19:20], -v[15:16], v[17:18], 1.0
	v_fma_f64 v[17:18], v[19:20], v[17:18], v[17:18]
	v_fma_f64 v[19:20], -v[15:16], v[17:18], 1.0
	v_fma_f64 v[17:18], v[19:20], v[17:18], v[17:18]
	v_mul_f64 v[19:20], v[21:22], v[17:18]
	v_mul_f64 v[25:26], v[15:16], v[19:20]
	v_fma_f64 v[15:16], v[19:20], v[15:16], -v[25:26]
	v_fma_f64 v[11:12], v[19:20], v[11:12], v[15:16]
	v_add_f64 v[15:16], v[25:26], v[11:12]
	v_add_f64 v[23:24], v[21:22], -v[15:16]
	v_add_f64 v[25:26], v[15:16], -v[25:26]
	;; [unrolled: 1-line block ×5, first 2 shown]
	v_add_f64 v[11:12], v[11:12], v[15:16]
	v_add_f64 v[11:12], v[23:24], v[11:12]
	v_mul_f64 v[11:12], v[17:18], v[11:12]
	v_add_f64 v[15:16], v[19:20], v[11:12]
	v_mul_f64 v[17:18], v[15:16], v[15:16]
	v_fma_f64 v[21:22], v[17:18], s[6:7], s[4:5]
	s_mov_b32 s4, 0xd7f4df2e
	s_mov_b32 s5, 0x3fc7474d
	v_mul_f64 v[23:24], v[15:16], v[17:18]
	v_fma_f64 v[21:22], v[17:18], v[21:22], s[4:5]
	s_mov_b32 s4, 0x16291751
	s_mov_b32 s5, 0x3fcc71c0
	v_fma_f64 v[21:22], v[17:18], v[21:22], s[4:5]
	s_mov_b32 s4, 0x9b27acf1
	s_mov_b32 s5, 0x3fd24924
	;; [unrolled: 3-line block ×3, first 2 shown]
	v_fma_f64 v[21:22], v[17:18], v[21:22], s[4:5]
	v_fma_f64 v[17:18], v[17:18], v[21:22], s[2:3]
	v_ldexp_f64 v[21:22], v[15:16], 1
	v_add_f64 v[15:16], v[15:16], -v[19:20]
	s_mov_b32 s2, 0xfefa39ef
	s_mov_b32 s3, 0x3fe62e42
	v_mul_f64 v[17:18], v[23:24], v[17:18]
	v_cvt_f64_i32_e32 v[23:24], v27
	v_add_f64 v[11:12], v[11:12], -v[15:16]
	v_add_f64 v[19:20], v[21:22], v[17:18]
	v_mul_f64 v[25:26], v[23:24], s[2:3]
	v_ldexp_f64 v[11:12], v[11:12], 1
	v_add_f64 v[15:16], v[19:20], -v[21:22]
	v_fma_f64 v[21:22], v[23:24], s[2:3], -v[25:26]
	s_mov_b32 s2, 0x3b39803f
	s_mov_b32 s3, 0x3c7abc9e
	v_add_f64 v[15:16], v[17:18], -v[15:16]
	v_fma_f64 v[17:18], v[23:24], s[2:3], v[21:22]
	v_add_f64 v[11:12], v[11:12], v[15:16]
	v_add_f64 v[15:16], v[25:26], v[17:18]
	v_add_f64 v[21:22], v[19:20], v[11:12]
	v_add_f64 v[25:26], v[15:16], -v[25:26]
	v_add_f64 v[23:24], v[15:16], v[21:22]
	v_add_f64 v[19:20], v[21:22], -v[19:20]
	v_add_f64 v[17:18], v[17:18], -v[25:26]
	;; [unrolled: 1-line block ×6, first 2 shown]
	v_add_f64 v[21:22], v[17:18], v[11:12]
	v_add_f64 v[15:16], v[15:16], -v[29:30]
	v_add_f64 v[15:16], v[19:20], v[15:16]
	v_add_f64 v[19:20], v[21:22], -v[17:18]
	;; [unrolled: 2-line block ×3, first 2 shown]
	v_add_f64 v[11:12], v[11:12], -v[19:20]
	v_add_f64 v[25:26], v[23:24], v[15:16]
	v_add_f64 v[17:18], v[17:18], -v[21:22]
	v_add_f64 v[19:20], v[25:26], -v[23:24]
	v_add_f64 v[11:12], v[11:12], v[17:18]
	v_add_f64 v[15:16], v[15:16], -v[19:20]
	v_add_f64 v[11:12], v[11:12], v[15:16]
	v_add_f64 v[11:12], v[25:26], v[11:12]
	v_cndmask_b32_e64 v11, v11, v9, s0
	v_cndmask_b32_e64 v12, v12, v10, s0
	v_cmp_ngt_f64_e64 s0, 0, v[9:10]
	v_cndmask_b32_e64 v12, 0x7ff80000, v12, s0
	v_cmp_nge_f64_e64 s0, 0, v[9:10]
	v_cndmask_b32_e64 v11, 0, v11, s0
	v_cmp_neq_f64_e64 s0, 0, v[9:10]
	v_cndmask_b32_e64 v12, 0xfff00000, v12, s0
	v_add_f64 v[2:3], v[2:3], -v[11:12]
	global_store_dwordx2 v[4:5], v[2:3], off
.LBB6_7:
	s_or_b32 exec_lo, exec_lo, s1
	v_cmp_ne_u32_e64 s0, 1, v13
	s_and_b32 s0, s0, vcc_lo
	s_and_b32 exec_lo, exec_lo, s0
	s_cbranch_execz .LBB6_9
; %bb.8:
	s_waitcnt lgkmcnt(0)
	v_mov_b32_e32 v9, v14
	s_mov_b32 s1, 0x3fe55555
	s_mov_b32 s0, 0x55555555
	;; [unrolled: 1-line block ×4, first 2 shown]
	v_add_f64 v[2:3], v[6:7], v[8:9]
	s_mov_b32 s3, 0x3fc38538
	s_mov_b32 s5, 0x3fc3ab76
	;; [unrolled: 1-line block ×3, first 2 shown]
	v_frexp_mant_f64_e32 v[6:7], v[2:3]
	v_frexp_exp_i32_f64_e32 v8, v[2:3]
	v_cmp_gt_f64_e32 vcc_lo, s[0:1], v[6:7]
	s_mov_b32 s0, 0x55555780
	v_subrev_co_ci_u32_e64 v20, null, 0, v8, vcc_lo
	v_cndmask_b32_e64 v8, 0, 1, vcc_lo
	v_cmp_class_f64_e64 vcc_lo, v[2:3], 0x204
	v_ldexp_f64 v[6:7], v[6:7], v8
	v_add_f64 v[8:9], v[6:7], 1.0
	v_add_f64 v[14:15], v[6:7], -1.0
	v_rcp_f64_e32 v[10:11], v[8:9]
	v_add_f64 v[16:17], v[8:9], -1.0
	v_add_f64 v[6:7], v[6:7], -v[16:17]
	v_fma_f64 v[12:13], -v[8:9], v[10:11], 1.0
	v_fma_f64 v[10:11], v[12:13], v[10:11], v[10:11]
	v_fma_f64 v[12:13], -v[8:9], v[10:11], 1.0
	v_fma_f64 v[10:11], v[12:13], v[10:11], v[10:11]
	v_mul_f64 v[12:13], v[14:15], v[10:11]
	v_mul_f64 v[18:19], v[8:9], v[12:13]
	v_fma_f64 v[8:9], v[12:13], v[8:9], -v[18:19]
	v_fma_f64 v[6:7], v[12:13], v[6:7], v[8:9]
	v_add_f64 v[8:9], v[18:19], v[6:7]
	v_add_f64 v[16:17], v[14:15], -v[8:9]
	v_add_f64 v[18:19], v[8:9], -v[18:19]
	;; [unrolled: 1-line block ×5, first 2 shown]
	v_add_f64 v[6:7], v[6:7], v[8:9]
	v_add_f64 v[6:7], v[16:17], v[6:7]
	v_mul_f64 v[6:7], v[10:11], v[6:7]
	v_add_f64 v[8:9], v[12:13], v[6:7]
	v_mul_f64 v[10:11], v[8:9], v[8:9]
	v_fma_f64 v[14:15], v[10:11], s[4:5], s[2:3]
	s_mov_b32 s2, 0xd7f4df2e
	s_mov_b32 s3, 0x3fc7474d
	v_mul_f64 v[16:17], v[8:9], v[10:11]
	v_fma_f64 v[14:15], v[10:11], v[14:15], s[2:3]
	s_mov_b32 s2, 0x16291751
	s_mov_b32 s3, 0x3fcc71c0
	v_fma_f64 v[14:15], v[10:11], v[14:15], s[2:3]
	s_mov_b32 s2, 0x9b27acf1
	s_mov_b32 s3, 0x3fd24924
	;; [unrolled: 3-line block ×3, first 2 shown]
	v_fma_f64 v[14:15], v[10:11], v[14:15], s[2:3]
	v_fma_f64 v[10:11], v[10:11], v[14:15], s[0:1]
	v_ldexp_f64 v[14:15], v[8:9], 1
	v_add_f64 v[8:9], v[8:9], -v[12:13]
	s_mov_b32 s0, 0xfefa39ef
	s_mov_b32 s1, 0x3fe62e42
	v_mul_f64 v[10:11], v[16:17], v[10:11]
	v_cvt_f64_i32_e32 v[16:17], v20
	v_add_f64 v[6:7], v[6:7], -v[8:9]
	v_add_f64 v[12:13], v[14:15], v[10:11]
	v_mul_f64 v[18:19], v[16:17], s[0:1]
	v_ldexp_f64 v[6:7], v[6:7], 1
	v_add_f64 v[8:9], v[12:13], -v[14:15]
	v_fma_f64 v[14:15], v[16:17], s[0:1], -v[18:19]
	s_mov_b32 s0, 0x3b39803f
	s_mov_b32 s1, 0x3c7abc9e
	v_add_f64 v[8:9], v[10:11], -v[8:9]
	v_fma_f64 v[10:11], v[16:17], s[0:1], v[14:15]
	s_lshl_b64 s[0:1], s[14:15], 3
	v_add_f64 v[6:7], v[6:7], v[8:9]
	v_add_f64 v[8:9], v[18:19], v[10:11]
	;; [unrolled: 1-line block ×3, first 2 shown]
	v_add_f64 v[18:19], v[8:9], -v[18:19]
	v_add_f64 v[16:17], v[8:9], v[14:15]
	v_add_f64 v[12:13], v[14:15], -v[12:13]
	v_add_f64 v[10:11], v[10:11], -v[18:19]
	;; [unrolled: 1-line block ×6, first 2 shown]
	v_add_f64 v[14:15], v[10:11], v[6:7]
	v_add_f64 v[8:9], v[8:9], -v[22:23]
	v_add_f64 v[8:9], v[12:13], v[8:9]
	v_add_f64 v[12:13], v[14:15], -v[10:11]
	;; [unrolled: 2-line block ×3, first 2 shown]
	v_add_f64 v[6:7], v[6:7], -v[12:13]
	v_add_f64 v[18:19], v[16:17], v[8:9]
	v_add_f64 v[10:11], v[10:11], -v[14:15]
	v_add_f64 v[12:13], v[18:19], -v[16:17]
	v_add_f64 v[6:7], v[6:7], v[10:11]
	v_add_f64 v[8:9], v[8:9], -v[12:13]
	v_add_f64 v[6:7], v[6:7], v[8:9]
	v_add_f64 v[6:7], v[18:19], v[6:7]
	v_cndmask_b32_e32 v6, v6, v2, vcc_lo
	v_cndmask_b32_e32 v7, v7, v3, vcc_lo
	v_cmp_ngt_f64_e32 vcc_lo, 0, v[2:3]
	v_cndmask_b32_e32 v7, 0x7ff80000, v7, vcc_lo
	v_cmp_nge_f64_e32 vcc_lo, 0, v[2:3]
	v_cndmask_b32_e32 v6, 0, v6, vcc_lo
	v_cmp_neq_f64_e32 vcc_lo, 0, v[2:3]
	v_cndmask_b32_e32 v7, 0xfff00000, v7, vcc_lo
	v_add_co_u32 v2, vcc_lo, v4, s0
	v_add_co_ci_u32_e64 v3, null, s1, v5, vcc_lo
	v_add_f64 v[0:1], v[0:1], -v[6:7]
	global_store_dwordx2 v[2:3], v[0:1], off
.LBB6_9:
	s_endpgm
	.section	.rodata,"a",@progbits
	.p2align	6, 0x0
	.amdhsa_kernel _ZN12_GLOBAL__N_120softmax_warp_forwardIdddLi3ELb1ELb0ELi64EEEvPT0_PKT_iiiPKbib
		.amdhsa_group_segment_fixed_size 0
		.amdhsa_private_segment_fixed_size 0
		.amdhsa_kernarg_size 304
		.amdhsa_user_sgpr_count 6
		.amdhsa_user_sgpr_private_segment_buffer 1
		.amdhsa_user_sgpr_dispatch_ptr 0
		.amdhsa_user_sgpr_queue_ptr 0
		.amdhsa_user_sgpr_kernarg_segment_ptr 1
		.amdhsa_user_sgpr_dispatch_id 0
		.amdhsa_user_sgpr_flat_scratch_init 0
		.amdhsa_user_sgpr_private_segment_size 0
		.amdhsa_wavefront_size32 1
		.amdhsa_uses_dynamic_stack 0
		.amdhsa_system_sgpr_private_segment_wavefront_offset 0
		.amdhsa_system_sgpr_workgroup_id_x 1
		.amdhsa_system_sgpr_workgroup_id_y 0
		.amdhsa_system_sgpr_workgroup_id_z 0
		.amdhsa_system_sgpr_workgroup_info 0
		.amdhsa_system_vgpr_workitem_id 1
		.amdhsa_next_free_vgpr 31
		.amdhsa_next_free_sgpr 16
		.amdhsa_reserve_vcc 1
		.amdhsa_reserve_flat_scratch 0
		.amdhsa_float_round_mode_32 0
		.amdhsa_float_round_mode_16_64 0
		.amdhsa_float_denorm_mode_32 3
		.amdhsa_float_denorm_mode_16_64 3
		.amdhsa_dx10_clamp 1
		.amdhsa_ieee_mode 1
		.amdhsa_fp16_overflow 0
		.amdhsa_workgroup_processor_mode 1
		.amdhsa_memory_ordered 1
		.amdhsa_forward_progress 1
		.amdhsa_shared_vgpr_count 0
		.amdhsa_exception_fp_ieee_invalid_op 0
		.amdhsa_exception_fp_denorm_src 0
		.amdhsa_exception_fp_ieee_div_zero 0
		.amdhsa_exception_fp_ieee_overflow 0
		.amdhsa_exception_fp_ieee_underflow 0
		.amdhsa_exception_fp_ieee_inexact 0
		.amdhsa_exception_int_div_zero 0
	.end_amdhsa_kernel
	.section	.text._ZN12_GLOBAL__N_120softmax_warp_forwardIdddLi3ELb1ELb0ELi64EEEvPT0_PKT_iiiPKbib,"axG",@progbits,_ZN12_GLOBAL__N_120softmax_warp_forwardIdddLi3ELb1ELb0ELi64EEEvPT0_PKT_iiiPKbib,comdat
.Lfunc_end6:
	.size	_ZN12_GLOBAL__N_120softmax_warp_forwardIdddLi3ELb1ELb0ELi64EEEvPT0_PKT_iiiPKbib, .Lfunc_end6-_ZN12_GLOBAL__N_120softmax_warp_forwardIdddLi3ELb1ELb0ELi64EEEvPT0_PKT_iiiPKbib
                                        ; -- End function
	.set _ZN12_GLOBAL__N_120softmax_warp_forwardIdddLi3ELb1ELb0ELi64EEEvPT0_PKT_iiiPKbib.num_vgpr, 31
	.set _ZN12_GLOBAL__N_120softmax_warp_forwardIdddLi3ELb1ELb0ELi64EEEvPT0_PKT_iiiPKbib.num_agpr, 0
	.set _ZN12_GLOBAL__N_120softmax_warp_forwardIdddLi3ELb1ELb0ELi64EEEvPT0_PKT_iiiPKbib.numbered_sgpr, 16
	.set _ZN12_GLOBAL__N_120softmax_warp_forwardIdddLi3ELb1ELb0ELi64EEEvPT0_PKT_iiiPKbib.num_named_barrier, 0
	.set _ZN12_GLOBAL__N_120softmax_warp_forwardIdddLi3ELb1ELb0ELi64EEEvPT0_PKT_iiiPKbib.private_seg_size, 0
	.set _ZN12_GLOBAL__N_120softmax_warp_forwardIdddLi3ELb1ELb0ELi64EEEvPT0_PKT_iiiPKbib.uses_vcc, 1
	.set _ZN12_GLOBAL__N_120softmax_warp_forwardIdddLi3ELb1ELb0ELi64EEEvPT0_PKT_iiiPKbib.uses_flat_scratch, 0
	.set _ZN12_GLOBAL__N_120softmax_warp_forwardIdddLi3ELb1ELb0ELi64EEEvPT0_PKT_iiiPKbib.has_dyn_sized_stack, 0
	.set _ZN12_GLOBAL__N_120softmax_warp_forwardIdddLi3ELb1ELb0ELi64EEEvPT0_PKT_iiiPKbib.has_recursion, 0
	.set _ZN12_GLOBAL__N_120softmax_warp_forwardIdddLi3ELb1ELb0ELi64EEEvPT0_PKT_iiiPKbib.has_indirect_call, 0
	.section	.AMDGPU.csdata,"",@progbits
; Kernel info:
; codeLenInByte = 3040
; TotalNumSgprs: 18
; NumVgprs: 31
; ScratchSize: 0
; MemoryBound: 1
; FloatMode: 240
; IeeeMode: 1
; LDSByteSize: 0 bytes/workgroup (compile time only)
; SGPRBlocks: 0
; VGPRBlocks: 3
; NumSGPRsForWavesPerEU: 18
; NumVGPRsForWavesPerEU: 31
; Occupancy: 16
; WaveLimiterHint : 0
; COMPUTE_PGM_RSRC2:SCRATCH_EN: 0
; COMPUTE_PGM_RSRC2:USER_SGPR: 6
; COMPUTE_PGM_RSRC2:TRAP_HANDLER: 0
; COMPUTE_PGM_RSRC2:TGID_X_EN: 1
; COMPUTE_PGM_RSRC2:TGID_Y_EN: 0
; COMPUTE_PGM_RSRC2:TGID_Z_EN: 0
; COMPUTE_PGM_RSRC2:TIDIG_COMP_CNT: 1
	.section	.text._ZN12_GLOBAL__N_120softmax_warp_forwardIdddLi3ELb1ELb0ELi32EEEvPT0_PKT_iiiPKbib,"axG",@progbits,_ZN12_GLOBAL__N_120softmax_warp_forwardIdddLi3ELb1ELb0ELi32EEEvPT0_PKT_iiiPKbib,comdat
	.globl	_ZN12_GLOBAL__N_120softmax_warp_forwardIdddLi3ELb1ELb0ELi32EEEvPT0_PKT_iiiPKbib ; -- Begin function _ZN12_GLOBAL__N_120softmax_warp_forwardIdddLi3ELb1ELb0ELi32EEEvPT0_PKT_iiiPKbib
	.p2align	8
	.type	_ZN12_GLOBAL__N_120softmax_warp_forwardIdddLi3ELb1ELb0ELi32EEEvPT0_PKT_iiiPKbib,@function
_ZN12_GLOBAL__N_120softmax_warp_forwardIdddLi3ELb1ELb0ELi32EEEvPT0_PKT_iiiPKbib: ; @_ZN12_GLOBAL__N_120softmax_warp_forwardIdddLi3ELb1ELb0ELi32EEEvPT0_PKT_iiiPKbib
; %bb.0:
	s_clause 0x1
	s_load_dword s0, s[4:5], 0x3c
	s_load_dwordx8 s[8:15], s[4:5], 0x0
	v_mov_b32_e32 v6, 0
	v_mov_b32_e32 v7, 0xfff00000
	s_waitcnt lgkmcnt(0)
	s_lshr_b32 s0, s0, 16
	v_cmp_gt_i32_e32 vcc_lo, s14, v0
	s_and_b32 s0, s0, 0xffff
	s_mul_i32 s6, s6, s0
	v_add_lshl_u32 v3, s6, v1, 1
	v_mad_u64_u32 v[1:2], null, v3, s13, v[0:1]
	v_sub_nc_u32_e32 v13, s12, v3
	v_cmp_lt_i32_e64 s0, 0, v13
	v_ashrrev_i32_e32 v2, 31, v1
	s_and_b32 s2, vcc_lo, s0
	v_lshlrev_b64 v[4:5], 3, v[1:2]
	v_mov_b32_e32 v1, 0
	v_mov_b32_e32 v2, 0xfff00000
	v_add_co_u32 v8, s1, s10, v4
	v_add_co_ci_u32_e64 v9, null, s11, v5, s1
	s_and_saveexec_b32 s1, s2
	s_cbranch_execz .LBB7_2
; %bb.1:
	global_load_dwordx2 v[1:2], v[8:9], off
.LBB7_2:
	s_or_b32 exec_lo, exec_lo, s1
	v_cmp_lt_i32_e64 s1, 1, v13
	s_and_b32 s1, vcc_lo, s1
	s_and_saveexec_b32 s2, s1
	s_cbranch_execz .LBB7_4
; %bb.3:
	s_mov_b32 s15, 0
	s_lshl_b64 s[4:5], s[14:15], 3
	v_add_co_u32 v6, s1, v8, s4
	v_add_co_ci_u32_e64 v7, null, s5, v9, s1
	global_load_dwordx2 v[6:7], v[6:7], off
.LBB7_4:
	s_or_b32 exec_lo, exec_lo, s2
	v_mbcnt_lo_u32_b32 v0, -1, 0
	s_mov_b32 s4, 0x6a5dcb37
	s_mov_b32 s5, 0x3e5ade15
	v_and_b32_e32 v3, 24, v0
	v_xor_b32_e32 v8, 4, v0
	v_xor_b32_e32 v14, 2, v0
	;; [unrolled: 1-line block ×3, first 2 shown]
	v_add_nc_u32_e32 v3, 8, v3
	v_cmp_lt_i32_e64 s1, v8, v3
	v_cmp_lt_i32_e64 s3, v14, v3
	v_cndmask_b32_e64 v8, v0, v8, s1
	v_cndmask_b32_e64 v14, v0, v14, s3
	v_cmp_lt_i32_e64 s3, v18, v3
	v_lshlrev_b32_e32 v8, 2, v8
	v_lshlrev_b32_e32 v20, 2, v14
	v_cndmask_b32_e64 v0, v0, v18, s3
	s_waitcnt vmcnt(0)
	ds_bpermute_b32 v9, v8, v1
	ds_bpermute_b32 v10, v8, v2
	;; [unrolled: 1-line block ×4, first 2 shown]
	v_lshlrev_b32_e32 v21, 2, v0
	s_waitcnt lgkmcnt(2)
	v_cmp_lt_f64_e64 s1, v[1:2], v[9:10]
	s_waitcnt lgkmcnt(0)
	v_cmp_lt_f64_e64 s2, v[6:7], v[11:12]
	v_cndmask_b32_e64 v10, v2, v10, s1
	v_cndmask_b32_e64 v9, v1, v9, s1
	;; [unrolled: 1-line block ×4, first 2 shown]
	ds_bpermute_b32 v15, v20, v10
	ds_bpermute_b32 v14, v20, v9
	;; [unrolled: 1-line block ×4, first 2 shown]
	s_waitcnt lgkmcnt(2)
	v_cmp_lt_f64_e64 s1, v[9:10], v[14:15]
	s_waitcnt lgkmcnt(0)
	v_cmp_lt_f64_e64 s2, v[11:12], v[16:17]
	v_cndmask_b32_e64 v10, v10, v15, s1
	v_cndmask_b32_e64 v9, v9, v14, s1
	;; [unrolled: 1-line block ×4, first 2 shown]
	ds_bpermute_b32 v15, v21, v10
	ds_bpermute_b32 v14, v21, v9
	;; [unrolled: 1-line block ×4, first 2 shown]
	s_waitcnt lgkmcnt(2)
	v_cmp_lt_f64_e64 s1, v[9:10], v[14:15]
	s_waitcnt lgkmcnt(0)
	v_cmp_lt_f64_e64 s2, v[11:12], v[16:17]
	v_cndmask_b32_e64 v10, v10, v15, s1
	v_cndmask_b32_e64 v9, v9, v14, s1
	;; [unrolled: 1-line block ×4, first 2 shown]
	s_mov_b32 s2, 0x652b82fe
	s_mov_b32 s3, 0x3ff71547
	v_add_f64 v[2:3], v[1:2], -v[9:10]
	v_add_f64 v[0:1], v[6:7], -v[11:12]
	v_mul_f64 v[6:7], v[2:3], s[2:3]
	v_cmp_nlt_f64_e64 s1, 0x40900000, v[2:3]
	v_mul_f64 v[9:10], v[0:1], s[2:3]
	s_mov_b32 s2, 0xfefa39ef
	s_mov_b32 s3, 0xbfe62e42
	v_rndne_f64_e32 v[6:7], v[6:7]
	v_rndne_f64_e32 v[9:10], v[9:10]
	v_fma_f64 v[11:12], v[6:7], s[2:3], v[2:3]
	v_cvt_i32_f64_e32 v22, v[6:7]
	v_fma_f64 v[14:15], v[9:10], s[2:3], v[0:1]
	s_mov_b32 s2, 0x3b39803f
	s_mov_b32 s3, 0xbc7abc9e
	v_fma_f64 v[11:12], v[6:7], s[2:3], v[11:12]
	v_fma_f64 v[14:15], v[9:10], s[2:3], v[14:15]
	s_mov_b32 s2, 0xfca7ab0c
	s_mov_b32 s3, 0x3e928af3
	v_fma_f64 v[16:17], v[11:12], s[4:5], s[2:3]
	v_fma_f64 v[18:19], v[14:15], s[4:5], s[2:3]
	s_mov_b32 s2, 0x623fde64
	s_mov_b32 s3, 0x3ec71dee
	v_cmp_ngt_f64_e64 s4, 0xc090cc00, v[0:1]
	v_fma_f64 v[16:17], v[11:12], v[16:17], s[2:3]
	v_fma_f64 v[18:19], v[14:15], v[18:19], s[2:3]
	s_mov_b32 s2, 0x7c89e6b0
	s_mov_b32 s3, 0x3efa0199
	v_fma_f64 v[16:17], v[11:12], v[16:17], s[2:3]
	v_fma_f64 v[18:19], v[14:15], v[18:19], s[2:3]
	s_mov_b32 s2, 0x14761f6e
	s_mov_b32 s3, 0x3f2a01a0
	;; [unrolled: 4-line block ×7, first 2 shown]
	v_fma_f64 v[16:17], v[11:12], v[16:17], s[2:3]
	v_fma_f64 v[18:19], v[14:15], v[18:19], s[2:3]
	v_cmp_nlt_f64_e64 s3, 0x40900000, v[0:1]
	v_cmp_ngt_f64_e64 s2, 0xc090cc00, v[2:3]
	v_fma_f64 v[16:17], v[11:12], v[16:17], 1.0
	v_fma_f64 v[18:19], v[14:15], v[18:19], 1.0
	;; [unrolled: 1-line block ×3, first 2 shown]
	v_cvt_i32_f64_e32 v11, v[9:10]
	v_fma_f64 v[9:10], v[14:15], v[18:19], 1.0
	v_ldexp_f64 v[6:7], v[6:7], v22
	v_ldexp_f64 v[9:10], v[9:10], v11
	v_add_f64 v[6:7], v[6:7], 0
	v_add_f64 v[9:10], v[9:10], 0
	v_cndmask_b32_e64 v7, 0x7ff00000, v7, s1
	s_and_b32 s1, s2, s1
	v_cndmask_b32_e64 v10, 0x7ff00000, v10, s3
	v_cndmask_b32_e64 v6, 0, v6, s1
	s_and_b32 s1, s4, s3
	v_cndmask_b32_e64 v7, 0, v7, s2
	v_cndmask_b32_e64 v9, 0, v9, s1
	;; [unrolled: 1-line block ×3, first 2 shown]
	ds_bpermute_b32 v11, v8, v6
	ds_bpermute_b32 v12, v8, v7
	;; [unrolled: 1-line block ×4, first 2 shown]
	s_waitcnt lgkmcnt(2)
	v_add_f64 v[6:7], v[6:7], v[11:12]
	s_waitcnt lgkmcnt(0)
	v_add_f64 v[11:12], v[9:10], v[14:15]
	ds_bpermute_b32 v8, v20, v6
	ds_bpermute_b32 v9, v20, v7
	;; [unrolled: 1-line block ×4, first 2 shown]
	s_waitcnt lgkmcnt(2)
	v_add_f64 v[9:10], v[6:7], v[8:9]
	s_waitcnt lgkmcnt(0)
	v_add_f64 v[6:7], v[11:12], v[14:15]
	ds_bpermute_b32 v11, v21, v9
	ds_bpermute_b32 v12, v21, v10
	;; [unrolled: 1-line block ×4, first 2 shown]
	s_and_saveexec_b32 s1, s0
	s_cbranch_execz .LBB7_9
; %bb.5:
	v_add_co_u32 v4, s0, s8, v4
	v_add_co_ci_u32_e64 v5, null, s9, v5, s0
	s_and_saveexec_b32 s1, vcc_lo
	s_cbranch_execz .LBB7_7
; %bb.6:
	s_waitcnt lgkmcnt(2)
	v_add_f64 v[9:10], v[9:10], v[11:12]
	s_mov_b32 s3, 0x3fe55555
	s_mov_b32 s2, 0x55555555
	;; [unrolled: 1-line block ×6, first 2 shown]
	v_frexp_mant_f64_e32 v[11:12], v[9:10]
	v_frexp_exp_i32_f64_e32 v15, v[9:10]
	v_cmp_gt_f64_e64 s0, s[2:3], v[11:12]
	s_mov_b32 s2, 0x55555780
	v_subrev_co_ci_u32_e64 v27, null, 0, v15, s0
	v_cndmask_b32_e64 v15, 0, 1, s0
	v_cmp_class_f64_e64 s0, v[9:10], 0x204
	v_ldexp_f64 v[11:12], v[11:12], v15
	v_add_f64 v[15:16], v[11:12], 1.0
	v_add_f64 v[21:22], v[11:12], -1.0
	v_rcp_f64_e32 v[17:18], v[15:16]
	v_add_f64 v[23:24], v[15:16], -1.0
	v_add_f64 v[11:12], v[11:12], -v[23:24]
	v_fma_f64 v[19:20], -v[15:16], v[17:18], 1.0
	v_fma_f64 v[17:18], v[19:20], v[17:18], v[17:18]
	v_fma_f64 v[19:20], -v[15:16], v[17:18], 1.0
	v_fma_f64 v[17:18], v[19:20], v[17:18], v[17:18]
	v_mul_f64 v[19:20], v[21:22], v[17:18]
	v_mul_f64 v[25:26], v[15:16], v[19:20]
	v_fma_f64 v[15:16], v[19:20], v[15:16], -v[25:26]
	v_fma_f64 v[11:12], v[19:20], v[11:12], v[15:16]
	v_add_f64 v[15:16], v[25:26], v[11:12]
	v_add_f64 v[23:24], v[21:22], -v[15:16]
	v_add_f64 v[25:26], v[15:16], -v[25:26]
	;; [unrolled: 1-line block ×5, first 2 shown]
	v_add_f64 v[11:12], v[11:12], v[15:16]
	v_add_f64 v[11:12], v[23:24], v[11:12]
	v_mul_f64 v[11:12], v[17:18], v[11:12]
	v_add_f64 v[15:16], v[19:20], v[11:12]
	v_mul_f64 v[17:18], v[15:16], v[15:16]
	v_fma_f64 v[21:22], v[17:18], s[6:7], s[4:5]
	s_mov_b32 s4, 0xd7f4df2e
	s_mov_b32 s5, 0x3fc7474d
	v_mul_f64 v[23:24], v[15:16], v[17:18]
	v_fma_f64 v[21:22], v[17:18], v[21:22], s[4:5]
	s_mov_b32 s4, 0x16291751
	s_mov_b32 s5, 0x3fcc71c0
	v_fma_f64 v[21:22], v[17:18], v[21:22], s[4:5]
	s_mov_b32 s4, 0x9b27acf1
	s_mov_b32 s5, 0x3fd24924
	;; [unrolled: 3-line block ×3, first 2 shown]
	v_fma_f64 v[21:22], v[17:18], v[21:22], s[4:5]
	v_fma_f64 v[17:18], v[17:18], v[21:22], s[2:3]
	v_ldexp_f64 v[21:22], v[15:16], 1
	v_add_f64 v[15:16], v[15:16], -v[19:20]
	s_mov_b32 s2, 0xfefa39ef
	s_mov_b32 s3, 0x3fe62e42
	v_mul_f64 v[17:18], v[23:24], v[17:18]
	v_cvt_f64_i32_e32 v[23:24], v27
	v_add_f64 v[11:12], v[11:12], -v[15:16]
	v_add_f64 v[19:20], v[21:22], v[17:18]
	v_mul_f64 v[25:26], v[23:24], s[2:3]
	v_ldexp_f64 v[11:12], v[11:12], 1
	v_add_f64 v[15:16], v[19:20], -v[21:22]
	v_fma_f64 v[21:22], v[23:24], s[2:3], -v[25:26]
	s_mov_b32 s2, 0x3b39803f
	s_mov_b32 s3, 0x3c7abc9e
	v_add_f64 v[15:16], v[17:18], -v[15:16]
	v_fma_f64 v[17:18], v[23:24], s[2:3], v[21:22]
	v_add_f64 v[11:12], v[11:12], v[15:16]
	v_add_f64 v[15:16], v[25:26], v[17:18]
	v_add_f64 v[21:22], v[19:20], v[11:12]
	v_add_f64 v[25:26], v[15:16], -v[25:26]
	v_add_f64 v[23:24], v[15:16], v[21:22]
	v_add_f64 v[19:20], v[21:22], -v[19:20]
	v_add_f64 v[17:18], v[17:18], -v[25:26]
	v_add_f64 v[27:28], v[23:24], -v[15:16]
	v_add_f64 v[11:12], v[11:12], -v[19:20]
	v_add_f64 v[29:30], v[23:24], -v[27:28]
	v_add_f64 v[19:20], v[21:22], -v[27:28]
	v_add_f64 v[21:22], v[17:18], v[11:12]
	v_add_f64 v[15:16], v[15:16], -v[29:30]
	v_add_f64 v[15:16], v[19:20], v[15:16]
	v_add_f64 v[19:20], v[21:22], -v[17:18]
	;; [unrolled: 2-line block ×3, first 2 shown]
	v_add_f64 v[11:12], v[11:12], -v[19:20]
	v_add_f64 v[25:26], v[23:24], v[15:16]
	v_add_f64 v[17:18], v[17:18], -v[21:22]
	v_add_f64 v[19:20], v[25:26], -v[23:24]
	v_add_f64 v[11:12], v[11:12], v[17:18]
	v_add_f64 v[15:16], v[15:16], -v[19:20]
	v_add_f64 v[11:12], v[11:12], v[15:16]
	v_add_f64 v[11:12], v[25:26], v[11:12]
	v_cndmask_b32_e64 v11, v11, v9, s0
	v_cndmask_b32_e64 v12, v12, v10, s0
	v_cmp_ngt_f64_e64 s0, 0, v[9:10]
	v_cndmask_b32_e64 v12, 0x7ff80000, v12, s0
	v_cmp_nge_f64_e64 s0, 0, v[9:10]
	v_cndmask_b32_e64 v11, 0, v11, s0
	v_cmp_neq_f64_e64 s0, 0, v[9:10]
	v_cndmask_b32_e64 v12, 0xfff00000, v12, s0
	v_add_f64 v[2:3], v[2:3], -v[11:12]
	global_store_dwordx2 v[4:5], v[2:3], off
.LBB7_7:
	s_or_b32 exec_lo, exec_lo, s1
	v_cmp_ne_u32_e64 s0, 1, v13
	s_and_b32 s0, s0, vcc_lo
	s_and_b32 exec_lo, exec_lo, s0
	s_cbranch_execz .LBB7_9
; %bb.8:
	s_waitcnt lgkmcnt(0)
	v_mov_b32_e32 v9, v14
	s_mov_b32 s1, 0x3fe55555
	s_mov_b32 s0, 0x55555555
	;; [unrolled: 1-line block ×4, first 2 shown]
	v_add_f64 v[2:3], v[6:7], v[8:9]
	s_mov_b32 s3, 0x3fc38538
	s_mov_b32 s5, 0x3fc3ab76
	;; [unrolled: 1-line block ×3, first 2 shown]
	v_frexp_mant_f64_e32 v[6:7], v[2:3]
	v_frexp_exp_i32_f64_e32 v8, v[2:3]
	v_cmp_gt_f64_e32 vcc_lo, s[0:1], v[6:7]
	s_mov_b32 s0, 0x55555780
	v_subrev_co_ci_u32_e64 v20, null, 0, v8, vcc_lo
	v_cndmask_b32_e64 v8, 0, 1, vcc_lo
	v_cmp_class_f64_e64 vcc_lo, v[2:3], 0x204
	v_ldexp_f64 v[6:7], v[6:7], v8
	v_add_f64 v[8:9], v[6:7], 1.0
	v_add_f64 v[14:15], v[6:7], -1.0
	v_rcp_f64_e32 v[10:11], v[8:9]
	v_add_f64 v[16:17], v[8:9], -1.0
	v_add_f64 v[6:7], v[6:7], -v[16:17]
	v_fma_f64 v[12:13], -v[8:9], v[10:11], 1.0
	v_fma_f64 v[10:11], v[12:13], v[10:11], v[10:11]
	v_fma_f64 v[12:13], -v[8:9], v[10:11], 1.0
	v_fma_f64 v[10:11], v[12:13], v[10:11], v[10:11]
	v_mul_f64 v[12:13], v[14:15], v[10:11]
	v_mul_f64 v[18:19], v[8:9], v[12:13]
	v_fma_f64 v[8:9], v[12:13], v[8:9], -v[18:19]
	v_fma_f64 v[6:7], v[12:13], v[6:7], v[8:9]
	v_add_f64 v[8:9], v[18:19], v[6:7]
	v_add_f64 v[16:17], v[14:15], -v[8:9]
	v_add_f64 v[18:19], v[8:9], -v[18:19]
	;; [unrolled: 1-line block ×5, first 2 shown]
	v_add_f64 v[6:7], v[6:7], v[8:9]
	v_add_f64 v[6:7], v[16:17], v[6:7]
	v_mul_f64 v[6:7], v[10:11], v[6:7]
	v_add_f64 v[8:9], v[12:13], v[6:7]
	v_mul_f64 v[10:11], v[8:9], v[8:9]
	v_fma_f64 v[14:15], v[10:11], s[4:5], s[2:3]
	s_mov_b32 s2, 0xd7f4df2e
	s_mov_b32 s3, 0x3fc7474d
	v_mul_f64 v[16:17], v[8:9], v[10:11]
	v_fma_f64 v[14:15], v[10:11], v[14:15], s[2:3]
	s_mov_b32 s2, 0x16291751
	s_mov_b32 s3, 0x3fcc71c0
	v_fma_f64 v[14:15], v[10:11], v[14:15], s[2:3]
	s_mov_b32 s2, 0x9b27acf1
	s_mov_b32 s3, 0x3fd24924
	;; [unrolled: 3-line block ×3, first 2 shown]
	v_fma_f64 v[14:15], v[10:11], v[14:15], s[2:3]
	v_fma_f64 v[10:11], v[10:11], v[14:15], s[0:1]
	v_ldexp_f64 v[14:15], v[8:9], 1
	v_add_f64 v[8:9], v[8:9], -v[12:13]
	s_mov_b32 s0, 0xfefa39ef
	s_mov_b32 s1, 0x3fe62e42
	v_mul_f64 v[10:11], v[16:17], v[10:11]
	v_cvt_f64_i32_e32 v[16:17], v20
	v_add_f64 v[6:7], v[6:7], -v[8:9]
	v_add_f64 v[12:13], v[14:15], v[10:11]
	v_mul_f64 v[18:19], v[16:17], s[0:1]
	v_ldexp_f64 v[6:7], v[6:7], 1
	v_add_f64 v[8:9], v[12:13], -v[14:15]
	v_fma_f64 v[14:15], v[16:17], s[0:1], -v[18:19]
	s_mov_b32 s0, 0x3b39803f
	s_mov_b32 s1, 0x3c7abc9e
	v_add_f64 v[8:9], v[10:11], -v[8:9]
	v_fma_f64 v[10:11], v[16:17], s[0:1], v[14:15]
	s_lshl_b64 s[0:1], s[14:15], 3
	v_add_f64 v[6:7], v[6:7], v[8:9]
	v_add_f64 v[8:9], v[18:19], v[10:11]
	v_add_f64 v[14:15], v[12:13], v[6:7]
	v_add_f64 v[18:19], v[8:9], -v[18:19]
	v_add_f64 v[16:17], v[8:9], v[14:15]
	v_add_f64 v[12:13], v[14:15], -v[12:13]
	v_add_f64 v[10:11], v[10:11], -v[18:19]
	;; [unrolled: 1-line block ×6, first 2 shown]
	v_add_f64 v[14:15], v[10:11], v[6:7]
	v_add_f64 v[8:9], v[8:9], -v[22:23]
	v_add_f64 v[8:9], v[12:13], v[8:9]
	v_add_f64 v[12:13], v[14:15], -v[10:11]
	;; [unrolled: 2-line block ×3, first 2 shown]
	v_add_f64 v[6:7], v[6:7], -v[12:13]
	v_add_f64 v[18:19], v[16:17], v[8:9]
	v_add_f64 v[10:11], v[10:11], -v[14:15]
	v_add_f64 v[12:13], v[18:19], -v[16:17]
	v_add_f64 v[6:7], v[6:7], v[10:11]
	v_add_f64 v[8:9], v[8:9], -v[12:13]
	v_add_f64 v[6:7], v[6:7], v[8:9]
	v_add_f64 v[6:7], v[18:19], v[6:7]
	v_cndmask_b32_e32 v6, v6, v2, vcc_lo
	v_cndmask_b32_e32 v7, v7, v3, vcc_lo
	v_cmp_ngt_f64_e32 vcc_lo, 0, v[2:3]
	v_cndmask_b32_e32 v7, 0x7ff80000, v7, vcc_lo
	v_cmp_nge_f64_e32 vcc_lo, 0, v[2:3]
	v_cndmask_b32_e32 v6, 0, v6, vcc_lo
	v_cmp_neq_f64_e32 vcc_lo, 0, v[2:3]
	v_cndmask_b32_e32 v7, 0xfff00000, v7, vcc_lo
	v_add_co_u32 v2, vcc_lo, v4, s0
	v_add_co_ci_u32_e64 v3, null, s1, v5, vcc_lo
	v_add_f64 v[0:1], v[0:1], -v[6:7]
	global_store_dwordx2 v[2:3], v[0:1], off
.LBB7_9:
	s_endpgm
	.section	.rodata,"a",@progbits
	.p2align	6, 0x0
	.amdhsa_kernel _ZN12_GLOBAL__N_120softmax_warp_forwardIdddLi3ELb1ELb0ELi32EEEvPT0_PKT_iiiPKbib
		.amdhsa_group_segment_fixed_size 0
		.amdhsa_private_segment_fixed_size 0
		.amdhsa_kernarg_size 304
		.amdhsa_user_sgpr_count 6
		.amdhsa_user_sgpr_private_segment_buffer 1
		.amdhsa_user_sgpr_dispatch_ptr 0
		.amdhsa_user_sgpr_queue_ptr 0
		.amdhsa_user_sgpr_kernarg_segment_ptr 1
		.amdhsa_user_sgpr_dispatch_id 0
		.amdhsa_user_sgpr_flat_scratch_init 0
		.amdhsa_user_sgpr_private_segment_size 0
		.amdhsa_wavefront_size32 1
		.amdhsa_uses_dynamic_stack 0
		.amdhsa_system_sgpr_private_segment_wavefront_offset 0
		.amdhsa_system_sgpr_workgroup_id_x 1
		.amdhsa_system_sgpr_workgroup_id_y 0
		.amdhsa_system_sgpr_workgroup_id_z 0
		.amdhsa_system_sgpr_workgroup_info 0
		.amdhsa_system_vgpr_workitem_id 1
		.amdhsa_next_free_vgpr 31
		.amdhsa_next_free_sgpr 16
		.amdhsa_reserve_vcc 1
		.amdhsa_reserve_flat_scratch 0
		.amdhsa_float_round_mode_32 0
		.amdhsa_float_round_mode_16_64 0
		.amdhsa_float_denorm_mode_32 3
		.amdhsa_float_denorm_mode_16_64 3
		.amdhsa_dx10_clamp 1
		.amdhsa_ieee_mode 1
		.amdhsa_fp16_overflow 0
		.amdhsa_workgroup_processor_mode 1
		.amdhsa_memory_ordered 1
		.amdhsa_forward_progress 1
		.amdhsa_shared_vgpr_count 0
		.amdhsa_exception_fp_ieee_invalid_op 0
		.amdhsa_exception_fp_denorm_src 0
		.amdhsa_exception_fp_ieee_div_zero 0
		.amdhsa_exception_fp_ieee_overflow 0
		.amdhsa_exception_fp_ieee_underflow 0
		.amdhsa_exception_fp_ieee_inexact 0
		.amdhsa_exception_int_div_zero 0
	.end_amdhsa_kernel
	.section	.text._ZN12_GLOBAL__N_120softmax_warp_forwardIdddLi3ELb1ELb0ELi32EEEvPT0_PKT_iiiPKbib,"axG",@progbits,_ZN12_GLOBAL__N_120softmax_warp_forwardIdddLi3ELb1ELb0ELi32EEEvPT0_PKT_iiiPKbib,comdat
.Lfunc_end7:
	.size	_ZN12_GLOBAL__N_120softmax_warp_forwardIdddLi3ELb1ELb0ELi32EEEvPT0_PKT_iiiPKbib, .Lfunc_end7-_ZN12_GLOBAL__N_120softmax_warp_forwardIdddLi3ELb1ELb0ELi32EEEvPT0_PKT_iiiPKbib
                                        ; -- End function
	.set _ZN12_GLOBAL__N_120softmax_warp_forwardIdddLi3ELb1ELb0ELi32EEEvPT0_PKT_iiiPKbib.num_vgpr, 31
	.set _ZN12_GLOBAL__N_120softmax_warp_forwardIdddLi3ELb1ELb0ELi32EEEvPT0_PKT_iiiPKbib.num_agpr, 0
	.set _ZN12_GLOBAL__N_120softmax_warp_forwardIdddLi3ELb1ELb0ELi32EEEvPT0_PKT_iiiPKbib.numbered_sgpr, 16
	.set _ZN12_GLOBAL__N_120softmax_warp_forwardIdddLi3ELb1ELb0ELi32EEEvPT0_PKT_iiiPKbib.num_named_barrier, 0
	.set _ZN12_GLOBAL__N_120softmax_warp_forwardIdddLi3ELb1ELb0ELi32EEEvPT0_PKT_iiiPKbib.private_seg_size, 0
	.set _ZN12_GLOBAL__N_120softmax_warp_forwardIdddLi3ELb1ELb0ELi32EEEvPT0_PKT_iiiPKbib.uses_vcc, 1
	.set _ZN12_GLOBAL__N_120softmax_warp_forwardIdddLi3ELb1ELb0ELi32EEEvPT0_PKT_iiiPKbib.uses_flat_scratch, 0
	.set _ZN12_GLOBAL__N_120softmax_warp_forwardIdddLi3ELb1ELb0ELi32EEEvPT0_PKT_iiiPKbib.has_dyn_sized_stack, 0
	.set _ZN12_GLOBAL__N_120softmax_warp_forwardIdddLi3ELb1ELb0ELi32EEEvPT0_PKT_iiiPKbib.has_recursion, 0
	.set _ZN12_GLOBAL__N_120softmax_warp_forwardIdddLi3ELb1ELb0ELi32EEEvPT0_PKT_iiiPKbib.has_indirect_call, 0
	.section	.AMDGPU.csdata,"",@progbits
; Kernel info:
; codeLenInByte = 3040
; TotalNumSgprs: 18
; NumVgprs: 31
; ScratchSize: 0
; MemoryBound: 1
; FloatMode: 240
; IeeeMode: 1
; LDSByteSize: 0 bytes/workgroup (compile time only)
; SGPRBlocks: 0
; VGPRBlocks: 3
; NumSGPRsForWavesPerEU: 18
; NumVGPRsForWavesPerEU: 31
; Occupancy: 16
; WaveLimiterHint : 0
; COMPUTE_PGM_RSRC2:SCRATCH_EN: 0
; COMPUTE_PGM_RSRC2:USER_SGPR: 6
; COMPUTE_PGM_RSRC2:TRAP_HANDLER: 0
; COMPUTE_PGM_RSRC2:TGID_X_EN: 1
; COMPUTE_PGM_RSRC2:TGID_Y_EN: 0
; COMPUTE_PGM_RSRC2:TGID_Z_EN: 0
; COMPUTE_PGM_RSRC2:TIDIG_COMP_CNT: 1
	.section	.text._ZN12_GLOBAL__N_120softmax_warp_forwardIdddLi4ELb1ELb0ELi64EEEvPT0_PKT_iiiPKbib,"axG",@progbits,_ZN12_GLOBAL__N_120softmax_warp_forwardIdddLi4ELb1ELb0ELi64EEEvPT0_PKT_iiiPKbib,comdat
	.globl	_ZN12_GLOBAL__N_120softmax_warp_forwardIdddLi4ELb1ELb0ELi64EEEvPT0_PKT_iiiPKbib ; -- Begin function _ZN12_GLOBAL__N_120softmax_warp_forwardIdddLi4ELb1ELb0ELi64EEEvPT0_PKT_iiiPKbib
	.p2align	8
	.type	_ZN12_GLOBAL__N_120softmax_warp_forwardIdddLi4ELb1ELb0ELi64EEEvPT0_PKT_iiiPKbib,@function
_ZN12_GLOBAL__N_120softmax_warp_forwardIdddLi4ELb1ELb0ELi64EEEvPT0_PKT_iiiPKbib: ; @_ZN12_GLOBAL__N_120softmax_warp_forwardIdddLi4ELb1ELb0ELi64EEEvPT0_PKT_iiiPKbib
; %bb.0:
	s_clause 0x1
	s_load_dword s0, s[4:5], 0x3c
	s_load_dwordx8 s[8:15], s[4:5], 0x0
	v_mov_b32_e32 v6, 0
	v_mov_b32_e32 v7, 0xfff00000
	s_waitcnt lgkmcnt(0)
	s_lshr_b32 s0, s0, 16
	v_cmp_gt_i32_e32 vcc_lo, s14, v0
	s_and_b32 s0, s0, 0xffff
	s_mul_i32 s6, s6, s0
	v_add_lshl_u32 v3, s6, v1, 1
	v_mad_u64_u32 v[1:2], null, v3, s13, v[0:1]
	v_sub_nc_u32_e32 v13, s12, v3
	v_cmp_lt_i32_e64 s0, 0, v13
	v_ashrrev_i32_e32 v2, 31, v1
	s_and_b32 s2, vcc_lo, s0
	v_lshlrev_b64 v[4:5], 3, v[1:2]
	v_mov_b32_e32 v1, 0
	v_mov_b32_e32 v2, 0xfff00000
	v_add_co_u32 v8, s1, s10, v4
	v_add_co_ci_u32_e64 v9, null, s11, v5, s1
	s_and_saveexec_b32 s1, s2
	s_cbranch_execz .LBB8_2
; %bb.1:
	global_load_dwordx2 v[1:2], v[8:9], off
.LBB8_2:
	s_or_b32 exec_lo, exec_lo, s1
	v_cmp_lt_i32_e64 s1, 1, v13
	s_and_b32 s1, vcc_lo, s1
	s_and_saveexec_b32 s2, s1
	s_cbranch_execz .LBB8_4
; %bb.3:
	s_mov_b32 s15, 0
	s_lshl_b64 s[4:5], s[14:15], 3
	v_add_co_u32 v6, s1, v8, s4
	v_add_co_ci_u32_e64 v7, null, s5, v9, s1
	global_load_dwordx2 v[6:7], v[6:7], off
.LBB8_4:
	s_or_b32 exec_lo, exec_lo, s2
	v_mbcnt_lo_u32_b32 v0, -1, 0
	s_mov_b32 s4, 0x6a5dcb37
	s_mov_b32 s5, 0x3e5ade15
	v_and_b32_e32 v3, 16, v0
	v_xor_b32_e32 v8, 8, v0
	v_xor_b32_e32 v9, 4, v0
	;; [unrolled: 1-line block ×3, first 2 shown]
	v_add_nc_u32_e32 v3, 16, v3
	v_cmp_lt_i32_e64 s1, v8, v3
	v_cmp_lt_i32_e64 s3, v9, v3
	v_cndmask_b32_e64 v8, v0, v8, s1
	v_cndmask_b32_e64 v9, v0, v9, s3
	v_lshlrev_b32_e32 v8, 2, v8
	v_lshlrev_b32_e32 v9, 2, v9
	s_waitcnt vmcnt(0)
	ds_bpermute_b32 v10, v8, v1
	ds_bpermute_b32 v11, v8, v2
	;; [unrolled: 1-line block ×4, first 2 shown]
	s_waitcnt lgkmcnt(2)
	v_cmp_lt_f64_e64 s1, v[1:2], v[10:11]
	s_waitcnt lgkmcnt(0)
	v_cmp_lt_f64_e64 s2, v[6:7], v[14:15]
	v_cndmask_b32_e64 v12, v2, v11, s1
	v_cndmask_b32_e64 v11, v1, v10, s1
	;; [unrolled: 1-line block ×4, first 2 shown]
	v_xor_b32_e32 v10, 2, v0
	ds_bpermute_b32 v17, v9, v12
	ds_bpermute_b32 v16, v9, v11
	;; [unrolled: 1-line block ×4, first 2 shown]
	v_cmp_lt_i32_e64 s3, v10, v3
	v_cndmask_b32_e64 v10, v0, v10, s3
	v_cmp_lt_i32_e64 s3, v20, v3
	v_lshlrev_b32_e32 v10, 2, v10
	v_cndmask_b32_e64 v0, v0, v20, s3
	v_lshlrev_b32_e32 v22, 2, v0
	s_waitcnt lgkmcnt(2)
	v_cmp_lt_f64_e64 s1, v[11:12], v[16:17]
	s_waitcnt lgkmcnt(0)
	v_cmp_lt_f64_e64 s2, v[14:15], v[18:19]
	v_cndmask_b32_e64 v12, v12, v17, s1
	v_cndmask_b32_e64 v11, v11, v16, s1
	;; [unrolled: 1-line block ×4, first 2 shown]
	ds_bpermute_b32 v17, v10, v12
	ds_bpermute_b32 v16, v10, v11
	;; [unrolled: 1-line block ×4, first 2 shown]
	s_waitcnt lgkmcnt(2)
	v_cmp_lt_f64_e64 s1, v[11:12], v[16:17]
	s_waitcnt lgkmcnt(0)
	v_cmp_lt_f64_e64 s2, v[14:15], v[18:19]
	v_cndmask_b32_e64 v12, v12, v17, s1
	v_cndmask_b32_e64 v11, v11, v16, s1
	v_cndmask_b32_e64 v15, v15, v19, s2
	v_cndmask_b32_e64 v14, v14, v18, s2
	ds_bpermute_b32 v17, v22, v12
	ds_bpermute_b32 v16, v22, v11
	;; [unrolled: 1-line block ×4, first 2 shown]
	s_waitcnt lgkmcnt(2)
	v_cmp_lt_f64_e64 s1, v[11:12], v[16:17]
	s_waitcnt lgkmcnt(0)
	v_cmp_lt_f64_e64 s2, v[14:15], v[18:19]
	v_cndmask_b32_e64 v12, v12, v17, s1
	v_cndmask_b32_e64 v11, v11, v16, s1
	;; [unrolled: 1-line block ×4, first 2 shown]
	s_mov_b32 s2, 0x652b82fe
	s_mov_b32 s3, 0x3ff71547
	v_add_f64 v[2:3], v[1:2], -v[11:12]
	v_add_f64 v[0:1], v[6:7], -v[14:15]
	v_mul_f64 v[6:7], v[2:3], s[2:3]
	v_cmp_nlt_f64_e64 s1, 0x40900000, v[2:3]
	v_mul_f64 v[11:12], v[0:1], s[2:3]
	s_mov_b32 s2, 0xfefa39ef
	s_mov_b32 s3, 0xbfe62e42
	v_rndne_f64_e32 v[6:7], v[6:7]
	v_rndne_f64_e32 v[11:12], v[11:12]
	v_fma_f64 v[14:15], v[6:7], s[2:3], v[2:3]
	v_cvt_i32_f64_e32 v23, v[6:7]
	v_fma_f64 v[16:17], v[11:12], s[2:3], v[0:1]
	s_mov_b32 s2, 0x3b39803f
	s_mov_b32 s3, 0xbc7abc9e
	v_fma_f64 v[14:15], v[6:7], s[2:3], v[14:15]
	v_fma_f64 v[16:17], v[11:12], s[2:3], v[16:17]
	s_mov_b32 s2, 0xfca7ab0c
	s_mov_b32 s3, 0x3e928af3
	v_fma_f64 v[18:19], v[14:15], s[4:5], s[2:3]
	v_fma_f64 v[20:21], v[16:17], s[4:5], s[2:3]
	s_mov_b32 s2, 0x623fde64
	s_mov_b32 s3, 0x3ec71dee
	v_cmp_ngt_f64_e64 s4, 0xc090cc00, v[0:1]
	v_fma_f64 v[18:19], v[14:15], v[18:19], s[2:3]
	v_fma_f64 v[20:21], v[16:17], v[20:21], s[2:3]
	s_mov_b32 s2, 0x7c89e6b0
	s_mov_b32 s3, 0x3efa0199
	v_fma_f64 v[18:19], v[14:15], v[18:19], s[2:3]
	v_fma_f64 v[20:21], v[16:17], v[20:21], s[2:3]
	s_mov_b32 s2, 0x14761f6e
	s_mov_b32 s3, 0x3f2a01a0
	;; [unrolled: 4-line block ×7, first 2 shown]
	v_fma_f64 v[18:19], v[14:15], v[18:19], s[2:3]
	v_fma_f64 v[20:21], v[16:17], v[20:21], s[2:3]
	v_cmp_nlt_f64_e64 s3, 0x40900000, v[0:1]
	v_cmp_ngt_f64_e64 s2, 0xc090cc00, v[2:3]
	v_fma_f64 v[18:19], v[14:15], v[18:19], 1.0
	v_fma_f64 v[20:21], v[16:17], v[20:21], 1.0
	v_fma_f64 v[6:7], v[14:15], v[18:19], 1.0
	v_cvt_i32_f64_e32 v14, v[11:12]
	v_fma_f64 v[11:12], v[16:17], v[20:21], 1.0
	v_ldexp_f64 v[6:7], v[6:7], v23
	v_ldexp_f64 v[11:12], v[11:12], v14
	v_add_f64 v[6:7], v[6:7], 0
	v_add_f64 v[11:12], v[11:12], 0
	v_cndmask_b32_e64 v7, 0x7ff00000, v7, s1
	s_and_b32 s1, s2, s1
	v_cndmask_b32_e64 v12, 0x7ff00000, v12, s3
	v_cndmask_b32_e64 v6, 0, v6, s1
	s_and_b32 s1, s4, s3
	v_cndmask_b32_e64 v7, 0, v7, s2
	v_cndmask_b32_e64 v11, 0, v11, s1
	;; [unrolled: 1-line block ×3, first 2 shown]
	ds_bpermute_b32 v14, v8, v6
	ds_bpermute_b32 v15, v8, v7
	ds_bpermute_b32 v16, v8, v11
	ds_bpermute_b32 v17, v8, v12
	s_waitcnt lgkmcnt(2)
	v_add_f64 v[6:7], v[6:7], v[14:15]
	s_waitcnt lgkmcnt(0)
	v_add_f64 v[11:12], v[11:12], v[16:17]
	ds_bpermute_b32 v14, v9, v6
	ds_bpermute_b32 v15, v9, v7
	ds_bpermute_b32 v8, v9, v11
	ds_bpermute_b32 v9, v9, v12
	s_waitcnt lgkmcnt(2)
	v_add_f64 v[6:7], v[6:7], v[14:15]
	s_waitcnt lgkmcnt(0)
	v_add_f64 v[11:12], v[11:12], v[8:9]
	;; [unrolled: 8-line block ×3, first 2 shown]
	ds_bpermute_b32 v11, v22, v9
	ds_bpermute_b32 v12, v22, v10
	;; [unrolled: 1-line block ×4, first 2 shown]
	s_and_saveexec_b32 s1, s0
	s_cbranch_execz .LBB8_9
; %bb.5:
	v_add_co_u32 v4, s0, s8, v4
	v_add_co_ci_u32_e64 v5, null, s9, v5, s0
	s_and_saveexec_b32 s1, vcc_lo
	s_cbranch_execz .LBB8_7
; %bb.6:
	s_waitcnt lgkmcnt(2)
	v_add_f64 v[9:10], v[9:10], v[11:12]
	s_mov_b32 s3, 0x3fe55555
	s_mov_b32 s2, 0x55555555
	;; [unrolled: 1-line block ×6, first 2 shown]
	v_frexp_mant_f64_e32 v[11:12], v[9:10]
	v_frexp_exp_i32_f64_e32 v15, v[9:10]
	v_cmp_gt_f64_e64 s0, s[2:3], v[11:12]
	s_mov_b32 s2, 0x55555780
	v_subrev_co_ci_u32_e64 v27, null, 0, v15, s0
	v_cndmask_b32_e64 v15, 0, 1, s0
	v_cmp_class_f64_e64 s0, v[9:10], 0x204
	v_ldexp_f64 v[11:12], v[11:12], v15
	v_add_f64 v[15:16], v[11:12], 1.0
	v_add_f64 v[21:22], v[11:12], -1.0
	v_rcp_f64_e32 v[17:18], v[15:16]
	v_add_f64 v[23:24], v[15:16], -1.0
	v_add_f64 v[11:12], v[11:12], -v[23:24]
	v_fma_f64 v[19:20], -v[15:16], v[17:18], 1.0
	v_fma_f64 v[17:18], v[19:20], v[17:18], v[17:18]
	v_fma_f64 v[19:20], -v[15:16], v[17:18], 1.0
	v_fma_f64 v[17:18], v[19:20], v[17:18], v[17:18]
	v_mul_f64 v[19:20], v[21:22], v[17:18]
	v_mul_f64 v[25:26], v[15:16], v[19:20]
	v_fma_f64 v[15:16], v[19:20], v[15:16], -v[25:26]
	v_fma_f64 v[11:12], v[19:20], v[11:12], v[15:16]
	v_add_f64 v[15:16], v[25:26], v[11:12]
	v_add_f64 v[23:24], v[21:22], -v[15:16]
	v_add_f64 v[25:26], v[15:16], -v[25:26]
	;; [unrolled: 1-line block ×5, first 2 shown]
	v_add_f64 v[11:12], v[11:12], v[15:16]
	v_add_f64 v[11:12], v[23:24], v[11:12]
	v_mul_f64 v[11:12], v[17:18], v[11:12]
	v_add_f64 v[15:16], v[19:20], v[11:12]
	v_mul_f64 v[17:18], v[15:16], v[15:16]
	v_fma_f64 v[21:22], v[17:18], s[6:7], s[4:5]
	s_mov_b32 s4, 0xd7f4df2e
	s_mov_b32 s5, 0x3fc7474d
	v_mul_f64 v[23:24], v[15:16], v[17:18]
	v_fma_f64 v[21:22], v[17:18], v[21:22], s[4:5]
	s_mov_b32 s4, 0x16291751
	s_mov_b32 s5, 0x3fcc71c0
	v_fma_f64 v[21:22], v[17:18], v[21:22], s[4:5]
	s_mov_b32 s4, 0x9b27acf1
	s_mov_b32 s5, 0x3fd24924
	;; [unrolled: 3-line block ×3, first 2 shown]
	v_fma_f64 v[21:22], v[17:18], v[21:22], s[4:5]
	v_fma_f64 v[17:18], v[17:18], v[21:22], s[2:3]
	v_ldexp_f64 v[21:22], v[15:16], 1
	v_add_f64 v[15:16], v[15:16], -v[19:20]
	s_mov_b32 s2, 0xfefa39ef
	s_mov_b32 s3, 0x3fe62e42
	v_mul_f64 v[17:18], v[23:24], v[17:18]
	v_cvt_f64_i32_e32 v[23:24], v27
	v_add_f64 v[11:12], v[11:12], -v[15:16]
	v_add_f64 v[19:20], v[21:22], v[17:18]
	v_mul_f64 v[25:26], v[23:24], s[2:3]
	v_ldexp_f64 v[11:12], v[11:12], 1
	v_add_f64 v[15:16], v[19:20], -v[21:22]
	v_fma_f64 v[21:22], v[23:24], s[2:3], -v[25:26]
	s_mov_b32 s2, 0x3b39803f
	s_mov_b32 s3, 0x3c7abc9e
	v_add_f64 v[15:16], v[17:18], -v[15:16]
	v_fma_f64 v[17:18], v[23:24], s[2:3], v[21:22]
	v_add_f64 v[11:12], v[11:12], v[15:16]
	v_add_f64 v[15:16], v[25:26], v[17:18]
	;; [unrolled: 1-line block ×3, first 2 shown]
	v_add_f64 v[25:26], v[15:16], -v[25:26]
	v_add_f64 v[23:24], v[15:16], v[21:22]
	v_add_f64 v[19:20], v[21:22], -v[19:20]
	v_add_f64 v[17:18], v[17:18], -v[25:26]
	;; [unrolled: 1-line block ×6, first 2 shown]
	v_add_f64 v[21:22], v[17:18], v[11:12]
	v_add_f64 v[15:16], v[15:16], -v[29:30]
	v_add_f64 v[15:16], v[19:20], v[15:16]
	v_add_f64 v[19:20], v[21:22], -v[17:18]
	;; [unrolled: 2-line block ×3, first 2 shown]
	v_add_f64 v[11:12], v[11:12], -v[19:20]
	v_add_f64 v[25:26], v[23:24], v[15:16]
	v_add_f64 v[17:18], v[17:18], -v[21:22]
	v_add_f64 v[19:20], v[25:26], -v[23:24]
	v_add_f64 v[11:12], v[11:12], v[17:18]
	v_add_f64 v[15:16], v[15:16], -v[19:20]
	v_add_f64 v[11:12], v[11:12], v[15:16]
	v_add_f64 v[11:12], v[25:26], v[11:12]
	v_cndmask_b32_e64 v11, v11, v9, s0
	v_cndmask_b32_e64 v12, v12, v10, s0
	v_cmp_ngt_f64_e64 s0, 0, v[9:10]
	v_cndmask_b32_e64 v12, 0x7ff80000, v12, s0
	v_cmp_nge_f64_e64 s0, 0, v[9:10]
	v_cndmask_b32_e64 v11, 0, v11, s0
	v_cmp_neq_f64_e64 s0, 0, v[9:10]
	v_cndmask_b32_e64 v12, 0xfff00000, v12, s0
	v_add_f64 v[2:3], v[2:3], -v[11:12]
	global_store_dwordx2 v[4:5], v[2:3], off
.LBB8_7:
	s_or_b32 exec_lo, exec_lo, s1
	v_cmp_ne_u32_e64 s0, 1, v13
	s_and_b32 s0, s0, vcc_lo
	s_and_b32 exec_lo, exec_lo, s0
	s_cbranch_execz .LBB8_9
; %bb.8:
	s_waitcnt lgkmcnt(0)
	v_mov_b32_e32 v9, v14
	s_mov_b32 s1, 0x3fe55555
	s_mov_b32 s0, 0x55555555
	;; [unrolled: 1-line block ×4, first 2 shown]
	v_add_f64 v[2:3], v[6:7], v[8:9]
	s_mov_b32 s3, 0x3fc38538
	s_mov_b32 s5, 0x3fc3ab76
	;; [unrolled: 1-line block ×3, first 2 shown]
	v_frexp_mant_f64_e32 v[6:7], v[2:3]
	v_frexp_exp_i32_f64_e32 v8, v[2:3]
	v_cmp_gt_f64_e32 vcc_lo, s[0:1], v[6:7]
	s_mov_b32 s0, 0x55555780
	v_subrev_co_ci_u32_e64 v20, null, 0, v8, vcc_lo
	v_cndmask_b32_e64 v8, 0, 1, vcc_lo
	v_cmp_class_f64_e64 vcc_lo, v[2:3], 0x204
	v_ldexp_f64 v[6:7], v[6:7], v8
	v_add_f64 v[8:9], v[6:7], 1.0
	v_add_f64 v[14:15], v[6:7], -1.0
	v_rcp_f64_e32 v[10:11], v[8:9]
	v_add_f64 v[16:17], v[8:9], -1.0
	v_add_f64 v[6:7], v[6:7], -v[16:17]
	v_fma_f64 v[12:13], -v[8:9], v[10:11], 1.0
	v_fma_f64 v[10:11], v[12:13], v[10:11], v[10:11]
	v_fma_f64 v[12:13], -v[8:9], v[10:11], 1.0
	v_fma_f64 v[10:11], v[12:13], v[10:11], v[10:11]
	v_mul_f64 v[12:13], v[14:15], v[10:11]
	v_mul_f64 v[18:19], v[8:9], v[12:13]
	v_fma_f64 v[8:9], v[12:13], v[8:9], -v[18:19]
	v_fma_f64 v[6:7], v[12:13], v[6:7], v[8:9]
	v_add_f64 v[8:9], v[18:19], v[6:7]
	v_add_f64 v[16:17], v[14:15], -v[8:9]
	v_add_f64 v[18:19], v[8:9], -v[18:19]
	;; [unrolled: 1-line block ×5, first 2 shown]
	v_add_f64 v[6:7], v[6:7], v[8:9]
	v_add_f64 v[6:7], v[16:17], v[6:7]
	v_mul_f64 v[6:7], v[10:11], v[6:7]
	v_add_f64 v[8:9], v[12:13], v[6:7]
	v_mul_f64 v[10:11], v[8:9], v[8:9]
	v_fma_f64 v[14:15], v[10:11], s[4:5], s[2:3]
	s_mov_b32 s2, 0xd7f4df2e
	s_mov_b32 s3, 0x3fc7474d
	v_mul_f64 v[16:17], v[8:9], v[10:11]
	v_fma_f64 v[14:15], v[10:11], v[14:15], s[2:3]
	s_mov_b32 s2, 0x16291751
	s_mov_b32 s3, 0x3fcc71c0
	v_fma_f64 v[14:15], v[10:11], v[14:15], s[2:3]
	s_mov_b32 s2, 0x9b27acf1
	s_mov_b32 s3, 0x3fd24924
	;; [unrolled: 3-line block ×3, first 2 shown]
	v_fma_f64 v[14:15], v[10:11], v[14:15], s[2:3]
	v_fma_f64 v[10:11], v[10:11], v[14:15], s[0:1]
	v_ldexp_f64 v[14:15], v[8:9], 1
	v_add_f64 v[8:9], v[8:9], -v[12:13]
	s_mov_b32 s0, 0xfefa39ef
	s_mov_b32 s1, 0x3fe62e42
	v_mul_f64 v[10:11], v[16:17], v[10:11]
	v_cvt_f64_i32_e32 v[16:17], v20
	v_add_f64 v[6:7], v[6:7], -v[8:9]
	v_add_f64 v[12:13], v[14:15], v[10:11]
	v_mul_f64 v[18:19], v[16:17], s[0:1]
	v_ldexp_f64 v[6:7], v[6:7], 1
	v_add_f64 v[8:9], v[12:13], -v[14:15]
	v_fma_f64 v[14:15], v[16:17], s[0:1], -v[18:19]
	s_mov_b32 s0, 0x3b39803f
	s_mov_b32 s1, 0x3c7abc9e
	v_add_f64 v[8:9], v[10:11], -v[8:9]
	v_fma_f64 v[10:11], v[16:17], s[0:1], v[14:15]
	s_lshl_b64 s[0:1], s[14:15], 3
	v_add_f64 v[6:7], v[6:7], v[8:9]
	v_add_f64 v[8:9], v[18:19], v[10:11]
	;; [unrolled: 1-line block ×3, first 2 shown]
	v_add_f64 v[18:19], v[8:9], -v[18:19]
	v_add_f64 v[16:17], v[8:9], v[14:15]
	v_add_f64 v[12:13], v[14:15], -v[12:13]
	v_add_f64 v[10:11], v[10:11], -v[18:19]
	;; [unrolled: 1-line block ×6, first 2 shown]
	v_add_f64 v[14:15], v[10:11], v[6:7]
	v_add_f64 v[8:9], v[8:9], -v[22:23]
	v_add_f64 v[8:9], v[12:13], v[8:9]
	v_add_f64 v[12:13], v[14:15], -v[10:11]
	;; [unrolled: 2-line block ×3, first 2 shown]
	v_add_f64 v[6:7], v[6:7], -v[12:13]
	v_add_f64 v[18:19], v[16:17], v[8:9]
	v_add_f64 v[10:11], v[10:11], -v[14:15]
	v_add_f64 v[12:13], v[18:19], -v[16:17]
	v_add_f64 v[6:7], v[6:7], v[10:11]
	v_add_f64 v[8:9], v[8:9], -v[12:13]
	v_add_f64 v[6:7], v[6:7], v[8:9]
	v_add_f64 v[6:7], v[18:19], v[6:7]
	v_cndmask_b32_e32 v6, v6, v2, vcc_lo
	v_cndmask_b32_e32 v7, v7, v3, vcc_lo
	v_cmp_ngt_f64_e32 vcc_lo, 0, v[2:3]
	v_cndmask_b32_e32 v7, 0x7ff80000, v7, vcc_lo
	v_cmp_nge_f64_e32 vcc_lo, 0, v[2:3]
	v_cndmask_b32_e32 v6, 0, v6, vcc_lo
	v_cmp_neq_f64_e32 vcc_lo, 0, v[2:3]
	v_cndmask_b32_e32 v7, 0xfff00000, v7, vcc_lo
	v_add_co_u32 v2, vcc_lo, v4, s0
	v_add_co_ci_u32_e64 v3, null, s1, v5, vcc_lo
	v_add_f64 v[0:1], v[0:1], -v[6:7]
	global_store_dwordx2 v[2:3], v[0:1], off
.LBB8_9:
	s_endpgm
	.section	.rodata,"a",@progbits
	.p2align	6, 0x0
	.amdhsa_kernel _ZN12_GLOBAL__N_120softmax_warp_forwardIdddLi4ELb1ELb0ELi64EEEvPT0_PKT_iiiPKbib
		.amdhsa_group_segment_fixed_size 0
		.amdhsa_private_segment_fixed_size 0
		.amdhsa_kernarg_size 304
		.amdhsa_user_sgpr_count 6
		.amdhsa_user_sgpr_private_segment_buffer 1
		.amdhsa_user_sgpr_dispatch_ptr 0
		.amdhsa_user_sgpr_queue_ptr 0
		.amdhsa_user_sgpr_kernarg_segment_ptr 1
		.amdhsa_user_sgpr_dispatch_id 0
		.amdhsa_user_sgpr_flat_scratch_init 0
		.amdhsa_user_sgpr_private_segment_size 0
		.amdhsa_wavefront_size32 1
		.amdhsa_uses_dynamic_stack 0
		.amdhsa_system_sgpr_private_segment_wavefront_offset 0
		.amdhsa_system_sgpr_workgroup_id_x 1
		.amdhsa_system_sgpr_workgroup_id_y 0
		.amdhsa_system_sgpr_workgroup_id_z 0
		.amdhsa_system_sgpr_workgroup_info 0
		.amdhsa_system_vgpr_workitem_id 1
		.amdhsa_next_free_vgpr 31
		.amdhsa_next_free_sgpr 16
		.amdhsa_reserve_vcc 1
		.amdhsa_reserve_flat_scratch 0
		.amdhsa_float_round_mode_32 0
		.amdhsa_float_round_mode_16_64 0
		.amdhsa_float_denorm_mode_32 3
		.amdhsa_float_denorm_mode_16_64 3
		.amdhsa_dx10_clamp 1
		.amdhsa_ieee_mode 1
		.amdhsa_fp16_overflow 0
		.amdhsa_workgroup_processor_mode 1
		.amdhsa_memory_ordered 1
		.amdhsa_forward_progress 1
		.amdhsa_shared_vgpr_count 0
		.amdhsa_exception_fp_ieee_invalid_op 0
		.amdhsa_exception_fp_denorm_src 0
		.amdhsa_exception_fp_ieee_div_zero 0
		.amdhsa_exception_fp_ieee_overflow 0
		.amdhsa_exception_fp_ieee_underflow 0
		.amdhsa_exception_fp_ieee_inexact 0
		.amdhsa_exception_int_div_zero 0
	.end_amdhsa_kernel
	.section	.text._ZN12_GLOBAL__N_120softmax_warp_forwardIdddLi4ELb1ELb0ELi64EEEvPT0_PKT_iiiPKbib,"axG",@progbits,_ZN12_GLOBAL__N_120softmax_warp_forwardIdddLi4ELb1ELb0ELi64EEEvPT0_PKT_iiiPKbib,comdat
.Lfunc_end8:
	.size	_ZN12_GLOBAL__N_120softmax_warp_forwardIdddLi4ELb1ELb0ELi64EEEvPT0_PKT_iiiPKbib, .Lfunc_end8-_ZN12_GLOBAL__N_120softmax_warp_forwardIdddLi4ELb1ELb0ELi64EEEvPT0_PKT_iiiPKbib
                                        ; -- End function
	.set _ZN12_GLOBAL__N_120softmax_warp_forwardIdddLi4ELb1ELb0ELi64EEEvPT0_PKT_iiiPKbib.num_vgpr, 31
	.set _ZN12_GLOBAL__N_120softmax_warp_forwardIdddLi4ELb1ELb0ELi64EEEvPT0_PKT_iiiPKbib.num_agpr, 0
	.set _ZN12_GLOBAL__N_120softmax_warp_forwardIdddLi4ELb1ELb0ELi64EEEvPT0_PKT_iiiPKbib.numbered_sgpr, 16
	.set _ZN12_GLOBAL__N_120softmax_warp_forwardIdddLi4ELb1ELb0ELi64EEEvPT0_PKT_iiiPKbib.num_named_barrier, 0
	.set _ZN12_GLOBAL__N_120softmax_warp_forwardIdddLi4ELb1ELb0ELi64EEEvPT0_PKT_iiiPKbib.private_seg_size, 0
	.set _ZN12_GLOBAL__N_120softmax_warp_forwardIdddLi4ELb1ELb0ELi64EEEvPT0_PKT_iiiPKbib.uses_vcc, 1
	.set _ZN12_GLOBAL__N_120softmax_warp_forwardIdddLi4ELb1ELb0ELi64EEEvPT0_PKT_iiiPKbib.uses_flat_scratch, 0
	.set _ZN12_GLOBAL__N_120softmax_warp_forwardIdddLi4ELb1ELb0ELi64EEEvPT0_PKT_iiiPKbib.has_dyn_sized_stack, 0
	.set _ZN12_GLOBAL__N_120softmax_warp_forwardIdddLi4ELb1ELb0ELi64EEEvPT0_PKT_iiiPKbib.has_recursion, 0
	.set _ZN12_GLOBAL__N_120softmax_warp_forwardIdddLi4ELb1ELb0ELi64EEEvPT0_PKT_iiiPKbib.has_indirect_call, 0
	.section	.AMDGPU.csdata,"",@progbits
; Kernel info:
; codeLenInByte = 3208
; TotalNumSgprs: 18
; NumVgprs: 31
; ScratchSize: 0
; MemoryBound: 1
; FloatMode: 240
; IeeeMode: 1
; LDSByteSize: 0 bytes/workgroup (compile time only)
; SGPRBlocks: 0
; VGPRBlocks: 3
; NumSGPRsForWavesPerEU: 18
; NumVGPRsForWavesPerEU: 31
; Occupancy: 16
; WaveLimiterHint : 0
; COMPUTE_PGM_RSRC2:SCRATCH_EN: 0
; COMPUTE_PGM_RSRC2:USER_SGPR: 6
; COMPUTE_PGM_RSRC2:TRAP_HANDLER: 0
; COMPUTE_PGM_RSRC2:TGID_X_EN: 1
; COMPUTE_PGM_RSRC2:TGID_Y_EN: 0
; COMPUTE_PGM_RSRC2:TGID_Z_EN: 0
; COMPUTE_PGM_RSRC2:TIDIG_COMP_CNT: 1
	.section	.text._ZN12_GLOBAL__N_120softmax_warp_forwardIdddLi4ELb1ELb0ELi32EEEvPT0_PKT_iiiPKbib,"axG",@progbits,_ZN12_GLOBAL__N_120softmax_warp_forwardIdddLi4ELb1ELb0ELi32EEEvPT0_PKT_iiiPKbib,comdat
	.globl	_ZN12_GLOBAL__N_120softmax_warp_forwardIdddLi4ELb1ELb0ELi32EEEvPT0_PKT_iiiPKbib ; -- Begin function _ZN12_GLOBAL__N_120softmax_warp_forwardIdddLi4ELb1ELb0ELi32EEEvPT0_PKT_iiiPKbib
	.p2align	8
	.type	_ZN12_GLOBAL__N_120softmax_warp_forwardIdddLi4ELb1ELb0ELi32EEEvPT0_PKT_iiiPKbib,@function
_ZN12_GLOBAL__N_120softmax_warp_forwardIdddLi4ELb1ELb0ELi32EEEvPT0_PKT_iiiPKbib: ; @_ZN12_GLOBAL__N_120softmax_warp_forwardIdddLi4ELb1ELb0ELi32EEEvPT0_PKT_iiiPKbib
; %bb.0:
	s_clause 0x1
	s_load_dword s0, s[4:5], 0x3c
	s_load_dwordx8 s[8:15], s[4:5], 0x0
	v_mov_b32_e32 v6, 0
	v_mov_b32_e32 v7, 0xfff00000
	s_waitcnt lgkmcnt(0)
	s_lshr_b32 s0, s0, 16
	v_cmp_gt_i32_e32 vcc_lo, s14, v0
	s_and_b32 s0, s0, 0xffff
	s_mul_i32 s6, s6, s0
	v_add_lshl_u32 v3, s6, v1, 1
	v_mad_u64_u32 v[1:2], null, v3, s13, v[0:1]
	v_sub_nc_u32_e32 v13, s12, v3
	v_cmp_lt_i32_e64 s0, 0, v13
	v_ashrrev_i32_e32 v2, 31, v1
	s_and_b32 s2, vcc_lo, s0
	v_lshlrev_b64 v[4:5], 3, v[1:2]
	v_mov_b32_e32 v1, 0
	v_mov_b32_e32 v2, 0xfff00000
	v_add_co_u32 v8, s1, s10, v4
	v_add_co_ci_u32_e64 v9, null, s11, v5, s1
	s_and_saveexec_b32 s1, s2
	s_cbranch_execz .LBB9_2
; %bb.1:
	global_load_dwordx2 v[1:2], v[8:9], off
.LBB9_2:
	s_or_b32 exec_lo, exec_lo, s1
	v_cmp_lt_i32_e64 s1, 1, v13
	s_and_b32 s1, vcc_lo, s1
	s_and_saveexec_b32 s2, s1
	s_cbranch_execz .LBB9_4
; %bb.3:
	s_mov_b32 s15, 0
	s_lshl_b64 s[4:5], s[14:15], 3
	v_add_co_u32 v6, s1, v8, s4
	v_add_co_ci_u32_e64 v7, null, s5, v9, s1
	global_load_dwordx2 v[6:7], v[6:7], off
.LBB9_4:
	s_or_b32 exec_lo, exec_lo, s2
	v_mbcnt_lo_u32_b32 v0, -1, 0
	s_mov_b32 s4, 0x6a5dcb37
	s_mov_b32 s5, 0x3e5ade15
	v_and_b32_e32 v3, 16, v0
	v_xor_b32_e32 v8, 8, v0
	v_xor_b32_e32 v9, 4, v0
	;; [unrolled: 1-line block ×3, first 2 shown]
	v_add_nc_u32_e32 v3, 16, v3
	v_cmp_lt_i32_e64 s1, v8, v3
	v_cmp_lt_i32_e64 s3, v9, v3
	v_cndmask_b32_e64 v8, v0, v8, s1
	v_cndmask_b32_e64 v9, v0, v9, s3
	v_lshlrev_b32_e32 v8, 2, v8
	v_lshlrev_b32_e32 v9, 2, v9
	s_waitcnt vmcnt(0)
	ds_bpermute_b32 v10, v8, v1
	ds_bpermute_b32 v11, v8, v2
	;; [unrolled: 1-line block ×4, first 2 shown]
	s_waitcnt lgkmcnt(2)
	v_cmp_lt_f64_e64 s1, v[1:2], v[10:11]
	s_waitcnt lgkmcnt(0)
	v_cmp_lt_f64_e64 s2, v[6:7], v[14:15]
	v_cndmask_b32_e64 v12, v2, v11, s1
	v_cndmask_b32_e64 v11, v1, v10, s1
	;; [unrolled: 1-line block ×4, first 2 shown]
	v_xor_b32_e32 v10, 2, v0
	ds_bpermute_b32 v17, v9, v12
	ds_bpermute_b32 v16, v9, v11
	;; [unrolled: 1-line block ×4, first 2 shown]
	v_cmp_lt_i32_e64 s3, v10, v3
	v_cndmask_b32_e64 v10, v0, v10, s3
	v_cmp_lt_i32_e64 s3, v20, v3
	v_lshlrev_b32_e32 v10, 2, v10
	v_cndmask_b32_e64 v0, v0, v20, s3
	v_lshlrev_b32_e32 v22, 2, v0
	s_waitcnt lgkmcnt(2)
	v_cmp_lt_f64_e64 s1, v[11:12], v[16:17]
	s_waitcnt lgkmcnt(0)
	v_cmp_lt_f64_e64 s2, v[14:15], v[18:19]
	v_cndmask_b32_e64 v12, v12, v17, s1
	v_cndmask_b32_e64 v11, v11, v16, s1
	;; [unrolled: 1-line block ×4, first 2 shown]
	ds_bpermute_b32 v17, v10, v12
	ds_bpermute_b32 v16, v10, v11
	;; [unrolled: 1-line block ×4, first 2 shown]
	s_waitcnt lgkmcnt(2)
	v_cmp_lt_f64_e64 s1, v[11:12], v[16:17]
	s_waitcnt lgkmcnt(0)
	v_cmp_lt_f64_e64 s2, v[14:15], v[18:19]
	v_cndmask_b32_e64 v12, v12, v17, s1
	v_cndmask_b32_e64 v11, v11, v16, s1
	;; [unrolled: 1-line block ×4, first 2 shown]
	ds_bpermute_b32 v17, v22, v12
	ds_bpermute_b32 v16, v22, v11
	;; [unrolled: 1-line block ×4, first 2 shown]
	s_waitcnt lgkmcnt(2)
	v_cmp_lt_f64_e64 s1, v[11:12], v[16:17]
	s_waitcnt lgkmcnt(0)
	v_cmp_lt_f64_e64 s2, v[14:15], v[18:19]
	v_cndmask_b32_e64 v12, v12, v17, s1
	v_cndmask_b32_e64 v11, v11, v16, s1
	;; [unrolled: 1-line block ×4, first 2 shown]
	s_mov_b32 s2, 0x652b82fe
	s_mov_b32 s3, 0x3ff71547
	v_add_f64 v[2:3], v[1:2], -v[11:12]
	v_add_f64 v[0:1], v[6:7], -v[14:15]
	v_mul_f64 v[6:7], v[2:3], s[2:3]
	v_cmp_nlt_f64_e64 s1, 0x40900000, v[2:3]
	v_mul_f64 v[11:12], v[0:1], s[2:3]
	s_mov_b32 s2, 0xfefa39ef
	s_mov_b32 s3, 0xbfe62e42
	v_rndne_f64_e32 v[6:7], v[6:7]
	v_rndne_f64_e32 v[11:12], v[11:12]
	v_fma_f64 v[14:15], v[6:7], s[2:3], v[2:3]
	v_cvt_i32_f64_e32 v23, v[6:7]
	v_fma_f64 v[16:17], v[11:12], s[2:3], v[0:1]
	s_mov_b32 s2, 0x3b39803f
	s_mov_b32 s3, 0xbc7abc9e
	v_fma_f64 v[14:15], v[6:7], s[2:3], v[14:15]
	v_fma_f64 v[16:17], v[11:12], s[2:3], v[16:17]
	s_mov_b32 s2, 0xfca7ab0c
	s_mov_b32 s3, 0x3e928af3
	v_fma_f64 v[18:19], v[14:15], s[4:5], s[2:3]
	v_fma_f64 v[20:21], v[16:17], s[4:5], s[2:3]
	s_mov_b32 s2, 0x623fde64
	s_mov_b32 s3, 0x3ec71dee
	v_cmp_ngt_f64_e64 s4, 0xc090cc00, v[0:1]
	v_fma_f64 v[18:19], v[14:15], v[18:19], s[2:3]
	v_fma_f64 v[20:21], v[16:17], v[20:21], s[2:3]
	s_mov_b32 s2, 0x7c89e6b0
	s_mov_b32 s3, 0x3efa0199
	v_fma_f64 v[18:19], v[14:15], v[18:19], s[2:3]
	v_fma_f64 v[20:21], v[16:17], v[20:21], s[2:3]
	s_mov_b32 s2, 0x14761f6e
	s_mov_b32 s3, 0x3f2a01a0
	;; [unrolled: 4-line block ×7, first 2 shown]
	v_fma_f64 v[18:19], v[14:15], v[18:19], s[2:3]
	v_fma_f64 v[20:21], v[16:17], v[20:21], s[2:3]
	v_cmp_nlt_f64_e64 s3, 0x40900000, v[0:1]
	v_cmp_ngt_f64_e64 s2, 0xc090cc00, v[2:3]
	v_fma_f64 v[18:19], v[14:15], v[18:19], 1.0
	v_fma_f64 v[20:21], v[16:17], v[20:21], 1.0
	;; [unrolled: 1-line block ×3, first 2 shown]
	v_cvt_i32_f64_e32 v14, v[11:12]
	v_fma_f64 v[11:12], v[16:17], v[20:21], 1.0
	v_ldexp_f64 v[6:7], v[6:7], v23
	v_ldexp_f64 v[11:12], v[11:12], v14
	v_add_f64 v[6:7], v[6:7], 0
	v_add_f64 v[11:12], v[11:12], 0
	v_cndmask_b32_e64 v7, 0x7ff00000, v7, s1
	s_and_b32 s1, s2, s1
	v_cndmask_b32_e64 v12, 0x7ff00000, v12, s3
	v_cndmask_b32_e64 v6, 0, v6, s1
	s_and_b32 s1, s4, s3
	v_cndmask_b32_e64 v7, 0, v7, s2
	v_cndmask_b32_e64 v11, 0, v11, s1
	;; [unrolled: 1-line block ×3, first 2 shown]
	ds_bpermute_b32 v14, v8, v6
	ds_bpermute_b32 v15, v8, v7
	ds_bpermute_b32 v16, v8, v11
	ds_bpermute_b32 v17, v8, v12
	s_waitcnt lgkmcnt(2)
	v_add_f64 v[6:7], v[6:7], v[14:15]
	s_waitcnt lgkmcnt(0)
	v_add_f64 v[11:12], v[11:12], v[16:17]
	ds_bpermute_b32 v14, v9, v6
	ds_bpermute_b32 v15, v9, v7
	ds_bpermute_b32 v8, v9, v11
	ds_bpermute_b32 v9, v9, v12
	s_waitcnt lgkmcnt(2)
	v_add_f64 v[6:7], v[6:7], v[14:15]
	s_waitcnt lgkmcnt(0)
	v_add_f64 v[11:12], v[11:12], v[8:9]
	;; [unrolled: 8-line block ×3, first 2 shown]
	ds_bpermute_b32 v11, v22, v9
	ds_bpermute_b32 v12, v22, v10
	;; [unrolled: 1-line block ×4, first 2 shown]
	s_and_saveexec_b32 s1, s0
	s_cbranch_execz .LBB9_9
; %bb.5:
	v_add_co_u32 v4, s0, s8, v4
	v_add_co_ci_u32_e64 v5, null, s9, v5, s0
	s_and_saveexec_b32 s1, vcc_lo
	s_cbranch_execz .LBB9_7
; %bb.6:
	s_waitcnt lgkmcnt(2)
	v_add_f64 v[9:10], v[9:10], v[11:12]
	s_mov_b32 s3, 0x3fe55555
	s_mov_b32 s2, 0x55555555
	;; [unrolled: 1-line block ×6, first 2 shown]
	v_frexp_mant_f64_e32 v[11:12], v[9:10]
	v_frexp_exp_i32_f64_e32 v15, v[9:10]
	v_cmp_gt_f64_e64 s0, s[2:3], v[11:12]
	s_mov_b32 s2, 0x55555780
	v_subrev_co_ci_u32_e64 v27, null, 0, v15, s0
	v_cndmask_b32_e64 v15, 0, 1, s0
	v_cmp_class_f64_e64 s0, v[9:10], 0x204
	v_ldexp_f64 v[11:12], v[11:12], v15
	v_add_f64 v[15:16], v[11:12], 1.0
	v_add_f64 v[21:22], v[11:12], -1.0
	v_rcp_f64_e32 v[17:18], v[15:16]
	v_add_f64 v[23:24], v[15:16], -1.0
	v_add_f64 v[11:12], v[11:12], -v[23:24]
	v_fma_f64 v[19:20], -v[15:16], v[17:18], 1.0
	v_fma_f64 v[17:18], v[19:20], v[17:18], v[17:18]
	v_fma_f64 v[19:20], -v[15:16], v[17:18], 1.0
	v_fma_f64 v[17:18], v[19:20], v[17:18], v[17:18]
	v_mul_f64 v[19:20], v[21:22], v[17:18]
	v_mul_f64 v[25:26], v[15:16], v[19:20]
	v_fma_f64 v[15:16], v[19:20], v[15:16], -v[25:26]
	v_fma_f64 v[11:12], v[19:20], v[11:12], v[15:16]
	v_add_f64 v[15:16], v[25:26], v[11:12]
	v_add_f64 v[23:24], v[21:22], -v[15:16]
	v_add_f64 v[25:26], v[15:16], -v[25:26]
	;; [unrolled: 1-line block ×5, first 2 shown]
	v_add_f64 v[11:12], v[11:12], v[15:16]
	v_add_f64 v[11:12], v[23:24], v[11:12]
	v_mul_f64 v[11:12], v[17:18], v[11:12]
	v_add_f64 v[15:16], v[19:20], v[11:12]
	v_mul_f64 v[17:18], v[15:16], v[15:16]
	v_fma_f64 v[21:22], v[17:18], s[6:7], s[4:5]
	s_mov_b32 s4, 0xd7f4df2e
	s_mov_b32 s5, 0x3fc7474d
	v_mul_f64 v[23:24], v[15:16], v[17:18]
	v_fma_f64 v[21:22], v[17:18], v[21:22], s[4:5]
	s_mov_b32 s4, 0x16291751
	s_mov_b32 s5, 0x3fcc71c0
	v_fma_f64 v[21:22], v[17:18], v[21:22], s[4:5]
	s_mov_b32 s4, 0x9b27acf1
	s_mov_b32 s5, 0x3fd24924
	;; [unrolled: 3-line block ×3, first 2 shown]
	v_fma_f64 v[21:22], v[17:18], v[21:22], s[4:5]
	v_fma_f64 v[17:18], v[17:18], v[21:22], s[2:3]
	v_ldexp_f64 v[21:22], v[15:16], 1
	v_add_f64 v[15:16], v[15:16], -v[19:20]
	s_mov_b32 s2, 0xfefa39ef
	s_mov_b32 s3, 0x3fe62e42
	v_mul_f64 v[17:18], v[23:24], v[17:18]
	v_cvt_f64_i32_e32 v[23:24], v27
	v_add_f64 v[11:12], v[11:12], -v[15:16]
	v_add_f64 v[19:20], v[21:22], v[17:18]
	v_mul_f64 v[25:26], v[23:24], s[2:3]
	v_ldexp_f64 v[11:12], v[11:12], 1
	v_add_f64 v[15:16], v[19:20], -v[21:22]
	v_fma_f64 v[21:22], v[23:24], s[2:3], -v[25:26]
	s_mov_b32 s2, 0x3b39803f
	s_mov_b32 s3, 0x3c7abc9e
	v_add_f64 v[15:16], v[17:18], -v[15:16]
	v_fma_f64 v[17:18], v[23:24], s[2:3], v[21:22]
	v_add_f64 v[11:12], v[11:12], v[15:16]
	v_add_f64 v[15:16], v[25:26], v[17:18]
	;; [unrolled: 1-line block ×3, first 2 shown]
	v_add_f64 v[25:26], v[15:16], -v[25:26]
	v_add_f64 v[23:24], v[15:16], v[21:22]
	v_add_f64 v[19:20], v[21:22], -v[19:20]
	v_add_f64 v[17:18], v[17:18], -v[25:26]
	;; [unrolled: 1-line block ×6, first 2 shown]
	v_add_f64 v[21:22], v[17:18], v[11:12]
	v_add_f64 v[15:16], v[15:16], -v[29:30]
	v_add_f64 v[15:16], v[19:20], v[15:16]
	v_add_f64 v[19:20], v[21:22], -v[17:18]
	;; [unrolled: 2-line block ×3, first 2 shown]
	v_add_f64 v[11:12], v[11:12], -v[19:20]
	v_add_f64 v[25:26], v[23:24], v[15:16]
	v_add_f64 v[17:18], v[17:18], -v[21:22]
	v_add_f64 v[19:20], v[25:26], -v[23:24]
	v_add_f64 v[11:12], v[11:12], v[17:18]
	v_add_f64 v[15:16], v[15:16], -v[19:20]
	v_add_f64 v[11:12], v[11:12], v[15:16]
	v_add_f64 v[11:12], v[25:26], v[11:12]
	v_cndmask_b32_e64 v11, v11, v9, s0
	v_cndmask_b32_e64 v12, v12, v10, s0
	v_cmp_ngt_f64_e64 s0, 0, v[9:10]
	v_cndmask_b32_e64 v12, 0x7ff80000, v12, s0
	v_cmp_nge_f64_e64 s0, 0, v[9:10]
	v_cndmask_b32_e64 v11, 0, v11, s0
	v_cmp_neq_f64_e64 s0, 0, v[9:10]
	v_cndmask_b32_e64 v12, 0xfff00000, v12, s0
	v_add_f64 v[2:3], v[2:3], -v[11:12]
	global_store_dwordx2 v[4:5], v[2:3], off
.LBB9_7:
	s_or_b32 exec_lo, exec_lo, s1
	v_cmp_ne_u32_e64 s0, 1, v13
	s_and_b32 s0, s0, vcc_lo
	s_and_b32 exec_lo, exec_lo, s0
	s_cbranch_execz .LBB9_9
; %bb.8:
	s_waitcnt lgkmcnt(0)
	v_mov_b32_e32 v9, v14
	s_mov_b32 s1, 0x3fe55555
	s_mov_b32 s0, 0x55555555
	;; [unrolled: 1-line block ×4, first 2 shown]
	v_add_f64 v[2:3], v[6:7], v[8:9]
	s_mov_b32 s3, 0x3fc38538
	s_mov_b32 s5, 0x3fc3ab76
	s_mov_b32 s15, 0
	v_frexp_mant_f64_e32 v[6:7], v[2:3]
	v_frexp_exp_i32_f64_e32 v8, v[2:3]
	v_cmp_gt_f64_e32 vcc_lo, s[0:1], v[6:7]
	s_mov_b32 s0, 0x55555780
	v_subrev_co_ci_u32_e64 v20, null, 0, v8, vcc_lo
	v_cndmask_b32_e64 v8, 0, 1, vcc_lo
	v_cmp_class_f64_e64 vcc_lo, v[2:3], 0x204
	v_ldexp_f64 v[6:7], v[6:7], v8
	v_add_f64 v[8:9], v[6:7], 1.0
	v_add_f64 v[14:15], v[6:7], -1.0
	v_rcp_f64_e32 v[10:11], v[8:9]
	v_add_f64 v[16:17], v[8:9], -1.0
	v_add_f64 v[6:7], v[6:7], -v[16:17]
	v_fma_f64 v[12:13], -v[8:9], v[10:11], 1.0
	v_fma_f64 v[10:11], v[12:13], v[10:11], v[10:11]
	v_fma_f64 v[12:13], -v[8:9], v[10:11], 1.0
	v_fma_f64 v[10:11], v[12:13], v[10:11], v[10:11]
	v_mul_f64 v[12:13], v[14:15], v[10:11]
	v_mul_f64 v[18:19], v[8:9], v[12:13]
	v_fma_f64 v[8:9], v[12:13], v[8:9], -v[18:19]
	v_fma_f64 v[6:7], v[12:13], v[6:7], v[8:9]
	v_add_f64 v[8:9], v[18:19], v[6:7]
	v_add_f64 v[16:17], v[14:15], -v[8:9]
	v_add_f64 v[18:19], v[8:9], -v[18:19]
	;; [unrolled: 1-line block ×5, first 2 shown]
	v_add_f64 v[6:7], v[6:7], v[8:9]
	v_add_f64 v[6:7], v[16:17], v[6:7]
	v_mul_f64 v[6:7], v[10:11], v[6:7]
	v_add_f64 v[8:9], v[12:13], v[6:7]
	v_mul_f64 v[10:11], v[8:9], v[8:9]
	v_fma_f64 v[14:15], v[10:11], s[4:5], s[2:3]
	s_mov_b32 s2, 0xd7f4df2e
	s_mov_b32 s3, 0x3fc7474d
	v_mul_f64 v[16:17], v[8:9], v[10:11]
	v_fma_f64 v[14:15], v[10:11], v[14:15], s[2:3]
	s_mov_b32 s2, 0x16291751
	s_mov_b32 s3, 0x3fcc71c0
	v_fma_f64 v[14:15], v[10:11], v[14:15], s[2:3]
	s_mov_b32 s2, 0x9b27acf1
	s_mov_b32 s3, 0x3fd24924
	;; [unrolled: 3-line block ×3, first 2 shown]
	v_fma_f64 v[14:15], v[10:11], v[14:15], s[2:3]
	v_fma_f64 v[10:11], v[10:11], v[14:15], s[0:1]
	v_ldexp_f64 v[14:15], v[8:9], 1
	v_add_f64 v[8:9], v[8:9], -v[12:13]
	s_mov_b32 s0, 0xfefa39ef
	s_mov_b32 s1, 0x3fe62e42
	v_mul_f64 v[10:11], v[16:17], v[10:11]
	v_cvt_f64_i32_e32 v[16:17], v20
	v_add_f64 v[6:7], v[6:7], -v[8:9]
	v_add_f64 v[12:13], v[14:15], v[10:11]
	v_mul_f64 v[18:19], v[16:17], s[0:1]
	v_ldexp_f64 v[6:7], v[6:7], 1
	v_add_f64 v[8:9], v[12:13], -v[14:15]
	v_fma_f64 v[14:15], v[16:17], s[0:1], -v[18:19]
	s_mov_b32 s0, 0x3b39803f
	s_mov_b32 s1, 0x3c7abc9e
	v_add_f64 v[8:9], v[10:11], -v[8:9]
	v_fma_f64 v[10:11], v[16:17], s[0:1], v[14:15]
	s_lshl_b64 s[0:1], s[14:15], 3
	v_add_f64 v[6:7], v[6:7], v[8:9]
	v_add_f64 v[8:9], v[18:19], v[10:11]
	;; [unrolled: 1-line block ×3, first 2 shown]
	v_add_f64 v[18:19], v[8:9], -v[18:19]
	v_add_f64 v[16:17], v[8:9], v[14:15]
	v_add_f64 v[12:13], v[14:15], -v[12:13]
	v_add_f64 v[10:11], v[10:11], -v[18:19]
	;; [unrolled: 1-line block ×6, first 2 shown]
	v_add_f64 v[14:15], v[10:11], v[6:7]
	v_add_f64 v[8:9], v[8:9], -v[22:23]
	v_add_f64 v[8:9], v[12:13], v[8:9]
	v_add_f64 v[12:13], v[14:15], -v[10:11]
	;; [unrolled: 2-line block ×3, first 2 shown]
	v_add_f64 v[6:7], v[6:7], -v[12:13]
	v_add_f64 v[18:19], v[16:17], v[8:9]
	v_add_f64 v[10:11], v[10:11], -v[14:15]
	v_add_f64 v[12:13], v[18:19], -v[16:17]
	v_add_f64 v[6:7], v[6:7], v[10:11]
	v_add_f64 v[8:9], v[8:9], -v[12:13]
	v_add_f64 v[6:7], v[6:7], v[8:9]
	v_add_f64 v[6:7], v[18:19], v[6:7]
	v_cndmask_b32_e32 v6, v6, v2, vcc_lo
	v_cndmask_b32_e32 v7, v7, v3, vcc_lo
	v_cmp_ngt_f64_e32 vcc_lo, 0, v[2:3]
	v_cndmask_b32_e32 v7, 0x7ff80000, v7, vcc_lo
	v_cmp_nge_f64_e32 vcc_lo, 0, v[2:3]
	v_cndmask_b32_e32 v6, 0, v6, vcc_lo
	v_cmp_neq_f64_e32 vcc_lo, 0, v[2:3]
	v_cndmask_b32_e32 v7, 0xfff00000, v7, vcc_lo
	v_add_co_u32 v2, vcc_lo, v4, s0
	v_add_co_ci_u32_e64 v3, null, s1, v5, vcc_lo
	v_add_f64 v[0:1], v[0:1], -v[6:7]
	global_store_dwordx2 v[2:3], v[0:1], off
.LBB9_9:
	s_endpgm
	.section	.rodata,"a",@progbits
	.p2align	6, 0x0
	.amdhsa_kernel _ZN12_GLOBAL__N_120softmax_warp_forwardIdddLi4ELb1ELb0ELi32EEEvPT0_PKT_iiiPKbib
		.amdhsa_group_segment_fixed_size 0
		.amdhsa_private_segment_fixed_size 0
		.amdhsa_kernarg_size 304
		.amdhsa_user_sgpr_count 6
		.amdhsa_user_sgpr_private_segment_buffer 1
		.amdhsa_user_sgpr_dispatch_ptr 0
		.amdhsa_user_sgpr_queue_ptr 0
		.amdhsa_user_sgpr_kernarg_segment_ptr 1
		.amdhsa_user_sgpr_dispatch_id 0
		.amdhsa_user_sgpr_flat_scratch_init 0
		.amdhsa_user_sgpr_private_segment_size 0
		.amdhsa_wavefront_size32 1
		.amdhsa_uses_dynamic_stack 0
		.amdhsa_system_sgpr_private_segment_wavefront_offset 0
		.amdhsa_system_sgpr_workgroup_id_x 1
		.amdhsa_system_sgpr_workgroup_id_y 0
		.amdhsa_system_sgpr_workgroup_id_z 0
		.amdhsa_system_sgpr_workgroup_info 0
		.amdhsa_system_vgpr_workitem_id 1
		.amdhsa_next_free_vgpr 31
		.amdhsa_next_free_sgpr 16
		.amdhsa_reserve_vcc 1
		.amdhsa_reserve_flat_scratch 0
		.amdhsa_float_round_mode_32 0
		.amdhsa_float_round_mode_16_64 0
		.amdhsa_float_denorm_mode_32 3
		.amdhsa_float_denorm_mode_16_64 3
		.amdhsa_dx10_clamp 1
		.amdhsa_ieee_mode 1
		.amdhsa_fp16_overflow 0
		.amdhsa_workgroup_processor_mode 1
		.amdhsa_memory_ordered 1
		.amdhsa_forward_progress 1
		.amdhsa_shared_vgpr_count 0
		.amdhsa_exception_fp_ieee_invalid_op 0
		.amdhsa_exception_fp_denorm_src 0
		.amdhsa_exception_fp_ieee_div_zero 0
		.amdhsa_exception_fp_ieee_overflow 0
		.amdhsa_exception_fp_ieee_underflow 0
		.amdhsa_exception_fp_ieee_inexact 0
		.amdhsa_exception_int_div_zero 0
	.end_amdhsa_kernel
	.section	.text._ZN12_GLOBAL__N_120softmax_warp_forwardIdddLi4ELb1ELb0ELi32EEEvPT0_PKT_iiiPKbib,"axG",@progbits,_ZN12_GLOBAL__N_120softmax_warp_forwardIdddLi4ELb1ELb0ELi32EEEvPT0_PKT_iiiPKbib,comdat
.Lfunc_end9:
	.size	_ZN12_GLOBAL__N_120softmax_warp_forwardIdddLi4ELb1ELb0ELi32EEEvPT0_PKT_iiiPKbib, .Lfunc_end9-_ZN12_GLOBAL__N_120softmax_warp_forwardIdddLi4ELb1ELb0ELi32EEEvPT0_PKT_iiiPKbib
                                        ; -- End function
	.set _ZN12_GLOBAL__N_120softmax_warp_forwardIdddLi4ELb1ELb0ELi32EEEvPT0_PKT_iiiPKbib.num_vgpr, 31
	.set _ZN12_GLOBAL__N_120softmax_warp_forwardIdddLi4ELb1ELb0ELi32EEEvPT0_PKT_iiiPKbib.num_agpr, 0
	.set _ZN12_GLOBAL__N_120softmax_warp_forwardIdddLi4ELb1ELb0ELi32EEEvPT0_PKT_iiiPKbib.numbered_sgpr, 16
	.set _ZN12_GLOBAL__N_120softmax_warp_forwardIdddLi4ELb1ELb0ELi32EEEvPT0_PKT_iiiPKbib.num_named_barrier, 0
	.set _ZN12_GLOBAL__N_120softmax_warp_forwardIdddLi4ELb1ELb0ELi32EEEvPT0_PKT_iiiPKbib.private_seg_size, 0
	.set _ZN12_GLOBAL__N_120softmax_warp_forwardIdddLi4ELb1ELb0ELi32EEEvPT0_PKT_iiiPKbib.uses_vcc, 1
	.set _ZN12_GLOBAL__N_120softmax_warp_forwardIdddLi4ELb1ELb0ELi32EEEvPT0_PKT_iiiPKbib.uses_flat_scratch, 0
	.set _ZN12_GLOBAL__N_120softmax_warp_forwardIdddLi4ELb1ELb0ELi32EEEvPT0_PKT_iiiPKbib.has_dyn_sized_stack, 0
	.set _ZN12_GLOBAL__N_120softmax_warp_forwardIdddLi4ELb1ELb0ELi32EEEvPT0_PKT_iiiPKbib.has_recursion, 0
	.set _ZN12_GLOBAL__N_120softmax_warp_forwardIdddLi4ELb1ELb0ELi32EEEvPT0_PKT_iiiPKbib.has_indirect_call, 0
	.section	.AMDGPU.csdata,"",@progbits
; Kernel info:
; codeLenInByte = 3208
; TotalNumSgprs: 18
; NumVgprs: 31
; ScratchSize: 0
; MemoryBound: 1
; FloatMode: 240
; IeeeMode: 1
; LDSByteSize: 0 bytes/workgroup (compile time only)
; SGPRBlocks: 0
; VGPRBlocks: 3
; NumSGPRsForWavesPerEU: 18
; NumVGPRsForWavesPerEU: 31
; Occupancy: 16
; WaveLimiterHint : 0
; COMPUTE_PGM_RSRC2:SCRATCH_EN: 0
; COMPUTE_PGM_RSRC2:USER_SGPR: 6
; COMPUTE_PGM_RSRC2:TRAP_HANDLER: 0
; COMPUTE_PGM_RSRC2:TGID_X_EN: 1
; COMPUTE_PGM_RSRC2:TGID_Y_EN: 0
; COMPUTE_PGM_RSRC2:TGID_Z_EN: 0
; COMPUTE_PGM_RSRC2:TIDIG_COMP_CNT: 1
	.section	.text._ZN12_GLOBAL__N_120softmax_warp_forwardIdddLi5ELb1ELb0ELi64EEEvPT0_PKT_iiiPKbib,"axG",@progbits,_ZN12_GLOBAL__N_120softmax_warp_forwardIdddLi5ELb1ELb0ELi64EEEvPT0_PKT_iiiPKbib,comdat
	.globl	_ZN12_GLOBAL__N_120softmax_warp_forwardIdddLi5ELb1ELb0ELi64EEEvPT0_PKT_iiiPKbib ; -- Begin function _ZN12_GLOBAL__N_120softmax_warp_forwardIdddLi5ELb1ELb0ELi64EEEvPT0_PKT_iiiPKbib
	.p2align	8
	.type	_ZN12_GLOBAL__N_120softmax_warp_forwardIdddLi5ELb1ELb0ELi64EEEvPT0_PKT_iiiPKbib,@function
_ZN12_GLOBAL__N_120softmax_warp_forwardIdddLi5ELb1ELb0ELi64EEEvPT0_PKT_iiiPKbib: ; @_ZN12_GLOBAL__N_120softmax_warp_forwardIdddLi5ELb1ELb0ELi64EEEvPT0_PKT_iiiPKbib
; %bb.0:
	s_clause 0x1
	s_load_dword s0, s[4:5], 0x3c
	s_load_dwordx8 s[8:15], s[4:5], 0x0
	v_mov_b32_e32 v6, 0
	v_mov_b32_e32 v4, 0
	;; [unrolled: 1-line block ×4, first 2 shown]
	s_waitcnt lgkmcnt(0)
	s_lshr_b32 s0, s0, 16
	v_cmp_gt_i32_e32 vcc_lo, s14, v0
	s_and_b32 s0, s0, 0xffff
	s_mul_i32 s6, s6, s0
	v_add_lshl_u32 v3, s6, v1, 1
	v_mad_u64_u32 v[1:2], null, v3, s13, v[0:1]
	v_sub_nc_u32_e32 v13, s12, v3
	v_cmp_lt_i32_e64 s0, 0, v13
	v_ashrrev_i32_e32 v2, 31, v1
	s_and_b32 s2, vcc_lo, s0
	v_lshlrev_b64 v[2:3], 3, v[1:2]
	v_add_co_u32 v0, s1, s10, v2
	v_add_co_ci_u32_e64 v1, null, s11, v3, s1
	s_and_saveexec_b32 s1, s2
	s_cbranch_execz .LBB10_2
; %bb.1:
	global_load_dwordx2 v[4:5], v[0:1], off
.LBB10_2:
	s_or_b32 exec_lo, exec_lo, s1
	v_cmp_lt_i32_e64 s1, 1, v13
	s_and_b32 s1, vcc_lo, s1
	s_and_saveexec_b32 s2, s1
	s_cbranch_execz .LBB10_4
; %bb.3:
	s_mov_b32 s15, 0
	s_lshl_b64 s[4:5], s[14:15], 3
	v_add_co_u32 v0, s1, v0, s4
	v_add_co_ci_u32_e64 v1, null, s5, v1, s1
	global_load_dwordx2 v[6:7], v[0:1], off
.LBB10_4:
	s_or_b32 exec_lo, exec_lo, s2
	v_mbcnt_lo_u32_b32 v20, -1, 0
	s_mov_b32 s4, 0x6a5dcb37
	s_mov_b32 s5, 0x3e5ade15
	v_xor_b32_e32 v0, 16, v20
	v_xor_b32_e32 v9, 8, v20
	v_cmp_gt_i32_e64 s1, 32, v0
	v_cmp_gt_i32_e64 s3, 32, v9
	v_cndmask_b32_e64 v0, v20, v0, s1
	v_cndmask_b32_e64 v9, v20, v9, s3
	v_lshlrev_b32_e32 v8, 2, v0
	v_lshlrev_b32_e32 v9, 2, v9
	s_waitcnt vmcnt(0)
	ds_bpermute_b32 v0, v8, v4
	ds_bpermute_b32 v1, v8, v5
	;; [unrolled: 1-line block ×4, first 2 shown]
	s_waitcnt lgkmcnt(2)
	v_cmp_lt_f64_e64 s1, v[4:5], v[0:1]
	s_waitcnt lgkmcnt(0)
	v_cmp_lt_f64_e64 s2, v[6:7], v[10:11]
	v_cndmask_b32_e64 v1, v5, v1, s1
	v_cndmask_b32_e64 v0, v4, v0, s1
	;; [unrolled: 1-line block ×4, first 2 shown]
	v_xor_b32_e32 v10, 4, v20
	ds_bpermute_b32 v15, v9, v1
	ds_bpermute_b32 v14, v9, v0
	;; [unrolled: 1-line block ×4, first 2 shown]
	v_cmp_gt_i32_e64 s3, 32, v10
	v_cndmask_b32_e64 v10, v20, v10, s3
	v_lshlrev_b32_e32 v10, 2, v10
	s_waitcnt lgkmcnt(2)
	v_cmp_lt_f64_e64 s1, v[0:1], v[14:15]
	s_waitcnt lgkmcnt(0)
	v_cmp_lt_f64_e64 s2, v[11:12], v[16:17]
	v_cndmask_b32_e64 v1, v1, v15, s1
	v_cndmask_b32_e64 v0, v0, v14, s1
	;; [unrolled: 1-line block ×4, first 2 shown]
	v_xor_b32_e32 v11, 2, v20
	ds_bpermute_b32 v17, v10, v1
	ds_bpermute_b32 v16, v10, v0
	;; [unrolled: 1-line block ×4, first 2 shown]
	v_cmp_gt_i32_e64 s3, 32, v11
	v_xor_b32_e32 v12, 1, v20
	v_cndmask_b32_e64 v11, v20, v11, s3
	v_cmp_gt_i32_e64 s3, 32, v12
	v_lshlrev_b32_e32 v11, 2, v11
	v_cndmask_b32_e64 v12, v20, v12, s3
	v_lshlrev_b32_e32 v24, 2, v12
	s_waitcnt lgkmcnt(2)
	v_cmp_lt_f64_e64 s1, v[0:1], v[16:17]
	s_waitcnt lgkmcnt(0)
	v_cmp_lt_f64_e64 s2, v[14:15], v[18:19]
	v_cndmask_b32_e64 v1, v1, v17, s1
	v_cndmask_b32_e64 v0, v0, v16, s1
	;; [unrolled: 1-line block ×4, first 2 shown]
	ds_bpermute_b32 v17, v11, v1
	ds_bpermute_b32 v16, v11, v0
	;; [unrolled: 1-line block ×4, first 2 shown]
	s_waitcnt lgkmcnt(2)
	v_cmp_lt_f64_e64 s1, v[0:1], v[16:17]
	s_waitcnt lgkmcnt(0)
	v_cmp_lt_f64_e64 s2, v[14:15], v[18:19]
	v_cndmask_b32_e64 v1, v1, v17, s1
	v_cndmask_b32_e64 v0, v0, v16, s1
	;; [unrolled: 1-line block ×4, first 2 shown]
	ds_bpermute_b32 v17, v24, v1
	ds_bpermute_b32 v16, v24, v0
	ds_bpermute_b32 v19, v24, v15
	ds_bpermute_b32 v18, v24, v14
	s_waitcnt lgkmcnt(2)
	v_cmp_lt_f64_e64 s1, v[0:1], v[16:17]
	s_waitcnt lgkmcnt(0)
	v_cmp_lt_f64_e64 s2, v[14:15], v[18:19]
	v_cndmask_b32_e64 v1, v1, v17, s1
	v_cndmask_b32_e64 v0, v0, v16, s1
	;; [unrolled: 1-line block ×4, first 2 shown]
	s_mov_b32 s2, 0x652b82fe
	s_mov_b32 s3, 0x3ff71547
	v_add_f64 v[4:5], v[4:5], -v[0:1]
	v_add_f64 v[0:1], v[6:7], -v[14:15]
	v_mul_f64 v[6:7], v[4:5], s[2:3]
	v_cmp_nlt_f64_e64 s1, 0x40900000, v[4:5]
	v_mul_f64 v[14:15], v[0:1], s[2:3]
	s_mov_b32 s2, 0xfefa39ef
	s_mov_b32 s3, 0xbfe62e42
	v_rndne_f64_e32 v[6:7], v[6:7]
	v_rndne_f64_e32 v[14:15], v[14:15]
	v_fma_f64 v[16:17], v[6:7], s[2:3], v[4:5]
	v_cvt_i32_f64_e32 v12, v[6:7]
	v_fma_f64 v[18:19], v[14:15], s[2:3], v[0:1]
	s_mov_b32 s2, 0x3b39803f
	s_mov_b32 s3, 0xbc7abc9e
	v_fma_f64 v[16:17], v[6:7], s[2:3], v[16:17]
	v_fma_f64 v[18:19], v[14:15], s[2:3], v[18:19]
	s_mov_b32 s2, 0xfca7ab0c
	s_mov_b32 s3, 0x3e928af3
	v_fma_f64 v[20:21], v[16:17], s[4:5], s[2:3]
	v_fma_f64 v[22:23], v[18:19], s[4:5], s[2:3]
	s_mov_b32 s2, 0x623fde64
	s_mov_b32 s3, 0x3ec71dee
	v_cmp_ngt_f64_e64 s4, 0xc090cc00, v[0:1]
	v_fma_f64 v[20:21], v[16:17], v[20:21], s[2:3]
	v_fma_f64 v[22:23], v[18:19], v[22:23], s[2:3]
	s_mov_b32 s2, 0x7c89e6b0
	s_mov_b32 s3, 0x3efa0199
	v_fma_f64 v[20:21], v[16:17], v[20:21], s[2:3]
	v_fma_f64 v[22:23], v[18:19], v[22:23], s[2:3]
	s_mov_b32 s2, 0x14761f6e
	s_mov_b32 s3, 0x3f2a01a0
	v_fma_f64 v[20:21], v[16:17], v[20:21], s[2:3]
	v_fma_f64 v[22:23], v[18:19], v[22:23], s[2:3]
	s_mov_b32 s2, 0x1852b7b0
	s_mov_b32 s3, 0x3f56c16c
	v_fma_f64 v[20:21], v[16:17], v[20:21], s[2:3]
	v_fma_f64 v[22:23], v[18:19], v[22:23], s[2:3]
	s_mov_b32 s2, 0x11122322
	s_mov_b32 s3, 0x3f811111
	v_fma_f64 v[20:21], v[16:17], v[20:21], s[2:3]
	v_fma_f64 v[22:23], v[18:19], v[22:23], s[2:3]
	s_mov_b32 s2, 0x555502a1
	s_mov_b32 s3, 0x3fa55555
	v_fma_f64 v[20:21], v[16:17], v[20:21], s[2:3]
	v_fma_f64 v[22:23], v[18:19], v[22:23], s[2:3]
	s_mov_b32 s2, 0x55555511
	s_mov_b32 s3, 0x3fc55555
	v_fma_f64 v[20:21], v[16:17], v[20:21], s[2:3]
	v_fma_f64 v[22:23], v[18:19], v[22:23], s[2:3]
	s_mov_b32 s2, 11
	s_mov_b32 s3, 0x3fe00000
	v_fma_f64 v[20:21], v[16:17], v[20:21], s[2:3]
	v_fma_f64 v[22:23], v[18:19], v[22:23], s[2:3]
	v_cmp_nlt_f64_e64 s3, 0x40900000, v[0:1]
	v_cmp_ngt_f64_e64 s2, 0xc090cc00, v[4:5]
	v_fma_f64 v[20:21], v[16:17], v[20:21], 1.0
	v_fma_f64 v[22:23], v[18:19], v[22:23], 1.0
	;; [unrolled: 1-line block ×3, first 2 shown]
	v_cvt_i32_f64_e32 v16, v[14:15]
	v_fma_f64 v[14:15], v[18:19], v[22:23], 1.0
	v_ldexp_f64 v[6:7], v[6:7], v12
	v_ldexp_f64 v[14:15], v[14:15], v16
	v_add_f64 v[6:7], v[6:7], 0
	v_add_f64 v[14:15], v[14:15], 0
	v_cndmask_b32_e64 v7, 0x7ff00000, v7, s1
	s_and_b32 s1, s2, s1
	v_cndmask_b32_e64 v12, 0x7ff00000, v15, s3
	v_cndmask_b32_e64 v6, 0, v6, s1
	s_and_b32 s1, s4, s3
	v_cndmask_b32_e64 v7, 0, v7, s2
	v_cndmask_b32_e64 v14, 0, v14, s1
	;; [unrolled: 1-line block ×3, first 2 shown]
	ds_bpermute_b32 v16, v8, v6
	ds_bpermute_b32 v17, v8, v7
	ds_bpermute_b32 v18, v8, v14
	ds_bpermute_b32 v19, v8, v15
	s_waitcnt lgkmcnt(2)
	v_add_f64 v[6:7], v[6:7], v[16:17]
	s_waitcnt lgkmcnt(0)
	v_add_f64 v[14:15], v[14:15], v[18:19]
	ds_bpermute_b32 v16, v9, v6
	ds_bpermute_b32 v17, v9, v7
	ds_bpermute_b32 v8, v9, v14
	ds_bpermute_b32 v9, v9, v15
	s_waitcnt lgkmcnt(2)
	v_add_f64 v[6:7], v[6:7], v[16:17]
	s_waitcnt lgkmcnt(0)
	v_add_f64 v[8:9], v[14:15], v[8:9]
	;; [unrolled: 8-line block ×4, first 2 shown]
	ds_bpermute_b32 v11, v24, v9
	ds_bpermute_b32 v12, v24, v10
	;; [unrolled: 1-line block ×4, first 2 shown]
	s_and_saveexec_b32 s1, s0
	s_cbranch_execz .LBB10_9
; %bb.5:
	v_add_co_u32 v2, s0, s8, v2
	v_add_co_ci_u32_e64 v3, null, s9, v3, s0
	s_and_saveexec_b32 s1, vcc_lo
	s_cbranch_execz .LBB10_7
; %bb.6:
	s_waitcnt lgkmcnt(2)
	v_add_f64 v[9:10], v[9:10], v[11:12]
	s_mov_b32 s3, 0x3fe55555
	s_mov_b32 s2, 0x55555555
	;; [unrolled: 1-line block ×6, first 2 shown]
	v_frexp_mant_f64_e32 v[11:12], v[9:10]
	v_frexp_exp_i32_f64_e32 v15, v[9:10]
	v_cmp_gt_f64_e64 s0, s[2:3], v[11:12]
	s_mov_b32 s2, 0x55555780
	v_subrev_co_ci_u32_e64 v27, null, 0, v15, s0
	v_cndmask_b32_e64 v15, 0, 1, s0
	v_cmp_class_f64_e64 s0, v[9:10], 0x204
	v_ldexp_f64 v[11:12], v[11:12], v15
	v_add_f64 v[15:16], v[11:12], 1.0
	v_add_f64 v[21:22], v[11:12], -1.0
	v_rcp_f64_e32 v[17:18], v[15:16]
	v_add_f64 v[23:24], v[15:16], -1.0
	v_add_f64 v[11:12], v[11:12], -v[23:24]
	v_fma_f64 v[19:20], -v[15:16], v[17:18], 1.0
	v_fma_f64 v[17:18], v[19:20], v[17:18], v[17:18]
	v_fma_f64 v[19:20], -v[15:16], v[17:18], 1.0
	v_fma_f64 v[17:18], v[19:20], v[17:18], v[17:18]
	v_mul_f64 v[19:20], v[21:22], v[17:18]
	v_mul_f64 v[25:26], v[15:16], v[19:20]
	v_fma_f64 v[15:16], v[19:20], v[15:16], -v[25:26]
	v_fma_f64 v[11:12], v[19:20], v[11:12], v[15:16]
	v_add_f64 v[15:16], v[25:26], v[11:12]
	v_add_f64 v[23:24], v[21:22], -v[15:16]
	v_add_f64 v[25:26], v[15:16], -v[25:26]
	;; [unrolled: 1-line block ×5, first 2 shown]
	v_add_f64 v[11:12], v[11:12], v[15:16]
	v_add_f64 v[11:12], v[23:24], v[11:12]
	v_mul_f64 v[11:12], v[17:18], v[11:12]
	v_add_f64 v[15:16], v[19:20], v[11:12]
	v_mul_f64 v[17:18], v[15:16], v[15:16]
	v_fma_f64 v[21:22], v[17:18], s[6:7], s[4:5]
	s_mov_b32 s4, 0xd7f4df2e
	s_mov_b32 s5, 0x3fc7474d
	v_mul_f64 v[23:24], v[15:16], v[17:18]
	v_fma_f64 v[21:22], v[17:18], v[21:22], s[4:5]
	s_mov_b32 s4, 0x16291751
	s_mov_b32 s5, 0x3fcc71c0
	v_fma_f64 v[21:22], v[17:18], v[21:22], s[4:5]
	s_mov_b32 s4, 0x9b27acf1
	s_mov_b32 s5, 0x3fd24924
	v_fma_f64 v[21:22], v[17:18], v[21:22], s[4:5]
	s_mov_b32 s4, 0x998ef7b6
	s_mov_b32 s5, 0x3fd99999
	v_fma_f64 v[21:22], v[17:18], v[21:22], s[4:5]
	v_fma_f64 v[17:18], v[17:18], v[21:22], s[2:3]
	v_ldexp_f64 v[21:22], v[15:16], 1
	v_add_f64 v[15:16], v[15:16], -v[19:20]
	s_mov_b32 s2, 0xfefa39ef
	s_mov_b32 s3, 0x3fe62e42
	v_mul_f64 v[17:18], v[23:24], v[17:18]
	v_cvt_f64_i32_e32 v[23:24], v27
	v_add_f64 v[11:12], v[11:12], -v[15:16]
	v_add_f64 v[19:20], v[21:22], v[17:18]
	v_mul_f64 v[25:26], v[23:24], s[2:3]
	v_ldexp_f64 v[11:12], v[11:12], 1
	v_add_f64 v[15:16], v[19:20], -v[21:22]
	v_fma_f64 v[21:22], v[23:24], s[2:3], -v[25:26]
	s_mov_b32 s2, 0x3b39803f
	s_mov_b32 s3, 0x3c7abc9e
	v_add_f64 v[15:16], v[17:18], -v[15:16]
	v_fma_f64 v[17:18], v[23:24], s[2:3], v[21:22]
	v_add_f64 v[11:12], v[11:12], v[15:16]
	v_add_f64 v[15:16], v[25:26], v[17:18]
	;; [unrolled: 1-line block ×3, first 2 shown]
	v_add_f64 v[25:26], v[15:16], -v[25:26]
	v_add_f64 v[23:24], v[15:16], v[21:22]
	v_add_f64 v[19:20], v[21:22], -v[19:20]
	v_add_f64 v[17:18], v[17:18], -v[25:26]
	;; [unrolled: 1-line block ×6, first 2 shown]
	v_add_f64 v[21:22], v[17:18], v[11:12]
	v_add_f64 v[15:16], v[15:16], -v[29:30]
	v_add_f64 v[15:16], v[19:20], v[15:16]
	v_add_f64 v[19:20], v[21:22], -v[17:18]
	;; [unrolled: 2-line block ×3, first 2 shown]
	v_add_f64 v[11:12], v[11:12], -v[19:20]
	v_add_f64 v[25:26], v[23:24], v[15:16]
	v_add_f64 v[17:18], v[17:18], -v[21:22]
	v_add_f64 v[19:20], v[25:26], -v[23:24]
	v_add_f64 v[11:12], v[11:12], v[17:18]
	v_add_f64 v[15:16], v[15:16], -v[19:20]
	v_add_f64 v[11:12], v[11:12], v[15:16]
	v_add_f64 v[11:12], v[25:26], v[11:12]
	v_cndmask_b32_e64 v11, v11, v9, s0
	v_cndmask_b32_e64 v12, v12, v10, s0
	v_cmp_ngt_f64_e64 s0, 0, v[9:10]
	v_cndmask_b32_e64 v12, 0x7ff80000, v12, s0
	v_cmp_nge_f64_e64 s0, 0, v[9:10]
	v_cndmask_b32_e64 v11, 0, v11, s0
	v_cmp_neq_f64_e64 s0, 0, v[9:10]
	v_cndmask_b32_e64 v12, 0xfff00000, v12, s0
	v_add_f64 v[4:5], v[4:5], -v[11:12]
	global_store_dwordx2 v[2:3], v[4:5], off
.LBB10_7:
	s_or_b32 exec_lo, exec_lo, s1
	v_cmp_ne_u32_e64 s0, 1, v13
	s_and_b32 s0, s0, vcc_lo
	s_and_b32 exec_lo, exec_lo, s0
	s_cbranch_execz .LBB10_9
; %bb.8:
	s_waitcnt lgkmcnt(0)
	v_mov_b32_e32 v9, v14
	s_mov_b32 s1, 0x3fe55555
	s_mov_b32 s0, 0x55555555
	s_mov_b32 s2, 0x6b47b09a
	s_mov_b32 s4, 0xbf559e2b
	v_add_f64 v[4:5], v[6:7], v[8:9]
	s_mov_b32 s3, 0x3fc38538
	s_mov_b32 s5, 0x3fc3ab76
	;; [unrolled: 1-line block ×3, first 2 shown]
	v_frexp_mant_f64_e32 v[6:7], v[4:5]
	v_frexp_exp_i32_f64_e32 v8, v[4:5]
	v_cmp_gt_f64_e32 vcc_lo, s[0:1], v[6:7]
	s_mov_b32 s0, 0x55555780
	v_subrev_co_ci_u32_e64 v20, null, 0, v8, vcc_lo
	v_cndmask_b32_e64 v8, 0, 1, vcc_lo
	v_cmp_class_f64_e64 vcc_lo, v[4:5], 0x204
	v_ldexp_f64 v[6:7], v[6:7], v8
	v_add_f64 v[8:9], v[6:7], 1.0
	v_add_f64 v[14:15], v[6:7], -1.0
	v_rcp_f64_e32 v[10:11], v[8:9]
	v_add_f64 v[16:17], v[8:9], -1.0
	v_add_f64 v[6:7], v[6:7], -v[16:17]
	v_fma_f64 v[12:13], -v[8:9], v[10:11], 1.0
	v_fma_f64 v[10:11], v[12:13], v[10:11], v[10:11]
	v_fma_f64 v[12:13], -v[8:9], v[10:11], 1.0
	v_fma_f64 v[10:11], v[12:13], v[10:11], v[10:11]
	v_mul_f64 v[12:13], v[14:15], v[10:11]
	v_mul_f64 v[18:19], v[8:9], v[12:13]
	v_fma_f64 v[8:9], v[12:13], v[8:9], -v[18:19]
	v_fma_f64 v[6:7], v[12:13], v[6:7], v[8:9]
	v_add_f64 v[8:9], v[18:19], v[6:7]
	v_add_f64 v[16:17], v[14:15], -v[8:9]
	v_add_f64 v[18:19], v[8:9], -v[18:19]
	v_add_f64 v[14:15], v[14:15], -v[16:17]
	v_add_f64 v[6:7], v[18:19], -v[6:7]
	v_add_f64 v[8:9], v[14:15], -v[8:9]
	v_add_f64 v[6:7], v[6:7], v[8:9]
	v_add_f64 v[6:7], v[16:17], v[6:7]
	v_mul_f64 v[6:7], v[10:11], v[6:7]
	v_add_f64 v[8:9], v[12:13], v[6:7]
	v_mul_f64 v[10:11], v[8:9], v[8:9]
	v_fma_f64 v[14:15], v[10:11], s[4:5], s[2:3]
	s_mov_b32 s2, 0xd7f4df2e
	s_mov_b32 s3, 0x3fc7474d
	v_mul_f64 v[16:17], v[8:9], v[10:11]
	v_fma_f64 v[14:15], v[10:11], v[14:15], s[2:3]
	s_mov_b32 s2, 0x16291751
	s_mov_b32 s3, 0x3fcc71c0
	v_fma_f64 v[14:15], v[10:11], v[14:15], s[2:3]
	s_mov_b32 s2, 0x9b27acf1
	s_mov_b32 s3, 0x3fd24924
	;; [unrolled: 3-line block ×3, first 2 shown]
	v_fma_f64 v[14:15], v[10:11], v[14:15], s[2:3]
	v_fma_f64 v[10:11], v[10:11], v[14:15], s[0:1]
	v_ldexp_f64 v[14:15], v[8:9], 1
	v_add_f64 v[8:9], v[8:9], -v[12:13]
	s_mov_b32 s0, 0xfefa39ef
	s_mov_b32 s1, 0x3fe62e42
	v_mul_f64 v[10:11], v[16:17], v[10:11]
	v_cvt_f64_i32_e32 v[16:17], v20
	v_add_f64 v[6:7], v[6:7], -v[8:9]
	v_add_f64 v[12:13], v[14:15], v[10:11]
	v_mul_f64 v[18:19], v[16:17], s[0:1]
	v_ldexp_f64 v[6:7], v[6:7], 1
	v_add_f64 v[8:9], v[12:13], -v[14:15]
	v_fma_f64 v[14:15], v[16:17], s[0:1], -v[18:19]
	s_mov_b32 s0, 0x3b39803f
	s_mov_b32 s1, 0x3c7abc9e
	v_add_f64 v[8:9], v[10:11], -v[8:9]
	v_fma_f64 v[10:11], v[16:17], s[0:1], v[14:15]
	s_lshl_b64 s[0:1], s[14:15], 3
	v_add_f64 v[6:7], v[6:7], v[8:9]
	v_add_f64 v[8:9], v[18:19], v[10:11]
	;; [unrolled: 1-line block ×3, first 2 shown]
	v_add_f64 v[18:19], v[8:9], -v[18:19]
	v_add_f64 v[16:17], v[8:9], v[14:15]
	v_add_f64 v[12:13], v[14:15], -v[12:13]
	v_add_f64 v[10:11], v[10:11], -v[18:19]
	;; [unrolled: 1-line block ×6, first 2 shown]
	v_add_f64 v[14:15], v[10:11], v[6:7]
	v_add_f64 v[8:9], v[8:9], -v[22:23]
	v_add_f64 v[8:9], v[12:13], v[8:9]
	v_add_f64 v[12:13], v[14:15], -v[10:11]
	;; [unrolled: 2-line block ×3, first 2 shown]
	v_add_f64 v[6:7], v[6:7], -v[12:13]
	v_add_f64 v[18:19], v[16:17], v[8:9]
	v_add_f64 v[10:11], v[10:11], -v[14:15]
	v_add_f64 v[12:13], v[18:19], -v[16:17]
	v_add_f64 v[6:7], v[6:7], v[10:11]
	v_add_f64 v[8:9], v[8:9], -v[12:13]
	v_add_f64 v[6:7], v[6:7], v[8:9]
	v_add_f64 v[6:7], v[18:19], v[6:7]
	v_cndmask_b32_e32 v6, v6, v4, vcc_lo
	v_cndmask_b32_e32 v7, v7, v5, vcc_lo
	v_cmp_ngt_f64_e32 vcc_lo, 0, v[4:5]
	v_cndmask_b32_e32 v7, 0x7ff80000, v7, vcc_lo
	v_cmp_nge_f64_e32 vcc_lo, 0, v[4:5]
	v_cndmask_b32_e32 v6, 0, v6, vcc_lo
	v_cmp_neq_f64_e32 vcc_lo, 0, v[4:5]
	v_cndmask_b32_e32 v7, 0xfff00000, v7, vcc_lo
	v_add_co_u32 v2, vcc_lo, v2, s0
	v_add_co_ci_u32_e64 v3, null, s1, v3, vcc_lo
	v_add_f64 v[0:1], v[0:1], -v[6:7]
	global_store_dwordx2 v[2:3], v[0:1], off
.LBB10_9:
	s_endpgm
	.section	.rodata,"a",@progbits
	.p2align	6, 0x0
	.amdhsa_kernel _ZN12_GLOBAL__N_120softmax_warp_forwardIdddLi5ELb1ELb0ELi64EEEvPT0_PKT_iiiPKbib
		.amdhsa_group_segment_fixed_size 0
		.amdhsa_private_segment_fixed_size 0
		.amdhsa_kernarg_size 304
		.amdhsa_user_sgpr_count 6
		.amdhsa_user_sgpr_private_segment_buffer 1
		.amdhsa_user_sgpr_dispatch_ptr 0
		.amdhsa_user_sgpr_queue_ptr 0
		.amdhsa_user_sgpr_kernarg_segment_ptr 1
		.amdhsa_user_sgpr_dispatch_id 0
		.amdhsa_user_sgpr_flat_scratch_init 0
		.amdhsa_user_sgpr_private_segment_size 0
		.amdhsa_wavefront_size32 1
		.amdhsa_uses_dynamic_stack 0
		.amdhsa_system_sgpr_private_segment_wavefront_offset 0
		.amdhsa_system_sgpr_workgroup_id_x 1
		.amdhsa_system_sgpr_workgroup_id_y 0
		.amdhsa_system_sgpr_workgroup_id_z 0
		.amdhsa_system_sgpr_workgroup_info 0
		.amdhsa_system_vgpr_workitem_id 1
		.amdhsa_next_free_vgpr 31
		.amdhsa_next_free_sgpr 16
		.amdhsa_reserve_vcc 1
		.amdhsa_reserve_flat_scratch 0
		.amdhsa_float_round_mode_32 0
		.amdhsa_float_round_mode_16_64 0
		.amdhsa_float_denorm_mode_32 3
		.amdhsa_float_denorm_mode_16_64 3
		.amdhsa_dx10_clamp 1
		.amdhsa_ieee_mode 1
		.amdhsa_fp16_overflow 0
		.amdhsa_workgroup_processor_mode 1
		.amdhsa_memory_ordered 1
		.amdhsa_forward_progress 1
		.amdhsa_shared_vgpr_count 0
		.amdhsa_exception_fp_ieee_invalid_op 0
		.amdhsa_exception_fp_denorm_src 0
		.amdhsa_exception_fp_ieee_div_zero 0
		.amdhsa_exception_fp_ieee_overflow 0
		.amdhsa_exception_fp_ieee_underflow 0
		.amdhsa_exception_fp_ieee_inexact 0
		.amdhsa_exception_int_div_zero 0
	.end_amdhsa_kernel
	.section	.text._ZN12_GLOBAL__N_120softmax_warp_forwardIdddLi5ELb1ELb0ELi64EEEvPT0_PKT_iiiPKbib,"axG",@progbits,_ZN12_GLOBAL__N_120softmax_warp_forwardIdddLi5ELb1ELb0ELi64EEEvPT0_PKT_iiiPKbib,comdat
.Lfunc_end10:
	.size	_ZN12_GLOBAL__N_120softmax_warp_forwardIdddLi5ELb1ELb0ELi64EEEvPT0_PKT_iiiPKbib, .Lfunc_end10-_ZN12_GLOBAL__N_120softmax_warp_forwardIdddLi5ELb1ELb0ELi64EEEvPT0_PKT_iiiPKbib
                                        ; -- End function
	.set _ZN12_GLOBAL__N_120softmax_warp_forwardIdddLi5ELb1ELb0ELi64EEEvPT0_PKT_iiiPKbib.num_vgpr, 31
	.set _ZN12_GLOBAL__N_120softmax_warp_forwardIdddLi5ELb1ELb0ELi64EEEvPT0_PKT_iiiPKbib.num_agpr, 0
	.set _ZN12_GLOBAL__N_120softmax_warp_forwardIdddLi5ELb1ELb0ELi64EEEvPT0_PKT_iiiPKbib.numbered_sgpr, 16
	.set _ZN12_GLOBAL__N_120softmax_warp_forwardIdddLi5ELb1ELb0ELi64EEEvPT0_PKT_iiiPKbib.num_named_barrier, 0
	.set _ZN12_GLOBAL__N_120softmax_warp_forwardIdddLi5ELb1ELb0ELi64EEEvPT0_PKT_iiiPKbib.private_seg_size, 0
	.set _ZN12_GLOBAL__N_120softmax_warp_forwardIdddLi5ELb1ELb0ELi64EEEvPT0_PKT_iiiPKbib.uses_vcc, 1
	.set _ZN12_GLOBAL__N_120softmax_warp_forwardIdddLi5ELb1ELb0ELi64EEEvPT0_PKT_iiiPKbib.uses_flat_scratch, 0
	.set _ZN12_GLOBAL__N_120softmax_warp_forwardIdddLi5ELb1ELb0ELi64EEEvPT0_PKT_iiiPKbib.has_dyn_sized_stack, 0
	.set _ZN12_GLOBAL__N_120softmax_warp_forwardIdddLi5ELb1ELb0ELi64EEEvPT0_PKT_iiiPKbib.has_recursion, 0
	.set _ZN12_GLOBAL__N_120softmax_warp_forwardIdddLi5ELb1ELb0ELi64EEEvPT0_PKT_iiiPKbib.has_indirect_call, 0
	.section	.AMDGPU.csdata,"",@progbits
; Kernel info:
; codeLenInByte = 3368
; TotalNumSgprs: 18
; NumVgprs: 31
; ScratchSize: 0
; MemoryBound: 1
; FloatMode: 240
; IeeeMode: 1
; LDSByteSize: 0 bytes/workgroup (compile time only)
; SGPRBlocks: 0
; VGPRBlocks: 3
; NumSGPRsForWavesPerEU: 18
; NumVGPRsForWavesPerEU: 31
; Occupancy: 16
; WaveLimiterHint : 0
; COMPUTE_PGM_RSRC2:SCRATCH_EN: 0
; COMPUTE_PGM_RSRC2:USER_SGPR: 6
; COMPUTE_PGM_RSRC2:TRAP_HANDLER: 0
; COMPUTE_PGM_RSRC2:TGID_X_EN: 1
; COMPUTE_PGM_RSRC2:TGID_Y_EN: 0
; COMPUTE_PGM_RSRC2:TGID_Z_EN: 0
; COMPUTE_PGM_RSRC2:TIDIG_COMP_CNT: 1
	.section	.text._ZN12_GLOBAL__N_120softmax_warp_forwardIdddLi5ELb1ELb0ELi32EEEvPT0_PKT_iiiPKbib,"axG",@progbits,_ZN12_GLOBAL__N_120softmax_warp_forwardIdddLi5ELb1ELb0ELi32EEEvPT0_PKT_iiiPKbib,comdat
	.globl	_ZN12_GLOBAL__N_120softmax_warp_forwardIdddLi5ELb1ELb0ELi32EEEvPT0_PKT_iiiPKbib ; -- Begin function _ZN12_GLOBAL__N_120softmax_warp_forwardIdddLi5ELb1ELb0ELi32EEEvPT0_PKT_iiiPKbib
	.p2align	8
	.type	_ZN12_GLOBAL__N_120softmax_warp_forwardIdddLi5ELb1ELb0ELi32EEEvPT0_PKT_iiiPKbib,@function
_ZN12_GLOBAL__N_120softmax_warp_forwardIdddLi5ELb1ELb0ELi32EEEvPT0_PKT_iiiPKbib: ; @_ZN12_GLOBAL__N_120softmax_warp_forwardIdddLi5ELb1ELb0ELi32EEEvPT0_PKT_iiiPKbib
; %bb.0:
	s_clause 0x1
	s_load_dword s0, s[4:5], 0x3c
	s_load_dwordx8 s[8:15], s[4:5], 0x0
	v_mov_b32_e32 v6, 0
	v_mov_b32_e32 v4, 0
	;; [unrolled: 1-line block ×4, first 2 shown]
	s_waitcnt lgkmcnt(0)
	s_lshr_b32 s0, s0, 16
	v_cmp_gt_i32_e32 vcc_lo, s14, v0
	s_and_b32 s0, s0, 0xffff
	s_mul_i32 s6, s6, s0
	v_add_lshl_u32 v3, s6, v1, 1
	v_mad_u64_u32 v[1:2], null, v3, s13, v[0:1]
	v_sub_nc_u32_e32 v13, s12, v3
	v_cmp_lt_i32_e64 s0, 0, v13
	v_ashrrev_i32_e32 v2, 31, v1
	s_and_b32 s2, vcc_lo, s0
	v_lshlrev_b64 v[2:3], 3, v[1:2]
	v_add_co_u32 v0, s1, s10, v2
	v_add_co_ci_u32_e64 v1, null, s11, v3, s1
	s_and_saveexec_b32 s1, s2
	s_cbranch_execz .LBB11_2
; %bb.1:
	global_load_dwordx2 v[4:5], v[0:1], off
.LBB11_2:
	s_or_b32 exec_lo, exec_lo, s1
	v_cmp_lt_i32_e64 s1, 1, v13
	s_and_b32 s1, vcc_lo, s1
	s_and_saveexec_b32 s2, s1
	s_cbranch_execz .LBB11_4
; %bb.3:
	s_mov_b32 s15, 0
	s_lshl_b64 s[4:5], s[14:15], 3
	v_add_co_u32 v0, s1, v0, s4
	v_add_co_ci_u32_e64 v1, null, s5, v1, s1
	global_load_dwordx2 v[6:7], v[0:1], off
.LBB11_4:
	s_or_b32 exec_lo, exec_lo, s2
	v_mbcnt_lo_u32_b32 v20, -1, 0
	s_mov_b32 s4, 0x6a5dcb37
	s_mov_b32 s5, 0x3e5ade15
	v_xor_b32_e32 v0, 16, v20
	v_xor_b32_e32 v9, 8, v20
	v_cmp_gt_i32_e64 s1, 32, v0
	v_cmp_gt_i32_e64 s3, 32, v9
	v_cndmask_b32_e64 v0, v20, v0, s1
	v_cndmask_b32_e64 v9, v20, v9, s3
	v_lshlrev_b32_e32 v8, 2, v0
	v_lshlrev_b32_e32 v9, 2, v9
	s_waitcnt vmcnt(0)
	ds_bpermute_b32 v0, v8, v4
	ds_bpermute_b32 v1, v8, v5
	ds_bpermute_b32 v10, v8, v6
	ds_bpermute_b32 v11, v8, v7
	s_waitcnt lgkmcnt(2)
	v_cmp_lt_f64_e64 s1, v[4:5], v[0:1]
	s_waitcnt lgkmcnt(0)
	v_cmp_lt_f64_e64 s2, v[6:7], v[10:11]
	v_cndmask_b32_e64 v1, v5, v1, s1
	v_cndmask_b32_e64 v0, v4, v0, s1
	;; [unrolled: 1-line block ×4, first 2 shown]
	v_xor_b32_e32 v10, 4, v20
	ds_bpermute_b32 v15, v9, v1
	ds_bpermute_b32 v14, v9, v0
	ds_bpermute_b32 v17, v9, v12
	ds_bpermute_b32 v16, v9, v11
	v_cmp_gt_i32_e64 s3, 32, v10
	v_cndmask_b32_e64 v10, v20, v10, s3
	v_lshlrev_b32_e32 v10, 2, v10
	s_waitcnt lgkmcnt(2)
	v_cmp_lt_f64_e64 s1, v[0:1], v[14:15]
	s_waitcnt lgkmcnt(0)
	v_cmp_lt_f64_e64 s2, v[11:12], v[16:17]
	v_cndmask_b32_e64 v1, v1, v15, s1
	v_cndmask_b32_e64 v0, v0, v14, s1
	;; [unrolled: 1-line block ×4, first 2 shown]
	v_xor_b32_e32 v11, 2, v20
	ds_bpermute_b32 v17, v10, v1
	ds_bpermute_b32 v16, v10, v0
	;; [unrolled: 1-line block ×4, first 2 shown]
	v_cmp_gt_i32_e64 s3, 32, v11
	v_xor_b32_e32 v12, 1, v20
	v_cndmask_b32_e64 v11, v20, v11, s3
	v_cmp_gt_i32_e64 s3, 32, v12
	v_lshlrev_b32_e32 v11, 2, v11
	v_cndmask_b32_e64 v12, v20, v12, s3
	v_lshlrev_b32_e32 v24, 2, v12
	s_waitcnt lgkmcnt(2)
	v_cmp_lt_f64_e64 s1, v[0:1], v[16:17]
	s_waitcnt lgkmcnt(0)
	v_cmp_lt_f64_e64 s2, v[14:15], v[18:19]
	v_cndmask_b32_e64 v1, v1, v17, s1
	v_cndmask_b32_e64 v0, v0, v16, s1
	;; [unrolled: 1-line block ×4, first 2 shown]
	ds_bpermute_b32 v17, v11, v1
	ds_bpermute_b32 v16, v11, v0
	;; [unrolled: 1-line block ×4, first 2 shown]
	s_waitcnt lgkmcnt(2)
	v_cmp_lt_f64_e64 s1, v[0:1], v[16:17]
	s_waitcnt lgkmcnt(0)
	v_cmp_lt_f64_e64 s2, v[14:15], v[18:19]
	v_cndmask_b32_e64 v1, v1, v17, s1
	v_cndmask_b32_e64 v0, v0, v16, s1
	v_cndmask_b32_e64 v15, v15, v19, s2
	v_cndmask_b32_e64 v14, v14, v18, s2
	ds_bpermute_b32 v17, v24, v1
	ds_bpermute_b32 v16, v24, v0
	;; [unrolled: 1-line block ×4, first 2 shown]
	s_waitcnt lgkmcnt(2)
	v_cmp_lt_f64_e64 s1, v[0:1], v[16:17]
	s_waitcnt lgkmcnt(0)
	v_cmp_lt_f64_e64 s2, v[14:15], v[18:19]
	v_cndmask_b32_e64 v1, v1, v17, s1
	v_cndmask_b32_e64 v0, v0, v16, s1
	;; [unrolled: 1-line block ×4, first 2 shown]
	s_mov_b32 s2, 0x652b82fe
	s_mov_b32 s3, 0x3ff71547
	v_add_f64 v[4:5], v[4:5], -v[0:1]
	v_add_f64 v[0:1], v[6:7], -v[14:15]
	v_mul_f64 v[6:7], v[4:5], s[2:3]
	v_cmp_nlt_f64_e64 s1, 0x40900000, v[4:5]
	v_mul_f64 v[14:15], v[0:1], s[2:3]
	s_mov_b32 s2, 0xfefa39ef
	s_mov_b32 s3, 0xbfe62e42
	v_rndne_f64_e32 v[6:7], v[6:7]
	v_rndne_f64_e32 v[14:15], v[14:15]
	v_fma_f64 v[16:17], v[6:7], s[2:3], v[4:5]
	v_cvt_i32_f64_e32 v12, v[6:7]
	v_fma_f64 v[18:19], v[14:15], s[2:3], v[0:1]
	s_mov_b32 s2, 0x3b39803f
	s_mov_b32 s3, 0xbc7abc9e
	v_fma_f64 v[16:17], v[6:7], s[2:3], v[16:17]
	v_fma_f64 v[18:19], v[14:15], s[2:3], v[18:19]
	s_mov_b32 s2, 0xfca7ab0c
	s_mov_b32 s3, 0x3e928af3
	v_fma_f64 v[20:21], v[16:17], s[4:5], s[2:3]
	v_fma_f64 v[22:23], v[18:19], s[4:5], s[2:3]
	s_mov_b32 s2, 0x623fde64
	s_mov_b32 s3, 0x3ec71dee
	v_cmp_ngt_f64_e64 s4, 0xc090cc00, v[0:1]
	v_fma_f64 v[20:21], v[16:17], v[20:21], s[2:3]
	v_fma_f64 v[22:23], v[18:19], v[22:23], s[2:3]
	s_mov_b32 s2, 0x7c89e6b0
	s_mov_b32 s3, 0x3efa0199
	v_fma_f64 v[20:21], v[16:17], v[20:21], s[2:3]
	v_fma_f64 v[22:23], v[18:19], v[22:23], s[2:3]
	s_mov_b32 s2, 0x14761f6e
	s_mov_b32 s3, 0x3f2a01a0
	;; [unrolled: 4-line block ×7, first 2 shown]
	v_fma_f64 v[20:21], v[16:17], v[20:21], s[2:3]
	v_fma_f64 v[22:23], v[18:19], v[22:23], s[2:3]
	v_cmp_nlt_f64_e64 s3, 0x40900000, v[0:1]
	v_cmp_ngt_f64_e64 s2, 0xc090cc00, v[4:5]
	v_fma_f64 v[20:21], v[16:17], v[20:21], 1.0
	v_fma_f64 v[22:23], v[18:19], v[22:23], 1.0
	;; [unrolled: 1-line block ×3, first 2 shown]
	v_cvt_i32_f64_e32 v16, v[14:15]
	v_fma_f64 v[14:15], v[18:19], v[22:23], 1.0
	v_ldexp_f64 v[6:7], v[6:7], v12
	v_ldexp_f64 v[14:15], v[14:15], v16
	v_add_f64 v[6:7], v[6:7], 0
	v_add_f64 v[14:15], v[14:15], 0
	v_cndmask_b32_e64 v7, 0x7ff00000, v7, s1
	s_and_b32 s1, s2, s1
	v_cndmask_b32_e64 v12, 0x7ff00000, v15, s3
	v_cndmask_b32_e64 v6, 0, v6, s1
	s_and_b32 s1, s4, s3
	v_cndmask_b32_e64 v7, 0, v7, s2
	v_cndmask_b32_e64 v14, 0, v14, s1
	;; [unrolled: 1-line block ×3, first 2 shown]
	ds_bpermute_b32 v16, v8, v6
	ds_bpermute_b32 v17, v8, v7
	ds_bpermute_b32 v18, v8, v14
	ds_bpermute_b32 v19, v8, v15
	s_waitcnt lgkmcnt(2)
	v_add_f64 v[6:7], v[6:7], v[16:17]
	s_waitcnt lgkmcnt(0)
	v_add_f64 v[14:15], v[14:15], v[18:19]
	ds_bpermute_b32 v16, v9, v6
	ds_bpermute_b32 v17, v9, v7
	ds_bpermute_b32 v8, v9, v14
	ds_bpermute_b32 v9, v9, v15
	s_waitcnt lgkmcnt(2)
	v_add_f64 v[6:7], v[6:7], v[16:17]
	s_waitcnt lgkmcnt(0)
	v_add_f64 v[8:9], v[14:15], v[8:9]
	;; [unrolled: 8-line block ×4, first 2 shown]
	ds_bpermute_b32 v11, v24, v9
	ds_bpermute_b32 v12, v24, v10
	;; [unrolled: 1-line block ×4, first 2 shown]
	s_and_saveexec_b32 s1, s0
	s_cbranch_execz .LBB11_9
; %bb.5:
	v_add_co_u32 v2, s0, s8, v2
	v_add_co_ci_u32_e64 v3, null, s9, v3, s0
	s_and_saveexec_b32 s1, vcc_lo
	s_cbranch_execz .LBB11_7
; %bb.6:
	s_waitcnt lgkmcnt(2)
	v_add_f64 v[9:10], v[9:10], v[11:12]
	s_mov_b32 s3, 0x3fe55555
	s_mov_b32 s2, 0x55555555
	s_mov_b32 s4, 0x6b47b09a
	s_mov_b32 s6, 0xbf559e2b
	s_mov_b32 s5, 0x3fc38538
	s_mov_b32 s7, 0x3fc3ab76
	v_frexp_mant_f64_e32 v[11:12], v[9:10]
	v_frexp_exp_i32_f64_e32 v15, v[9:10]
	v_cmp_gt_f64_e64 s0, s[2:3], v[11:12]
	s_mov_b32 s2, 0x55555780
	v_subrev_co_ci_u32_e64 v27, null, 0, v15, s0
	v_cndmask_b32_e64 v15, 0, 1, s0
	v_cmp_class_f64_e64 s0, v[9:10], 0x204
	v_ldexp_f64 v[11:12], v[11:12], v15
	v_add_f64 v[15:16], v[11:12], 1.0
	v_add_f64 v[21:22], v[11:12], -1.0
	v_rcp_f64_e32 v[17:18], v[15:16]
	v_add_f64 v[23:24], v[15:16], -1.0
	v_add_f64 v[11:12], v[11:12], -v[23:24]
	v_fma_f64 v[19:20], -v[15:16], v[17:18], 1.0
	v_fma_f64 v[17:18], v[19:20], v[17:18], v[17:18]
	v_fma_f64 v[19:20], -v[15:16], v[17:18], 1.0
	v_fma_f64 v[17:18], v[19:20], v[17:18], v[17:18]
	v_mul_f64 v[19:20], v[21:22], v[17:18]
	v_mul_f64 v[25:26], v[15:16], v[19:20]
	v_fma_f64 v[15:16], v[19:20], v[15:16], -v[25:26]
	v_fma_f64 v[11:12], v[19:20], v[11:12], v[15:16]
	v_add_f64 v[15:16], v[25:26], v[11:12]
	v_add_f64 v[23:24], v[21:22], -v[15:16]
	v_add_f64 v[25:26], v[15:16], -v[25:26]
	;; [unrolled: 1-line block ×5, first 2 shown]
	v_add_f64 v[11:12], v[11:12], v[15:16]
	v_add_f64 v[11:12], v[23:24], v[11:12]
	v_mul_f64 v[11:12], v[17:18], v[11:12]
	v_add_f64 v[15:16], v[19:20], v[11:12]
	v_mul_f64 v[17:18], v[15:16], v[15:16]
	v_fma_f64 v[21:22], v[17:18], s[6:7], s[4:5]
	s_mov_b32 s4, 0xd7f4df2e
	s_mov_b32 s5, 0x3fc7474d
	v_mul_f64 v[23:24], v[15:16], v[17:18]
	v_fma_f64 v[21:22], v[17:18], v[21:22], s[4:5]
	s_mov_b32 s4, 0x16291751
	s_mov_b32 s5, 0x3fcc71c0
	v_fma_f64 v[21:22], v[17:18], v[21:22], s[4:5]
	s_mov_b32 s4, 0x9b27acf1
	s_mov_b32 s5, 0x3fd24924
	;; [unrolled: 3-line block ×3, first 2 shown]
	v_fma_f64 v[21:22], v[17:18], v[21:22], s[4:5]
	v_fma_f64 v[17:18], v[17:18], v[21:22], s[2:3]
	v_ldexp_f64 v[21:22], v[15:16], 1
	v_add_f64 v[15:16], v[15:16], -v[19:20]
	s_mov_b32 s2, 0xfefa39ef
	s_mov_b32 s3, 0x3fe62e42
	v_mul_f64 v[17:18], v[23:24], v[17:18]
	v_cvt_f64_i32_e32 v[23:24], v27
	v_add_f64 v[11:12], v[11:12], -v[15:16]
	v_add_f64 v[19:20], v[21:22], v[17:18]
	v_mul_f64 v[25:26], v[23:24], s[2:3]
	v_ldexp_f64 v[11:12], v[11:12], 1
	v_add_f64 v[15:16], v[19:20], -v[21:22]
	v_fma_f64 v[21:22], v[23:24], s[2:3], -v[25:26]
	s_mov_b32 s2, 0x3b39803f
	s_mov_b32 s3, 0x3c7abc9e
	v_add_f64 v[15:16], v[17:18], -v[15:16]
	v_fma_f64 v[17:18], v[23:24], s[2:3], v[21:22]
	v_add_f64 v[11:12], v[11:12], v[15:16]
	v_add_f64 v[15:16], v[25:26], v[17:18]
	;; [unrolled: 1-line block ×3, first 2 shown]
	v_add_f64 v[25:26], v[15:16], -v[25:26]
	v_add_f64 v[23:24], v[15:16], v[21:22]
	v_add_f64 v[19:20], v[21:22], -v[19:20]
	v_add_f64 v[17:18], v[17:18], -v[25:26]
	;; [unrolled: 1-line block ×6, first 2 shown]
	v_add_f64 v[21:22], v[17:18], v[11:12]
	v_add_f64 v[15:16], v[15:16], -v[29:30]
	v_add_f64 v[15:16], v[19:20], v[15:16]
	v_add_f64 v[19:20], v[21:22], -v[17:18]
	;; [unrolled: 2-line block ×3, first 2 shown]
	v_add_f64 v[11:12], v[11:12], -v[19:20]
	v_add_f64 v[25:26], v[23:24], v[15:16]
	v_add_f64 v[17:18], v[17:18], -v[21:22]
	v_add_f64 v[19:20], v[25:26], -v[23:24]
	v_add_f64 v[11:12], v[11:12], v[17:18]
	v_add_f64 v[15:16], v[15:16], -v[19:20]
	v_add_f64 v[11:12], v[11:12], v[15:16]
	v_add_f64 v[11:12], v[25:26], v[11:12]
	v_cndmask_b32_e64 v11, v11, v9, s0
	v_cndmask_b32_e64 v12, v12, v10, s0
	v_cmp_ngt_f64_e64 s0, 0, v[9:10]
	v_cndmask_b32_e64 v12, 0x7ff80000, v12, s0
	v_cmp_nge_f64_e64 s0, 0, v[9:10]
	v_cndmask_b32_e64 v11, 0, v11, s0
	v_cmp_neq_f64_e64 s0, 0, v[9:10]
	v_cndmask_b32_e64 v12, 0xfff00000, v12, s0
	v_add_f64 v[4:5], v[4:5], -v[11:12]
	global_store_dwordx2 v[2:3], v[4:5], off
.LBB11_7:
	s_or_b32 exec_lo, exec_lo, s1
	v_cmp_ne_u32_e64 s0, 1, v13
	s_and_b32 s0, s0, vcc_lo
	s_and_b32 exec_lo, exec_lo, s0
	s_cbranch_execz .LBB11_9
; %bb.8:
	s_waitcnt lgkmcnt(0)
	v_mov_b32_e32 v9, v14
	s_mov_b32 s1, 0x3fe55555
	s_mov_b32 s0, 0x55555555
	;; [unrolled: 1-line block ×4, first 2 shown]
	v_add_f64 v[4:5], v[6:7], v[8:9]
	s_mov_b32 s3, 0x3fc38538
	s_mov_b32 s5, 0x3fc3ab76
	;; [unrolled: 1-line block ×3, first 2 shown]
	v_frexp_mant_f64_e32 v[6:7], v[4:5]
	v_frexp_exp_i32_f64_e32 v8, v[4:5]
	v_cmp_gt_f64_e32 vcc_lo, s[0:1], v[6:7]
	s_mov_b32 s0, 0x55555780
	v_subrev_co_ci_u32_e64 v20, null, 0, v8, vcc_lo
	v_cndmask_b32_e64 v8, 0, 1, vcc_lo
	v_cmp_class_f64_e64 vcc_lo, v[4:5], 0x204
	v_ldexp_f64 v[6:7], v[6:7], v8
	v_add_f64 v[8:9], v[6:7], 1.0
	v_add_f64 v[14:15], v[6:7], -1.0
	v_rcp_f64_e32 v[10:11], v[8:9]
	v_add_f64 v[16:17], v[8:9], -1.0
	v_add_f64 v[6:7], v[6:7], -v[16:17]
	v_fma_f64 v[12:13], -v[8:9], v[10:11], 1.0
	v_fma_f64 v[10:11], v[12:13], v[10:11], v[10:11]
	v_fma_f64 v[12:13], -v[8:9], v[10:11], 1.0
	v_fma_f64 v[10:11], v[12:13], v[10:11], v[10:11]
	v_mul_f64 v[12:13], v[14:15], v[10:11]
	v_mul_f64 v[18:19], v[8:9], v[12:13]
	v_fma_f64 v[8:9], v[12:13], v[8:9], -v[18:19]
	v_fma_f64 v[6:7], v[12:13], v[6:7], v[8:9]
	v_add_f64 v[8:9], v[18:19], v[6:7]
	v_add_f64 v[16:17], v[14:15], -v[8:9]
	v_add_f64 v[18:19], v[8:9], -v[18:19]
	;; [unrolled: 1-line block ×5, first 2 shown]
	v_add_f64 v[6:7], v[6:7], v[8:9]
	v_add_f64 v[6:7], v[16:17], v[6:7]
	v_mul_f64 v[6:7], v[10:11], v[6:7]
	v_add_f64 v[8:9], v[12:13], v[6:7]
	v_mul_f64 v[10:11], v[8:9], v[8:9]
	v_fma_f64 v[14:15], v[10:11], s[4:5], s[2:3]
	s_mov_b32 s2, 0xd7f4df2e
	s_mov_b32 s3, 0x3fc7474d
	v_mul_f64 v[16:17], v[8:9], v[10:11]
	v_fma_f64 v[14:15], v[10:11], v[14:15], s[2:3]
	s_mov_b32 s2, 0x16291751
	s_mov_b32 s3, 0x3fcc71c0
	v_fma_f64 v[14:15], v[10:11], v[14:15], s[2:3]
	s_mov_b32 s2, 0x9b27acf1
	s_mov_b32 s3, 0x3fd24924
	;; [unrolled: 3-line block ×3, first 2 shown]
	v_fma_f64 v[14:15], v[10:11], v[14:15], s[2:3]
	v_fma_f64 v[10:11], v[10:11], v[14:15], s[0:1]
	v_ldexp_f64 v[14:15], v[8:9], 1
	v_add_f64 v[8:9], v[8:9], -v[12:13]
	s_mov_b32 s0, 0xfefa39ef
	s_mov_b32 s1, 0x3fe62e42
	v_mul_f64 v[10:11], v[16:17], v[10:11]
	v_cvt_f64_i32_e32 v[16:17], v20
	v_add_f64 v[6:7], v[6:7], -v[8:9]
	v_add_f64 v[12:13], v[14:15], v[10:11]
	v_mul_f64 v[18:19], v[16:17], s[0:1]
	v_ldexp_f64 v[6:7], v[6:7], 1
	v_add_f64 v[8:9], v[12:13], -v[14:15]
	v_fma_f64 v[14:15], v[16:17], s[0:1], -v[18:19]
	s_mov_b32 s0, 0x3b39803f
	s_mov_b32 s1, 0x3c7abc9e
	v_add_f64 v[8:9], v[10:11], -v[8:9]
	v_fma_f64 v[10:11], v[16:17], s[0:1], v[14:15]
	s_lshl_b64 s[0:1], s[14:15], 3
	v_add_f64 v[6:7], v[6:7], v[8:9]
	v_add_f64 v[8:9], v[18:19], v[10:11]
	;; [unrolled: 1-line block ×3, first 2 shown]
	v_add_f64 v[18:19], v[8:9], -v[18:19]
	v_add_f64 v[16:17], v[8:9], v[14:15]
	v_add_f64 v[12:13], v[14:15], -v[12:13]
	v_add_f64 v[10:11], v[10:11], -v[18:19]
	;; [unrolled: 1-line block ×6, first 2 shown]
	v_add_f64 v[14:15], v[10:11], v[6:7]
	v_add_f64 v[8:9], v[8:9], -v[22:23]
	v_add_f64 v[8:9], v[12:13], v[8:9]
	v_add_f64 v[12:13], v[14:15], -v[10:11]
	;; [unrolled: 2-line block ×3, first 2 shown]
	v_add_f64 v[6:7], v[6:7], -v[12:13]
	v_add_f64 v[18:19], v[16:17], v[8:9]
	v_add_f64 v[10:11], v[10:11], -v[14:15]
	v_add_f64 v[12:13], v[18:19], -v[16:17]
	v_add_f64 v[6:7], v[6:7], v[10:11]
	v_add_f64 v[8:9], v[8:9], -v[12:13]
	v_add_f64 v[6:7], v[6:7], v[8:9]
	v_add_f64 v[6:7], v[18:19], v[6:7]
	v_cndmask_b32_e32 v6, v6, v4, vcc_lo
	v_cndmask_b32_e32 v7, v7, v5, vcc_lo
	v_cmp_ngt_f64_e32 vcc_lo, 0, v[4:5]
	v_cndmask_b32_e32 v7, 0x7ff80000, v7, vcc_lo
	v_cmp_nge_f64_e32 vcc_lo, 0, v[4:5]
	v_cndmask_b32_e32 v6, 0, v6, vcc_lo
	v_cmp_neq_f64_e32 vcc_lo, 0, v[4:5]
	v_cndmask_b32_e32 v7, 0xfff00000, v7, vcc_lo
	v_add_co_u32 v2, vcc_lo, v2, s0
	v_add_co_ci_u32_e64 v3, null, s1, v3, vcc_lo
	v_add_f64 v[0:1], v[0:1], -v[6:7]
	global_store_dwordx2 v[2:3], v[0:1], off
.LBB11_9:
	s_endpgm
	.section	.rodata,"a",@progbits
	.p2align	6, 0x0
	.amdhsa_kernel _ZN12_GLOBAL__N_120softmax_warp_forwardIdddLi5ELb1ELb0ELi32EEEvPT0_PKT_iiiPKbib
		.amdhsa_group_segment_fixed_size 0
		.amdhsa_private_segment_fixed_size 0
		.amdhsa_kernarg_size 304
		.amdhsa_user_sgpr_count 6
		.amdhsa_user_sgpr_private_segment_buffer 1
		.amdhsa_user_sgpr_dispatch_ptr 0
		.amdhsa_user_sgpr_queue_ptr 0
		.amdhsa_user_sgpr_kernarg_segment_ptr 1
		.amdhsa_user_sgpr_dispatch_id 0
		.amdhsa_user_sgpr_flat_scratch_init 0
		.amdhsa_user_sgpr_private_segment_size 0
		.amdhsa_wavefront_size32 1
		.amdhsa_uses_dynamic_stack 0
		.amdhsa_system_sgpr_private_segment_wavefront_offset 0
		.amdhsa_system_sgpr_workgroup_id_x 1
		.amdhsa_system_sgpr_workgroup_id_y 0
		.amdhsa_system_sgpr_workgroup_id_z 0
		.amdhsa_system_sgpr_workgroup_info 0
		.amdhsa_system_vgpr_workitem_id 1
		.amdhsa_next_free_vgpr 31
		.amdhsa_next_free_sgpr 16
		.amdhsa_reserve_vcc 1
		.amdhsa_reserve_flat_scratch 0
		.amdhsa_float_round_mode_32 0
		.amdhsa_float_round_mode_16_64 0
		.amdhsa_float_denorm_mode_32 3
		.amdhsa_float_denorm_mode_16_64 3
		.amdhsa_dx10_clamp 1
		.amdhsa_ieee_mode 1
		.amdhsa_fp16_overflow 0
		.amdhsa_workgroup_processor_mode 1
		.amdhsa_memory_ordered 1
		.amdhsa_forward_progress 1
		.amdhsa_shared_vgpr_count 0
		.amdhsa_exception_fp_ieee_invalid_op 0
		.amdhsa_exception_fp_denorm_src 0
		.amdhsa_exception_fp_ieee_div_zero 0
		.amdhsa_exception_fp_ieee_overflow 0
		.amdhsa_exception_fp_ieee_underflow 0
		.amdhsa_exception_fp_ieee_inexact 0
		.amdhsa_exception_int_div_zero 0
	.end_amdhsa_kernel
	.section	.text._ZN12_GLOBAL__N_120softmax_warp_forwardIdddLi5ELb1ELb0ELi32EEEvPT0_PKT_iiiPKbib,"axG",@progbits,_ZN12_GLOBAL__N_120softmax_warp_forwardIdddLi5ELb1ELb0ELi32EEEvPT0_PKT_iiiPKbib,comdat
.Lfunc_end11:
	.size	_ZN12_GLOBAL__N_120softmax_warp_forwardIdddLi5ELb1ELb0ELi32EEEvPT0_PKT_iiiPKbib, .Lfunc_end11-_ZN12_GLOBAL__N_120softmax_warp_forwardIdddLi5ELb1ELb0ELi32EEEvPT0_PKT_iiiPKbib
                                        ; -- End function
	.set _ZN12_GLOBAL__N_120softmax_warp_forwardIdddLi5ELb1ELb0ELi32EEEvPT0_PKT_iiiPKbib.num_vgpr, 31
	.set _ZN12_GLOBAL__N_120softmax_warp_forwardIdddLi5ELb1ELb0ELi32EEEvPT0_PKT_iiiPKbib.num_agpr, 0
	.set _ZN12_GLOBAL__N_120softmax_warp_forwardIdddLi5ELb1ELb0ELi32EEEvPT0_PKT_iiiPKbib.numbered_sgpr, 16
	.set _ZN12_GLOBAL__N_120softmax_warp_forwardIdddLi5ELb1ELb0ELi32EEEvPT0_PKT_iiiPKbib.num_named_barrier, 0
	.set _ZN12_GLOBAL__N_120softmax_warp_forwardIdddLi5ELb1ELb0ELi32EEEvPT0_PKT_iiiPKbib.private_seg_size, 0
	.set _ZN12_GLOBAL__N_120softmax_warp_forwardIdddLi5ELb1ELb0ELi32EEEvPT0_PKT_iiiPKbib.uses_vcc, 1
	.set _ZN12_GLOBAL__N_120softmax_warp_forwardIdddLi5ELb1ELb0ELi32EEEvPT0_PKT_iiiPKbib.uses_flat_scratch, 0
	.set _ZN12_GLOBAL__N_120softmax_warp_forwardIdddLi5ELb1ELb0ELi32EEEvPT0_PKT_iiiPKbib.has_dyn_sized_stack, 0
	.set _ZN12_GLOBAL__N_120softmax_warp_forwardIdddLi5ELb1ELb0ELi32EEEvPT0_PKT_iiiPKbib.has_recursion, 0
	.set _ZN12_GLOBAL__N_120softmax_warp_forwardIdddLi5ELb1ELb0ELi32EEEvPT0_PKT_iiiPKbib.has_indirect_call, 0
	.section	.AMDGPU.csdata,"",@progbits
; Kernel info:
; codeLenInByte = 3368
; TotalNumSgprs: 18
; NumVgprs: 31
; ScratchSize: 0
; MemoryBound: 1
; FloatMode: 240
; IeeeMode: 1
; LDSByteSize: 0 bytes/workgroup (compile time only)
; SGPRBlocks: 0
; VGPRBlocks: 3
; NumSGPRsForWavesPerEU: 18
; NumVGPRsForWavesPerEU: 31
; Occupancy: 16
; WaveLimiterHint : 0
; COMPUTE_PGM_RSRC2:SCRATCH_EN: 0
; COMPUTE_PGM_RSRC2:USER_SGPR: 6
; COMPUTE_PGM_RSRC2:TRAP_HANDLER: 0
; COMPUTE_PGM_RSRC2:TGID_X_EN: 1
; COMPUTE_PGM_RSRC2:TGID_Y_EN: 0
; COMPUTE_PGM_RSRC2:TGID_Z_EN: 0
; COMPUTE_PGM_RSRC2:TIDIG_COMP_CNT: 1
	.section	.text._ZN12_GLOBAL__N_120softmax_warp_forwardIdddLi6ELb1ELb0ELi64EEEvPT0_PKT_iiiPKbib,"axG",@progbits,_ZN12_GLOBAL__N_120softmax_warp_forwardIdddLi6ELb1ELb0ELi64EEEvPT0_PKT_iiiPKbib,comdat
	.globl	_ZN12_GLOBAL__N_120softmax_warp_forwardIdddLi6ELb1ELb0ELi64EEEvPT0_PKT_iiiPKbib ; -- Begin function _ZN12_GLOBAL__N_120softmax_warp_forwardIdddLi6ELb1ELb0ELi64EEEvPT0_PKT_iiiPKbib
	.p2align	8
	.type	_ZN12_GLOBAL__N_120softmax_warp_forwardIdddLi6ELb1ELb0ELi64EEEvPT0_PKT_iiiPKbib,@function
_ZN12_GLOBAL__N_120softmax_warp_forwardIdddLi6ELb1ELb0ELi64EEEvPT0_PKT_iiiPKbib: ; @_ZN12_GLOBAL__N_120softmax_warp_forwardIdddLi6ELb1ELb0ELi64EEEvPT0_PKT_iiiPKbib
; %bb.0:
	s_clause 0x1
	s_load_dword s0, s[4:5], 0x3c
	s_load_dwordx8 s[8:15], s[4:5], 0x0
	v_mov_b32_e32 v6, 0
	v_mov_b32_e32 v4, 0
	;; [unrolled: 1-line block ×4, first 2 shown]
	s_waitcnt lgkmcnt(0)
	s_lshr_b32 s0, s0, 16
	v_cmp_gt_i32_e32 vcc_lo, s14, v0
	s_and_b32 s0, s0, 0xffff
	s_mul_i32 s6, s6, s0
	v_add_lshl_u32 v3, s6, v1, 1
	v_mad_u64_u32 v[1:2], null, v3, s13, v[0:1]
	v_sub_nc_u32_e32 v13, s12, v3
	v_cmp_lt_i32_e64 s0, 0, v13
	v_ashrrev_i32_e32 v2, 31, v1
	s_and_b32 s2, vcc_lo, s0
	v_lshlrev_b64 v[2:3], 3, v[1:2]
	v_add_co_u32 v0, s1, s10, v2
	v_add_co_ci_u32_e64 v1, null, s11, v3, s1
	s_and_saveexec_b32 s1, s2
	s_cbranch_execz .LBB12_2
; %bb.1:
	global_load_dwordx2 v[4:5], v[0:1], off
.LBB12_2:
	s_or_b32 exec_lo, exec_lo, s1
	v_cmp_lt_i32_e64 s1, 1, v13
	s_and_b32 s1, vcc_lo, s1
	s_and_saveexec_b32 s2, s1
	s_cbranch_execz .LBB12_4
; %bb.3:
	s_mov_b32 s15, 0
	s_lshl_b64 s[4:5], s[14:15], 3
	v_add_co_u32 v0, s1, v0, s4
	v_add_co_ci_u32_e64 v1, null, s5, v1, s1
	global_load_dwordx2 v[6:7], v[0:1], off
.LBB12_4:
	s_or_b32 exec_lo, exec_lo, s2
	v_mbcnt_lo_u32_b32 v21, -1, 0
	s_mov_b32 s4, 0x6a5dcb37
	s_mov_b32 s5, 0x3e5ade15
	v_or_b32_e32 v0, 32, v21
	v_xor_b32_e32 v9, 16, v21
	v_cmp_gt_i32_e64 s1, 64, v0
	v_cmp_gt_i32_e64 s3, 64, v9
	v_cndmask_b32_e64 v0, v21, v0, s1
	v_cndmask_b32_e64 v9, v21, v9, s3
	v_lshlrev_b32_e32 v8, 2, v0
	v_lshlrev_b32_e32 v9, 2, v9
	s_waitcnt vmcnt(0)
	ds_bpermute_b32 v0, v8, v4
	ds_bpermute_b32 v1, v8, v5
	;; [unrolled: 1-line block ×4, first 2 shown]
	s_waitcnt lgkmcnt(2)
	v_cmp_lt_f64_e64 s1, v[4:5], v[0:1]
	s_waitcnt lgkmcnt(0)
	v_cmp_lt_f64_e64 s2, v[6:7], v[10:11]
	v_cndmask_b32_e64 v1, v5, v1, s1
	v_cndmask_b32_e64 v0, v4, v0, s1
	;; [unrolled: 1-line block ×4, first 2 shown]
	v_xor_b32_e32 v10, 8, v21
	ds_bpermute_b32 v15, v9, v1
	ds_bpermute_b32 v14, v9, v0
	;; [unrolled: 1-line block ×4, first 2 shown]
	v_cmp_gt_i32_e64 s3, 64, v10
	v_cndmask_b32_e64 v10, v21, v10, s3
	v_lshlrev_b32_e32 v10, 2, v10
	s_waitcnt lgkmcnt(2)
	v_cmp_lt_f64_e64 s1, v[0:1], v[14:15]
	s_waitcnt lgkmcnt(0)
	v_cmp_lt_f64_e64 s2, v[11:12], v[16:17]
	v_cndmask_b32_e64 v1, v1, v15, s1
	v_cndmask_b32_e64 v0, v0, v14, s1
	;; [unrolled: 1-line block ×4, first 2 shown]
	v_xor_b32_e32 v11, 4, v21
	ds_bpermute_b32 v17, v10, v1
	ds_bpermute_b32 v16, v10, v0
	;; [unrolled: 1-line block ×4, first 2 shown]
	v_cmp_gt_i32_e64 s3, 64, v11
	v_xor_b32_e32 v12, 2, v21
	v_cndmask_b32_e64 v11, v21, v11, s3
	v_cmp_gt_i32_e64 s3, 64, v12
	v_lshlrev_b32_e32 v11, 2, v11
	v_cndmask_b32_e64 v12, v21, v12, s3
	v_lshlrev_b32_e32 v12, 2, v12
	s_waitcnt lgkmcnt(2)
	v_cmp_lt_f64_e64 s1, v[0:1], v[16:17]
	s_waitcnt lgkmcnt(0)
	v_cmp_lt_f64_e64 s2, v[14:15], v[18:19]
	v_cndmask_b32_e64 v1, v1, v17, s1
	v_cndmask_b32_e64 v0, v0, v16, s1
	;; [unrolled: 1-line block ×4, first 2 shown]
	ds_bpermute_b32 v17, v11, v1
	ds_bpermute_b32 v16, v11, v0
	ds_bpermute_b32 v19, v11, v15
	ds_bpermute_b32 v18, v11, v14
	s_waitcnt lgkmcnt(2)
	v_cmp_lt_f64_e64 s1, v[0:1], v[16:17]
	s_waitcnt lgkmcnt(0)
	v_cmp_lt_f64_e64 s2, v[14:15], v[18:19]
	v_cndmask_b32_e64 v1, v1, v17, s1
	v_cndmask_b32_e64 v0, v0, v16, s1
	;; [unrolled: 1-line block ×4, first 2 shown]
	v_xor_b32_e32 v14, 1, v21
	ds_bpermute_b32 v18, v12, v1
	ds_bpermute_b32 v17, v12, v0
	;; [unrolled: 1-line block ×4, first 2 shown]
	v_cmp_gt_i32_e64 s3, 64, v14
	v_cndmask_b32_e64 v14, v21, v14, s3
	v_lshlrev_b32_e32 v14, 2, v14
	s_waitcnt lgkmcnt(2)
	v_cmp_lt_f64_e64 s1, v[0:1], v[17:18]
	s_waitcnt lgkmcnt(0)
	v_cmp_lt_f64_e64 s2, v[15:16], v[19:20]
	v_cndmask_b32_e64 v1, v1, v18, s1
	v_cndmask_b32_e64 v0, v0, v17, s1
	;; [unrolled: 1-line block ×4, first 2 shown]
	ds_bpermute_b32 v18, v14, v1
	ds_bpermute_b32 v17, v14, v0
	;; [unrolled: 1-line block ×4, first 2 shown]
	s_waitcnt lgkmcnt(2)
	v_cmp_lt_f64_e64 s1, v[0:1], v[17:18]
	s_waitcnt lgkmcnt(0)
	v_cmp_lt_f64_e64 s2, v[15:16], v[19:20]
	v_cndmask_b32_e64 v1, v1, v18, s1
	v_cndmask_b32_e64 v0, v0, v17, s1
	;; [unrolled: 1-line block ×4, first 2 shown]
	s_mov_b32 s2, 0x652b82fe
	s_mov_b32 s3, 0x3ff71547
	v_add_f64 v[4:5], v[4:5], -v[0:1]
	v_add_f64 v[0:1], v[6:7], -v[15:16]
	v_mul_f64 v[6:7], v[4:5], s[2:3]
	v_cmp_nlt_f64_e64 s1, 0x40900000, v[4:5]
	v_mul_f64 v[15:16], v[0:1], s[2:3]
	s_mov_b32 s2, 0xfefa39ef
	s_mov_b32 s3, 0xbfe62e42
	v_rndne_f64_e32 v[6:7], v[6:7]
	v_rndne_f64_e32 v[15:16], v[15:16]
	v_fma_f64 v[17:18], v[6:7], s[2:3], v[4:5]
	v_cvt_i32_f64_e32 v25, v[6:7]
	v_fma_f64 v[19:20], v[15:16], s[2:3], v[0:1]
	s_mov_b32 s2, 0x3b39803f
	s_mov_b32 s3, 0xbc7abc9e
	v_fma_f64 v[17:18], v[6:7], s[2:3], v[17:18]
	v_fma_f64 v[19:20], v[15:16], s[2:3], v[19:20]
	s_mov_b32 s2, 0xfca7ab0c
	s_mov_b32 s3, 0x3e928af3
	v_fma_f64 v[21:22], v[17:18], s[4:5], s[2:3]
	v_fma_f64 v[23:24], v[19:20], s[4:5], s[2:3]
	s_mov_b32 s2, 0x623fde64
	s_mov_b32 s3, 0x3ec71dee
	v_cmp_ngt_f64_e64 s4, 0xc090cc00, v[0:1]
	v_fma_f64 v[21:22], v[17:18], v[21:22], s[2:3]
	v_fma_f64 v[23:24], v[19:20], v[23:24], s[2:3]
	s_mov_b32 s2, 0x7c89e6b0
	s_mov_b32 s3, 0x3efa0199
	v_fma_f64 v[21:22], v[17:18], v[21:22], s[2:3]
	v_fma_f64 v[23:24], v[19:20], v[23:24], s[2:3]
	s_mov_b32 s2, 0x14761f6e
	s_mov_b32 s3, 0x3f2a01a0
	;; [unrolled: 4-line block ×7, first 2 shown]
	v_fma_f64 v[21:22], v[17:18], v[21:22], s[2:3]
	v_fma_f64 v[23:24], v[19:20], v[23:24], s[2:3]
	v_cmp_nlt_f64_e64 s3, 0x40900000, v[0:1]
	v_cmp_ngt_f64_e64 s2, 0xc090cc00, v[4:5]
	v_fma_f64 v[21:22], v[17:18], v[21:22], 1.0
	v_fma_f64 v[23:24], v[19:20], v[23:24], 1.0
	;; [unrolled: 1-line block ×3, first 2 shown]
	v_cvt_i32_f64_e32 v17, v[15:16]
	v_fma_f64 v[15:16], v[19:20], v[23:24], 1.0
	v_ldexp_f64 v[6:7], v[6:7], v25
	v_ldexp_f64 v[15:16], v[15:16], v17
	v_add_f64 v[6:7], v[6:7], 0
	v_add_f64 v[15:16], v[15:16], 0
	v_cndmask_b32_e64 v7, 0x7ff00000, v7, s1
	s_and_b32 s1, s2, s1
	v_cndmask_b32_e64 v16, 0x7ff00000, v16, s3
	v_cndmask_b32_e64 v6, 0, v6, s1
	s_and_b32 s1, s4, s3
	v_cndmask_b32_e64 v7, 0, v7, s2
	v_cndmask_b32_e64 v15, 0, v15, s1
	;; [unrolled: 1-line block ×3, first 2 shown]
	ds_bpermute_b32 v17, v8, v6
	ds_bpermute_b32 v18, v8, v7
	ds_bpermute_b32 v19, v8, v15
	ds_bpermute_b32 v20, v8, v16
	s_waitcnt lgkmcnt(2)
	v_add_f64 v[6:7], v[6:7], v[17:18]
	s_waitcnt lgkmcnt(0)
	v_add_f64 v[15:16], v[15:16], v[19:20]
	ds_bpermute_b32 v17, v9, v6
	ds_bpermute_b32 v18, v9, v7
	ds_bpermute_b32 v8, v9, v15
	ds_bpermute_b32 v9, v9, v16
	s_waitcnt lgkmcnt(2)
	v_add_f64 v[6:7], v[6:7], v[17:18]
	s_waitcnt lgkmcnt(0)
	v_add_f64 v[8:9], v[15:16], v[8:9]
	;; [unrolled: 8-line block ×5, first 2 shown]
	ds_bpermute_b32 v11, v14, v9
	ds_bpermute_b32 v12, v14, v10
	;; [unrolled: 1-line block ×4, first 2 shown]
	s_and_saveexec_b32 s1, s0
	s_cbranch_execz .LBB12_9
; %bb.5:
	v_add_co_u32 v2, s0, s8, v2
	v_add_co_ci_u32_e64 v3, null, s9, v3, s0
	s_and_saveexec_b32 s1, vcc_lo
	s_cbranch_execz .LBB12_7
; %bb.6:
	s_waitcnt lgkmcnt(2)
	v_add_f64 v[9:10], v[9:10], v[11:12]
	s_mov_b32 s3, 0x3fe55555
	s_mov_b32 s2, 0x55555555
	;; [unrolled: 1-line block ×6, first 2 shown]
	v_frexp_mant_f64_e32 v[11:12], v[9:10]
	v_frexp_exp_i32_f64_e32 v15, v[9:10]
	v_cmp_gt_f64_e64 s0, s[2:3], v[11:12]
	s_mov_b32 s2, 0x55555780
	v_subrev_co_ci_u32_e64 v27, null, 0, v15, s0
	v_cndmask_b32_e64 v15, 0, 1, s0
	v_cmp_class_f64_e64 s0, v[9:10], 0x204
	v_ldexp_f64 v[11:12], v[11:12], v15
	v_add_f64 v[15:16], v[11:12], 1.0
	v_add_f64 v[21:22], v[11:12], -1.0
	v_rcp_f64_e32 v[17:18], v[15:16]
	v_add_f64 v[23:24], v[15:16], -1.0
	v_add_f64 v[11:12], v[11:12], -v[23:24]
	v_fma_f64 v[19:20], -v[15:16], v[17:18], 1.0
	v_fma_f64 v[17:18], v[19:20], v[17:18], v[17:18]
	v_fma_f64 v[19:20], -v[15:16], v[17:18], 1.0
	v_fma_f64 v[17:18], v[19:20], v[17:18], v[17:18]
	v_mul_f64 v[19:20], v[21:22], v[17:18]
	v_mul_f64 v[25:26], v[15:16], v[19:20]
	v_fma_f64 v[15:16], v[19:20], v[15:16], -v[25:26]
	v_fma_f64 v[11:12], v[19:20], v[11:12], v[15:16]
	v_add_f64 v[15:16], v[25:26], v[11:12]
	v_add_f64 v[23:24], v[21:22], -v[15:16]
	v_add_f64 v[25:26], v[15:16], -v[25:26]
	v_add_f64 v[21:22], v[21:22], -v[23:24]
	v_add_f64 v[11:12], v[25:26], -v[11:12]
	v_add_f64 v[15:16], v[21:22], -v[15:16]
	v_add_f64 v[11:12], v[11:12], v[15:16]
	v_add_f64 v[11:12], v[23:24], v[11:12]
	v_mul_f64 v[11:12], v[17:18], v[11:12]
	v_add_f64 v[15:16], v[19:20], v[11:12]
	v_mul_f64 v[17:18], v[15:16], v[15:16]
	v_fma_f64 v[21:22], v[17:18], s[6:7], s[4:5]
	s_mov_b32 s4, 0xd7f4df2e
	s_mov_b32 s5, 0x3fc7474d
	v_mul_f64 v[23:24], v[15:16], v[17:18]
	v_fma_f64 v[21:22], v[17:18], v[21:22], s[4:5]
	s_mov_b32 s4, 0x16291751
	s_mov_b32 s5, 0x3fcc71c0
	v_fma_f64 v[21:22], v[17:18], v[21:22], s[4:5]
	s_mov_b32 s4, 0x9b27acf1
	s_mov_b32 s5, 0x3fd24924
	v_fma_f64 v[21:22], v[17:18], v[21:22], s[4:5]
	s_mov_b32 s4, 0x998ef7b6
	s_mov_b32 s5, 0x3fd99999
	v_fma_f64 v[21:22], v[17:18], v[21:22], s[4:5]
	v_fma_f64 v[17:18], v[17:18], v[21:22], s[2:3]
	v_ldexp_f64 v[21:22], v[15:16], 1
	v_add_f64 v[15:16], v[15:16], -v[19:20]
	s_mov_b32 s2, 0xfefa39ef
	s_mov_b32 s3, 0x3fe62e42
	v_mul_f64 v[17:18], v[23:24], v[17:18]
	v_cvt_f64_i32_e32 v[23:24], v27
	v_add_f64 v[11:12], v[11:12], -v[15:16]
	v_add_f64 v[19:20], v[21:22], v[17:18]
	v_mul_f64 v[25:26], v[23:24], s[2:3]
	v_ldexp_f64 v[11:12], v[11:12], 1
	v_add_f64 v[15:16], v[19:20], -v[21:22]
	v_fma_f64 v[21:22], v[23:24], s[2:3], -v[25:26]
	s_mov_b32 s2, 0x3b39803f
	s_mov_b32 s3, 0x3c7abc9e
	v_add_f64 v[15:16], v[17:18], -v[15:16]
	v_fma_f64 v[17:18], v[23:24], s[2:3], v[21:22]
	v_add_f64 v[11:12], v[11:12], v[15:16]
	v_add_f64 v[15:16], v[25:26], v[17:18]
	;; [unrolled: 1-line block ×3, first 2 shown]
	v_add_f64 v[25:26], v[15:16], -v[25:26]
	v_add_f64 v[23:24], v[15:16], v[21:22]
	v_add_f64 v[19:20], v[21:22], -v[19:20]
	v_add_f64 v[17:18], v[17:18], -v[25:26]
	;; [unrolled: 1-line block ×6, first 2 shown]
	v_add_f64 v[21:22], v[17:18], v[11:12]
	v_add_f64 v[15:16], v[15:16], -v[29:30]
	v_add_f64 v[15:16], v[19:20], v[15:16]
	v_add_f64 v[19:20], v[21:22], -v[17:18]
	;; [unrolled: 2-line block ×3, first 2 shown]
	v_add_f64 v[11:12], v[11:12], -v[19:20]
	v_add_f64 v[25:26], v[23:24], v[15:16]
	v_add_f64 v[17:18], v[17:18], -v[21:22]
	v_add_f64 v[19:20], v[25:26], -v[23:24]
	v_add_f64 v[11:12], v[11:12], v[17:18]
	v_add_f64 v[15:16], v[15:16], -v[19:20]
	v_add_f64 v[11:12], v[11:12], v[15:16]
	v_add_f64 v[11:12], v[25:26], v[11:12]
	v_cndmask_b32_e64 v11, v11, v9, s0
	v_cndmask_b32_e64 v12, v12, v10, s0
	v_cmp_ngt_f64_e64 s0, 0, v[9:10]
	v_cndmask_b32_e64 v12, 0x7ff80000, v12, s0
	v_cmp_nge_f64_e64 s0, 0, v[9:10]
	v_cndmask_b32_e64 v11, 0, v11, s0
	v_cmp_neq_f64_e64 s0, 0, v[9:10]
	v_cndmask_b32_e64 v12, 0xfff00000, v12, s0
	v_add_f64 v[4:5], v[4:5], -v[11:12]
	global_store_dwordx2 v[2:3], v[4:5], off
.LBB12_7:
	s_or_b32 exec_lo, exec_lo, s1
	v_cmp_ne_u32_e64 s0, 1, v13
	s_and_b32 s0, s0, vcc_lo
	s_and_b32 exec_lo, exec_lo, s0
	s_cbranch_execz .LBB12_9
; %bb.8:
	s_waitcnt lgkmcnt(0)
	v_mov_b32_e32 v9, v14
	s_mov_b32 s1, 0x3fe55555
	s_mov_b32 s0, 0x55555555
	;; [unrolled: 1-line block ×4, first 2 shown]
	v_add_f64 v[4:5], v[6:7], v[8:9]
	s_mov_b32 s3, 0x3fc38538
	s_mov_b32 s5, 0x3fc3ab76
	;; [unrolled: 1-line block ×3, first 2 shown]
	v_frexp_mant_f64_e32 v[6:7], v[4:5]
	v_frexp_exp_i32_f64_e32 v8, v[4:5]
	v_cmp_gt_f64_e32 vcc_lo, s[0:1], v[6:7]
	s_mov_b32 s0, 0x55555780
	v_subrev_co_ci_u32_e64 v20, null, 0, v8, vcc_lo
	v_cndmask_b32_e64 v8, 0, 1, vcc_lo
	v_cmp_class_f64_e64 vcc_lo, v[4:5], 0x204
	v_ldexp_f64 v[6:7], v[6:7], v8
	v_add_f64 v[8:9], v[6:7], 1.0
	v_add_f64 v[14:15], v[6:7], -1.0
	v_rcp_f64_e32 v[10:11], v[8:9]
	v_add_f64 v[16:17], v[8:9], -1.0
	v_add_f64 v[6:7], v[6:7], -v[16:17]
	v_fma_f64 v[12:13], -v[8:9], v[10:11], 1.0
	v_fma_f64 v[10:11], v[12:13], v[10:11], v[10:11]
	v_fma_f64 v[12:13], -v[8:9], v[10:11], 1.0
	v_fma_f64 v[10:11], v[12:13], v[10:11], v[10:11]
	v_mul_f64 v[12:13], v[14:15], v[10:11]
	v_mul_f64 v[18:19], v[8:9], v[12:13]
	v_fma_f64 v[8:9], v[12:13], v[8:9], -v[18:19]
	v_fma_f64 v[6:7], v[12:13], v[6:7], v[8:9]
	v_add_f64 v[8:9], v[18:19], v[6:7]
	v_add_f64 v[16:17], v[14:15], -v[8:9]
	v_add_f64 v[18:19], v[8:9], -v[18:19]
	;; [unrolled: 1-line block ×5, first 2 shown]
	v_add_f64 v[6:7], v[6:7], v[8:9]
	v_add_f64 v[6:7], v[16:17], v[6:7]
	v_mul_f64 v[6:7], v[10:11], v[6:7]
	v_add_f64 v[8:9], v[12:13], v[6:7]
	v_mul_f64 v[10:11], v[8:9], v[8:9]
	v_fma_f64 v[14:15], v[10:11], s[4:5], s[2:3]
	s_mov_b32 s2, 0xd7f4df2e
	s_mov_b32 s3, 0x3fc7474d
	v_mul_f64 v[16:17], v[8:9], v[10:11]
	v_fma_f64 v[14:15], v[10:11], v[14:15], s[2:3]
	s_mov_b32 s2, 0x16291751
	s_mov_b32 s3, 0x3fcc71c0
	v_fma_f64 v[14:15], v[10:11], v[14:15], s[2:3]
	s_mov_b32 s2, 0x9b27acf1
	s_mov_b32 s3, 0x3fd24924
	;; [unrolled: 3-line block ×3, first 2 shown]
	v_fma_f64 v[14:15], v[10:11], v[14:15], s[2:3]
	v_fma_f64 v[10:11], v[10:11], v[14:15], s[0:1]
	v_ldexp_f64 v[14:15], v[8:9], 1
	v_add_f64 v[8:9], v[8:9], -v[12:13]
	s_mov_b32 s0, 0xfefa39ef
	s_mov_b32 s1, 0x3fe62e42
	v_mul_f64 v[10:11], v[16:17], v[10:11]
	v_cvt_f64_i32_e32 v[16:17], v20
	v_add_f64 v[6:7], v[6:7], -v[8:9]
	v_add_f64 v[12:13], v[14:15], v[10:11]
	v_mul_f64 v[18:19], v[16:17], s[0:1]
	v_ldexp_f64 v[6:7], v[6:7], 1
	v_add_f64 v[8:9], v[12:13], -v[14:15]
	v_fma_f64 v[14:15], v[16:17], s[0:1], -v[18:19]
	s_mov_b32 s0, 0x3b39803f
	s_mov_b32 s1, 0x3c7abc9e
	v_add_f64 v[8:9], v[10:11], -v[8:9]
	v_fma_f64 v[10:11], v[16:17], s[0:1], v[14:15]
	s_lshl_b64 s[0:1], s[14:15], 3
	v_add_f64 v[6:7], v[6:7], v[8:9]
	v_add_f64 v[8:9], v[18:19], v[10:11]
	;; [unrolled: 1-line block ×3, first 2 shown]
	v_add_f64 v[18:19], v[8:9], -v[18:19]
	v_add_f64 v[16:17], v[8:9], v[14:15]
	v_add_f64 v[12:13], v[14:15], -v[12:13]
	v_add_f64 v[10:11], v[10:11], -v[18:19]
	;; [unrolled: 1-line block ×6, first 2 shown]
	v_add_f64 v[14:15], v[10:11], v[6:7]
	v_add_f64 v[8:9], v[8:9], -v[22:23]
	v_add_f64 v[8:9], v[12:13], v[8:9]
	v_add_f64 v[12:13], v[14:15], -v[10:11]
	;; [unrolled: 2-line block ×3, first 2 shown]
	v_add_f64 v[6:7], v[6:7], -v[12:13]
	v_add_f64 v[18:19], v[16:17], v[8:9]
	v_add_f64 v[10:11], v[10:11], -v[14:15]
	v_add_f64 v[12:13], v[18:19], -v[16:17]
	v_add_f64 v[6:7], v[6:7], v[10:11]
	v_add_f64 v[8:9], v[8:9], -v[12:13]
	v_add_f64 v[6:7], v[6:7], v[8:9]
	v_add_f64 v[6:7], v[18:19], v[6:7]
	v_cndmask_b32_e32 v6, v6, v4, vcc_lo
	v_cndmask_b32_e32 v7, v7, v5, vcc_lo
	v_cmp_ngt_f64_e32 vcc_lo, 0, v[4:5]
	v_cndmask_b32_e32 v7, 0x7ff80000, v7, vcc_lo
	v_cmp_nge_f64_e32 vcc_lo, 0, v[4:5]
	v_cndmask_b32_e32 v6, 0, v6, vcc_lo
	v_cmp_neq_f64_e32 vcc_lo, 0, v[4:5]
	v_cndmask_b32_e32 v7, 0xfff00000, v7, vcc_lo
	v_add_co_u32 v2, vcc_lo, v2, s0
	v_add_co_ci_u32_e64 v3, null, s1, v3, vcc_lo
	v_add_f64 v[0:1], v[0:1], -v[6:7]
	global_store_dwordx2 v[2:3], v[0:1], off
.LBB12_9:
	s_endpgm
	.section	.rodata,"a",@progbits
	.p2align	6, 0x0
	.amdhsa_kernel _ZN12_GLOBAL__N_120softmax_warp_forwardIdddLi6ELb1ELb0ELi64EEEvPT0_PKT_iiiPKbib
		.amdhsa_group_segment_fixed_size 0
		.amdhsa_private_segment_fixed_size 0
		.amdhsa_kernarg_size 304
		.amdhsa_user_sgpr_count 6
		.amdhsa_user_sgpr_private_segment_buffer 1
		.amdhsa_user_sgpr_dispatch_ptr 0
		.amdhsa_user_sgpr_queue_ptr 0
		.amdhsa_user_sgpr_kernarg_segment_ptr 1
		.amdhsa_user_sgpr_dispatch_id 0
		.amdhsa_user_sgpr_flat_scratch_init 0
		.amdhsa_user_sgpr_private_segment_size 0
		.amdhsa_wavefront_size32 1
		.amdhsa_uses_dynamic_stack 0
		.amdhsa_system_sgpr_private_segment_wavefront_offset 0
		.amdhsa_system_sgpr_workgroup_id_x 1
		.amdhsa_system_sgpr_workgroup_id_y 0
		.amdhsa_system_sgpr_workgroup_id_z 0
		.amdhsa_system_sgpr_workgroup_info 0
		.amdhsa_system_vgpr_workitem_id 1
		.amdhsa_next_free_vgpr 31
		.amdhsa_next_free_sgpr 16
		.amdhsa_reserve_vcc 1
		.amdhsa_reserve_flat_scratch 0
		.amdhsa_float_round_mode_32 0
		.amdhsa_float_round_mode_16_64 0
		.amdhsa_float_denorm_mode_32 3
		.amdhsa_float_denorm_mode_16_64 3
		.amdhsa_dx10_clamp 1
		.amdhsa_ieee_mode 1
		.amdhsa_fp16_overflow 0
		.amdhsa_workgroup_processor_mode 1
		.amdhsa_memory_ordered 1
		.amdhsa_forward_progress 1
		.amdhsa_shared_vgpr_count 0
		.amdhsa_exception_fp_ieee_invalid_op 0
		.amdhsa_exception_fp_denorm_src 0
		.amdhsa_exception_fp_ieee_div_zero 0
		.amdhsa_exception_fp_ieee_overflow 0
		.amdhsa_exception_fp_ieee_underflow 0
		.amdhsa_exception_fp_ieee_inexact 0
		.amdhsa_exception_int_div_zero 0
	.end_amdhsa_kernel
	.section	.text._ZN12_GLOBAL__N_120softmax_warp_forwardIdddLi6ELb1ELb0ELi64EEEvPT0_PKT_iiiPKbib,"axG",@progbits,_ZN12_GLOBAL__N_120softmax_warp_forwardIdddLi6ELb1ELb0ELi64EEEvPT0_PKT_iiiPKbib,comdat
.Lfunc_end12:
	.size	_ZN12_GLOBAL__N_120softmax_warp_forwardIdddLi6ELb1ELb0ELi64EEEvPT0_PKT_iiiPKbib, .Lfunc_end12-_ZN12_GLOBAL__N_120softmax_warp_forwardIdddLi6ELb1ELb0ELi64EEEvPT0_PKT_iiiPKbib
                                        ; -- End function
	.set _ZN12_GLOBAL__N_120softmax_warp_forwardIdddLi6ELb1ELb0ELi64EEEvPT0_PKT_iiiPKbib.num_vgpr, 31
	.set _ZN12_GLOBAL__N_120softmax_warp_forwardIdddLi6ELb1ELb0ELi64EEEvPT0_PKT_iiiPKbib.num_agpr, 0
	.set _ZN12_GLOBAL__N_120softmax_warp_forwardIdddLi6ELb1ELb0ELi64EEEvPT0_PKT_iiiPKbib.numbered_sgpr, 16
	.set _ZN12_GLOBAL__N_120softmax_warp_forwardIdddLi6ELb1ELb0ELi64EEEvPT0_PKT_iiiPKbib.num_named_barrier, 0
	.set _ZN12_GLOBAL__N_120softmax_warp_forwardIdddLi6ELb1ELb0ELi64EEEvPT0_PKT_iiiPKbib.private_seg_size, 0
	.set _ZN12_GLOBAL__N_120softmax_warp_forwardIdddLi6ELb1ELb0ELi64EEEvPT0_PKT_iiiPKbib.uses_vcc, 1
	.set _ZN12_GLOBAL__N_120softmax_warp_forwardIdddLi6ELb1ELb0ELi64EEEvPT0_PKT_iiiPKbib.uses_flat_scratch, 0
	.set _ZN12_GLOBAL__N_120softmax_warp_forwardIdddLi6ELb1ELb0ELi64EEEvPT0_PKT_iiiPKbib.has_dyn_sized_stack, 0
	.set _ZN12_GLOBAL__N_120softmax_warp_forwardIdddLi6ELb1ELb0ELi64EEEvPT0_PKT_iiiPKbib.has_recursion, 0
	.set _ZN12_GLOBAL__N_120softmax_warp_forwardIdddLi6ELb1ELb0ELi64EEEvPT0_PKT_iiiPKbib.has_indirect_call, 0
	.section	.AMDGPU.csdata,"",@progbits
; Kernel info:
; codeLenInByte = 3536
; TotalNumSgprs: 18
; NumVgprs: 31
; ScratchSize: 0
; MemoryBound: 1
; FloatMode: 240
; IeeeMode: 1
; LDSByteSize: 0 bytes/workgroup (compile time only)
; SGPRBlocks: 0
; VGPRBlocks: 3
; NumSGPRsForWavesPerEU: 18
; NumVGPRsForWavesPerEU: 31
; Occupancy: 16
; WaveLimiterHint : 0
; COMPUTE_PGM_RSRC2:SCRATCH_EN: 0
; COMPUTE_PGM_RSRC2:USER_SGPR: 6
; COMPUTE_PGM_RSRC2:TRAP_HANDLER: 0
; COMPUTE_PGM_RSRC2:TGID_X_EN: 1
; COMPUTE_PGM_RSRC2:TGID_Y_EN: 0
; COMPUTE_PGM_RSRC2:TGID_Z_EN: 0
; COMPUTE_PGM_RSRC2:TIDIG_COMP_CNT: 1
	.section	.text._ZN12_GLOBAL__N_120softmax_warp_forwardIdddLi6ELb1ELb0ELi32EEEvPT0_PKT_iiiPKbib,"axG",@progbits,_ZN12_GLOBAL__N_120softmax_warp_forwardIdddLi6ELb1ELb0ELi32EEEvPT0_PKT_iiiPKbib,comdat
	.globl	_ZN12_GLOBAL__N_120softmax_warp_forwardIdddLi6ELb1ELb0ELi32EEEvPT0_PKT_iiiPKbib ; -- Begin function _ZN12_GLOBAL__N_120softmax_warp_forwardIdddLi6ELb1ELb0ELi32EEEvPT0_PKT_iiiPKbib
	.p2align	8
	.type	_ZN12_GLOBAL__N_120softmax_warp_forwardIdddLi6ELb1ELb0ELi32EEEvPT0_PKT_iiiPKbib,@function
_ZN12_GLOBAL__N_120softmax_warp_forwardIdddLi6ELb1ELb0ELi32EEEvPT0_PKT_iiiPKbib: ; @_ZN12_GLOBAL__N_120softmax_warp_forwardIdddLi6ELb1ELb0ELi32EEEvPT0_PKT_iiiPKbib
; %bb.0:
	s_clause 0x1
	s_load_dword s0, s[4:5], 0x3c
	s_load_dwordx8 s[12:19], s[4:5], 0x0
	v_mov_b32_e32 v4, 0
	v_mov_b32_e32 v6, 0
	;; [unrolled: 1-line block ×4, first 2 shown]
	s_waitcnt lgkmcnt(0)
	s_lshr_b32 s0, s0, 16
	s_and_b32 s0, s0, 0xffff
	s_mul_i32 s6, s6, s0
	v_cmp_gt_i32_e64 s0, s18, v0
	v_add_lshl_u32 v3, s6, v1, 1
	v_mad_u64_u32 v[1:2], null, v3, s17, v[0:1]
	v_sub_nc_u32_e32 v18, s16, v3
	v_cmp_lt_i32_e64 s1, 0, v18
	v_ashrrev_i32_e32 v2, 31, v1
	s_and_b32 s3, s1, s0
	v_lshlrev_b64 v[2:3], 3, v[1:2]
	v_add_co_u32 v8, vcc_lo, s14, v2
	v_add_co_ci_u32_e64 v9, null, s15, v3, vcc_lo
	s_and_saveexec_b32 s2, s3
	s_cbranch_execz .LBB13_2
; %bb.1:
	global_load_dwordx2 v[6:7], v[8:9], off
.LBB13_2:
	s_or_b32 exec_lo, exec_lo, s2
	v_add_nc_u32_e32 v0, 32, v0
	v_cmp_gt_i32_e32 vcc_lo, s18, v0
	s_and_b32 s3, s1, vcc_lo
	s_and_saveexec_b32 s2, s3
	s_cbranch_execz .LBB13_4
; %bb.3:
	global_load_dwordx2 v[4:5], v[8:9], off offset:256
.LBB13_4:
	s_or_b32 exec_lo, exec_lo, s2
	v_cmp_lt_i32_e64 s2, 1, v18
	v_mov_b32_e32 v10, 0
	v_mov_b32_e32 v0, 0
	;; [unrolled: 1-line block ×4, first 2 shown]
	s_and_b32 s3, s2, s0
	s_and_saveexec_b32 s4, s3
	s_cbranch_execz .LBB13_6
; %bb.5:
	s_mov_b32 s19, 0
	s_lshl_b64 s[6:7], s[18:19], 3
	v_add_co_u32 v0, s3, v8, s6
	v_add_co_ci_u32_e64 v1, null, s7, v9, s3
	global_load_dwordx2 v[0:1], v[0:1], off
.LBB13_6:
	s_or_b32 exec_lo, exec_lo, s4
	s_and_b32 s2, s2, vcc_lo
	s_and_saveexec_b32 s3, s2
	s_cbranch_execz .LBB13_8
; %bb.7:
	s_mov_b32 s19, 0
	s_lshl_b64 s[4:5], s[18:19], 3
	v_add_co_u32 v8, s2, v8, s4
	v_add_co_ci_u32_e64 v9, null, s5, v9, s2
	global_load_dwordx2 v[10:11], v[8:9], off offset:256
.LBB13_8:
	s_or_b32 exec_lo, exec_lo, s3
	s_waitcnt vmcnt(0)
	v_cmp_gt_f64_e64 s2, v[6:7], v[4:5]
	v_cmp_gt_f64_e64 s3, v[0:1], v[10:11]
	v_mbcnt_lo_u32_b32 v24, -1, 0
	s_mov_b32 s6, 0x6a5dcb37
	s_mov_b32 s7, 0x3e5ade15
	v_xor_b32_e32 v8, 16, v24
	v_xor_b32_e32 v13, 8, v24
	v_cmp_gt_i32_e64 s4, 32, v8
	v_cndmask_b32_e64 v8, v24, v8, s4
	v_cmp_gt_i32_e64 s4, 32, v13
	v_lshlrev_b32_e32 v12, 2, v8
	v_cndmask_b32_e64 v9, v5, v7, s2
	v_cndmask_b32_e64 v8, v4, v6, s2
	;; [unrolled: 1-line block ×5, first 2 shown]
	ds_bpermute_b32 v17, v12, v9
	ds_bpermute_b32 v16, v12, v8
	;; [unrolled: 1-line block ×4, first 2 shown]
	v_lshlrev_b32_e32 v13, 2, v13
	s_waitcnt lgkmcnt(2)
	v_cmp_lt_f64_e64 s2, v[8:9], v[16:17]
	s_waitcnt lgkmcnt(0)
	v_cmp_lt_f64_e64 s3, v[14:15], v[19:20]
	v_cndmask_b32_e64 v9, v9, v17, s2
	v_cndmask_b32_e64 v8, v8, v16, s2
	v_cndmask_b32_e64 v16, v15, v20, s3
	v_cndmask_b32_e64 v15, v14, v19, s3
	v_xor_b32_e32 v14, 4, v24
	ds_bpermute_b32 v20, v13, v9
	ds_bpermute_b32 v19, v13, v8
	ds_bpermute_b32 v22, v13, v16
	ds_bpermute_b32 v21, v13, v15
	v_cmp_gt_i32_e64 s4, 32, v14
	v_cndmask_b32_e64 v14, v24, v14, s4
	v_lshlrev_b32_e32 v14, 2, v14
	s_waitcnt lgkmcnt(2)
	v_cmp_lt_f64_e64 s2, v[8:9], v[19:20]
	s_waitcnt lgkmcnt(0)
	v_cmp_lt_f64_e64 s3, v[15:16], v[21:22]
	v_cndmask_b32_e64 v9, v9, v20, s2
	v_cndmask_b32_e64 v8, v8, v19, s2
	v_cndmask_b32_e64 v17, v16, v22, s3
	v_cndmask_b32_e64 v16, v15, v21, s3
	v_xor_b32_e32 v15, 2, v24
	ds_bpermute_b32 v20, v14, v9
	ds_bpermute_b32 v19, v14, v8
	ds_bpermute_b32 v22, v14, v17
	ds_bpermute_b32 v21, v14, v16
	v_cmp_gt_i32_e64 s4, 32, v15
	v_cndmask_b32_e64 v15, v24, v15, s4
	;; [unrolled: 16-line block ×3, first 2 shown]
	s_mov_b32 s4, 0x3b39803f
	s_mov_b32 s5, 0xbc7abc9e
	v_lshlrev_b32_e32 v19, 2, v19
	s_waitcnt lgkmcnt(2)
	v_cmp_lt_f64_e64 s2, v[8:9], v[20:21]
	s_waitcnt lgkmcnt(0)
	v_cmp_lt_f64_e64 s3, v[16:17], v[22:23]
	v_cndmask_b32_e64 v9, v9, v21, s2
	v_cndmask_b32_e64 v8, v8, v20, s2
	;; [unrolled: 1-line block ×4, first 2 shown]
	ds_bpermute_b32 v21, v19, v9
	ds_bpermute_b32 v20, v19, v8
	;; [unrolled: 1-line block ×4, first 2 shown]
	s_waitcnt lgkmcnt(2)
	v_cmp_lt_f64_e64 s2, v[8:9], v[20:21]
	s_waitcnt lgkmcnt(0)
	v_cmp_lt_f64_e64 s3, v[16:17], v[22:23]
	v_cndmask_b32_e64 v9, v9, v21, s2
	v_cndmask_b32_e64 v8, v8, v20, s2
	;; [unrolled: 1-line block ×4, first 2 shown]
	s_mov_b32 s2, 0x652b82fe
	s_mov_b32 s3, 0x3ff71547
	v_add_f64 v[6:7], v[6:7], -v[8:9]
	v_add_f64 v[8:9], v[4:5], -v[8:9]
	;; [unrolled: 1-line block ×4, first 2 shown]
	v_mul_f64 v[10:11], v[6:7], s[2:3]
	v_mul_f64 v[20:21], v[8:9], s[2:3]
	;; [unrolled: 1-line block ×4, first 2 shown]
	s_mov_b32 s2, 0xfefa39ef
	s_mov_b32 s3, 0xbfe62e42
	v_cmp_nlt_f64_e64 s8, 0x40900000, v[0:1]
	v_cmp_ngt_f64_e64 s9, 0xc090cc00, v[0:1]
	v_rndne_f64_e32 v[10:11], v[10:11]
	v_rndne_f64_e32 v[20:21], v[20:21]
	;; [unrolled: 1-line block ×4, first 2 shown]
	v_fma_f64 v[24:25], v[10:11], s[2:3], v[6:7]
	v_fma_f64 v[28:29], v[20:21], s[2:3], v[8:9]
	;; [unrolled: 1-line block ×4, first 2 shown]
	s_mov_b32 s2, 0xfca7ab0c
	s_mov_b32 s3, 0x3e928af3
	v_cvt_i32_f64_e32 v40, v[10:11]
	v_fma_f64 v[24:25], v[10:11], s[4:5], v[24:25]
	v_fma_f64 v[28:29], v[20:21], s[4:5], v[28:29]
	;; [unrolled: 1-line block ×4, first 2 shown]
	s_mov_b32 s4, 0x623fde64
	s_mov_b32 s5, 0x3ec71dee
	v_fma_f64 v[32:33], v[24:25], s[6:7], s[2:3]
	v_fma_f64 v[36:37], v[28:29], s[6:7], s[2:3]
	;; [unrolled: 1-line block ×4, first 2 shown]
	s_mov_b32 s2, 0x7c89e6b0
	s_mov_b32 s3, 0x3efa0199
	v_cmp_nlt_f64_e64 s6, 0x40900000, v[6:7]
	v_cmp_ngt_f64_e64 s7, 0xc090cc00, v[6:7]
	v_fma_f64 v[32:33], v[24:25], v[32:33], s[4:5]
	v_fma_f64 v[36:37], v[28:29], v[36:37], s[4:5]
	v_fma_f64 v[34:35], v[26:27], v[34:35], s[4:5]
	v_fma_f64 v[38:39], v[30:31], v[38:39], s[4:5]
	s_mov_b32 s4, 0x14761f6e
	s_mov_b32 s5, 0x3f2a01a0
	v_fma_f64 v[32:33], v[24:25], v[32:33], s[2:3]
	v_fma_f64 v[36:37], v[28:29], v[36:37], s[2:3]
	v_fma_f64 v[34:35], v[26:27], v[34:35], s[2:3]
	v_fma_f64 v[38:39], v[30:31], v[38:39], s[2:3]
	s_mov_b32 s2, 0x1852b7b0
	s_mov_b32 s3, 0x3f56c16c
	;; [unrolled: 6-line block ×6, first 2 shown]
	v_fma_f64 v[32:33], v[24:25], v[32:33], s[4:5]
	v_fma_f64 v[36:37], v[28:29], v[36:37], s[4:5]
	;; [unrolled: 1-line block ×4, first 2 shown]
	v_cmp_nlt_f64_e64 s4, 0x40900000, v[4:5]
	v_cmp_ngt_f64_e64 s5, 0xc090cc00, v[4:5]
	v_fma_f64 v[32:33], v[24:25], v[32:33], s[2:3]
	v_fma_f64 v[36:37], v[28:29], v[36:37], s[2:3]
	;; [unrolled: 1-line block ×4, first 2 shown]
	v_cmp_nlt_f64_e64 s2, 0x40900000, v[8:9]
	v_cmp_ngt_f64_e64 s3, 0xc090cc00, v[8:9]
	v_fma_f64 v[32:33], v[24:25], v[32:33], 1.0
	v_fma_f64 v[36:37], v[28:29], v[36:37], 1.0
	;; [unrolled: 1-line block ×5, first 2 shown]
	v_cvt_i32_f64_e32 v24, v[16:17]
	v_fma_f64 v[16:17], v[26:27], v[34:35], 1.0
	v_cvt_i32_f64_e32 v25, v[20:21]
	v_fma_f64 v[20:21], v[28:29], v[36:37], 1.0
	;; [unrolled: 2-line block ×3, first 2 shown]
	v_ldexp_f64 v[10:11], v[10:11], v40
	v_ldexp_f64 v[16:17], v[16:17], v24
	;; [unrolled: 1-line block ×4, first 2 shown]
	v_add_f64 v[10:11], v[10:11], 0
	v_add_f64 v[16:17], v[16:17], 0
	v_cndmask_b32_e64 v21, 0x7ff00000, v21, s2
	s_and_b32 s2, s3, s2
	v_cndmask_b32_e64 v23, 0x7ff00000, v23, s4
	v_cndmask_b32_e64 v20, 0, v20, s2
	s_and_b32 s2, s5, s4
	v_cndmask_b32_e64 v21, 0, v21, s3
	;; [unrolled: 3-line block ×3, first 2 shown]
	v_cndmask_b32_e64 v11, 0x7ff00000, v11, s6
	v_cndmask_b32_e64 v10, 0, v10, s2
	;; [unrolled: 1-line block ×3, first 2 shown]
	s_and_b32 s2, s9, s8
	v_cndmask_b32_e64 v11, 0, v11, s7
	v_cndmask_b32_e64 v16, 0, v16, s2
	;; [unrolled: 1-line block ×3, first 2 shown]
	v_add_f64 v[10:11], v[10:11], v[20:21]
	v_add_f64 v[16:17], v[16:17], v[22:23]
	ds_bpermute_b32 v20, v12, v10
	ds_bpermute_b32 v21, v12, v11
	ds_bpermute_b32 v22, v12, v16
	ds_bpermute_b32 v23, v12, v17
	s_waitcnt lgkmcnt(2)
	v_add_f64 v[10:11], v[10:11], v[20:21]
	s_waitcnt lgkmcnt(0)
	v_add_f64 v[16:17], v[16:17], v[22:23]
	ds_bpermute_b32 v20, v13, v10
	ds_bpermute_b32 v21, v13, v11
	ds_bpermute_b32 v12, v13, v16
	ds_bpermute_b32 v13, v13, v17
	s_waitcnt lgkmcnt(2)
	v_add_f64 v[10:11], v[10:11], v[20:21]
	s_waitcnt lgkmcnt(0)
	;; [unrolled: 8-line block ×4, first 2 shown]
	v_add_f64 v[10:11], v[12:13], v[20:21]
	ds_bpermute_b32 v16, v19, v14
	ds_bpermute_b32 v17, v19, v15
	;; [unrolled: 1-line block ×4, first 2 shown]
	s_and_saveexec_b32 s2, s1
	s_cbranch_execz .LBB13_16
; %bb.9:
	v_add_co_u32 v2, s1, s12, v2
	v_add_co_ci_u32_e64 v3, null, s13, v3, s1
	s_and_saveexec_b32 s2, s0
	s_cbranch_execz .LBB13_12
; %bb.10:
	s_waitcnt lgkmcnt(2)
	v_add_f64 v[15:16], v[14:15], v[16:17]
	s_mov_b32 s5, 0x3fe55555
	s_mov_b32 s4, 0x55555555
	;; [unrolled: 1-line block ×6, first 2 shown]
	v_frexp_mant_f64_e32 v[19:20], v[15:16]
	v_cmp_gt_f64_e64 s1, s[4:5], v[19:20]
	s_mov_b32 s4, 0x55555780
	v_cndmask_b32_e64 v14, 0, 1, s1
	v_ldexp_f64 v[19:20], v[19:20], v14
	v_frexp_exp_i32_f64_e32 v14, v[15:16]
	v_add_f64 v[21:22], v[19:20], 1.0
	v_add_f64 v[27:28], v[19:20], -1.0
	v_subrev_co_ci_u32_e64 v14, null, 0, v14, s1
	v_cmp_class_f64_e64 s1, v[15:16], 0x204
	v_rcp_f64_e32 v[23:24], v[21:22]
	v_add_f64 v[29:30], v[21:22], -1.0
	v_add_f64 v[19:20], v[19:20], -v[29:30]
	v_fma_f64 v[25:26], -v[21:22], v[23:24], 1.0
	v_fma_f64 v[23:24], v[25:26], v[23:24], v[23:24]
	v_fma_f64 v[25:26], -v[21:22], v[23:24], 1.0
	v_fma_f64 v[23:24], v[25:26], v[23:24], v[23:24]
	v_mul_f64 v[25:26], v[27:28], v[23:24]
	v_mul_f64 v[31:32], v[21:22], v[25:26]
	v_fma_f64 v[21:22], v[25:26], v[21:22], -v[31:32]
	v_fma_f64 v[19:20], v[25:26], v[19:20], v[21:22]
	v_add_f64 v[21:22], v[31:32], v[19:20]
	v_add_f64 v[29:30], v[27:28], -v[21:22]
	v_add_f64 v[31:32], v[21:22], -v[31:32]
	;; [unrolled: 1-line block ×5, first 2 shown]
	v_add_f64 v[19:20], v[19:20], v[21:22]
	v_add_f64 v[19:20], v[29:30], v[19:20]
	v_mul_f64 v[19:20], v[23:24], v[19:20]
	v_add_f64 v[21:22], v[25:26], v[19:20]
	v_mul_f64 v[23:24], v[21:22], v[21:22]
	v_fma_f64 v[27:28], v[23:24], s[8:9], s[6:7]
	s_mov_b32 s6, 0xd7f4df2e
	s_mov_b32 s7, 0x3fc7474d
	v_mul_f64 v[29:30], v[21:22], v[23:24]
	v_fma_f64 v[27:28], v[23:24], v[27:28], s[6:7]
	s_mov_b32 s6, 0x16291751
	s_mov_b32 s7, 0x3fcc71c0
	v_fma_f64 v[27:28], v[23:24], v[27:28], s[6:7]
	s_mov_b32 s6, 0x9b27acf1
	s_mov_b32 s7, 0x3fd24924
	;; [unrolled: 3-line block ×3, first 2 shown]
	v_fma_f64 v[27:28], v[23:24], v[27:28], s[6:7]
	v_fma_f64 v[23:24], v[23:24], v[27:28], s[4:5]
	v_ldexp_f64 v[27:28], v[21:22], 1
	v_add_f64 v[21:22], v[21:22], -v[25:26]
	s_mov_b32 s4, 0xfefa39ef
	s_mov_b32 s5, 0x3fe62e42
	v_mul_f64 v[23:24], v[29:30], v[23:24]
	v_cvt_f64_i32_e32 v[29:30], v14
	v_add_f64 v[19:20], v[19:20], -v[21:22]
	v_add_f64 v[25:26], v[27:28], v[23:24]
	v_mul_f64 v[31:32], v[29:30], s[4:5]
	v_ldexp_f64 v[19:20], v[19:20], 1
	v_add_f64 v[21:22], v[25:26], -v[27:28]
	v_fma_f64 v[27:28], v[29:30], s[4:5], -v[31:32]
	s_mov_b32 s4, 0x3b39803f
	s_mov_b32 s5, 0x3c7abc9e
	v_add_f64 v[21:22], v[23:24], -v[21:22]
	v_fma_f64 v[23:24], v[29:30], s[4:5], v[27:28]
	v_add_f64 v[19:20], v[19:20], v[21:22]
	v_add_f64 v[21:22], v[31:32], v[23:24]
	;; [unrolled: 1-line block ×3, first 2 shown]
	v_add_f64 v[31:32], v[21:22], -v[31:32]
	v_add_f64 v[29:30], v[21:22], v[27:28]
	v_add_f64 v[25:26], v[27:28], -v[25:26]
	v_add_f64 v[23:24], v[23:24], -v[31:32]
	;; [unrolled: 1-line block ×6, first 2 shown]
	v_add_f64 v[27:28], v[23:24], v[19:20]
	v_add_f64 v[21:22], v[21:22], -v[35:36]
	v_add_f64 v[21:22], v[25:26], v[21:22]
	v_add_f64 v[25:26], v[27:28], -v[23:24]
	;; [unrolled: 2-line block ×3, first 2 shown]
	v_add_f64 v[19:20], v[19:20], -v[25:26]
	v_add_f64 v[31:32], v[29:30], v[21:22]
	v_add_f64 v[23:24], v[23:24], -v[27:28]
	v_add_f64 v[25:26], v[31:32], -v[29:30]
	v_add_f64 v[19:20], v[19:20], v[23:24]
	v_add_f64 v[21:22], v[21:22], -v[25:26]
	v_add_f64 v[19:20], v[19:20], v[21:22]
	v_add_f64 v[19:20], v[31:32], v[19:20]
	v_cndmask_b32_e64 v14, v19, v15, s1
	v_cndmask_b32_e64 v17, v20, v16, s1
	v_cmp_ngt_f64_e64 s1, 0, v[15:16]
	v_cndmask_b32_e64 v17, 0x7ff80000, v17, s1
	v_cmp_nge_f64_e64 s1, 0, v[15:16]
	v_cndmask_b32_e64 v14, 0, v14, s1
	v_cmp_neq_f64_e64 s1, 0, v[15:16]
	v_cndmask_b32_e64 v15, 0xfff00000, v17, s1
	v_add_f64 v[6:7], v[6:7], -v[14:15]
	global_store_dwordx2 v[2:3], v[6:7], off
	s_and_b32 exec_lo, exec_lo, vcc_lo
	s_cbranch_execz .LBB13_12
; %bb.11:
	v_add_f64 v[6:7], v[8:9], -v[14:15]
	global_store_dwordx2 v[2:3], v[6:7], off offset:256
.LBB13_12:
	s_or_b32 exec_lo, exec_lo, s2
	v_cmp_ne_u32_e64 s1, 1, v18
	s_and_b32 exec_lo, exec_lo, s1
	s_cbranch_execz .LBB13_16
; %bb.13:
	s_and_b32 exec_lo, exec_lo, s0
	s_cbranch_execz .LBB13_16
; %bb.14:
	s_waitcnt lgkmcnt(0)
	v_add_f64 v[7:8], v[10:11], v[12:13]
	s_mov_b32 s3, 0x3fe55555
	s_mov_b32 s2, 0x55555555
	;; [unrolled: 1-line block ×7, first 2 shown]
	v_frexp_mant_f64_e32 v[9:10], v[7:8]
	v_cmp_gt_f64_e64 s0, s[2:3], v[9:10]
	s_mov_b32 s2, 0x55555780
	v_cndmask_b32_e64 v6, 0, 1, s0
	v_ldexp_f64 v[9:10], v[9:10], v6
	v_frexp_exp_i32_f64_e32 v6, v[7:8]
	v_add_f64 v[11:12], v[9:10], 1.0
	v_add_f64 v[17:18], v[9:10], -1.0
	v_subrev_co_ci_u32_e64 v6, null, 0, v6, s0
	s_mov_b32 s0, 0xfefa39ef
	s_mov_b32 s1, 0x3fe62e42
	v_rcp_f64_e32 v[13:14], v[11:12]
	v_add_f64 v[19:20], v[11:12], -1.0
	v_add_f64 v[9:10], v[9:10], -v[19:20]
	v_fma_f64 v[15:16], -v[11:12], v[13:14], 1.0
	v_fma_f64 v[13:14], v[15:16], v[13:14], v[13:14]
	v_fma_f64 v[15:16], -v[11:12], v[13:14], 1.0
	v_fma_f64 v[13:14], v[15:16], v[13:14], v[13:14]
	v_mul_f64 v[15:16], v[17:18], v[13:14]
	v_mul_f64 v[21:22], v[11:12], v[15:16]
	v_fma_f64 v[11:12], v[15:16], v[11:12], -v[21:22]
	v_fma_f64 v[9:10], v[15:16], v[9:10], v[11:12]
	v_add_f64 v[11:12], v[21:22], v[9:10]
	v_add_f64 v[19:20], v[17:18], -v[11:12]
	v_add_f64 v[21:22], v[11:12], -v[21:22]
	;; [unrolled: 1-line block ×5, first 2 shown]
	v_add_f64 v[9:10], v[9:10], v[11:12]
	v_add_f64 v[9:10], v[19:20], v[9:10]
	v_mul_f64 v[9:10], v[13:14], v[9:10]
	v_add_f64 v[11:12], v[15:16], v[9:10]
	v_mul_f64 v[13:14], v[11:12], v[11:12]
	v_fma_f64 v[17:18], v[13:14], s[6:7], s[4:5]
	s_mov_b32 s4, 0xd7f4df2e
	s_mov_b32 s5, 0x3fc7474d
	v_mul_f64 v[19:20], v[11:12], v[13:14]
	v_fma_f64 v[17:18], v[13:14], v[17:18], s[4:5]
	s_mov_b32 s4, 0x16291751
	s_mov_b32 s5, 0x3fcc71c0
	v_fma_f64 v[17:18], v[13:14], v[17:18], s[4:5]
	s_mov_b32 s4, 0x9b27acf1
	s_mov_b32 s5, 0x3fd24924
	;; [unrolled: 3-line block ×3, first 2 shown]
	v_fma_f64 v[17:18], v[13:14], v[17:18], s[4:5]
	v_fma_f64 v[13:14], v[13:14], v[17:18], s[2:3]
	v_ldexp_f64 v[17:18], v[11:12], 1
	v_add_f64 v[11:12], v[11:12], -v[15:16]
	v_mul_f64 v[13:14], v[19:20], v[13:14]
	v_cvt_f64_i32_e32 v[19:20], v6
	v_add_f64 v[9:10], v[9:10], -v[11:12]
	v_add_f64 v[15:16], v[17:18], v[13:14]
	v_mul_f64 v[21:22], v[19:20], s[0:1]
	v_ldexp_f64 v[9:10], v[9:10], 1
	v_add_f64 v[11:12], v[15:16], -v[17:18]
	v_fma_f64 v[17:18], v[19:20], s[0:1], -v[21:22]
	s_mov_b32 s0, 0x3b39803f
	s_mov_b32 s1, 0x3c7abc9e
	v_add_f64 v[11:12], v[13:14], -v[11:12]
	v_fma_f64 v[13:14], v[19:20], s[0:1], v[17:18]
	v_cmp_class_f64_e64 s0, v[7:8], 0x204
	v_add_f64 v[9:10], v[9:10], v[11:12]
	v_add_f64 v[11:12], v[21:22], v[13:14]
	;; [unrolled: 1-line block ×3, first 2 shown]
	v_add_f64 v[21:22], v[11:12], -v[21:22]
	v_add_f64 v[19:20], v[11:12], v[17:18]
	v_add_f64 v[15:16], v[17:18], -v[15:16]
	v_add_f64 v[13:14], v[13:14], -v[21:22]
	;; [unrolled: 1-line block ×6, first 2 shown]
	v_add_f64 v[17:18], v[13:14], v[9:10]
	v_add_f64 v[11:12], v[11:12], -v[25:26]
	v_add_f64 v[11:12], v[15:16], v[11:12]
	v_add_f64 v[15:16], v[17:18], -v[13:14]
	;; [unrolled: 2-line block ×3, first 2 shown]
	v_add_f64 v[9:10], v[9:10], -v[15:16]
	v_add_f64 v[21:22], v[19:20], v[11:12]
	v_add_f64 v[13:14], v[13:14], -v[17:18]
	v_add_f64 v[15:16], v[21:22], -v[19:20]
	v_add_f64 v[9:10], v[9:10], v[13:14]
	v_add_f64 v[11:12], v[11:12], -v[15:16]
	v_add_f64 v[9:10], v[9:10], v[11:12]
	v_add_f64 v[9:10], v[21:22], v[9:10]
	v_cndmask_b32_e64 v6, v9, v7, s0
	v_cndmask_b32_e64 v9, v10, v8, s0
	v_cmp_ngt_f64_e64 s0, 0, v[7:8]
	v_cndmask_b32_e64 v9, 0x7ff80000, v9, s0
	v_cmp_nge_f64_e64 s0, 0, v[7:8]
	v_cndmask_b32_e64 v6, 0, v6, s0
	v_cmp_neq_f64_e64 s0, 0, v[7:8]
	v_cndmask_b32_e64 v7, 0xfff00000, v9, s0
	s_lshl_b64 s[0:1], s[18:19], 3
	v_add_f64 v[8:9], v[0:1], -v[6:7]
	v_add_co_u32 v0, s0, v2, s0
	v_add_co_ci_u32_e64 v1, null, s1, v3, s0
	global_store_dwordx2 v[0:1], v[8:9], off
	s_and_b32 exec_lo, exec_lo, vcc_lo
	s_cbranch_execz .LBB13_16
; %bb.15:
	v_add_f64 v[2:3], v[4:5], -v[6:7]
	global_store_dwordx2 v[0:1], v[2:3], off offset:256
.LBB13_16:
	s_endpgm
	.section	.rodata,"a",@progbits
	.p2align	6, 0x0
	.amdhsa_kernel _ZN12_GLOBAL__N_120softmax_warp_forwardIdddLi6ELb1ELb0ELi32EEEvPT0_PKT_iiiPKbib
		.amdhsa_group_segment_fixed_size 0
		.amdhsa_private_segment_fixed_size 0
		.amdhsa_kernarg_size 304
		.amdhsa_user_sgpr_count 6
		.amdhsa_user_sgpr_private_segment_buffer 1
		.amdhsa_user_sgpr_dispatch_ptr 0
		.amdhsa_user_sgpr_queue_ptr 0
		.amdhsa_user_sgpr_kernarg_segment_ptr 1
		.amdhsa_user_sgpr_dispatch_id 0
		.amdhsa_user_sgpr_flat_scratch_init 0
		.amdhsa_user_sgpr_private_segment_size 0
		.amdhsa_wavefront_size32 1
		.amdhsa_uses_dynamic_stack 0
		.amdhsa_system_sgpr_private_segment_wavefront_offset 0
		.amdhsa_system_sgpr_workgroup_id_x 1
		.amdhsa_system_sgpr_workgroup_id_y 0
		.amdhsa_system_sgpr_workgroup_id_z 0
		.amdhsa_system_sgpr_workgroup_info 0
		.amdhsa_system_vgpr_workitem_id 1
		.amdhsa_next_free_vgpr 41
		.amdhsa_next_free_sgpr 20
		.amdhsa_reserve_vcc 1
		.amdhsa_reserve_flat_scratch 0
		.amdhsa_float_round_mode_32 0
		.amdhsa_float_round_mode_16_64 0
		.amdhsa_float_denorm_mode_32 3
		.amdhsa_float_denorm_mode_16_64 3
		.amdhsa_dx10_clamp 1
		.amdhsa_ieee_mode 1
		.amdhsa_fp16_overflow 0
		.amdhsa_workgroup_processor_mode 1
		.amdhsa_memory_ordered 1
		.amdhsa_forward_progress 1
		.amdhsa_shared_vgpr_count 0
		.amdhsa_exception_fp_ieee_invalid_op 0
		.amdhsa_exception_fp_denorm_src 0
		.amdhsa_exception_fp_ieee_div_zero 0
		.amdhsa_exception_fp_ieee_overflow 0
		.amdhsa_exception_fp_ieee_underflow 0
		.amdhsa_exception_fp_ieee_inexact 0
		.amdhsa_exception_int_div_zero 0
	.end_amdhsa_kernel
	.section	.text._ZN12_GLOBAL__N_120softmax_warp_forwardIdddLi6ELb1ELb0ELi32EEEvPT0_PKT_iiiPKbib,"axG",@progbits,_ZN12_GLOBAL__N_120softmax_warp_forwardIdddLi6ELb1ELb0ELi32EEEvPT0_PKT_iiiPKbib,comdat
.Lfunc_end13:
	.size	_ZN12_GLOBAL__N_120softmax_warp_forwardIdddLi6ELb1ELb0ELi32EEEvPT0_PKT_iiiPKbib, .Lfunc_end13-_ZN12_GLOBAL__N_120softmax_warp_forwardIdddLi6ELb1ELb0ELi32EEEvPT0_PKT_iiiPKbib
                                        ; -- End function
	.set _ZN12_GLOBAL__N_120softmax_warp_forwardIdddLi6ELb1ELb0ELi32EEEvPT0_PKT_iiiPKbib.num_vgpr, 41
	.set _ZN12_GLOBAL__N_120softmax_warp_forwardIdddLi6ELb1ELb0ELi32EEEvPT0_PKT_iiiPKbib.num_agpr, 0
	.set _ZN12_GLOBAL__N_120softmax_warp_forwardIdddLi6ELb1ELb0ELi32EEEvPT0_PKT_iiiPKbib.numbered_sgpr, 20
	.set _ZN12_GLOBAL__N_120softmax_warp_forwardIdddLi6ELb1ELb0ELi32EEEvPT0_PKT_iiiPKbib.num_named_barrier, 0
	.set _ZN12_GLOBAL__N_120softmax_warp_forwardIdddLi6ELb1ELb0ELi32EEEvPT0_PKT_iiiPKbib.private_seg_size, 0
	.set _ZN12_GLOBAL__N_120softmax_warp_forwardIdddLi6ELb1ELb0ELi32EEEvPT0_PKT_iiiPKbib.uses_vcc, 1
	.set _ZN12_GLOBAL__N_120softmax_warp_forwardIdddLi6ELb1ELb0ELi32EEEvPT0_PKT_iiiPKbib.uses_flat_scratch, 0
	.set _ZN12_GLOBAL__N_120softmax_warp_forwardIdddLi6ELb1ELb0ELi32EEEvPT0_PKT_iiiPKbib.has_dyn_sized_stack, 0
	.set _ZN12_GLOBAL__N_120softmax_warp_forwardIdddLi6ELb1ELb0ELi32EEEvPT0_PKT_iiiPKbib.has_recursion, 0
	.set _ZN12_GLOBAL__N_120softmax_warp_forwardIdddLi6ELb1ELb0ELi32EEEvPT0_PKT_iiiPKbib.has_indirect_call, 0
	.section	.AMDGPU.csdata,"",@progbits
; Kernel info:
; codeLenInByte = 4008
; TotalNumSgprs: 22
; NumVgprs: 41
; ScratchSize: 0
; MemoryBound: 0
; FloatMode: 240
; IeeeMode: 1
; LDSByteSize: 0 bytes/workgroup (compile time only)
; SGPRBlocks: 0
; VGPRBlocks: 5
; NumSGPRsForWavesPerEU: 22
; NumVGPRsForWavesPerEU: 41
; Occupancy: 16
; WaveLimiterHint : 0
; COMPUTE_PGM_RSRC2:SCRATCH_EN: 0
; COMPUTE_PGM_RSRC2:USER_SGPR: 6
; COMPUTE_PGM_RSRC2:TRAP_HANDLER: 0
; COMPUTE_PGM_RSRC2:TGID_X_EN: 1
; COMPUTE_PGM_RSRC2:TGID_Y_EN: 0
; COMPUTE_PGM_RSRC2:TGID_Z_EN: 0
; COMPUTE_PGM_RSRC2:TIDIG_COMP_CNT: 1
	.section	.text._ZN12_GLOBAL__N_120softmax_warp_forwardIdddLi7ELb1ELb0ELi64EEEvPT0_PKT_iiiPKbib,"axG",@progbits,_ZN12_GLOBAL__N_120softmax_warp_forwardIdddLi7ELb1ELb0ELi64EEEvPT0_PKT_iiiPKbib,comdat
	.globl	_ZN12_GLOBAL__N_120softmax_warp_forwardIdddLi7ELb1ELb0ELi64EEEvPT0_PKT_iiiPKbib ; -- Begin function _ZN12_GLOBAL__N_120softmax_warp_forwardIdddLi7ELb1ELb0ELi64EEEvPT0_PKT_iiiPKbib
	.p2align	8
	.type	_ZN12_GLOBAL__N_120softmax_warp_forwardIdddLi7ELb1ELb0ELi64EEEvPT0_PKT_iiiPKbib,@function
_ZN12_GLOBAL__N_120softmax_warp_forwardIdddLi7ELb1ELb0ELi64EEEvPT0_PKT_iiiPKbib: ; @_ZN12_GLOBAL__N_120softmax_warp_forwardIdddLi7ELb1ELb0ELi64EEEvPT0_PKT_iiiPKbib
; %bb.0:
	s_clause 0x1
	s_load_dword s0, s[4:5], 0x3c
	s_load_dwordx8 s[12:19], s[4:5], 0x0
	v_mov_b32_e32 v5, 0
	v_mov_b32_e32 v7, 0
	v_mov_b32_e32 v6, 0xfff00000
	v_mov_b32_e32 v8, 0xfff00000
	s_waitcnt lgkmcnt(0)
	s_lshr_b32 s0, s0, 16
	s_and_b32 s0, s0, 0xffff
	s_mul_i32 s6, s6, s0
	v_cmp_gt_i32_e64 s0, s18, v0
	v_add_lshl_u32 v3, s6, v1, 1
	v_mad_u64_u32 v[1:2], null, v3, s17, v[0:1]
	v_sub_nc_u32_e32 v19, s16, v3
	v_cmp_lt_i32_e64 s1, 0, v19
	v_ashrrev_i32_e32 v2, 31, v1
	s_and_b32 s3, s1, s0
	v_lshlrev_b64 v[1:2], 3, v[1:2]
	v_add_co_u32 v9, vcc_lo, s14, v1
	v_add_co_ci_u32_e64 v10, null, s15, v2, vcc_lo
	s_and_saveexec_b32 s2, s3
	s_cbranch_execz .LBB14_2
; %bb.1:
	global_load_dwordx2 v[7:8], v[9:10], off
.LBB14_2:
	s_or_b32 exec_lo, exec_lo, s2
	v_add_nc_u32_e32 v0, 64, v0
	v_cmp_gt_i32_e32 vcc_lo, s18, v0
	s_and_b32 s3, s1, vcc_lo
	s_and_saveexec_b32 s2, s3
	s_cbranch_execz .LBB14_4
; %bb.3:
	global_load_dwordx2 v[5:6], v[9:10], off offset:512
.LBB14_4:
	s_or_b32 exec_lo, exec_lo, s2
	v_cmp_lt_i32_e64 s2, 1, v19
	v_mov_b32_e32 v11, 0
	v_mov_b32_e32 v3, 0
	;; [unrolled: 1-line block ×4, first 2 shown]
	s_and_b32 s3, s2, s0
	s_and_saveexec_b32 s4, s3
	s_cbranch_execz .LBB14_6
; %bb.5:
	s_mov_b32 s19, 0
	s_lshl_b64 s[6:7], s[18:19], 3
	v_add_co_u32 v3, s3, v9, s6
	v_add_co_ci_u32_e64 v4, null, s7, v10, s3
	global_load_dwordx2 v[3:4], v[3:4], off
.LBB14_6:
	s_or_b32 exec_lo, exec_lo, s4
	s_and_b32 s2, s2, vcc_lo
	s_and_saveexec_b32 s3, s2
	s_cbranch_execz .LBB14_8
; %bb.7:
	s_mov_b32 s19, 0
	s_lshl_b64 s[4:5], s[18:19], 3
	v_add_co_u32 v9, s2, v9, s4
	v_add_co_ci_u32_e64 v10, null, s5, v10, s2
	global_load_dwordx2 v[11:12], v[9:10], off offset:512
.LBB14_8:
	s_or_b32 exec_lo, exec_lo, s3
	s_waitcnt vmcnt(0)
	v_cmp_gt_f64_e64 s2, v[7:8], v[5:6]
	v_cmp_gt_f64_e64 s3, v[3:4], v[11:12]
	v_mbcnt_lo_u32_b32 v25, -1, 0
	s_mov_b32 s6, 0x6a5dcb37
	s_mov_b32 s7, 0x3e5ade15
	v_or_b32_e32 v0, 32, v25
	v_xor_b32_e32 v13, 16, v25
	v_cmp_gt_i32_e64 s4, 64, v0
	v_cndmask_b32_e64 v0, v25, v0, s4
	v_cmp_gt_i32_e64 s4, 64, v13
	v_lshlrev_b32_e32 v0, 2, v0
	v_cndmask_b32_e64 v10, v6, v8, s2
	v_cndmask_b32_e64 v9, v5, v7, s2
	;; [unrolled: 1-line block ×5, first 2 shown]
	ds_bpermute_b32 v17, v0, v10
	ds_bpermute_b32 v16, v0, v9
	;; [unrolled: 1-line block ×4, first 2 shown]
	v_lshlrev_b32_e32 v13, 2, v13
	s_waitcnt lgkmcnt(2)
	v_cmp_lt_f64_e64 s2, v[9:10], v[16:17]
	s_waitcnt lgkmcnt(0)
	v_cmp_lt_f64_e64 s3, v[14:15], v[20:21]
	v_cndmask_b32_e64 v10, v10, v17, s2
	v_cndmask_b32_e64 v9, v9, v16, s2
	v_cndmask_b32_e64 v16, v15, v21, s3
	v_cndmask_b32_e64 v15, v14, v20, s3
	v_xor_b32_e32 v14, 8, v25
	ds_bpermute_b32 v18, v13, v10
	ds_bpermute_b32 v17, v13, v9
	ds_bpermute_b32 v21, v13, v16
	ds_bpermute_b32 v20, v13, v15
	v_cmp_gt_i32_e64 s4, 64, v14
	v_cndmask_b32_e64 v14, v25, v14, s4
	v_lshlrev_b32_e32 v14, 2, v14
	s_waitcnt lgkmcnt(2)
	v_cmp_lt_f64_e64 s2, v[9:10], v[17:18]
	s_waitcnt lgkmcnt(0)
	v_cmp_lt_f64_e64 s3, v[15:16], v[20:21]
	v_cndmask_b32_e64 v10, v10, v18, s2
	v_cndmask_b32_e64 v9, v9, v17, s2
	v_cndmask_b32_e64 v17, v16, v21, s3
	v_cndmask_b32_e64 v16, v15, v20, s3
	v_xor_b32_e32 v15, 4, v25
	ds_bpermute_b32 v21, v14, v10
	ds_bpermute_b32 v20, v14, v9
	ds_bpermute_b32 v23, v14, v17
	ds_bpermute_b32 v22, v14, v16
	v_cmp_gt_i32_e64 s4, 64, v15
	v_cndmask_b32_e64 v15, v25, v15, s4
	;; [unrolled: 16-line block ×4, first 2 shown]
	s_mov_b32 s4, 0x3b39803f
	s_mov_b32 s5, 0xbc7abc9e
	v_lshlrev_b32_e32 v20, 2, v20
	s_waitcnt lgkmcnt(2)
	v_cmp_lt_f64_e64 s2, v[9:10], v[21:22]
	s_waitcnt lgkmcnt(0)
	v_cmp_lt_f64_e64 s3, v[17:18], v[23:24]
	v_cndmask_b32_e64 v10, v10, v22, s2
	v_cndmask_b32_e64 v9, v9, v21, s2
	;; [unrolled: 1-line block ×4, first 2 shown]
	ds_bpermute_b32 v22, v20, v10
	ds_bpermute_b32 v21, v20, v9
	;; [unrolled: 1-line block ×4, first 2 shown]
	s_waitcnt lgkmcnt(2)
	v_cmp_lt_f64_e64 s2, v[9:10], v[21:22]
	s_waitcnt lgkmcnt(0)
	v_cmp_lt_f64_e64 s3, v[17:18], v[23:24]
	v_cndmask_b32_e64 v10, v10, v22, s2
	v_cndmask_b32_e64 v9, v9, v21, s2
	;; [unrolled: 1-line block ×4, first 2 shown]
	s_mov_b32 s2, 0x652b82fe
	s_mov_b32 s3, 0x3ff71547
	v_add_f64 v[7:8], v[7:8], -v[9:10]
	v_add_f64 v[9:10], v[5:6], -v[9:10]
	;; [unrolled: 1-line block ×4, first 2 shown]
	v_mul_f64 v[11:12], v[7:8], s[2:3]
	v_mul_f64 v[21:22], v[9:10], s[2:3]
	;; [unrolled: 1-line block ×4, first 2 shown]
	s_mov_b32 s2, 0xfefa39ef
	s_mov_b32 s3, 0xbfe62e42
	v_cmp_nlt_f64_e64 s8, 0x40900000, v[3:4]
	v_cmp_ngt_f64_e64 s9, 0xc090cc00, v[3:4]
	v_rndne_f64_e32 v[11:12], v[11:12]
	v_rndne_f64_e32 v[21:22], v[21:22]
	;; [unrolled: 1-line block ×4, first 2 shown]
	v_fma_f64 v[25:26], v[11:12], s[2:3], v[7:8]
	v_fma_f64 v[29:30], v[21:22], s[2:3], v[9:10]
	;; [unrolled: 1-line block ×4, first 2 shown]
	s_mov_b32 s2, 0xfca7ab0c
	s_mov_b32 s3, 0x3e928af3
	v_cvt_i32_f64_e32 v41, v[11:12]
	v_fma_f64 v[25:26], v[11:12], s[4:5], v[25:26]
	v_fma_f64 v[29:30], v[21:22], s[4:5], v[29:30]
	v_fma_f64 v[27:28], v[17:18], s[4:5], v[27:28]
	v_fma_f64 v[31:32], v[23:24], s[4:5], v[31:32]
	s_mov_b32 s4, 0x623fde64
	s_mov_b32 s5, 0x3ec71dee
	v_fma_f64 v[33:34], v[25:26], s[6:7], s[2:3]
	v_fma_f64 v[37:38], v[29:30], s[6:7], s[2:3]
	;; [unrolled: 1-line block ×4, first 2 shown]
	s_mov_b32 s2, 0x7c89e6b0
	s_mov_b32 s3, 0x3efa0199
	v_cmp_nlt_f64_e64 s6, 0x40900000, v[7:8]
	v_cmp_ngt_f64_e64 s7, 0xc090cc00, v[7:8]
	v_fma_f64 v[33:34], v[25:26], v[33:34], s[4:5]
	v_fma_f64 v[37:38], v[29:30], v[37:38], s[4:5]
	v_fma_f64 v[35:36], v[27:28], v[35:36], s[4:5]
	v_fma_f64 v[39:40], v[31:32], v[39:40], s[4:5]
	s_mov_b32 s4, 0x14761f6e
	s_mov_b32 s5, 0x3f2a01a0
	v_fma_f64 v[33:34], v[25:26], v[33:34], s[2:3]
	v_fma_f64 v[37:38], v[29:30], v[37:38], s[2:3]
	v_fma_f64 v[35:36], v[27:28], v[35:36], s[2:3]
	v_fma_f64 v[39:40], v[31:32], v[39:40], s[2:3]
	s_mov_b32 s2, 0x1852b7b0
	s_mov_b32 s3, 0x3f56c16c
	;; [unrolled: 6-line block ×6, first 2 shown]
	v_fma_f64 v[33:34], v[25:26], v[33:34], s[4:5]
	v_fma_f64 v[37:38], v[29:30], v[37:38], s[4:5]
	;; [unrolled: 1-line block ×4, first 2 shown]
	v_cmp_nlt_f64_e64 s4, 0x40900000, v[5:6]
	v_cmp_ngt_f64_e64 s5, 0xc090cc00, v[5:6]
	v_fma_f64 v[33:34], v[25:26], v[33:34], s[2:3]
	v_fma_f64 v[37:38], v[29:30], v[37:38], s[2:3]
	;; [unrolled: 1-line block ×4, first 2 shown]
	v_cmp_nlt_f64_e64 s2, 0x40900000, v[9:10]
	v_cmp_ngt_f64_e64 s3, 0xc090cc00, v[9:10]
	v_fma_f64 v[33:34], v[25:26], v[33:34], 1.0
	v_fma_f64 v[37:38], v[29:30], v[37:38], 1.0
	;; [unrolled: 1-line block ×5, first 2 shown]
	v_cvt_i32_f64_e32 v25, v[17:18]
	v_fma_f64 v[17:18], v[27:28], v[35:36], 1.0
	v_cvt_i32_f64_e32 v26, v[21:22]
	v_fma_f64 v[21:22], v[29:30], v[37:38], 1.0
	;; [unrolled: 2-line block ×3, first 2 shown]
	v_ldexp_f64 v[11:12], v[11:12], v41
	v_ldexp_f64 v[17:18], v[17:18], v25
	;; [unrolled: 1-line block ×4, first 2 shown]
	v_add_f64 v[11:12], v[11:12], 0
	v_add_f64 v[17:18], v[17:18], 0
	v_cndmask_b32_e64 v22, 0x7ff00000, v22, s2
	s_and_b32 s2, s3, s2
	v_cndmask_b32_e64 v24, 0x7ff00000, v24, s4
	v_cndmask_b32_e64 v21, 0, v21, s2
	s_and_b32 s2, s5, s4
	v_cndmask_b32_e64 v22, 0, v22, s3
	;; [unrolled: 3-line block ×3, first 2 shown]
	v_cndmask_b32_e64 v12, 0x7ff00000, v12, s6
	v_cndmask_b32_e64 v11, 0, v11, s2
	v_cndmask_b32_e64 v18, 0x7ff00000, v18, s8
	s_and_b32 s2, s9, s8
	v_cndmask_b32_e64 v12, 0, v12, s7
	v_cndmask_b32_e64 v17, 0, v17, s2
	;; [unrolled: 1-line block ×3, first 2 shown]
	v_add_f64 v[11:12], v[11:12], v[21:22]
	v_add_f64 v[17:18], v[17:18], v[23:24]
	ds_bpermute_b32 v21, v0, v11
	ds_bpermute_b32 v22, v0, v12
	ds_bpermute_b32 v23, v0, v17
	ds_bpermute_b32 v24, v0, v18
	s_waitcnt lgkmcnt(2)
	v_add_f64 v[11:12], v[11:12], v[21:22]
	s_waitcnt lgkmcnt(0)
	v_add_f64 v[17:18], v[17:18], v[23:24]
	ds_bpermute_b32 v21, v13, v11
	ds_bpermute_b32 v22, v13, v12
	ds_bpermute_b32 v23, v13, v17
	ds_bpermute_b32 v24, v13, v18
	s_waitcnt lgkmcnt(2)
	v_add_f64 v[11:12], v[11:12], v[21:22]
	s_waitcnt lgkmcnt(0)
	v_add_f64 v[17:18], v[17:18], v[23:24]
	ds_bpermute_b32 v21, v14, v11
	ds_bpermute_b32 v22, v14, v12
	ds_bpermute_b32 v13, v14, v17
	ds_bpermute_b32 v14, v14, v18
	s_waitcnt lgkmcnt(2)
	v_add_f64 v[11:12], v[11:12], v[21:22]
	s_waitcnt lgkmcnt(0)
	v_add_f64 v[13:14], v[17:18], v[13:14]
	ds_bpermute_b32 v17, v15, v11
	ds_bpermute_b32 v18, v15, v12
	ds_bpermute_b32 v21, v15, v13
	ds_bpermute_b32 v22, v15, v14
	s_waitcnt lgkmcnt(2)
	v_add_f64 v[11:12], v[11:12], v[17:18]
	s_waitcnt lgkmcnt(0)
	v_add_f64 v[13:14], v[13:14], v[21:22]
	ds_bpermute_b32 v17, v16, v11
	ds_bpermute_b32 v18, v16, v12
	ds_bpermute_b32 v21, v16, v13
	ds_bpermute_b32 v22, v16, v14
	s_waitcnt lgkmcnt(2)
	v_add_f64 v[15:16], v[11:12], v[17:18]
	s_waitcnt lgkmcnt(0)
	v_add_f64 v[11:12], v[13:14], v[21:22]
	ds_bpermute_b32 v17, v20, v15
	ds_bpermute_b32 v18, v20, v16
	;; [unrolled: 1-line block ×4, first 2 shown]
	s_and_saveexec_b32 s2, s1
	s_cbranch_execz .LBB14_16
; %bb.9:
	v_add_co_u32 v0, s1, s12, v1
	v_add_co_ci_u32_e64 v1, null, s13, v2, s1
	s_and_saveexec_b32 s2, s0
	s_cbranch_execz .LBB14_12
; %bb.10:
	s_waitcnt lgkmcnt(2)
	v_add_f64 v[16:17], v[15:16], v[17:18]
	s_mov_b32 s5, 0x3fe55555
	s_mov_b32 s4, 0x55555555
	;; [unrolled: 1-line block ×6, first 2 shown]
	v_frexp_mant_f64_e32 v[20:21], v[16:17]
	v_cmp_gt_f64_e64 s1, s[4:5], v[20:21]
	s_mov_b32 s4, 0x55555780
	v_cndmask_b32_e64 v2, 0, 1, s1
	v_ldexp_f64 v[20:21], v[20:21], v2
	v_frexp_exp_i32_f64_e32 v2, v[16:17]
	v_add_f64 v[22:23], v[20:21], 1.0
	v_add_f64 v[28:29], v[20:21], -1.0
	v_subrev_co_ci_u32_e64 v2, null, 0, v2, s1
	v_cmp_class_f64_e64 s1, v[16:17], 0x204
	v_rcp_f64_e32 v[24:25], v[22:23]
	v_add_f64 v[30:31], v[22:23], -1.0
	v_add_f64 v[20:21], v[20:21], -v[30:31]
	v_fma_f64 v[26:27], -v[22:23], v[24:25], 1.0
	v_fma_f64 v[24:25], v[26:27], v[24:25], v[24:25]
	v_fma_f64 v[26:27], -v[22:23], v[24:25], 1.0
	v_fma_f64 v[24:25], v[26:27], v[24:25], v[24:25]
	v_mul_f64 v[26:27], v[28:29], v[24:25]
	v_mul_f64 v[32:33], v[22:23], v[26:27]
	v_fma_f64 v[22:23], v[26:27], v[22:23], -v[32:33]
	v_fma_f64 v[20:21], v[26:27], v[20:21], v[22:23]
	v_add_f64 v[22:23], v[32:33], v[20:21]
	v_add_f64 v[30:31], v[28:29], -v[22:23]
	v_add_f64 v[32:33], v[22:23], -v[32:33]
	;; [unrolled: 1-line block ×5, first 2 shown]
	v_add_f64 v[20:21], v[20:21], v[22:23]
	v_add_f64 v[20:21], v[30:31], v[20:21]
	v_mul_f64 v[20:21], v[24:25], v[20:21]
	v_add_f64 v[22:23], v[26:27], v[20:21]
	v_mul_f64 v[24:25], v[22:23], v[22:23]
	v_fma_f64 v[28:29], v[24:25], s[8:9], s[6:7]
	s_mov_b32 s6, 0xd7f4df2e
	s_mov_b32 s7, 0x3fc7474d
	v_mul_f64 v[30:31], v[22:23], v[24:25]
	v_fma_f64 v[28:29], v[24:25], v[28:29], s[6:7]
	s_mov_b32 s6, 0x16291751
	s_mov_b32 s7, 0x3fcc71c0
	v_fma_f64 v[28:29], v[24:25], v[28:29], s[6:7]
	s_mov_b32 s6, 0x9b27acf1
	s_mov_b32 s7, 0x3fd24924
	v_fma_f64 v[28:29], v[24:25], v[28:29], s[6:7]
	s_mov_b32 s6, 0x998ef7b6
	s_mov_b32 s7, 0x3fd99999
	v_fma_f64 v[28:29], v[24:25], v[28:29], s[6:7]
	v_fma_f64 v[24:25], v[24:25], v[28:29], s[4:5]
	v_ldexp_f64 v[28:29], v[22:23], 1
	v_add_f64 v[22:23], v[22:23], -v[26:27]
	s_mov_b32 s4, 0xfefa39ef
	s_mov_b32 s5, 0x3fe62e42
	v_mul_f64 v[24:25], v[30:31], v[24:25]
	v_cvt_f64_i32_e32 v[30:31], v2
	v_add_f64 v[20:21], v[20:21], -v[22:23]
	v_add_f64 v[26:27], v[28:29], v[24:25]
	v_mul_f64 v[32:33], v[30:31], s[4:5]
	v_ldexp_f64 v[20:21], v[20:21], 1
	v_add_f64 v[22:23], v[26:27], -v[28:29]
	v_fma_f64 v[28:29], v[30:31], s[4:5], -v[32:33]
	s_mov_b32 s4, 0x3b39803f
	s_mov_b32 s5, 0x3c7abc9e
	v_add_f64 v[22:23], v[24:25], -v[22:23]
	v_fma_f64 v[24:25], v[30:31], s[4:5], v[28:29]
	v_add_f64 v[20:21], v[20:21], v[22:23]
	v_add_f64 v[22:23], v[32:33], v[24:25]
	;; [unrolled: 1-line block ×3, first 2 shown]
	v_add_f64 v[32:33], v[22:23], -v[32:33]
	v_add_f64 v[30:31], v[22:23], v[28:29]
	v_add_f64 v[26:27], v[28:29], -v[26:27]
	v_add_f64 v[24:25], v[24:25], -v[32:33]
	v_add_f64 v[34:35], v[30:31], -v[22:23]
	v_add_f64 v[20:21], v[20:21], -v[26:27]
	v_add_f64 v[36:37], v[30:31], -v[34:35]
	v_add_f64 v[26:27], v[28:29], -v[34:35]
	v_add_f64 v[28:29], v[24:25], v[20:21]
	v_add_f64 v[22:23], v[22:23], -v[36:37]
	v_add_f64 v[22:23], v[26:27], v[22:23]
	v_add_f64 v[26:27], v[28:29], -v[24:25]
	;; [unrolled: 2-line block ×3, first 2 shown]
	v_add_f64 v[20:21], v[20:21], -v[26:27]
	v_add_f64 v[32:33], v[30:31], v[22:23]
	v_add_f64 v[24:25], v[24:25], -v[28:29]
	v_add_f64 v[26:27], v[32:33], -v[30:31]
	v_add_f64 v[20:21], v[20:21], v[24:25]
	v_add_f64 v[22:23], v[22:23], -v[26:27]
	v_add_f64 v[20:21], v[20:21], v[22:23]
	v_add_f64 v[20:21], v[32:33], v[20:21]
	v_cndmask_b32_e64 v2, v20, v16, s1
	v_cndmask_b32_e64 v15, v21, v17, s1
	v_cmp_ngt_f64_e64 s1, 0, v[16:17]
	v_cndmask_b32_e64 v18, 0x7ff80000, v15, s1
	v_cmp_nge_f64_e64 s1, 0, v[16:17]
	v_cndmask_b32_e64 v15, 0, v2, s1
	v_cmp_neq_f64_e64 s1, 0, v[16:17]
	v_cndmask_b32_e64 v16, 0xfff00000, v18, s1
	v_add_f64 v[7:8], v[7:8], -v[15:16]
	global_store_dwordx2 v[0:1], v[7:8], off
	s_and_b32 exec_lo, exec_lo, vcc_lo
	s_cbranch_execz .LBB14_12
; %bb.11:
	v_add_f64 v[7:8], v[9:10], -v[15:16]
	global_store_dwordx2 v[0:1], v[7:8], off offset:512
.LBB14_12:
	s_or_b32 exec_lo, exec_lo, s2
	v_cmp_ne_u32_e64 s1, 1, v19
	s_and_b32 exec_lo, exec_lo, s1
	s_cbranch_execz .LBB14_16
; %bb.13:
	s_and_b32 exec_lo, exec_lo, s0
	s_cbranch_execz .LBB14_16
; %bb.14:
	s_waitcnt lgkmcnt(0)
	v_add_f64 v[8:9], v[11:12], v[13:14]
	s_mov_b32 s3, 0x3fe55555
	s_mov_b32 s2, 0x55555555
	;; [unrolled: 1-line block ×7, first 2 shown]
	v_frexp_mant_f64_e32 v[10:11], v[8:9]
	v_cmp_gt_f64_e64 s0, s[2:3], v[10:11]
	s_mov_b32 s2, 0x55555780
	v_cndmask_b32_e64 v2, 0, 1, s0
	v_ldexp_f64 v[10:11], v[10:11], v2
	v_frexp_exp_i32_f64_e32 v2, v[8:9]
	v_add_f64 v[12:13], v[10:11], 1.0
	v_add_f64 v[18:19], v[10:11], -1.0
	v_subrev_co_ci_u32_e64 v2, null, 0, v2, s0
	s_mov_b32 s0, 0xfefa39ef
	s_mov_b32 s1, 0x3fe62e42
	v_rcp_f64_e32 v[14:15], v[12:13]
	v_add_f64 v[20:21], v[12:13], -1.0
	v_add_f64 v[10:11], v[10:11], -v[20:21]
	v_fma_f64 v[16:17], -v[12:13], v[14:15], 1.0
	v_fma_f64 v[14:15], v[16:17], v[14:15], v[14:15]
	v_fma_f64 v[16:17], -v[12:13], v[14:15], 1.0
	v_fma_f64 v[14:15], v[16:17], v[14:15], v[14:15]
	v_mul_f64 v[16:17], v[18:19], v[14:15]
	v_mul_f64 v[22:23], v[12:13], v[16:17]
	v_fma_f64 v[12:13], v[16:17], v[12:13], -v[22:23]
	v_fma_f64 v[10:11], v[16:17], v[10:11], v[12:13]
	v_add_f64 v[12:13], v[22:23], v[10:11]
	v_add_f64 v[20:21], v[18:19], -v[12:13]
	v_add_f64 v[22:23], v[12:13], -v[22:23]
	;; [unrolled: 1-line block ×5, first 2 shown]
	v_add_f64 v[10:11], v[10:11], v[12:13]
	v_add_f64 v[10:11], v[20:21], v[10:11]
	v_mul_f64 v[10:11], v[14:15], v[10:11]
	v_add_f64 v[12:13], v[16:17], v[10:11]
	v_mul_f64 v[14:15], v[12:13], v[12:13]
	v_fma_f64 v[18:19], v[14:15], s[6:7], s[4:5]
	s_mov_b32 s4, 0xd7f4df2e
	s_mov_b32 s5, 0x3fc7474d
	v_mul_f64 v[20:21], v[12:13], v[14:15]
	v_fma_f64 v[18:19], v[14:15], v[18:19], s[4:5]
	s_mov_b32 s4, 0x16291751
	s_mov_b32 s5, 0x3fcc71c0
	v_fma_f64 v[18:19], v[14:15], v[18:19], s[4:5]
	s_mov_b32 s4, 0x9b27acf1
	s_mov_b32 s5, 0x3fd24924
	;; [unrolled: 3-line block ×3, first 2 shown]
	v_fma_f64 v[18:19], v[14:15], v[18:19], s[4:5]
	v_fma_f64 v[14:15], v[14:15], v[18:19], s[2:3]
	v_ldexp_f64 v[18:19], v[12:13], 1
	v_add_f64 v[12:13], v[12:13], -v[16:17]
	v_mul_f64 v[14:15], v[20:21], v[14:15]
	v_cvt_f64_i32_e32 v[20:21], v2
	v_add_f64 v[10:11], v[10:11], -v[12:13]
	v_add_f64 v[16:17], v[18:19], v[14:15]
	v_mul_f64 v[22:23], v[20:21], s[0:1]
	v_ldexp_f64 v[10:11], v[10:11], 1
	v_add_f64 v[12:13], v[16:17], -v[18:19]
	v_fma_f64 v[18:19], v[20:21], s[0:1], -v[22:23]
	s_mov_b32 s0, 0x3b39803f
	s_mov_b32 s1, 0x3c7abc9e
	v_add_f64 v[12:13], v[14:15], -v[12:13]
	v_fma_f64 v[14:15], v[20:21], s[0:1], v[18:19]
	v_cmp_class_f64_e64 s0, v[8:9], 0x204
	v_add_f64 v[10:11], v[10:11], v[12:13]
	v_add_f64 v[12:13], v[22:23], v[14:15]
	;; [unrolled: 1-line block ×3, first 2 shown]
	v_add_f64 v[22:23], v[12:13], -v[22:23]
	v_add_f64 v[20:21], v[12:13], v[18:19]
	v_add_f64 v[16:17], v[18:19], -v[16:17]
	v_add_f64 v[14:15], v[14:15], -v[22:23]
	;; [unrolled: 1-line block ×6, first 2 shown]
	v_add_f64 v[18:19], v[14:15], v[10:11]
	v_add_f64 v[12:13], v[12:13], -v[26:27]
	v_add_f64 v[12:13], v[16:17], v[12:13]
	v_add_f64 v[16:17], v[18:19], -v[14:15]
	;; [unrolled: 2-line block ×3, first 2 shown]
	v_add_f64 v[10:11], v[10:11], -v[16:17]
	v_add_f64 v[22:23], v[20:21], v[12:13]
	v_add_f64 v[14:15], v[14:15], -v[18:19]
	v_add_f64 v[16:17], v[22:23], -v[20:21]
	v_add_f64 v[10:11], v[10:11], v[14:15]
	v_add_f64 v[12:13], v[12:13], -v[16:17]
	v_add_f64 v[10:11], v[10:11], v[12:13]
	v_add_f64 v[10:11], v[22:23], v[10:11]
	v_cndmask_b32_e64 v2, v10, v8, s0
	v_cndmask_b32_e64 v7, v11, v9, s0
	v_cmp_ngt_f64_e64 s0, 0, v[8:9]
	v_cndmask_b32_e64 v10, 0x7ff80000, v7, s0
	v_cmp_nge_f64_e64 s0, 0, v[8:9]
	v_cndmask_b32_e64 v7, 0, v2, s0
	v_cmp_neq_f64_e64 s0, 0, v[8:9]
	v_cndmask_b32_e64 v8, 0xfff00000, v10, s0
	s_lshl_b64 s[0:1], s[18:19], 3
	v_add_co_u32 v0, s0, v0, s0
	v_add_f64 v[2:3], v[3:4], -v[7:8]
	v_add_co_ci_u32_e64 v1, null, s1, v1, s0
	global_store_dwordx2 v[0:1], v[2:3], off
	s_and_b32 exec_lo, exec_lo, vcc_lo
	s_cbranch_execz .LBB14_16
; %bb.15:
	v_add_f64 v[2:3], v[5:6], -v[7:8]
	global_store_dwordx2 v[0:1], v[2:3], off offset:512
.LBB14_16:
	s_endpgm
	.section	.rodata,"a",@progbits
	.p2align	6, 0x0
	.amdhsa_kernel _ZN12_GLOBAL__N_120softmax_warp_forwardIdddLi7ELb1ELb0ELi64EEEvPT0_PKT_iiiPKbib
		.amdhsa_group_segment_fixed_size 0
		.amdhsa_private_segment_fixed_size 0
		.amdhsa_kernarg_size 304
		.amdhsa_user_sgpr_count 6
		.amdhsa_user_sgpr_private_segment_buffer 1
		.amdhsa_user_sgpr_dispatch_ptr 0
		.amdhsa_user_sgpr_queue_ptr 0
		.amdhsa_user_sgpr_kernarg_segment_ptr 1
		.amdhsa_user_sgpr_dispatch_id 0
		.amdhsa_user_sgpr_flat_scratch_init 0
		.amdhsa_user_sgpr_private_segment_size 0
		.amdhsa_wavefront_size32 1
		.amdhsa_uses_dynamic_stack 0
		.amdhsa_system_sgpr_private_segment_wavefront_offset 0
		.amdhsa_system_sgpr_workgroup_id_x 1
		.amdhsa_system_sgpr_workgroup_id_y 0
		.amdhsa_system_sgpr_workgroup_id_z 0
		.amdhsa_system_sgpr_workgroup_info 0
		.amdhsa_system_vgpr_workitem_id 1
		.amdhsa_next_free_vgpr 42
		.amdhsa_next_free_sgpr 20
		.amdhsa_reserve_vcc 1
		.amdhsa_reserve_flat_scratch 0
		.amdhsa_float_round_mode_32 0
		.amdhsa_float_round_mode_16_64 0
		.amdhsa_float_denorm_mode_32 3
		.amdhsa_float_denorm_mode_16_64 3
		.amdhsa_dx10_clamp 1
		.amdhsa_ieee_mode 1
		.amdhsa_fp16_overflow 0
		.amdhsa_workgroup_processor_mode 1
		.amdhsa_memory_ordered 1
		.amdhsa_forward_progress 1
		.amdhsa_shared_vgpr_count 0
		.amdhsa_exception_fp_ieee_invalid_op 0
		.amdhsa_exception_fp_denorm_src 0
		.amdhsa_exception_fp_ieee_div_zero 0
		.amdhsa_exception_fp_ieee_overflow 0
		.amdhsa_exception_fp_ieee_underflow 0
		.amdhsa_exception_fp_ieee_inexact 0
		.amdhsa_exception_int_div_zero 0
	.end_amdhsa_kernel
	.section	.text._ZN12_GLOBAL__N_120softmax_warp_forwardIdddLi7ELb1ELb0ELi64EEEvPT0_PKT_iiiPKbib,"axG",@progbits,_ZN12_GLOBAL__N_120softmax_warp_forwardIdddLi7ELb1ELb0ELi64EEEvPT0_PKT_iiiPKbib,comdat
.Lfunc_end14:
	.size	_ZN12_GLOBAL__N_120softmax_warp_forwardIdddLi7ELb1ELb0ELi64EEEvPT0_PKT_iiiPKbib, .Lfunc_end14-_ZN12_GLOBAL__N_120softmax_warp_forwardIdddLi7ELb1ELb0ELi64EEEvPT0_PKT_iiiPKbib
                                        ; -- End function
	.set _ZN12_GLOBAL__N_120softmax_warp_forwardIdddLi7ELb1ELb0ELi64EEEvPT0_PKT_iiiPKbib.num_vgpr, 42
	.set _ZN12_GLOBAL__N_120softmax_warp_forwardIdddLi7ELb1ELb0ELi64EEEvPT0_PKT_iiiPKbib.num_agpr, 0
	.set _ZN12_GLOBAL__N_120softmax_warp_forwardIdddLi7ELb1ELb0ELi64EEEvPT0_PKT_iiiPKbib.numbered_sgpr, 20
	.set _ZN12_GLOBAL__N_120softmax_warp_forwardIdddLi7ELb1ELb0ELi64EEEvPT0_PKT_iiiPKbib.num_named_barrier, 0
	.set _ZN12_GLOBAL__N_120softmax_warp_forwardIdddLi7ELb1ELb0ELi64EEEvPT0_PKT_iiiPKbib.private_seg_size, 0
	.set _ZN12_GLOBAL__N_120softmax_warp_forwardIdddLi7ELb1ELb0ELi64EEEvPT0_PKT_iiiPKbib.uses_vcc, 1
	.set _ZN12_GLOBAL__N_120softmax_warp_forwardIdddLi7ELb1ELb0ELi64EEEvPT0_PKT_iiiPKbib.uses_flat_scratch, 0
	.set _ZN12_GLOBAL__N_120softmax_warp_forwardIdddLi7ELb1ELb0ELi64EEEvPT0_PKT_iiiPKbib.has_dyn_sized_stack, 0
	.set _ZN12_GLOBAL__N_120softmax_warp_forwardIdddLi7ELb1ELb0ELi64EEEvPT0_PKT_iiiPKbib.has_recursion, 0
	.set _ZN12_GLOBAL__N_120softmax_warp_forwardIdddLi7ELb1ELb0ELi64EEEvPT0_PKT_iiiPKbib.has_indirect_call, 0
	.section	.AMDGPU.csdata,"",@progbits
; Kernel info:
; codeLenInByte = 4176
; TotalNumSgprs: 22
; NumVgprs: 42
; ScratchSize: 0
; MemoryBound: 0
; FloatMode: 240
; IeeeMode: 1
; LDSByteSize: 0 bytes/workgroup (compile time only)
; SGPRBlocks: 0
; VGPRBlocks: 5
; NumSGPRsForWavesPerEU: 22
; NumVGPRsForWavesPerEU: 42
; Occupancy: 16
; WaveLimiterHint : 0
; COMPUTE_PGM_RSRC2:SCRATCH_EN: 0
; COMPUTE_PGM_RSRC2:USER_SGPR: 6
; COMPUTE_PGM_RSRC2:TRAP_HANDLER: 0
; COMPUTE_PGM_RSRC2:TGID_X_EN: 1
; COMPUTE_PGM_RSRC2:TGID_Y_EN: 0
; COMPUTE_PGM_RSRC2:TGID_Z_EN: 0
; COMPUTE_PGM_RSRC2:TIDIG_COMP_CNT: 1
	.section	.text._ZN12_GLOBAL__N_120softmax_warp_forwardIdddLi7ELb1ELb0ELi32EEEvPT0_PKT_iiiPKbib,"axG",@progbits,_ZN12_GLOBAL__N_120softmax_warp_forwardIdddLi7ELb1ELb0ELi32EEEvPT0_PKT_iiiPKbib,comdat
	.globl	_ZN12_GLOBAL__N_120softmax_warp_forwardIdddLi7ELb1ELb0ELi32EEEvPT0_PKT_iiiPKbib ; -- Begin function _ZN12_GLOBAL__N_120softmax_warp_forwardIdddLi7ELb1ELb0ELi32EEEvPT0_PKT_iiiPKbib
	.p2align	8
	.type	_ZN12_GLOBAL__N_120softmax_warp_forwardIdddLi7ELb1ELb0ELi32EEEvPT0_PKT_iiiPKbib,@function
_ZN12_GLOBAL__N_120softmax_warp_forwardIdddLi7ELb1ELb0ELi32EEEvPT0_PKT_iiiPKbib: ; @_ZN12_GLOBAL__N_120softmax_warp_forwardIdddLi7ELb1ELb0ELi32EEEvPT0_PKT_iiiPKbib
; %bb.0:
	s_clause 0x1
	s_load_dword s0, s[4:5], 0x3c
	s_load_dwordx8 s[8:15], s[4:5], 0x0
	v_mov_b32_e32 v9, 0
	v_mov_b32_e32 v10, 0xfff00000
	s_waitcnt lgkmcnt(0)
	s_lshr_b32 s0, s0, 16
	v_cmp_gt_i32_e64 s2, s14, v0
	s_and_b32 s0, s0, 0xffff
	s_mul_i32 s6, s6, s0
	v_add_lshl_u32 v3, s6, v1, 1
	v_mad_u64_u32 v[1:2], null, v3, s13, v[0:1]
	v_sub_nc_u32_e32 v27, s12, v3
	v_mov_b32_e32 v3, 0
	v_mov_b32_e32 v4, 0xfff00000
	v_cmp_lt_i32_e64 s3, 0, v27
	v_ashrrev_i32_e32 v2, 31, v1
	s_and_b32 s1, s3, s2
	v_lshlrev_b64 v[1:2], 3, v[1:2]
	v_add_co_u32 v19, vcc_lo, s10, v1
	v_add_co_ci_u32_e64 v20, null, s11, v2, vcc_lo
	s_and_saveexec_b32 s0, s1
	s_cbranch_execz .LBB15_2
; %bb.1:
	global_load_dwordx2 v[3:4], v[19:20], off
.LBB15_2:
	s_or_b32 exec_lo, exec_lo, s0
	v_add_nc_u32_e32 v5, 32, v0
	v_cmp_gt_i32_e32 vcc_lo, s14, v5
	s_and_b32 s1, s3, vcc_lo
	s_and_saveexec_b32 s0, s1
	s_cbranch_execz .LBB15_4
; %bb.3:
	global_load_dwordx2 v[9:10], v[19:20], off offset:256
.LBB15_4:
	s_or_b32 exec_lo, exec_lo, s0
	v_add_nc_u32_e32 v5, 64, v0
	v_mov_b32_e32 v15, 0
	v_mov_b32_e32 v11, 0
	v_mov_b32_e32 v16, 0xfff00000
	v_mov_b32_e32 v12, 0xfff00000
	v_cmp_gt_i32_e64 s0, s14, v5
	s_and_b32 s4, s3, s0
	s_and_saveexec_b32 s1, s4
	s_cbranch_execz .LBB15_6
; %bb.5:
	global_load_dwordx2 v[11:12], v[19:20], off offset:512
.LBB15_6:
	s_or_b32 exec_lo, exec_lo, s1
	v_add_nc_u32_e32 v0, 0x60, v0
	v_cmp_gt_i32_e64 s1, s14, v0
	s_and_b32 s5, s3, s1
	s_and_saveexec_b32 s4, s5
	s_cbranch_execz .LBB15_8
; %bb.7:
	global_load_dwordx2 v[15:16], v[19:20], off offset:768
.LBB15_8:
	s_or_b32 exec_lo, exec_lo, s4
	v_cmp_lt_i32_e64 s4, 1, v27
	v_mov_b32_e32 v13, 0
	v_mov_b32_e32 v5, 0
	;; [unrolled: 1-line block ×4, first 2 shown]
	s_and_b32 s5, s4, s2
	s_and_saveexec_b32 s6, s5
	s_cbranch_execz .LBB15_10
; %bb.9:
	s_mov_b32 s15, 0
	s_lshl_b64 s[10:11], s[14:15], 3
	v_add_co_u32 v5, s5, v19, s10
	v_add_co_ci_u32_e64 v6, null, s11, v20, s5
	global_load_dwordx2 v[5:6], v[5:6], off
.LBB15_10:
	s_or_b32 exec_lo, exec_lo, s6
	s_and_b32 s5, s4, vcc_lo
	s_and_saveexec_b32 s6, s5
	s_cbranch_execz .LBB15_12
; %bb.11:
	s_mov_b32 s15, 0
	s_lshl_b64 s[10:11], s[14:15], 3
	v_add_co_u32 v7, s5, v19, s10
	v_add_co_ci_u32_e64 v8, null, s11, v20, s5
	global_load_dwordx2 v[13:14], v[7:8], off offset:256
.LBB15_12:
	s_or_b32 exec_lo, exec_lo, s6
	v_mov_b32_e32 v7, 0
	v_mov_b32_e32 v17, 0
	;; [unrolled: 1-line block ×4, first 2 shown]
	s_and_b32 s5, s4, s0
	s_and_saveexec_b32 s6, s5
	s_cbranch_execz .LBB15_14
; %bb.13:
	s_mov_b32 s15, 0
	s_lshl_b64 s[10:11], s[14:15], 3
	v_add_co_u32 v17, s5, v19, s10
	v_add_co_ci_u32_e64 v18, null, s11, v20, s5
	global_load_dwordx2 v[17:18], v[17:18], off offset:512
.LBB15_14:
	s_or_b32 exec_lo, exec_lo, s6
	s_and_b32 s4, s4, s1
	s_and_saveexec_b32 s5, s4
	s_cbranch_execz .LBB15_16
; %bb.15:
	s_mov_b32 s15, 0
	s_lshl_b64 s[6:7], s[14:15], 3
	v_add_co_u32 v7, s4, v19, s6
	v_add_co_ci_u32_e64 v8, null, s7, v20, s4
	global_load_dwordx2 v[7:8], v[7:8], off offset:768
.LBB15_16:
	s_or_b32 exec_lo, exec_lo, s5
	s_waitcnt vmcnt(0)
	v_cmp_gt_f64_e64 s4, v[3:4], v[9:10]
	v_mbcnt_lo_u32_b32 v30, -1, 0
	s_mov_b32 s36, 0x652b82fe
	s_mov_b32 s37, 0x3ff71547
	;; [unrolled: 1-line block ×4, first 2 shown]
	v_xor_b32_e32 v0, 16, v30
	s_mov_b32 s30, 0x3b39803f
	s_mov_b32 s31, 0xbc7abc9e
	;; [unrolled: 1-line block ×15, first 2 shown]
	v_cndmask_b32_e64 v20, v10, v4, s4
	v_cndmask_b32_e64 v19, v9, v3, s4
	s_mov_b32 s17, 0x3f811111
	s_mov_b32 s12, 0x555502a1
	;; [unrolled: 1-line block ×4, first 2 shown]
	v_cmp_gt_f64_e64 s4, v[19:20], v[11:12]
	s_mov_b32 s11, 0x3fc55555
	s_mov_b32 s6, 11
	;; [unrolled: 1-line block ×3, first 2 shown]
	v_cndmask_b32_e64 v20, v12, v20, s4
	v_cndmask_b32_e64 v19, v11, v19, s4
	v_cmp_gt_f64_e64 s4, v[19:20], v[15:16]
	v_cndmask_b32_e64 v20, v16, v20, s4
	v_cndmask_b32_e64 v19, v15, v19, s4
	v_cmp_gt_f64_e64 s4, v[5:6], v[13:14]
	;; [unrolled: 3-line block ×4, first 2 shown]
	v_cndmask_b32_e64 v22, v8, v22, s4
	v_cndmask_b32_e64 v21, v7, v21, s4
	v_cmp_gt_i32_e64 s4, 32, v0
	v_cndmask_b32_e64 v0, v30, v0, s4
	v_lshlrev_b32_e32 v0, 2, v0
	ds_bpermute_b32 v23, v0, v19
	ds_bpermute_b32 v24, v0, v20
	s_waitcnt lgkmcnt(0)
	v_cmp_lt_f64_e64 s4, v[19:20], v[23:24]
	v_cndmask_b32_e64 v20, v20, v24, s4
	v_cndmask_b32_e64 v19, v19, v23, s4
	ds_bpermute_b32 v23, v0, v21
	ds_bpermute_b32 v24, v0, v22
	s_waitcnt lgkmcnt(0)
	v_cmp_lt_f64_e64 s4, v[21:22], v[23:24]
	v_cndmask_b32_e64 v21, v21, v23, s4
	v_xor_b32_e32 v23, 8, v30
	v_cndmask_b32_e64 v22, v22, v24, s4
	v_cmp_gt_i32_e64 s4, 32, v23
	v_cndmask_b32_e64 v23, v30, v23, s4
	v_lshlrev_b32_e32 v23, 2, v23
	ds_bpermute_b32 v24, v23, v19
	ds_bpermute_b32 v25, v23, v20
	s_waitcnt lgkmcnt(0)
	v_cmp_lt_f64_e64 s4, v[19:20], v[24:25]
	v_cndmask_b32_e64 v20, v20, v25, s4
	v_cndmask_b32_e64 v19, v19, v24, s4
	ds_bpermute_b32 v24, v23, v21
	ds_bpermute_b32 v25, v23, v22
	s_waitcnt lgkmcnt(0)
	v_cmp_lt_f64_e64 s4, v[21:22], v[24:25]
	v_cndmask_b32_e64 v21, v21, v24, s4
	v_xor_b32_e32 v24, 4, v30
	;; [unrolled: 16-line block ×3, first 2 shown]
	v_cndmask_b32_e64 v22, v22, v26, s4
	v_xor_b32_e32 v26, 1, v30
	v_cmp_gt_i32_e64 s4, 32, v25
	v_cndmask_b32_e64 v25, v30, v25, s4
	v_lshlrev_b32_e32 v25, 2, v25
	ds_bpermute_b32 v28, v25, v19
	ds_bpermute_b32 v29, v25, v20
	s_waitcnt lgkmcnt(0)
	v_cmp_lt_f64_e64 s4, v[19:20], v[28:29]
	v_cndmask_b32_e64 v20, v20, v29, s4
	v_cndmask_b32_e64 v19, v19, v28, s4
	ds_bpermute_b32 v28, v25, v21
	ds_bpermute_b32 v29, v25, v22
	s_waitcnt lgkmcnt(0)
	v_cmp_lt_f64_e64 s4, v[21:22], v[28:29]
	v_cndmask_b32_e64 v22, v22, v29, s4
	v_cndmask_b32_e64 v21, v21, v28, s4
	v_cmp_gt_i32_e64 s4, 32, v26
	v_cndmask_b32_e64 v26, v30, v26, s4
	v_lshlrev_b32_e32 v28, 2, v26
	ds_bpermute_b32 v29, v28, v19
	ds_bpermute_b32 v30, v28, v20
	s_waitcnt lgkmcnt(0)
	v_cmp_lt_f64_e64 s4, v[19:20], v[29:30]
	v_cndmask_b32_e64 v30, v20, v30, s4
	v_cndmask_b32_e64 v29, v19, v29, s4
	ds_bpermute_b32 v19, v28, v21
	ds_bpermute_b32 v20, v28, v22
	v_add_f64 v[3:4], v[3:4], -v[29:30]
	v_add_f64 v[9:10], v[9:10], -v[29:30]
	v_add_f64 v[11:12], v[11:12], -v[29:30]
	v_add_f64 v[15:16], v[15:16], -v[29:30]
	s_waitcnt lgkmcnt(0)
	v_cmp_lt_f64_e64 s4, v[21:22], v[19:20]
	v_cmp_ngt_f64_e64 s5, 0xc090cc00, v[3:4]
	v_mul_f64 v[29:30], v[15:16], s[36:37]
	v_cndmask_b32_e64 v20, v22, v20, s4
	v_cndmask_b32_e64 v19, v21, v19, s4
	v_mul_f64 v[21:22], v[3:4], s[36:37]
	v_cmp_nlt_f64_e64 s4, 0x40900000, v[3:4]
	v_add_f64 v[5:6], v[5:6], -v[19:20]
	v_add_f64 v[13:14], v[13:14], -v[19:20]
	v_rndne_f64_e32 v[29:30], v[29:30]
	v_add_f64 v[17:18], v[17:18], -v[19:20]
	v_add_f64 v[7:8], v[7:8], -v[19:20]
	v_rndne_f64_e32 v[21:22], v[21:22]
	v_mul_f64 v[19:20], v[7:8], s[36:37]
	v_fma_f64 v[31:32], v[21:22], s[34:35], v[3:4]
	v_rndne_f64_e32 v[19:20], v[19:20]
	v_fma_f64 v[31:32], v[21:22], s[30:31], v[31:32]
	v_cvt_i32_f64_e32 v21, v[21:22]
	v_fma_f64 v[33:34], v[31:32], s[24:25], s[20:21]
	v_fma_f64 v[33:34], v[31:32], v[33:34], s[28:29]
	;; [unrolled: 1-line block ×9, first 2 shown]
	v_fma_f64 v[33:34], v[31:32], v[33:34], 1.0
	v_fma_f64 v[31:32], v[31:32], v[33:34], 1.0
	v_ldexp_f64 v[21:22], v[31:32], v21
	v_mul_f64 v[31:32], v[9:10], s[36:37]
	v_add_f64 v[21:22], v[21:22], 0
	v_rndne_f64_e32 v[31:32], v[31:32]
	v_cndmask_b32_e64 v22, 0x7ff00000, v22, s4
	v_fma_f64 v[33:34], v[31:32], s[34:35], v[9:10]
	v_cvt_i32_f64_e32 v26, v[31:32]
	s_and_b32 s4, s5, s4
	v_cndmask_b32_e64 v21, 0, v21, s4
	v_cmp_nlt_f64_e64 s4, 0x40900000, v[9:10]
	v_cndmask_b32_e64 v22, 0, v22, s5
	v_cmp_ngt_f64_e64 s5, 0xc090cc00, v[9:10]
	v_fma_f64 v[33:34], v[31:32], s[30:31], v[33:34]
	v_fma_f64 v[35:36], v[33:34], s[24:25], s[20:21]
	;; [unrolled: 1-line block ×10, first 2 shown]
	v_fma_f64 v[35:36], v[33:34], v[35:36], 1.0
	v_fma_f64 v[33:34], v[33:34], v[35:36], 1.0
	v_ldexp_f64 v[31:32], v[33:34], v26
	v_cndmask_b32_e64 v26, 0x7ff00000, v32, s4
	s_and_b32 s4, s5, s4
	v_cndmask_b32_e64 v31, 0, v31, s4
	v_cmp_nlt_f64_e64 s4, 0x40900000, v[11:12]
	v_cndmask_b32_e64 v32, 0, v26, s5
	v_cmp_ngt_f64_e64 s5, 0xc090cc00, v[11:12]
	v_add_f64 v[21:22], v[21:22], v[31:32]
	v_mul_f64 v[31:32], v[11:12], s[36:37]
	v_rndne_f64_e32 v[31:32], v[31:32]
	v_fma_f64 v[33:34], v[31:32], s[34:35], v[11:12]
	v_cvt_i32_f64_e32 v26, v[31:32]
	v_fma_f64 v[33:34], v[31:32], s[30:31], v[33:34]
	v_fma_f64 v[35:36], v[33:34], s[24:25], s[20:21]
	;; [unrolled: 1-line block ×10, first 2 shown]
	v_fma_f64 v[35:36], v[33:34], v[35:36], 1.0
	v_fma_f64 v[33:34], v[33:34], v[35:36], 1.0
	v_ldexp_f64 v[31:32], v[33:34], v26
	v_cndmask_b32_e64 v26, 0x7ff00000, v32, s4
	s_and_b32 s4, s5, s4
	v_cndmask_b32_e64 v31, 0, v31, s4
	v_cmp_nlt_f64_e64 s4, 0x40900000, v[15:16]
	v_cndmask_b32_e64 v32, 0, v26, s5
	v_cvt_i32_f64_e32 v26, v[29:30]
	v_cmp_ngt_f64_e64 s5, 0xc090cc00, v[15:16]
	v_add_f64 v[21:22], v[21:22], v[31:32]
	v_fma_f64 v[31:32], v[29:30], s[34:35], v[15:16]
	v_fma_f64 v[31:32], v[29:30], s[30:31], v[31:32]
	;; [unrolled: 1-line block ×11, first 2 shown]
	v_fma_f64 v[33:34], v[31:32], v[33:34], 1.0
	v_fma_f64 v[31:32], v[31:32], v[33:34], 1.0
	v_ldexp_f64 v[29:30], v[31:32], v26
	v_cndmask_b32_e64 v26, 0x7ff00000, v30, s4
	s_and_b32 s4, s5, s4
	v_cndmask_b32_e64 v29, 0, v29, s4
	v_cmp_nlt_f64_e64 s4, 0x40900000, v[5:6]
	v_cndmask_b32_e64 v30, 0, v26, s5
	v_cmp_ngt_f64_e64 s5, 0xc090cc00, v[5:6]
	v_add_f64 v[21:22], v[21:22], v[29:30]
	v_mul_f64 v[29:30], v[5:6], s[36:37]
	v_rndne_f64_e32 v[29:30], v[29:30]
	v_fma_f64 v[31:32], v[29:30], s[34:35], v[5:6]
	v_cvt_i32_f64_e32 v26, v[29:30]
	v_fma_f64 v[31:32], v[29:30], s[30:31], v[31:32]
	v_fma_f64 v[33:34], v[31:32], s[24:25], s[20:21]
	;; [unrolled: 1-line block ×10, first 2 shown]
	v_fma_f64 v[33:34], v[31:32], v[33:34], 1.0
	v_fma_f64 v[31:32], v[31:32], v[33:34], 1.0
	v_ldexp_f64 v[29:30], v[31:32], v26
	v_mul_f64 v[31:32], v[13:14], s[36:37]
	v_add_f64 v[29:30], v[29:30], 0
	v_rndne_f64_e32 v[31:32], v[31:32]
	v_cndmask_b32_e64 v26, 0x7ff00000, v30, s4
	v_fma_f64 v[33:34], v[31:32], s[34:35], v[13:14]
	s_and_b32 s4, s5, s4
	v_cndmask_b32_e64 v29, 0, v29, s4
	v_cndmask_b32_e64 v30, 0, v26, s5
	v_cvt_i32_f64_e32 v26, v[31:32]
	v_cmp_nlt_f64_e64 s4, 0x40900000, v[13:14]
	v_cmp_ngt_f64_e64 s5, 0xc090cc00, v[13:14]
	v_fma_f64 v[33:34], v[31:32], s[30:31], v[33:34]
	v_fma_f64 v[35:36], v[33:34], s[24:25], s[20:21]
	;; [unrolled: 1-line block ×10, first 2 shown]
	v_fma_f64 v[35:36], v[33:34], v[35:36], 1.0
	v_fma_f64 v[33:34], v[33:34], v[35:36], 1.0
	v_ldexp_f64 v[31:32], v[33:34], v26
	v_cndmask_b32_e64 v26, 0x7ff00000, v32, s4
	s_and_b32 s4, s5, s4
	v_cndmask_b32_e64 v31, 0, v31, s4
	v_cmp_nlt_f64_e64 s4, 0x40900000, v[17:18]
	v_cndmask_b32_e64 v32, 0, v26, s5
	v_cmp_ngt_f64_e64 s5, 0xc090cc00, v[17:18]
	v_add_f64 v[29:30], v[29:30], v[31:32]
	v_mul_f64 v[31:32], v[17:18], s[36:37]
	v_rndne_f64_e32 v[31:32], v[31:32]
	v_fma_f64 v[33:34], v[31:32], s[34:35], v[17:18]
	v_cvt_i32_f64_e32 v26, v[31:32]
	v_fma_f64 v[33:34], v[31:32], s[30:31], v[33:34]
	v_fma_f64 v[35:36], v[33:34], s[24:25], s[20:21]
	;; [unrolled: 1-line block ×10, first 2 shown]
	v_fma_f64 v[35:36], v[33:34], v[35:36], 1.0
	v_fma_f64 v[33:34], v[33:34], v[35:36], 1.0
	v_ldexp_f64 v[31:32], v[33:34], v26
	v_cndmask_b32_e64 v26, 0x7ff00000, v32, s4
	s_and_b32 s4, s5, s4
	v_cndmask_b32_e64 v31, 0, v31, s4
	v_cmp_nlt_f64_e64 s4, 0x40900000, v[7:8]
	v_cndmask_b32_e64 v32, 0, v26, s5
	v_cmp_ngt_f64_e64 s5, 0xc090cc00, v[7:8]
	v_add_f64 v[29:30], v[29:30], v[31:32]
	v_fma_f64 v[31:32], v[19:20], s[34:35], v[7:8]
	v_fma_f64 v[31:32], v[19:20], s[30:31], v[31:32]
	v_cvt_i32_f64_e32 v19, v[19:20]
	v_fma_f64 v[33:34], v[31:32], s[24:25], s[20:21]
	v_fma_f64 v[33:34], v[31:32], v[33:34], s[28:29]
	;; [unrolled: 1-line block ×9, first 2 shown]
	v_fma_f64 v[33:34], v[31:32], v[33:34], 1.0
	v_fma_f64 v[31:32], v[31:32], v[33:34], 1.0
	v_ldexp_f64 v[19:20], v[31:32], v19
	v_cndmask_b32_e64 v20, 0x7ff00000, v20, s4
	s_and_b32 s4, s5, s4
	v_cndmask_b32_e64 v19, 0, v19, s4
	v_cndmask_b32_e64 v20, 0, v20, s5
	v_add_f64 v[19:20], v[29:30], v[19:20]
	ds_bpermute_b32 v29, v0, v21
	ds_bpermute_b32 v30, v0, v22
	s_waitcnt lgkmcnt(0)
	v_add_f64 v[21:22], v[21:22], v[29:30]
	ds_bpermute_b32 v29, v0, v19
	ds_bpermute_b32 v30, v0, v20
	s_waitcnt lgkmcnt(0)
	v_add_f64 v[19:20], v[19:20], v[29:30]
	ds_bpermute_b32 v29, v23, v21
	ds_bpermute_b32 v30, v23, v22
	s_waitcnt lgkmcnt(0)
	v_add_f64 v[21:22], v[21:22], v[29:30]
	ds_bpermute_b32 v29, v23, v19
	ds_bpermute_b32 v30, v23, v20
	s_waitcnt lgkmcnt(0)
	v_add_f64 v[19:20], v[19:20], v[29:30]
	ds_bpermute_b32 v29, v24, v21
	ds_bpermute_b32 v30, v24, v22
	s_waitcnt lgkmcnt(0)
	v_add_f64 v[21:22], v[21:22], v[29:30]
	ds_bpermute_b32 v23, v24, v19
	ds_bpermute_b32 v24, v24, v20
	s_waitcnt lgkmcnt(0)
	v_add_f64 v[19:20], v[19:20], v[23:24]
	ds_bpermute_b32 v23, v25, v21
	ds_bpermute_b32 v24, v25, v22
	s_waitcnt lgkmcnt(0)
	v_add_f64 v[23:24], v[21:22], v[23:24]
	ds_bpermute_b32 v21, v25, v19
	ds_bpermute_b32 v22, v25, v20
	s_waitcnt lgkmcnt(0)
	v_add_f64 v[19:20], v[19:20], v[21:22]
	ds_bpermute_b32 v25, v28, v23
	ds_bpermute_b32 v26, v28, v24
	;; [unrolled: 1-line block ×4, first 2 shown]
	s_and_saveexec_b32 s4, s3
	s_cbranch_execz .LBB15_28
; %bb.17:
	v_add_co_u32 v0, s3, s8, v1
	v_add_co_ci_u32_e64 v1, null, s9, v2, s3
	s_and_saveexec_b32 s4, s2
	s_cbranch_execz .LBB15_22
; %bb.18:
	s_waitcnt lgkmcnt(2)
	v_add_f64 v[24:25], v[23:24], v[25:26]
	s_mov_b32 s7, 0x3fe55555
	s_mov_b32 s6, 0x55555555
	;; [unrolled: 1-line block ×6, first 2 shown]
	v_frexp_mant_f64_e32 v[28:29], v[24:25]
	v_cmp_gt_f64_e64 s3, s[6:7], v[28:29]
	s_mov_b32 s6, 0x55555780
	v_cndmask_b32_e64 v2, 0, 1, s3
	v_ldexp_f64 v[28:29], v[28:29], v2
	v_frexp_exp_i32_f64_e32 v2, v[24:25]
	v_add_f64 v[30:31], v[28:29], 1.0
	v_add_f64 v[36:37], v[28:29], -1.0
	v_subrev_co_ci_u32_e64 v2, null, 0, v2, s3
	v_cmp_class_f64_e64 s3, v[24:25], 0x204
	v_rcp_f64_e32 v[32:33], v[30:31]
	v_add_f64 v[38:39], v[30:31], -1.0
	v_add_f64 v[28:29], v[28:29], -v[38:39]
	v_fma_f64 v[34:35], -v[30:31], v[32:33], 1.0
	v_fma_f64 v[32:33], v[34:35], v[32:33], v[32:33]
	v_fma_f64 v[34:35], -v[30:31], v[32:33], 1.0
	v_fma_f64 v[32:33], v[34:35], v[32:33], v[32:33]
	v_mul_f64 v[34:35], v[36:37], v[32:33]
	v_mul_f64 v[40:41], v[30:31], v[34:35]
	v_fma_f64 v[30:31], v[34:35], v[30:31], -v[40:41]
	v_fma_f64 v[28:29], v[34:35], v[28:29], v[30:31]
	v_add_f64 v[30:31], v[40:41], v[28:29]
	v_add_f64 v[38:39], v[36:37], -v[30:31]
	v_add_f64 v[40:41], v[30:31], -v[40:41]
	;; [unrolled: 1-line block ×5, first 2 shown]
	v_add_f64 v[28:29], v[28:29], v[30:31]
	v_add_f64 v[28:29], v[38:39], v[28:29]
	v_mul_f64 v[28:29], v[32:33], v[28:29]
	v_add_f64 v[30:31], v[34:35], v[28:29]
	v_mul_f64 v[32:33], v[30:31], v[30:31]
	v_fma_f64 v[36:37], v[32:33], s[10:11], s[8:9]
	s_mov_b32 s8, 0xd7f4df2e
	s_mov_b32 s9, 0x3fc7474d
	v_mul_f64 v[38:39], v[30:31], v[32:33]
	v_fma_f64 v[36:37], v[32:33], v[36:37], s[8:9]
	s_mov_b32 s8, 0x16291751
	s_mov_b32 s9, 0x3fcc71c0
	v_fma_f64 v[36:37], v[32:33], v[36:37], s[8:9]
	s_mov_b32 s8, 0x9b27acf1
	s_mov_b32 s9, 0x3fd24924
	;; [unrolled: 3-line block ×3, first 2 shown]
	v_fma_f64 v[36:37], v[32:33], v[36:37], s[8:9]
	v_fma_f64 v[32:33], v[32:33], v[36:37], s[6:7]
	v_ldexp_f64 v[36:37], v[30:31], 1
	v_add_f64 v[30:31], v[30:31], -v[34:35]
	s_mov_b32 s6, 0xfefa39ef
	s_mov_b32 s7, 0x3fe62e42
	v_mul_f64 v[32:33], v[38:39], v[32:33]
	v_cvt_f64_i32_e32 v[38:39], v2
	v_add_f64 v[28:29], v[28:29], -v[30:31]
	v_add_f64 v[34:35], v[36:37], v[32:33]
	v_mul_f64 v[40:41], v[38:39], s[6:7]
	v_ldexp_f64 v[28:29], v[28:29], 1
	v_add_f64 v[30:31], v[34:35], -v[36:37]
	v_fma_f64 v[36:37], v[38:39], s[6:7], -v[40:41]
	s_mov_b32 s6, 0x3b39803f
	s_mov_b32 s7, 0x3c7abc9e
	v_add_f64 v[30:31], v[32:33], -v[30:31]
	v_fma_f64 v[32:33], v[38:39], s[6:7], v[36:37]
	v_add_f64 v[28:29], v[28:29], v[30:31]
	v_add_f64 v[30:31], v[40:41], v[32:33]
	;; [unrolled: 1-line block ×3, first 2 shown]
	v_add_f64 v[40:41], v[30:31], -v[40:41]
	v_add_f64 v[38:39], v[30:31], v[36:37]
	v_add_f64 v[34:35], v[36:37], -v[34:35]
	v_add_f64 v[32:33], v[32:33], -v[40:41]
	v_add_f64 v[42:43], v[38:39], -v[30:31]
	v_add_f64 v[28:29], v[28:29], -v[34:35]
	v_add_f64 v[44:45], v[38:39], -v[42:43]
	v_add_f64 v[34:35], v[36:37], -v[42:43]
	v_add_f64 v[36:37], v[32:33], v[28:29]
	v_add_f64 v[30:31], v[30:31], -v[44:45]
	v_add_f64 v[30:31], v[34:35], v[30:31]
	v_add_f64 v[34:35], v[36:37], -v[32:33]
	;; [unrolled: 2-line block ×3, first 2 shown]
	v_add_f64 v[28:29], v[28:29], -v[34:35]
	v_add_f64 v[40:41], v[38:39], v[30:31]
	v_add_f64 v[32:33], v[32:33], -v[36:37]
	v_add_f64 v[34:35], v[40:41], -v[38:39]
	v_add_f64 v[28:29], v[28:29], v[32:33]
	v_add_f64 v[30:31], v[30:31], -v[34:35]
	v_add_f64 v[28:29], v[28:29], v[30:31]
	v_add_f64 v[28:29], v[40:41], v[28:29]
	v_cndmask_b32_e64 v2, v28, v24, s3
	v_cndmask_b32_e64 v23, v29, v25, s3
	v_cmp_ngt_f64_e64 s3, 0, v[24:25]
	v_cndmask_b32_e64 v26, 0x7ff80000, v23, s3
	v_cmp_nge_f64_e64 s3, 0, v[24:25]
	v_cndmask_b32_e64 v23, 0, v2, s3
	v_cmp_neq_f64_e64 s3, 0, v[24:25]
	v_cndmask_b32_e64 v24, 0xfff00000, v26, s3
	v_add_f64 v[2:3], v[3:4], -v[23:24]
	global_store_dwordx2 v[0:1], v[2:3], off
	s_and_b32 exec_lo, exec_lo, vcc_lo
	s_cbranch_execz .LBB15_22
; %bb.19:
	v_add_f64 v[2:3], v[9:10], -v[23:24]
	global_store_dwordx2 v[0:1], v[2:3], off offset:256
	s_and_b32 exec_lo, exec_lo, s0
	s_cbranch_execz .LBB15_22
; %bb.20:
	v_add_f64 v[2:3], v[11:12], -v[23:24]
	global_store_dwordx2 v[0:1], v[2:3], off offset:512
	s_and_b32 exec_lo, exec_lo, s1
	s_cbranch_execz .LBB15_22
; %bb.21:
	v_add_f64 v[2:3], v[15:16], -v[23:24]
	global_store_dwordx2 v[0:1], v[2:3], off offset:768
.LBB15_22:
	s_or_b32 exec_lo, exec_lo, s4
	v_cmp_ne_u32_e64 s3, 1, v27
	s_and_b32 exec_lo, exec_lo, s3
	s_cbranch_execz .LBB15_28
; %bb.23:
	s_and_b32 exec_lo, exec_lo, s2
	s_cbranch_execz .LBB15_28
; %bb.24:
	s_waitcnt lgkmcnt(0)
	v_add_f64 v[3:4], v[19:20], v[21:22]
	s_mov_b32 s5, 0x3fe55555
	s_mov_b32 s4, 0x55555555
	;; [unrolled: 1-line block ×7, first 2 shown]
	v_frexp_mant_f64_e32 v[9:10], v[3:4]
	v_cmp_gt_f64_e64 s2, s[4:5], v[9:10]
	s_mov_b32 s4, 0x55555780
	v_cndmask_b32_e64 v2, 0, 1, s2
	v_ldexp_f64 v[9:10], v[9:10], v2
	v_frexp_exp_i32_f64_e32 v2, v[3:4]
	v_add_f64 v[11:12], v[9:10], 1.0
	v_add_f64 v[21:22], v[9:10], -1.0
	v_subrev_co_ci_u32_e64 v2, null, 0, v2, s2
	s_mov_b32 s2, 0xfefa39ef
	s_mov_b32 s3, 0x3fe62e42
	v_rcp_f64_e32 v[15:16], v[11:12]
	v_add_f64 v[23:24], v[11:12], -1.0
	v_add_f64 v[9:10], v[9:10], -v[23:24]
	v_fma_f64 v[19:20], -v[11:12], v[15:16], 1.0
	v_fma_f64 v[15:16], v[19:20], v[15:16], v[15:16]
	v_fma_f64 v[19:20], -v[11:12], v[15:16], 1.0
	v_fma_f64 v[15:16], v[19:20], v[15:16], v[15:16]
	v_mul_f64 v[19:20], v[21:22], v[15:16]
	v_mul_f64 v[25:26], v[11:12], v[19:20]
	v_fma_f64 v[11:12], v[19:20], v[11:12], -v[25:26]
	v_fma_f64 v[9:10], v[19:20], v[9:10], v[11:12]
	v_add_f64 v[11:12], v[25:26], v[9:10]
	v_add_f64 v[23:24], v[21:22], -v[11:12]
	v_add_f64 v[25:26], v[11:12], -v[25:26]
	;; [unrolled: 1-line block ×5, first 2 shown]
	v_add_f64 v[9:10], v[9:10], v[11:12]
	v_add_f64 v[9:10], v[23:24], v[9:10]
	v_mul_f64 v[9:10], v[15:16], v[9:10]
	v_add_f64 v[11:12], v[19:20], v[9:10]
	v_mul_f64 v[15:16], v[11:12], v[11:12]
	v_fma_f64 v[21:22], v[15:16], s[8:9], s[6:7]
	s_mov_b32 s6, 0xd7f4df2e
	s_mov_b32 s7, 0x3fc7474d
	v_mul_f64 v[23:24], v[11:12], v[15:16]
	v_fma_f64 v[21:22], v[15:16], v[21:22], s[6:7]
	s_mov_b32 s6, 0x16291751
	s_mov_b32 s7, 0x3fcc71c0
	v_fma_f64 v[21:22], v[15:16], v[21:22], s[6:7]
	s_mov_b32 s6, 0x9b27acf1
	s_mov_b32 s7, 0x3fd24924
	;; [unrolled: 3-line block ×3, first 2 shown]
	v_fma_f64 v[21:22], v[15:16], v[21:22], s[6:7]
	v_fma_f64 v[15:16], v[15:16], v[21:22], s[4:5]
	v_ldexp_f64 v[21:22], v[11:12], 1
	v_add_f64 v[11:12], v[11:12], -v[19:20]
	v_mul_f64 v[15:16], v[23:24], v[15:16]
	v_cvt_f64_i32_e32 v[23:24], v2
	v_add_f64 v[9:10], v[9:10], -v[11:12]
	v_add_f64 v[19:20], v[21:22], v[15:16]
	v_mul_f64 v[25:26], v[23:24], s[2:3]
	v_ldexp_f64 v[9:10], v[9:10], 1
	v_add_f64 v[11:12], v[19:20], -v[21:22]
	v_fma_f64 v[21:22], v[23:24], s[2:3], -v[25:26]
	s_mov_b32 s2, 0x3b39803f
	s_mov_b32 s3, 0x3c7abc9e
	v_add_f64 v[11:12], v[15:16], -v[11:12]
	v_fma_f64 v[15:16], v[23:24], s[2:3], v[21:22]
	v_cmp_class_f64_e64 s2, v[3:4], 0x204
	v_add_f64 v[9:10], v[9:10], v[11:12]
	v_add_f64 v[11:12], v[25:26], v[15:16]
	;; [unrolled: 1-line block ×3, first 2 shown]
	v_add_f64 v[25:26], v[11:12], -v[25:26]
	v_add_f64 v[23:24], v[11:12], v[21:22]
	v_add_f64 v[19:20], v[21:22], -v[19:20]
	v_add_f64 v[15:16], v[15:16], -v[25:26]
	;; [unrolled: 1-line block ×6, first 2 shown]
	v_add_f64 v[21:22], v[15:16], v[9:10]
	v_add_f64 v[11:12], v[11:12], -v[29:30]
	v_add_f64 v[11:12], v[19:20], v[11:12]
	v_add_f64 v[19:20], v[21:22], -v[15:16]
	;; [unrolled: 2-line block ×3, first 2 shown]
	v_add_f64 v[9:10], v[9:10], -v[19:20]
	v_add_f64 v[25:26], v[23:24], v[11:12]
	v_add_f64 v[15:16], v[15:16], -v[21:22]
	v_add_f64 v[19:20], v[25:26], -v[23:24]
	v_add_f64 v[9:10], v[9:10], v[15:16]
	v_add_f64 v[11:12], v[11:12], -v[19:20]
	v_add_f64 v[9:10], v[9:10], v[11:12]
	v_add_f64 v[9:10], v[25:26], v[9:10]
	v_cndmask_b32_e64 v2, v9, v3, s2
	v_cndmask_b32_e64 v9, v10, v4, s2
	v_cmp_ngt_f64_e64 s2, 0, v[3:4]
	v_cndmask_b32_e64 v9, 0x7ff80000, v9, s2
	v_cmp_nge_f64_e64 s2, 0, v[3:4]
	v_cndmask_b32_e64 v2, 0, v2, s2
	v_cmp_neq_f64_e64 s2, 0, v[3:4]
	v_cndmask_b32_e64 v3, 0xfff00000, v9, s2
	s_lshl_b64 s[2:3], s[14:15], 3
	v_add_co_u32 v0, s2, v0, s2
	v_add_f64 v[4:5], v[5:6], -v[2:3]
	v_add_co_ci_u32_e64 v1, null, s3, v1, s2
	global_store_dwordx2 v[0:1], v[4:5], off
	s_and_b32 exec_lo, exec_lo, vcc_lo
	s_cbranch_execz .LBB15_28
; %bb.25:
	v_add_f64 v[4:5], v[13:14], -v[2:3]
	global_store_dwordx2 v[0:1], v[4:5], off offset:256
	s_and_b32 exec_lo, exec_lo, s0
	s_cbranch_execz .LBB15_28
; %bb.26:
	v_add_f64 v[4:5], v[17:18], -v[2:3]
	global_store_dwordx2 v[0:1], v[4:5], off offset:512
	s_and_b32 exec_lo, exec_lo, s1
	s_cbranch_execz .LBB15_28
; %bb.27:
	v_add_f64 v[2:3], v[7:8], -v[2:3]
	global_store_dwordx2 v[0:1], v[2:3], off offset:768
.LBB15_28:
	s_endpgm
	.section	.rodata,"a",@progbits
	.p2align	6, 0x0
	.amdhsa_kernel _ZN12_GLOBAL__N_120softmax_warp_forwardIdddLi7ELb1ELb0ELi32EEEvPT0_PKT_iiiPKbib
		.amdhsa_group_segment_fixed_size 0
		.amdhsa_private_segment_fixed_size 0
		.amdhsa_kernarg_size 304
		.amdhsa_user_sgpr_count 6
		.amdhsa_user_sgpr_private_segment_buffer 1
		.amdhsa_user_sgpr_dispatch_ptr 0
		.amdhsa_user_sgpr_queue_ptr 0
		.amdhsa_user_sgpr_kernarg_segment_ptr 1
		.amdhsa_user_sgpr_dispatch_id 0
		.amdhsa_user_sgpr_flat_scratch_init 0
		.amdhsa_user_sgpr_private_segment_size 0
		.amdhsa_wavefront_size32 1
		.amdhsa_uses_dynamic_stack 0
		.amdhsa_system_sgpr_private_segment_wavefront_offset 0
		.amdhsa_system_sgpr_workgroup_id_x 1
		.amdhsa_system_sgpr_workgroup_id_y 0
		.amdhsa_system_sgpr_workgroup_id_z 0
		.amdhsa_system_sgpr_workgroup_info 0
		.amdhsa_system_vgpr_workitem_id 1
		.amdhsa_next_free_vgpr 46
		.amdhsa_next_free_sgpr 38
		.amdhsa_reserve_vcc 1
		.amdhsa_reserve_flat_scratch 0
		.amdhsa_float_round_mode_32 0
		.amdhsa_float_round_mode_16_64 0
		.amdhsa_float_denorm_mode_32 3
		.amdhsa_float_denorm_mode_16_64 3
		.amdhsa_dx10_clamp 1
		.amdhsa_ieee_mode 1
		.amdhsa_fp16_overflow 0
		.amdhsa_workgroup_processor_mode 1
		.amdhsa_memory_ordered 1
		.amdhsa_forward_progress 1
		.amdhsa_shared_vgpr_count 0
		.amdhsa_exception_fp_ieee_invalid_op 0
		.amdhsa_exception_fp_denorm_src 0
		.amdhsa_exception_fp_ieee_div_zero 0
		.amdhsa_exception_fp_ieee_overflow 0
		.amdhsa_exception_fp_ieee_underflow 0
		.amdhsa_exception_fp_ieee_inexact 0
		.amdhsa_exception_int_div_zero 0
	.end_amdhsa_kernel
	.section	.text._ZN12_GLOBAL__N_120softmax_warp_forwardIdddLi7ELb1ELb0ELi32EEEvPT0_PKT_iiiPKbib,"axG",@progbits,_ZN12_GLOBAL__N_120softmax_warp_forwardIdddLi7ELb1ELb0ELi32EEEvPT0_PKT_iiiPKbib,comdat
.Lfunc_end15:
	.size	_ZN12_GLOBAL__N_120softmax_warp_forwardIdddLi7ELb1ELb0ELi32EEEvPT0_PKT_iiiPKbib, .Lfunc_end15-_ZN12_GLOBAL__N_120softmax_warp_forwardIdddLi7ELb1ELb0ELi32EEEvPT0_PKT_iiiPKbib
                                        ; -- End function
	.set _ZN12_GLOBAL__N_120softmax_warp_forwardIdddLi7ELb1ELb0ELi32EEEvPT0_PKT_iiiPKbib.num_vgpr, 46
	.set _ZN12_GLOBAL__N_120softmax_warp_forwardIdddLi7ELb1ELb0ELi32EEEvPT0_PKT_iiiPKbib.num_agpr, 0
	.set _ZN12_GLOBAL__N_120softmax_warp_forwardIdddLi7ELb1ELb0ELi32EEEvPT0_PKT_iiiPKbib.numbered_sgpr, 38
	.set _ZN12_GLOBAL__N_120softmax_warp_forwardIdddLi7ELb1ELb0ELi32EEEvPT0_PKT_iiiPKbib.num_named_barrier, 0
	.set _ZN12_GLOBAL__N_120softmax_warp_forwardIdddLi7ELb1ELb0ELi32EEEvPT0_PKT_iiiPKbib.private_seg_size, 0
	.set _ZN12_GLOBAL__N_120softmax_warp_forwardIdddLi7ELb1ELb0ELi32EEEvPT0_PKT_iiiPKbib.uses_vcc, 1
	.set _ZN12_GLOBAL__N_120softmax_warp_forwardIdddLi7ELb1ELb0ELi32EEEvPT0_PKT_iiiPKbib.uses_flat_scratch, 0
	.set _ZN12_GLOBAL__N_120softmax_warp_forwardIdddLi7ELb1ELb0ELi32EEEvPT0_PKT_iiiPKbib.has_dyn_sized_stack, 0
	.set _ZN12_GLOBAL__N_120softmax_warp_forwardIdddLi7ELb1ELb0ELi32EEEvPT0_PKT_iiiPKbib.has_recursion, 0
	.set _ZN12_GLOBAL__N_120softmax_warp_forwardIdddLi7ELb1ELb0ELi32EEEvPT0_PKT_iiiPKbib.has_indirect_call, 0
	.section	.AMDGPU.csdata,"",@progbits
; Kernel info:
; codeLenInByte = 5220
; TotalNumSgprs: 40
; NumVgprs: 46
; ScratchSize: 0
; MemoryBound: 0
; FloatMode: 240
; IeeeMode: 1
; LDSByteSize: 0 bytes/workgroup (compile time only)
; SGPRBlocks: 0
; VGPRBlocks: 5
; NumSGPRsForWavesPerEU: 40
; NumVGPRsForWavesPerEU: 46
; Occupancy: 16
; WaveLimiterHint : 0
; COMPUTE_PGM_RSRC2:SCRATCH_EN: 0
; COMPUTE_PGM_RSRC2:USER_SGPR: 6
; COMPUTE_PGM_RSRC2:TRAP_HANDLER: 0
; COMPUTE_PGM_RSRC2:TGID_X_EN: 1
; COMPUTE_PGM_RSRC2:TGID_Y_EN: 0
; COMPUTE_PGM_RSRC2:TGID_Z_EN: 0
; COMPUTE_PGM_RSRC2:TIDIG_COMP_CNT: 1
	.section	.text._ZN12_GLOBAL__N_120softmax_warp_forwardIdddLi8ELb1ELb0ELi64EEEvPT0_PKT_iiiPKbib,"axG",@progbits,_ZN12_GLOBAL__N_120softmax_warp_forwardIdddLi8ELb1ELb0ELi64EEEvPT0_PKT_iiiPKbib,comdat
	.globl	_ZN12_GLOBAL__N_120softmax_warp_forwardIdddLi8ELb1ELb0ELi64EEEvPT0_PKT_iiiPKbib ; -- Begin function _ZN12_GLOBAL__N_120softmax_warp_forwardIdddLi8ELb1ELb0ELi64EEEvPT0_PKT_iiiPKbib
	.p2align	8
	.type	_ZN12_GLOBAL__N_120softmax_warp_forwardIdddLi8ELb1ELb0ELi64EEEvPT0_PKT_iiiPKbib,@function
_ZN12_GLOBAL__N_120softmax_warp_forwardIdddLi8ELb1ELb0ELi64EEEvPT0_PKT_iiiPKbib: ; @_ZN12_GLOBAL__N_120softmax_warp_forwardIdddLi8ELb1ELb0ELi64EEEvPT0_PKT_iiiPKbib
; %bb.0:
	s_clause 0x1
	s_load_dword s0, s[4:5], 0x3c
	s_load_dwordx8 s[12:19], s[4:5], 0x0
	v_mov_b32_e32 v5, 0
	v_mov_b32_e32 v6, 0xfff00000
	s_waitcnt lgkmcnt(0)
	s_lshr_b32 s0, s0, 16
	v_cmp_gt_i32_e64 s2, s18, v0
	v_mad_u64_u32 v[1:2], null, s6, s0, v[1:2]
	v_mad_u64_u32 v[2:3], null, v1, s17, v[0:1]
	v_sub_nc_u32_e32 v15, s16, v1
	v_cmp_lt_i32_e64 s3, 0, v15
	v_ashrrev_i32_e32 v3, 31, v2
	s_and_b32 s1, s3, s2
	v_lshlrev_b64 v[1:2], 3, v[2:3]
	v_mov_b32_e32 v3, 0
	v_mov_b32_e32 v4, 0xfff00000
	v_add_co_u32 v11, vcc_lo, s14, v1
	v_add_co_ci_u32_e64 v12, null, s15, v2, vcc_lo
	s_and_saveexec_b32 s0, s1
	s_cbranch_execz .LBB16_2
; %bb.1:
	global_load_dwordx2 v[3:4], v[11:12], off
.LBB16_2:
	s_or_b32 exec_lo, exec_lo, s0
	v_add_nc_u32_e32 v7, 64, v0
	v_cmp_gt_i32_e32 vcc_lo, s18, v7
	s_and_b32 s1, s3, vcc_lo
	s_and_saveexec_b32 s0, s1
	s_cbranch_execz .LBB16_4
; %bb.3:
	global_load_dwordx2 v[5:6], v[11:12], off offset:512
.LBB16_4:
	s_or_b32 exec_lo, exec_lo, s0
	v_add_nc_u32_e32 v7, 0x80, v0
	v_mov_b32_e32 v9, 0
	v_mov_b32_e32 v10, 0xfff00000
	v_cmp_gt_i32_e64 s0, s18, v7
	v_mov_b32_e32 v7, 0
	v_mov_b32_e32 v8, 0xfff00000
	s_and_b32 s4, s3, s0
	s_and_saveexec_b32 s1, s4
	s_cbranch_execz .LBB16_6
; %bb.5:
	global_load_dwordx2 v[7:8], v[11:12], off offset:1024
.LBB16_6:
	s_or_b32 exec_lo, exec_lo, s1
	v_add_nc_u32_e32 v0, 0xc0, v0
	v_cmp_gt_i32_e64 s1, s18, v0
	s_and_b32 s4, s3, s1
	s_and_saveexec_b32 s3, s4
	s_cbranch_execz .LBB16_8
; %bb.7:
	global_load_dwordx2 v[9:10], v[11:12], off offset:1536
.LBB16_8:
	s_or_b32 exec_lo, exec_lo, s3
	s_waitcnt vmcnt(0)
	v_cmp_gt_f64_e64 s3, v[3:4], v[5:6]
	v_mbcnt_lo_u32_b32 v22, -1, 0
	s_mov_b32 s6, 0xfefa39ef
	s_mov_b32 s7, 0xbfe62e42
	;; [unrolled: 1-line block ×4, first 2 shown]
	v_or_b32_e32 v0, 32, v22
	s_mov_b32 s9, 0x3e928af3
	s_mov_b32 s11, 0x3e5ade15
	v_cmp_gt_i32_e64 s4, 64, v0
	v_cndmask_b32_e64 v0, v22, v0, s4
	v_lshlrev_b32_e32 v0, 2, v0
	v_cndmask_b32_e64 v12, v6, v4, s3
	v_cndmask_b32_e64 v11, v5, v3, s3
	v_cmp_gt_f64_e64 s3, v[11:12], v[7:8]
	v_cndmask_b32_e64 v12, v8, v12, s3
	v_cndmask_b32_e64 v11, v7, v11, s3
	v_cmp_gt_f64_e64 s3, v[11:12], v[9:10]
	v_cndmask_b32_e64 v13, v10, v12, s3
	v_cndmask_b32_e64 v12, v9, v11, s3
	v_xor_b32_e32 v11, 16, v22
	ds_bpermute_b32 v17, v0, v13
	ds_bpermute_b32 v16, v0, v12
	v_cmp_gt_i32_e64 s4, 64, v11
	v_cndmask_b32_e64 v11, v22, v11, s4
	v_lshlrev_b32_e32 v11, 2, v11
	s_waitcnt lgkmcnt(0)
	v_cmp_lt_f64_e64 s3, v[12:13], v[16:17]
	v_cndmask_b32_e64 v14, v13, v17, s3
	v_cndmask_b32_e64 v13, v12, v16, s3
	v_xor_b32_e32 v12, 8, v22
	ds_bpermute_b32 v17, v11, v14
	ds_bpermute_b32 v16, v11, v13
	v_cmp_gt_i32_e64 s4, 64, v12
	v_cndmask_b32_e64 v12, v22, v12, s4
	v_lshlrev_b32_e32 v12, 2, v12
	s_waitcnt lgkmcnt(0)
	v_cmp_lt_f64_e64 s3, v[13:14], v[16:17]
	v_cndmask_b32_e64 v17, v14, v17, s3
	v_cndmask_b32_e64 v16, v13, v16, s3
	v_xor_b32_e32 v13, 4, v22
	v_xor_b32_e32 v14, 2, v22
	ds_bpermute_b32 v19, v12, v17
	ds_bpermute_b32 v18, v12, v16
	v_cmp_gt_i32_e64 s4, 64, v13
	v_cndmask_b32_e64 v13, v22, v13, s4
	v_cmp_gt_i32_e64 s4, 64, v14
	v_lshlrev_b32_e32 v13, 2, v13
	v_cndmask_b32_e64 v14, v22, v14, s4
	v_lshlrev_b32_e32 v14, 2, v14
	s_waitcnt lgkmcnt(0)
	v_cmp_lt_f64_e64 s3, v[16:17], v[18:19]
	v_cndmask_b32_e64 v17, v17, v19, s3
	v_cndmask_b32_e64 v16, v16, v18, s3
	ds_bpermute_b32 v19, v13, v17
	ds_bpermute_b32 v18, v13, v16
	s_waitcnt lgkmcnt(0)
	v_cmp_lt_f64_e64 s3, v[16:17], v[18:19]
	v_cndmask_b32_e64 v19, v17, v19, s3
	v_cndmask_b32_e64 v18, v16, v18, s3
	v_xor_b32_e32 v16, 1, v22
	ds_bpermute_b32 v21, v14, v19
	ds_bpermute_b32 v20, v14, v18
	v_cmp_gt_i32_e64 s4, 64, v16
	v_cndmask_b32_e64 v16, v22, v16, s4
	s_mov_b32 s4, 0x652b82fe
	s_mov_b32 s5, 0x3ff71547
	v_lshlrev_b32_e32 v16, 2, v16
	s_waitcnt lgkmcnt(0)
	v_cmp_lt_f64_e64 s3, v[18:19], v[20:21]
	v_cndmask_b32_e64 v19, v19, v21, s3
	v_cndmask_b32_e64 v18, v18, v20, s3
	ds_bpermute_b32 v21, v16, v19
	ds_bpermute_b32 v20, v16, v18
	s_waitcnt lgkmcnt(0)
	v_cmp_lt_f64_e64 s3, v[18:19], v[20:21]
	v_cndmask_b32_e64 v19, v19, v21, s3
	v_cndmask_b32_e64 v18, v18, v20, s3
	v_add_f64 v[3:4], v[3:4], -v[18:19]
	v_add_f64 v[5:6], v[5:6], -v[18:19]
	;; [unrolled: 1-line block ×4, first 2 shown]
	v_mul_f64 v[20:21], v[3:4], s[4:5]
	v_mul_f64 v[22:23], v[5:6], s[4:5]
	;; [unrolled: 1-line block ×4, first 2 shown]
	s_mov_b32 s4, 0x3b39803f
	s_mov_b32 s5, 0xbc7abc9e
	v_cmp_nlt_f64_e64 s3, 0x40900000, v[5:6]
	v_rndne_f64_e32 v[20:21], v[20:21]
	v_rndne_f64_e32 v[22:23], v[22:23]
	;; [unrolled: 1-line block ×4, first 2 shown]
	v_fma_f64 v[24:25], v[20:21], s[6:7], v[3:4]
	v_fma_f64 v[28:29], v[22:23], s[6:7], v[5:6]
	;; [unrolled: 1-line block ×4, first 2 shown]
	s_mov_b32 s6, 0x623fde64
	s_mov_b32 s7, 0x3ec71dee
	v_cvt_i32_f64_e32 v42, v[20:21]
	v_fma_f64 v[24:25], v[20:21], s[4:5], v[24:25]
	v_fma_f64 v[28:29], v[22:23], s[4:5], v[28:29]
	;; [unrolled: 1-line block ×4, first 2 shown]
	s_mov_b32 s4, 0x7c89e6b0
	s_mov_b32 s5, 0x3efa0199
	v_cvt_i32_f64_e32 v26, v[26:27]
	v_fma_f64 v[32:33], v[24:25], s[10:11], s[8:9]
	v_fma_f64 v[36:37], v[28:29], s[10:11], s[8:9]
	v_fma_f64 v[38:39], v[30:31], s[10:11], s[8:9]
	v_fma_f64 v[40:41], v[34:35], s[10:11], s[8:9]
	s_mov_b32 s8, 0x14761f6e
	s_mov_b32 s9, 0x3f2a01a0
	v_fma_f64 v[32:33], v[24:25], v[32:33], s[6:7]
	v_fma_f64 v[36:37], v[28:29], v[36:37], s[6:7]
	v_fma_f64 v[38:39], v[30:31], v[38:39], s[6:7]
	v_fma_f64 v[40:41], v[34:35], v[40:41], s[6:7]
	s_mov_b32 s6, 0x1852b7b0
	s_mov_b32 s7, 0x3f56c16c
	;; [unrolled: 6-line block ×6, first 2 shown]
	v_fma_f64 v[32:33], v[24:25], v[32:33], s[8:9]
	v_fma_f64 v[36:37], v[28:29], v[36:37], s[8:9]
	;; [unrolled: 1-line block ×4, first 2 shown]
	v_cmp_ngt_f64_e64 s8, 0xc090cc00, v[7:8]
	v_fma_f64 v[32:33], v[24:25], v[32:33], s[6:7]
	v_fma_f64 v[36:37], v[28:29], v[36:37], s[6:7]
	;; [unrolled: 1-line block ×4, first 2 shown]
	v_cmp_ngt_f64_e64 s6, 0xc090cc00, v[3:4]
	v_cmp_nlt_f64_e64 s7, 0x40900000, v[7:8]
	v_fma_f64 v[32:33], v[24:25], v[32:33], s[4:5]
	v_fma_f64 v[36:37], v[28:29], v[36:37], s[4:5]
	;; [unrolled: 1-line block ×3, first 2 shown]
	v_fma_f64 v[32:33], v[24:25], v[32:33], 1.0
	v_fma_f64 v[36:37], v[28:29], v[36:37], 1.0
	;; [unrolled: 1-line block ×3, first 2 shown]
	v_fma_f64 v[24:25], v[34:35], v[40:41], s[4:5]
	v_fma_f64 v[32:33], v[30:31], v[38:39], 1.0
	v_cvt_i32_f64_e32 v38, v[22:23]
	v_fma_f64 v[21:22], v[28:29], v[36:37], 1.0
	v_cmp_nlt_f64_e64 s5, 0x40900000, v[3:4]
	v_cmp_ngt_f64_e64 s4, 0xc090cc00, v[5:6]
	v_ldexp_f64 v[19:20], v[19:20], v42
	v_fma_f64 v[23:24], v[34:35], v[24:25], 1.0
	v_cvt_i32_f64_e32 v25, v[17:18]
	v_fma_f64 v[17:18], v[30:31], v[32:33], 1.0
	v_ldexp_f64 v[21:22], v[21:22], v38
	v_add_f64 v[19:20], v[19:20], 0
	v_fma_f64 v[23:24], v[34:35], v[23:24], 1.0
	v_ldexp_f64 v[17:18], v[17:18], v25
	v_cndmask_b32_e64 v25, 0x7ff00000, v22, s3
	s_and_b32 s3, s4, s3
	v_cndmask_b32_e64 v25, 0, v25, s4
	v_cmp_ngt_f64_e64 s4, 0xc090cc00, v[9:10]
	v_cndmask_b32_e64 v20, 0x7ff00000, v20, s5
	v_ldexp_f64 v[22:23], v[23:24], v26
	v_cndmask_b32_e64 v24, 0, v21, s3
	s_and_b32 s3, s6, s5
	v_cndmask_b32_e64 v26, 0x7ff00000, v18, s7
	v_cndmask_b32_e64 v20, 0, v20, s6
	;; [unrolled: 1-line block ×3, first 2 shown]
	v_cmp_nlt_f64_e64 s3, 0x40900000, v[9:10]
	s_and_b32 s5, s8, s7
	v_cndmask_b32_e64 v21, 0, v26, s8
	v_add_f64 v[18:19], v[19:20], v[24:25]
	v_cndmask_b32_e64 v20, 0, v17, s5
	v_cndmask_b32_e64 v23, 0x7ff00000, v23, s3
	s_and_b32 s3, s4, s3
	v_add_f64 v[17:18], v[18:19], v[20:21]
	v_cndmask_b32_e64 v20, 0, v23, s4
	v_cndmask_b32_e64 v19, 0, v22, s3
	s_mov_b32 s4, exec_lo
	v_add_f64 v[17:18], v[17:18], v[19:20]
	ds_bpermute_b32 v19, v0, v17
	ds_bpermute_b32 v20, v0, v18
	s_waitcnt lgkmcnt(0)
	v_add_f64 v[17:18], v[17:18], v[19:20]
	ds_bpermute_b32 v19, v11, v17
	ds_bpermute_b32 v20, v11, v18
	s_waitcnt lgkmcnt(0)
	;; [unrolled: 4-line block ×5, first 2 shown]
	v_add_f64 v[11:12], v[11:12], v[13:14]
	ds_bpermute_b32 v13, v16, v11
	ds_bpermute_b32 v14, v16, v12
	v_cmpx_lt_i32_e32 0, v15
	s_cbranch_execz .LBB16_14
; %bb.9:
	s_and_b32 exec_lo, exec_lo, s2
	s_cbranch_execz .LBB16_14
; %bb.10:
	s_waitcnt lgkmcnt(0)
	v_add_f64 v[12:13], v[11:12], v[13:14]
	s_mov_b32 s5, 0x3fe55555
	s_mov_b32 s4, 0x55555555
	;; [unrolled: 1-line block ×6, first 2 shown]
	v_frexp_mant_f64_e32 v[14:15], v[12:13]
	v_cmp_gt_f64_e64 s2, s[4:5], v[14:15]
	s_mov_b32 s4, 0x55555780
	v_cndmask_b32_e64 v0, 0, 1, s2
	v_ldexp_f64 v[14:15], v[14:15], v0
	v_frexp_exp_i32_f64_e32 v0, v[12:13]
	v_add_f64 v[16:17], v[14:15], 1.0
	v_add_f64 v[22:23], v[14:15], -1.0
	v_subrev_co_ci_u32_e64 v0, null, 0, v0, s2
	s_mov_b32 s2, 0xfefa39ef
	s_mov_b32 s3, 0x3fe62e42
	v_rcp_f64_e32 v[18:19], v[16:17]
	v_add_f64 v[24:25], v[16:17], -1.0
	v_add_f64 v[14:15], v[14:15], -v[24:25]
	v_fma_f64 v[20:21], -v[16:17], v[18:19], 1.0
	v_fma_f64 v[18:19], v[20:21], v[18:19], v[18:19]
	v_fma_f64 v[20:21], -v[16:17], v[18:19], 1.0
	v_fma_f64 v[18:19], v[20:21], v[18:19], v[18:19]
	v_mul_f64 v[20:21], v[22:23], v[18:19]
	v_mul_f64 v[26:27], v[16:17], v[20:21]
	v_fma_f64 v[16:17], v[20:21], v[16:17], -v[26:27]
	v_fma_f64 v[14:15], v[20:21], v[14:15], v[16:17]
	v_add_f64 v[16:17], v[26:27], v[14:15]
	v_add_f64 v[24:25], v[22:23], -v[16:17]
	v_add_f64 v[26:27], v[16:17], -v[26:27]
	;; [unrolled: 1-line block ×5, first 2 shown]
	v_add_f64 v[14:15], v[14:15], v[16:17]
	v_add_f64 v[14:15], v[24:25], v[14:15]
	v_mul_f64 v[14:15], v[18:19], v[14:15]
	v_add_f64 v[16:17], v[20:21], v[14:15]
	v_mul_f64 v[18:19], v[16:17], v[16:17]
	v_fma_f64 v[22:23], v[18:19], s[8:9], s[6:7]
	s_mov_b32 s6, 0xd7f4df2e
	s_mov_b32 s7, 0x3fc7474d
	v_mul_f64 v[24:25], v[16:17], v[18:19]
	v_fma_f64 v[22:23], v[18:19], v[22:23], s[6:7]
	s_mov_b32 s6, 0x16291751
	s_mov_b32 s7, 0x3fcc71c0
	v_fma_f64 v[22:23], v[18:19], v[22:23], s[6:7]
	s_mov_b32 s6, 0x9b27acf1
	s_mov_b32 s7, 0x3fd24924
	;; [unrolled: 3-line block ×3, first 2 shown]
	v_fma_f64 v[22:23], v[18:19], v[22:23], s[6:7]
	v_fma_f64 v[18:19], v[18:19], v[22:23], s[4:5]
	v_ldexp_f64 v[22:23], v[16:17], 1
	v_add_f64 v[16:17], v[16:17], -v[20:21]
	v_mul_f64 v[18:19], v[24:25], v[18:19]
	v_cvt_f64_i32_e32 v[24:25], v0
	v_add_f64 v[14:15], v[14:15], -v[16:17]
	v_add_f64 v[20:21], v[22:23], v[18:19]
	v_mul_f64 v[26:27], v[24:25], s[2:3]
	v_ldexp_f64 v[14:15], v[14:15], 1
	v_add_f64 v[16:17], v[20:21], -v[22:23]
	v_fma_f64 v[22:23], v[24:25], s[2:3], -v[26:27]
	s_mov_b32 s2, 0x3b39803f
	s_mov_b32 s3, 0x3c7abc9e
	v_add_f64 v[16:17], v[18:19], -v[16:17]
	v_fma_f64 v[18:19], v[24:25], s[2:3], v[22:23]
	v_cmp_class_f64_e64 s2, v[12:13], 0x204
	v_add_f64 v[14:15], v[14:15], v[16:17]
	v_add_f64 v[16:17], v[26:27], v[18:19]
	;; [unrolled: 1-line block ×3, first 2 shown]
	v_add_f64 v[26:27], v[16:17], -v[26:27]
	v_add_f64 v[24:25], v[16:17], v[22:23]
	v_add_f64 v[20:21], v[22:23], -v[20:21]
	v_add_f64 v[18:19], v[18:19], -v[26:27]
	;; [unrolled: 1-line block ×6, first 2 shown]
	v_add_f64 v[22:23], v[18:19], v[14:15]
	v_add_f64 v[16:17], v[16:17], -v[30:31]
	v_add_f64 v[16:17], v[20:21], v[16:17]
	v_add_f64 v[20:21], v[22:23], -v[18:19]
	;; [unrolled: 2-line block ×3, first 2 shown]
	v_add_f64 v[14:15], v[14:15], -v[20:21]
	v_add_f64 v[26:27], v[24:25], v[16:17]
	v_add_f64 v[18:19], v[18:19], -v[22:23]
	v_add_f64 v[20:21], v[26:27], -v[24:25]
	v_add_f64 v[14:15], v[14:15], v[18:19]
	v_add_f64 v[16:17], v[16:17], -v[20:21]
	v_add_f64 v[14:15], v[14:15], v[16:17]
	v_add_f64 v[14:15], v[26:27], v[14:15]
	v_cndmask_b32_e64 v0, v14, v12, s2
	v_cndmask_b32_e64 v11, v15, v13, s2
	v_cmp_ngt_f64_e64 s2, 0, v[12:13]
	v_cndmask_b32_e64 v14, 0x7ff80000, v11, s2
	v_cmp_nge_f64_e64 s2, 0, v[12:13]
	v_cndmask_b32_e64 v11, 0, v0, s2
	v_cmp_neq_f64_e64 s2, 0, v[12:13]
	v_cndmask_b32_e64 v12, 0xfff00000, v14, s2
	v_add_co_u32 v0, s2, s12, v1
	v_add_co_ci_u32_e64 v1, null, s13, v2, s2
	v_add_f64 v[3:4], v[3:4], -v[11:12]
	global_store_dwordx2 v[0:1], v[3:4], off
	s_and_b32 exec_lo, exec_lo, vcc_lo
	s_cbranch_execz .LBB16_14
; %bb.11:
	v_add_f64 v[2:3], v[5:6], -v[11:12]
	global_store_dwordx2 v[0:1], v[2:3], off offset:512
	s_and_b32 exec_lo, exec_lo, s0
	s_cbranch_execz .LBB16_14
; %bb.12:
	v_add_f64 v[2:3], v[7:8], -v[11:12]
	global_store_dwordx2 v[0:1], v[2:3], off offset:1024
	s_and_b32 exec_lo, exec_lo, s1
	s_cbranch_execz .LBB16_14
; %bb.13:
	v_add_f64 v[2:3], v[9:10], -v[11:12]
	global_store_dwordx2 v[0:1], v[2:3], off offset:1536
.LBB16_14:
	s_endpgm
	.section	.rodata,"a",@progbits
	.p2align	6, 0x0
	.amdhsa_kernel _ZN12_GLOBAL__N_120softmax_warp_forwardIdddLi8ELb1ELb0ELi64EEEvPT0_PKT_iiiPKbib
		.amdhsa_group_segment_fixed_size 0
		.amdhsa_private_segment_fixed_size 0
		.amdhsa_kernarg_size 304
		.amdhsa_user_sgpr_count 6
		.amdhsa_user_sgpr_private_segment_buffer 1
		.amdhsa_user_sgpr_dispatch_ptr 0
		.amdhsa_user_sgpr_queue_ptr 0
		.amdhsa_user_sgpr_kernarg_segment_ptr 1
		.amdhsa_user_sgpr_dispatch_id 0
		.amdhsa_user_sgpr_flat_scratch_init 0
		.amdhsa_user_sgpr_private_segment_size 0
		.amdhsa_wavefront_size32 1
		.amdhsa_uses_dynamic_stack 0
		.amdhsa_system_sgpr_private_segment_wavefront_offset 0
		.amdhsa_system_sgpr_workgroup_id_x 1
		.amdhsa_system_sgpr_workgroup_id_y 0
		.amdhsa_system_sgpr_workgroup_id_z 0
		.amdhsa_system_sgpr_workgroup_info 0
		.amdhsa_system_vgpr_workitem_id 1
		.amdhsa_next_free_vgpr 43
		.amdhsa_next_free_sgpr 20
		.amdhsa_reserve_vcc 1
		.amdhsa_reserve_flat_scratch 0
		.amdhsa_float_round_mode_32 0
		.amdhsa_float_round_mode_16_64 0
		.amdhsa_float_denorm_mode_32 3
		.amdhsa_float_denorm_mode_16_64 3
		.amdhsa_dx10_clamp 1
		.amdhsa_ieee_mode 1
		.amdhsa_fp16_overflow 0
		.amdhsa_workgroup_processor_mode 1
		.amdhsa_memory_ordered 1
		.amdhsa_forward_progress 1
		.amdhsa_shared_vgpr_count 0
		.amdhsa_exception_fp_ieee_invalid_op 0
		.amdhsa_exception_fp_denorm_src 0
		.amdhsa_exception_fp_ieee_div_zero 0
		.amdhsa_exception_fp_ieee_overflow 0
		.amdhsa_exception_fp_ieee_underflow 0
		.amdhsa_exception_fp_ieee_inexact 0
		.amdhsa_exception_int_div_zero 0
	.end_amdhsa_kernel
	.section	.text._ZN12_GLOBAL__N_120softmax_warp_forwardIdddLi8ELb1ELb0ELi64EEEvPT0_PKT_iiiPKbib,"axG",@progbits,_ZN12_GLOBAL__N_120softmax_warp_forwardIdddLi8ELb1ELb0ELi64EEEvPT0_PKT_iiiPKbib,comdat
.Lfunc_end16:
	.size	_ZN12_GLOBAL__N_120softmax_warp_forwardIdddLi8ELb1ELb0ELi64EEEvPT0_PKT_iiiPKbib, .Lfunc_end16-_ZN12_GLOBAL__N_120softmax_warp_forwardIdddLi8ELb1ELb0ELi64EEEvPT0_PKT_iiiPKbib
                                        ; -- End function
	.set _ZN12_GLOBAL__N_120softmax_warp_forwardIdddLi8ELb1ELb0ELi64EEEvPT0_PKT_iiiPKbib.num_vgpr, 43
	.set _ZN12_GLOBAL__N_120softmax_warp_forwardIdddLi8ELb1ELb0ELi64EEEvPT0_PKT_iiiPKbib.num_agpr, 0
	.set _ZN12_GLOBAL__N_120softmax_warp_forwardIdddLi8ELb1ELb0ELi64EEEvPT0_PKT_iiiPKbib.numbered_sgpr, 20
	.set _ZN12_GLOBAL__N_120softmax_warp_forwardIdddLi8ELb1ELb0ELi64EEEvPT0_PKT_iiiPKbib.num_named_barrier, 0
	.set _ZN12_GLOBAL__N_120softmax_warp_forwardIdddLi8ELb1ELb0ELi64EEEvPT0_PKT_iiiPKbib.private_seg_size, 0
	.set _ZN12_GLOBAL__N_120softmax_warp_forwardIdddLi8ELb1ELb0ELi64EEEvPT0_PKT_iiiPKbib.uses_vcc, 1
	.set _ZN12_GLOBAL__N_120softmax_warp_forwardIdddLi8ELb1ELb0ELi64EEEvPT0_PKT_iiiPKbib.uses_flat_scratch, 0
	.set _ZN12_GLOBAL__N_120softmax_warp_forwardIdddLi8ELb1ELb0ELi64EEEvPT0_PKT_iiiPKbib.has_dyn_sized_stack, 0
	.set _ZN12_GLOBAL__N_120softmax_warp_forwardIdddLi8ELb1ELb0ELi64EEEvPT0_PKT_iiiPKbib.has_recursion, 0
	.set _ZN12_GLOBAL__N_120softmax_warp_forwardIdddLi8ELb1ELb0ELi64EEEvPT0_PKT_iiiPKbib.has_indirect_call, 0
	.section	.AMDGPU.csdata,"",@progbits
; Kernel info:
; codeLenInByte = 2880
; TotalNumSgprs: 22
; NumVgprs: 43
; ScratchSize: 0
; MemoryBound: 1
; FloatMode: 240
; IeeeMode: 1
; LDSByteSize: 0 bytes/workgroup (compile time only)
; SGPRBlocks: 0
; VGPRBlocks: 5
; NumSGPRsForWavesPerEU: 22
; NumVGPRsForWavesPerEU: 43
; Occupancy: 16
; WaveLimiterHint : 0
; COMPUTE_PGM_RSRC2:SCRATCH_EN: 0
; COMPUTE_PGM_RSRC2:USER_SGPR: 6
; COMPUTE_PGM_RSRC2:TRAP_HANDLER: 0
; COMPUTE_PGM_RSRC2:TGID_X_EN: 1
; COMPUTE_PGM_RSRC2:TGID_Y_EN: 0
; COMPUTE_PGM_RSRC2:TGID_Z_EN: 0
; COMPUTE_PGM_RSRC2:TIDIG_COMP_CNT: 1
	.section	.text._ZN12_GLOBAL__N_120softmax_warp_forwardIdddLi8ELb1ELb0ELi32EEEvPT0_PKT_iiiPKbib,"axG",@progbits,_ZN12_GLOBAL__N_120softmax_warp_forwardIdddLi8ELb1ELb0ELi32EEEvPT0_PKT_iiiPKbib,comdat
	.globl	_ZN12_GLOBAL__N_120softmax_warp_forwardIdddLi8ELb1ELb0ELi32EEEvPT0_PKT_iiiPKbib ; -- Begin function _ZN12_GLOBAL__N_120softmax_warp_forwardIdddLi8ELb1ELb0ELi32EEEvPT0_PKT_iiiPKbib
	.p2align	8
	.type	_ZN12_GLOBAL__N_120softmax_warp_forwardIdddLi8ELb1ELb0ELi32EEEvPT0_PKT_iiiPKbib,@function
_ZN12_GLOBAL__N_120softmax_warp_forwardIdddLi8ELb1ELb0ELi32EEEvPT0_PKT_iiiPKbib: ; @_ZN12_GLOBAL__N_120softmax_warp_forwardIdddLi8ELb1ELb0ELi32EEEvPT0_PKT_iiiPKbib
; %bb.0:
	s_clause 0x1
	s_load_dword s0, s[4:5], 0x3c
	s_load_dwordx8 s[16:23], s[4:5], 0x0
	v_mov_b32_e32 v5, 0
	v_mov_b32_e32 v6, 0xfff00000
	s_waitcnt lgkmcnt(0)
	s_lshr_b32 s0, s0, 16
	v_mad_u64_u32 v[1:2], null, s6, s0, v[1:2]
	v_cmp_gt_i32_e64 s6, s22, v0
	v_mad_u64_u32 v[2:3], null, v1, s21, v[0:1]
	v_sub_nc_u32_e32 v23, s20, v1
	v_cmp_lt_i32_e64 s7, 0, v23
	v_ashrrev_i32_e32 v3, 31, v2
	s_and_b32 s1, s7, s6
	v_lshlrev_b64 v[1:2], 3, v[2:3]
	v_mov_b32_e32 v3, 0
	v_mov_b32_e32 v4, 0xfff00000
	v_add_co_u32 v19, vcc_lo, s18, v1
	v_add_co_ci_u32_e64 v20, null, s19, v2, vcc_lo
	s_and_saveexec_b32 s0, s1
	s_cbranch_execz .LBB17_2
; %bb.1:
	global_load_dwordx2 v[3:4], v[19:20], off
.LBB17_2:
	s_or_b32 exec_lo, exec_lo, s0
	v_add_nc_u32_e32 v7, 32, v0
	v_cmp_gt_i32_e32 vcc_lo, s22, v7
	s_and_b32 s1, s7, vcc_lo
	s_and_saveexec_b32 s0, s1
	s_cbranch_execz .LBB17_4
; %bb.3:
	global_load_dwordx2 v[5:6], v[19:20], off offset:256
.LBB17_4:
	s_or_b32 exec_lo, exec_lo, s0
	v_add_nc_u32_e32 v7, 64, v0
	v_mov_b32_e32 v9, 0
	v_mov_b32_e32 v10, 0xfff00000
	v_cmp_gt_i32_e64 s0, s22, v7
	v_mov_b32_e32 v7, 0
	v_mov_b32_e32 v8, 0xfff00000
	s_and_b32 s2, s7, s0
	s_and_saveexec_b32 s1, s2
	s_cbranch_execz .LBB17_6
; %bb.5:
	global_load_dwordx2 v[7:8], v[19:20], off offset:512
.LBB17_6:
	s_or_b32 exec_lo, exec_lo, s1
	v_add_nc_u32_e32 v11, 0x60, v0
	v_cmp_gt_i32_e64 s1, s22, v11
	s_and_b32 s3, s7, s1
	s_and_saveexec_b32 s2, s3
	s_cbranch_execz .LBB17_8
; %bb.7:
	global_load_dwordx2 v[9:10], v[19:20], off offset:768
.LBB17_8:
	s_or_b32 exec_lo, exec_lo, s2
	v_add_nc_u32_e32 v11, 0x80, v0
	v_mov_b32_e32 v13, 0
	v_mov_b32_e32 v14, 0xfff00000
	v_cmp_gt_i32_e64 s2, s22, v11
	v_mov_b32_e32 v11, 0
	v_mov_b32_e32 v12, 0xfff00000
	s_and_b32 s4, s7, s2
	s_and_saveexec_b32 s3, s4
	s_cbranch_execz .LBB17_10
; %bb.9:
	global_load_dwordx2 v[11:12], v[19:20], off offset:1024
.LBB17_10:
	s_or_b32 exec_lo, exec_lo, s3
	v_add_nc_u32_e32 v15, 0xa0, v0
	v_cmp_gt_i32_e64 s3, s22, v15
	s_and_b32 s5, s7, s3
	s_and_saveexec_b32 s4, s5
	s_cbranch_execz .LBB17_12
; %bb.11:
	global_load_dwordx2 v[13:14], v[19:20], off offset:1280
.LBB17_12:
	s_or_b32 exec_lo, exec_lo, s4
	v_add_nc_u32_e32 v15, 0xc0, v0
	v_mov_b32_e32 v17, 0
	v_mov_b32_e32 v18, 0xfff00000
	v_cmp_gt_i32_e64 s4, s22, v15
	v_mov_b32_e32 v15, 0
	v_mov_b32_e32 v16, 0xfff00000
	s_and_b32 s8, s7, s4
	s_and_saveexec_b32 s5, s8
	s_cbranch_execz .LBB17_14
; %bb.13:
	global_load_dwordx2 v[17:18], v[19:20], off offset:1536
.LBB17_14:
	s_or_b32 exec_lo, exec_lo, s5
	v_add_nc_u32_e32 v0, 0xe0, v0
	v_cmp_gt_i32_e64 s5, s22, v0
	s_and_b32 s8, s7, s5
	s_and_saveexec_b32 s7, s8
	s_cbranch_execz .LBB17_16
; %bb.15:
	global_load_dwordx2 v[15:16], v[19:20], off offset:1792
.LBB17_16:
	s_or_b32 exec_lo, exec_lo, s7
	s_waitcnt vmcnt(0)
	v_cmp_gt_f64_e64 s7, v[3:4], v[5:6]
	v_mbcnt_lo_u32_b32 v28, -1, 0
	s_mov_b32 s18, 0xfefa39ef
	s_mov_b32 s19, 0xbfe62e42
	;; [unrolled: 1-line block ×4, first 2 shown]
	v_xor_b32_e32 v0, 16, v28
	v_xor_b32_e32 v21, 8, v28
	;; [unrolled: 1-line block ×3, first 2 shown]
	s_mov_b32 s10, 0xfca7ab0c
	s_mov_b32 s12, 0x6a5dcb37
	v_cmp_gt_i32_e64 s8, 32, v0
	s_mov_b32 s11, 0x3e928af3
	s_mov_b32 s13, 0x3e5ade15
	;; [unrolled: 1-line block ×4, first 2 shown]
	v_cndmask_b32_e64 v0, v28, v0, s8
	v_cmp_gt_i32_e64 s8, 32, v21
	s_mov_b32 s22, 0x7c89e6b0
	s_mov_b32 s23, 0x3efa0199
	;; [unrolled: 1-line block ×3, first 2 shown]
	v_lshlrev_b32_e32 v0, 2, v0
	v_cndmask_b32_e64 v20, v6, v4, s7
	v_cndmask_b32_e64 v19, v5, v3, s7
	;; [unrolled: 1-line block ×3, first 2 shown]
	v_cmp_gt_i32_e64 s8, 32, v22
	s_mov_b32 s25, 0x3f2a01a0
	s_mov_b32 s26, 0x1852b7b0
	v_cmp_gt_f64_e64 s7, v[19:20], v[7:8]
	v_lshlrev_b32_e32 v21, 2, v21
	v_cndmask_b32_e64 v22, v28, v22, s8
	s_mov_b32 s27, 0x3f56c16c
	s_mov_b32 s28, 0x11122322
	;; [unrolled: 1-line block ×4, first 2 shown]
	v_lshlrev_b32_e32 v22, 2, v22
	s_mov_b32 s31, 0x3fa55555
	s_mov_b32 s34, 0x55555511
	;; [unrolled: 1-line block ×5, first 2 shown]
	v_cndmask_b32_e64 v20, v8, v20, s7
	v_cndmask_b32_e64 v19, v7, v19, s7
	v_cmp_gt_f64_e64 s7, v[19:20], v[9:10]
	v_cndmask_b32_e64 v20, v10, v20, s7
	v_cndmask_b32_e64 v19, v9, v19, s7
	v_cmp_gt_f64_e64 s7, v[19:20], v[11:12]
	;; [unrolled: 3-line block ×5, first 2 shown]
	v_cndmask_b32_e64 v20, v16, v20, s7
	v_cndmask_b32_e64 v19, v15, v19, s7
	ds_bpermute_b32 v25, v0, v20
	ds_bpermute_b32 v24, v0, v19
	s_waitcnt lgkmcnt(0)
	v_cmp_lt_f64_e64 s7, v[19:20], v[24:25]
	v_cndmask_b32_e64 v20, v20, v25, s7
	v_cndmask_b32_e64 v19, v19, v24, s7
	ds_bpermute_b32 v25, v21, v20
	ds_bpermute_b32 v24, v21, v19
	s_waitcnt lgkmcnt(0)
	v_cmp_lt_f64_e64 s7, v[19:20], v[24:25]
	v_cndmask_b32_e64 v20, v20, v25, s7
	v_cndmask_b32_e64 v19, v19, v24, s7
	v_xor_b32_e32 v24, 2, v28
	ds_bpermute_b32 v26, v22, v20
	ds_bpermute_b32 v25, v22, v19
	v_cmp_gt_i32_e64 s8, 32, v24
	v_cndmask_b32_e64 v24, v28, v24, s8
	v_lshlrev_b32_e32 v24, 2, v24
	s_waitcnt lgkmcnt(0)
	v_cmp_lt_f64_e64 s7, v[19:20], v[25:26]
	v_cndmask_b32_e64 v20, v20, v26, s7
	v_cndmask_b32_e64 v19, v19, v25, s7
	v_xor_b32_e32 v25, 1, v28
	ds_bpermute_b32 v27, v24, v20
	ds_bpermute_b32 v26, v24, v19
	v_cmp_gt_i32_e64 s8, 32, v25
	v_cndmask_b32_e64 v25, v28, v25, s8
	s_mov_b32 s8, 0x652b82fe
	s_mov_b32 s9, 0x3ff71547
	v_lshlrev_b32_e32 v25, 2, v25
	s_waitcnt lgkmcnt(0)
	v_cmp_lt_f64_e64 s7, v[19:20], v[26:27]
	v_cndmask_b32_e64 v20, v20, v27, s7
	v_cndmask_b32_e64 v19, v19, v26, s7
	ds_bpermute_b32 v27, v25, v20
	ds_bpermute_b32 v26, v25, v19
	s_waitcnt lgkmcnt(0)
	v_cmp_lt_f64_e64 s7, v[19:20], v[26:27]
	v_cndmask_b32_e64 v20, v20, v27, s7
	v_cndmask_b32_e64 v19, v19, v26, s7
	v_add_f64 v[3:4], v[3:4], -v[19:20]
	v_add_f64 v[5:6], v[5:6], -v[19:20]
	v_add_f64 v[7:8], v[7:8], -v[19:20]
	v_add_f64 v[9:10], v[9:10], -v[19:20]
	v_add_f64 v[11:12], v[11:12], -v[19:20]
	v_add_f64 v[13:14], v[13:14], -v[19:20]
	v_add_f64 v[17:18], v[17:18], -v[19:20]
	v_add_f64 v[15:16], v[15:16], -v[19:20]
	v_mul_f64 v[26:27], v[3:4], s[8:9]
	v_mul_f64 v[28:29], v[5:6], s[8:9]
	;; [unrolled: 1-line block ×6, first 2 shown]
	v_cmp_nlt_f64_e64 s7, 0x40900000, v[5:6]
	v_mul_f64 v[54:55], v[15:16], s[8:9]
	v_rndne_f64_e32 v[26:27], v[26:27]
	v_rndne_f64_e32 v[28:29], v[28:29]
	;; [unrolled: 1-line block ×7, first 2 shown]
	v_fma_f64 v[32:33], v[26:27], s[18:19], v[3:4]
	v_fma_f64 v[34:35], v[28:29], s[18:19], v[5:6]
	;; [unrolled: 1-line block ×6, first 2 shown]
	v_cvt_i32_f64_e32 v60, v[26:27]
	v_cvt_i32_f64_e32 v61, v[28:29]
	;; [unrolled: 1-line block ×3, first 2 shown]
	v_fma_f64 v[32:33], v[26:27], s[14:15], v[32:33]
	v_fma_f64 v[34:35], v[28:29], s[14:15], v[34:35]
	;; [unrolled: 1-line block ×34, first 2 shown]
	v_mul_f64 v[38:39], v[17:18], s[8:9]
	v_fma_f64 v[40:41], v[34:35], v[40:41], s[34:35]
	v_fma_f64 v[42:43], v[36:37], v[42:43], s[34:35]
	v_fma_f64 v[58:59], v[50:51], v[58:59], s[34:35]
	v_cmp_nlt_f64_e64 s9, 0x40900000, v[3:4]
	v_cmp_ngt_f64_e64 s8, 0xc090cc00, v[5:6]
	v_fma_f64 v[19:20], v[32:33], v[19:20], s[36:37]
	v_rndne_f64_e32 v[38:39], v[38:39]
	v_fma_f64 v[40:41], v[34:35], v[40:41], s[36:37]
	v_fma_f64 v[28:29], v[36:37], v[42:43], s[36:37]
	;; [unrolled: 1-line block ×5, first 2 shown]
	v_cvt_i32_f64_e32 v48, v[48:49]
	v_fma_f64 v[19:20], v[32:33], v[19:20], 1.0
	v_fma_f64 v[26:27], v[38:39], s[18:19], v[17:18]
	v_fma_f64 v[40:41], v[34:35], v[40:41], 1.0
	v_fma_f64 v[28:29], v[36:37], v[28:29], 1.0
	v_fma_f64 v[56:57], v[52:53], v[56:57], s[20:21]
	v_fma_f64 v[58:59], v[50:51], v[58:59], 1.0
	v_fma_f64 v[19:20], v[32:33], v[19:20], 1.0
	v_fma_f64 v[32:33], v[54:55], s[18:19], v[15:16]
	v_fma_f64 v[26:27], v[38:39], s[14:15], v[26:27]
	v_fma_f64 v[34:35], v[34:35], v[40:41], 1.0
	v_fma_f64 v[40:41], v[42:43], s[12:13], s[10:11]
	v_fma_f64 v[28:29], v[36:37], v[28:29], 1.0
	;; [unrolled: 2-line block ×3, first 2 shown]
	v_cvt_i32_f64_e32 v38, v[38:39]
	v_ldexp_f64 v[19:20], v[19:20], v60
	v_fma_f64 v[32:33], v[54:55], s[14:15], v[32:33]
	v_fma_f64 v[36:37], v[26:27], s[12:13], s[10:11]
	v_ldexp_f64 v[34:35], v[34:35], v61
	v_fma_f64 v[40:41], v[42:43], v[40:41], s[20:21]
	v_cvt_i32_f64_e32 v60, v[44:45]
	v_fma_f64 v[56:57], v[52:53], v[56:57], s[24:25]
	v_ldexp_f64 v[28:29], v[28:29], v62
	v_add_f64 v[19:20], v[19:20], 0
	v_fma_f64 v[30:31], v[32:33], s[12:13], s[10:11]
	v_fma_f64 v[36:37], v[26:27], v[36:37], s[20:21]
	v_cmp_ngt_f64_e64 s10, 0xc090cc00, v[3:4]
	v_fma_f64 v[40:41], v[42:43], v[40:41], s[22:23]
	v_cmp_nlt_f64_e64 s11, 0x40900000, v[7:8]
	v_fma_f64 v[56:57], v[52:53], v[56:57], s[26:27]
	v_cmp_ngt_f64_e64 s12, 0xc090cc00, v[7:8]
	v_cndmask_b32_e64 v20, 0x7ff00000, v20, s9
	v_fma_f64 v[30:31], v[32:33], v[30:31], s[20:21]
	v_fma_f64 v[36:37], v[26:27], v[36:37], s[22:23]
	;; [unrolled: 1-line block ×3, first 2 shown]
	v_cndmask_b32_e64 v20, 0, v20, s10
	v_fma_f64 v[56:57], v[52:53], v[56:57], s[28:29]
	v_fma_f64 v[30:31], v[32:33], v[30:31], s[22:23]
	;; [unrolled: 1-line block ×16, first 2 shown]
	v_fma_f64 v[44:45], v[52:53], v[56:57], 1.0
	v_cndmask_b32_e64 v56, 0x7ff00000, v35, s7
	s_and_b32 s7, s8, s7
	v_cvt_i32_f64_e32 v57, v[46:47]
	v_ldexp_f64 v[46:47], v[50:51], v60
	v_cndmask_b32_e64 v50, 0, v34, s7
	s_and_b32 s7, s10, s9
	v_cndmask_b32_e64 v51, 0, v56, s8
	v_cndmask_b32_e64 v19, 0, v19, s7
	v_cmp_nlt_f64_e64 s7, 0x40900000, v[9:10]
	v_cmp_ngt_f64_e64 s8, 0xc090cc00, v[9:10]
	s_and_b32 s9, s12, s11
	v_cmp_ngt_f64_e64 s10, 0xc090cc00, v[11:12]
	v_add_f64 v[19:20], v[19:20], v[50:51]
	v_fma_f64 v[30:31], v[32:33], v[30:31], s[30:31]
	v_fma_f64 v[36:37], v[26:27], v[36:37], s[34:35]
	;; [unrolled: 1-line block ×3, first 2 shown]
	v_fma_f64 v[44:45], v[52:53], v[44:45], 1.0
	v_cndmask_b32_e64 v52, 0x7ff00000, v29, s11
	v_fma_f64 v[30:31], v[32:33], v[30:31], s[34:35]
	v_fma_f64 v[35:36], v[26:27], v[36:37], s[36:37]
	v_fma_f64 v[40:41], v[42:43], v[40:41], 1.0
	v_fma_f64 v[29:30], v[32:33], v[30:31], s[36:37]
	v_fma_f64 v[34:35], v[26:27], v[35:36], 1.0
	v_fma_f64 v[36:37], v[42:43], v[40:41], 1.0
	v_cndmask_b32_e64 v43, 0, v52, s12
	v_cndmask_b32_e64 v42, 0, v28, s9
	v_ldexp_f64 v[40:41], v[44:45], v57
	v_cndmask_b32_e64 v44, 0x7ff00000, v47, s7
	v_cmp_nlt_f64_e64 s9, 0x40900000, v[11:12]
	s_and_b32 s7, s8, s7
	v_add_f64 v[19:20], v[19:20], v[42:43]
	v_fma_f64 v[28:29], v[32:33], v[29:30], 1.0
	v_fma_f64 v[26:27], v[26:27], v[34:35], 1.0
	v_cndmask_b32_e64 v35, 0, v44, s8
	v_ldexp_f64 v[30:31], v[36:37], v48
	v_cndmask_b32_e64 v34, 0, v46, s7
	v_cmp_nlt_f64_e64 s7, 0x40900000, v[13:14]
	v_cmp_ngt_f64_e64 s8, 0xc090cc00, v[13:14]
	v_cndmask_b32_e64 v36, 0x7ff00000, v41, s9
	s_and_b32 s9, s10, s9
	v_add_f64 v[19:20], v[19:20], v[34:35]
	v_cvt_i32_f64_e32 v34, v[54:55]
	v_fma_f64 v[28:29], v[32:33], v[28:29], 1.0
	v_cndmask_b32_e64 v32, 0, v36, s10
	v_ldexp_f64 v[26:27], v[26:27], v38
	v_cmp_ngt_f64_e64 s10, 0xc090cc00, v[17:18]
	v_cndmask_b32_e64 v33, 0x7ff00000, v31, s7
	v_cndmask_b32_e64 v31, 0, v40, s9
	v_cmp_nlt_f64_e64 s9, 0x40900000, v[17:18]
	s_and_b32 s7, s8, s7
	v_cndmask_b32_e64 v30, 0, v30, s7
	v_add_f64 v[19:20], v[19:20], v[31:32]
	v_cndmask_b32_e64 v31, 0, v33, s8
	v_cmp_nlt_f64_e64 s7, 0x40900000, v[15:16]
	v_cmp_ngt_f64_e64 s8, 0xc090cc00, v[15:16]
	v_ldexp_f64 v[28:29], v[28:29], v34
	v_cndmask_b32_e64 v27, 0x7ff00000, v27, s9
	s_and_b32 s9, s10, s9
	v_cndmask_b32_e64 v26, 0, v26, s9
	v_add_f64 v[19:20], v[19:20], v[30:31]
	v_cndmask_b32_e64 v27, 0, v27, s10
	v_cndmask_b32_e64 v29, 0x7ff00000, v29, s7
	s_and_b32 s7, s8, s7
	v_add_f64 v[19:20], v[19:20], v[26:27]
	v_cndmask_b32_e64 v27, 0, v29, s8
	v_cndmask_b32_e64 v26, 0, v28, s7
	s_mov_b32 s8, exec_lo
	v_add_f64 v[19:20], v[19:20], v[26:27]
	ds_bpermute_b32 v26, v0, v19
	ds_bpermute_b32 v27, v0, v20
	s_waitcnt lgkmcnt(0)
	v_add_f64 v[19:20], v[19:20], v[26:27]
	ds_bpermute_b32 v26, v21, v19
	ds_bpermute_b32 v27, v21, v20
	s_waitcnt lgkmcnt(0)
	;; [unrolled: 4-line block ×4, first 2 shown]
	v_add_f64 v[19:20], v[19:20], v[21:22]
	ds_bpermute_b32 v21, v25, v19
	ds_bpermute_b32 v22, v25, v20
	v_cmpx_lt_i32_e32 0, v23
	s_cbranch_execz .LBB17_26
; %bb.17:
	s_and_b32 exec_lo, exec_lo, s6
	s_cbranch_execz .LBB17_26
; %bb.18:
	s_waitcnt lgkmcnt(0)
	v_add_f64 v[20:21], v[19:20], v[21:22]
	s_mov_b32 s9, 0x3fe55555
	s_mov_b32 s8, 0x55555555
	;; [unrolled: 1-line block ×6, first 2 shown]
	v_frexp_mant_f64_e32 v[22:23], v[20:21]
	v_cmp_gt_f64_e64 s6, s[8:9], v[22:23]
	s_mov_b32 s8, 0x55555780
	v_cndmask_b32_e64 v0, 0, 1, s6
	v_ldexp_f64 v[22:23], v[22:23], v0
	v_frexp_exp_i32_f64_e32 v0, v[20:21]
	v_add_f64 v[24:25], v[22:23], 1.0
	v_add_f64 v[30:31], v[22:23], -1.0
	v_subrev_co_ci_u32_e64 v0, null, 0, v0, s6
	s_mov_b32 s6, 0xfefa39ef
	s_mov_b32 s7, 0x3fe62e42
	v_rcp_f64_e32 v[26:27], v[24:25]
	v_add_f64 v[32:33], v[24:25], -1.0
	v_add_f64 v[22:23], v[22:23], -v[32:33]
	v_fma_f64 v[28:29], -v[24:25], v[26:27], 1.0
	v_fma_f64 v[26:27], v[28:29], v[26:27], v[26:27]
	v_fma_f64 v[28:29], -v[24:25], v[26:27], 1.0
	v_fma_f64 v[26:27], v[28:29], v[26:27], v[26:27]
	v_mul_f64 v[28:29], v[30:31], v[26:27]
	v_mul_f64 v[34:35], v[24:25], v[28:29]
	v_fma_f64 v[24:25], v[28:29], v[24:25], -v[34:35]
	v_fma_f64 v[22:23], v[28:29], v[22:23], v[24:25]
	v_add_f64 v[24:25], v[34:35], v[22:23]
	v_add_f64 v[32:33], v[30:31], -v[24:25]
	v_add_f64 v[34:35], v[24:25], -v[34:35]
	;; [unrolled: 1-line block ×5, first 2 shown]
	v_add_f64 v[22:23], v[22:23], v[24:25]
	v_add_f64 v[22:23], v[32:33], v[22:23]
	v_mul_f64 v[22:23], v[26:27], v[22:23]
	v_add_f64 v[24:25], v[28:29], v[22:23]
	v_mul_f64 v[26:27], v[24:25], v[24:25]
	v_fma_f64 v[30:31], v[26:27], s[12:13], s[10:11]
	s_mov_b32 s10, 0xd7f4df2e
	s_mov_b32 s11, 0x3fc7474d
	v_mul_f64 v[32:33], v[24:25], v[26:27]
	v_fma_f64 v[30:31], v[26:27], v[30:31], s[10:11]
	s_mov_b32 s10, 0x16291751
	s_mov_b32 s11, 0x3fcc71c0
	v_fma_f64 v[30:31], v[26:27], v[30:31], s[10:11]
	s_mov_b32 s10, 0x9b27acf1
	s_mov_b32 s11, 0x3fd24924
	;; [unrolled: 3-line block ×3, first 2 shown]
	v_fma_f64 v[30:31], v[26:27], v[30:31], s[10:11]
	v_fma_f64 v[26:27], v[26:27], v[30:31], s[8:9]
	v_ldexp_f64 v[30:31], v[24:25], 1
	v_add_f64 v[24:25], v[24:25], -v[28:29]
	v_mul_f64 v[26:27], v[32:33], v[26:27]
	v_cvt_f64_i32_e32 v[32:33], v0
	v_add_f64 v[22:23], v[22:23], -v[24:25]
	v_add_f64 v[28:29], v[30:31], v[26:27]
	v_mul_f64 v[34:35], v[32:33], s[6:7]
	v_ldexp_f64 v[22:23], v[22:23], 1
	v_add_f64 v[24:25], v[28:29], -v[30:31]
	v_fma_f64 v[30:31], v[32:33], s[6:7], -v[34:35]
	s_mov_b32 s6, 0x3b39803f
	s_mov_b32 s7, 0x3c7abc9e
	v_add_f64 v[24:25], v[26:27], -v[24:25]
	v_fma_f64 v[26:27], v[32:33], s[6:7], v[30:31]
	v_cmp_class_f64_e64 s6, v[20:21], 0x204
	v_add_f64 v[22:23], v[22:23], v[24:25]
	v_add_f64 v[24:25], v[34:35], v[26:27]
	;; [unrolled: 1-line block ×3, first 2 shown]
	v_add_f64 v[34:35], v[24:25], -v[34:35]
	v_add_f64 v[32:33], v[24:25], v[30:31]
	v_add_f64 v[28:29], v[30:31], -v[28:29]
	v_add_f64 v[26:27], v[26:27], -v[34:35]
	;; [unrolled: 1-line block ×6, first 2 shown]
	v_add_f64 v[30:31], v[26:27], v[22:23]
	v_add_f64 v[24:25], v[24:25], -v[38:39]
	v_add_f64 v[24:25], v[28:29], v[24:25]
	v_add_f64 v[28:29], v[30:31], -v[26:27]
	;; [unrolled: 2-line block ×3, first 2 shown]
	v_add_f64 v[22:23], v[22:23], -v[28:29]
	v_add_f64 v[34:35], v[32:33], v[24:25]
	v_add_f64 v[26:27], v[26:27], -v[30:31]
	v_add_f64 v[28:29], v[34:35], -v[32:33]
	v_add_f64 v[22:23], v[22:23], v[26:27]
	v_add_f64 v[24:25], v[24:25], -v[28:29]
	v_add_f64 v[22:23], v[22:23], v[24:25]
	v_add_f64 v[22:23], v[34:35], v[22:23]
	v_cndmask_b32_e64 v0, v22, v20, s6
	v_cndmask_b32_e64 v19, v23, v21, s6
	v_cmp_ngt_f64_e64 s6, 0, v[20:21]
	v_cndmask_b32_e64 v22, 0x7ff80000, v19, s6
	v_cmp_nge_f64_e64 s6, 0, v[20:21]
	v_cndmask_b32_e64 v19, 0, v0, s6
	v_cmp_neq_f64_e64 s6, 0, v[20:21]
	v_cndmask_b32_e64 v20, 0xfff00000, v22, s6
	v_add_co_u32 v0, s6, s16, v1
	v_add_co_ci_u32_e64 v1, null, s17, v2, s6
	v_add_f64 v[3:4], v[3:4], -v[19:20]
	global_store_dwordx2 v[0:1], v[3:4], off
	s_and_b32 exec_lo, exec_lo, vcc_lo
	s_cbranch_execz .LBB17_26
; %bb.19:
	v_add_f64 v[2:3], v[5:6], -v[19:20]
	global_store_dwordx2 v[0:1], v[2:3], off offset:256
	s_and_b32 exec_lo, exec_lo, s0
	s_cbranch_execz .LBB17_26
; %bb.20:
	v_add_f64 v[2:3], v[7:8], -v[19:20]
	global_store_dwordx2 v[0:1], v[2:3], off offset:512
	s_and_b32 exec_lo, exec_lo, s1
	;; [unrolled: 5-line block ×6, first 2 shown]
	s_cbranch_execz .LBB17_26
; %bb.25:
	v_add_f64 v[2:3], v[15:16], -v[19:20]
	global_store_dwordx2 v[0:1], v[2:3], off offset:1792
.LBB17_26:
	s_endpgm
	.section	.rodata,"a",@progbits
	.p2align	6, 0x0
	.amdhsa_kernel _ZN12_GLOBAL__N_120softmax_warp_forwardIdddLi8ELb1ELb0ELi32EEEvPT0_PKT_iiiPKbib
		.amdhsa_group_segment_fixed_size 0
		.amdhsa_private_segment_fixed_size 0
		.amdhsa_kernarg_size 304
		.amdhsa_user_sgpr_count 6
		.amdhsa_user_sgpr_private_segment_buffer 1
		.amdhsa_user_sgpr_dispatch_ptr 0
		.amdhsa_user_sgpr_queue_ptr 0
		.amdhsa_user_sgpr_kernarg_segment_ptr 1
		.amdhsa_user_sgpr_dispatch_id 0
		.amdhsa_user_sgpr_flat_scratch_init 0
		.amdhsa_user_sgpr_private_segment_size 0
		.amdhsa_wavefront_size32 1
		.amdhsa_uses_dynamic_stack 0
		.amdhsa_system_sgpr_private_segment_wavefront_offset 0
		.amdhsa_system_sgpr_workgroup_id_x 1
		.amdhsa_system_sgpr_workgroup_id_y 0
		.amdhsa_system_sgpr_workgroup_id_z 0
		.amdhsa_system_sgpr_workgroup_info 0
		.amdhsa_system_vgpr_workitem_id 1
		.amdhsa_next_free_vgpr 63
		.amdhsa_next_free_sgpr 38
		.amdhsa_reserve_vcc 1
		.amdhsa_reserve_flat_scratch 0
		.amdhsa_float_round_mode_32 0
		.amdhsa_float_round_mode_16_64 0
		.amdhsa_float_denorm_mode_32 3
		.amdhsa_float_denorm_mode_16_64 3
		.amdhsa_dx10_clamp 1
		.amdhsa_ieee_mode 1
		.amdhsa_fp16_overflow 0
		.amdhsa_workgroup_processor_mode 1
		.amdhsa_memory_ordered 1
		.amdhsa_forward_progress 1
		.amdhsa_shared_vgpr_count 0
		.amdhsa_exception_fp_ieee_invalid_op 0
		.amdhsa_exception_fp_denorm_src 0
		.amdhsa_exception_fp_ieee_div_zero 0
		.amdhsa_exception_fp_ieee_overflow 0
		.amdhsa_exception_fp_ieee_underflow 0
		.amdhsa_exception_fp_ieee_inexact 0
		.amdhsa_exception_int_div_zero 0
	.end_amdhsa_kernel
	.section	.text._ZN12_GLOBAL__N_120softmax_warp_forwardIdddLi8ELb1ELb0ELi32EEEvPT0_PKT_iiiPKbib,"axG",@progbits,_ZN12_GLOBAL__N_120softmax_warp_forwardIdddLi8ELb1ELb0ELi32EEEvPT0_PKT_iiiPKbib,comdat
.Lfunc_end17:
	.size	_ZN12_GLOBAL__N_120softmax_warp_forwardIdddLi8ELb1ELb0ELi32EEEvPT0_PKT_iiiPKbib, .Lfunc_end17-_ZN12_GLOBAL__N_120softmax_warp_forwardIdddLi8ELb1ELb0ELi32EEEvPT0_PKT_iiiPKbib
                                        ; -- End function
	.set _ZN12_GLOBAL__N_120softmax_warp_forwardIdddLi8ELb1ELb0ELi32EEEvPT0_PKT_iiiPKbib.num_vgpr, 63
	.set _ZN12_GLOBAL__N_120softmax_warp_forwardIdddLi8ELb1ELb0ELi32EEEvPT0_PKT_iiiPKbib.num_agpr, 0
	.set _ZN12_GLOBAL__N_120softmax_warp_forwardIdddLi8ELb1ELb0ELi32EEEvPT0_PKT_iiiPKbib.numbered_sgpr, 38
	.set _ZN12_GLOBAL__N_120softmax_warp_forwardIdddLi8ELb1ELb0ELi32EEEvPT0_PKT_iiiPKbib.num_named_barrier, 0
	.set _ZN12_GLOBAL__N_120softmax_warp_forwardIdddLi8ELb1ELb0ELi32EEEvPT0_PKT_iiiPKbib.private_seg_size, 0
	.set _ZN12_GLOBAL__N_120softmax_warp_forwardIdddLi8ELb1ELb0ELi32EEEvPT0_PKT_iiiPKbib.uses_vcc, 1
	.set _ZN12_GLOBAL__N_120softmax_warp_forwardIdddLi8ELb1ELb0ELi32EEEvPT0_PKT_iiiPKbib.uses_flat_scratch, 0
	.set _ZN12_GLOBAL__N_120softmax_warp_forwardIdddLi8ELb1ELb0ELi32EEEvPT0_PKT_iiiPKbib.has_dyn_sized_stack, 0
	.set _ZN12_GLOBAL__N_120softmax_warp_forwardIdddLi8ELb1ELb0ELi32EEEvPT0_PKT_iiiPKbib.has_recursion, 0
	.set _ZN12_GLOBAL__N_120softmax_warp_forwardIdddLi8ELb1ELb0ELi32EEEvPT0_PKT_iiiPKbib.has_indirect_call, 0
	.section	.AMDGPU.csdata,"",@progbits
; Kernel info:
; codeLenInByte = 3980
; TotalNumSgprs: 40
; NumVgprs: 63
; ScratchSize: 0
; MemoryBound: 1
; FloatMode: 240
; IeeeMode: 1
; LDSByteSize: 0 bytes/workgroup (compile time only)
; SGPRBlocks: 0
; VGPRBlocks: 7
; NumSGPRsForWavesPerEU: 40
; NumVGPRsForWavesPerEU: 63
; Occupancy: 16
; WaveLimiterHint : 0
; COMPUTE_PGM_RSRC2:SCRATCH_EN: 0
; COMPUTE_PGM_RSRC2:USER_SGPR: 6
; COMPUTE_PGM_RSRC2:TRAP_HANDLER: 0
; COMPUTE_PGM_RSRC2:TGID_X_EN: 1
; COMPUTE_PGM_RSRC2:TGID_Y_EN: 0
; COMPUTE_PGM_RSRC2:TGID_Z_EN: 0
; COMPUTE_PGM_RSRC2:TIDIG_COMP_CNT: 1
	.section	.text._ZN12_GLOBAL__N_120softmax_warp_forwardIdddLi9ELb1ELb0ELi64EEEvPT0_PKT_iiiPKbib,"axG",@progbits,_ZN12_GLOBAL__N_120softmax_warp_forwardIdddLi9ELb1ELb0ELi64EEEvPT0_PKT_iiiPKbib,comdat
	.globl	_ZN12_GLOBAL__N_120softmax_warp_forwardIdddLi9ELb1ELb0ELi64EEEvPT0_PKT_iiiPKbib ; -- Begin function _ZN12_GLOBAL__N_120softmax_warp_forwardIdddLi9ELb1ELb0ELi64EEEvPT0_PKT_iiiPKbib
	.p2align	8
	.type	_ZN12_GLOBAL__N_120softmax_warp_forwardIdddLi9ELb1ELb0ELi64EEEvPT0_PKT_iiiPKbib,@function
_ZN12_GLOBAL__N_120softmax_warp_forwardIdddLi9ELb1ELb0ELi64EEEvPT0_PKT_iiiPKbib: ; @_ZN12_GLOBAL__N_120softmax_warp_forwardIdddLi9ELb1ELb0ELi64EEEvPT0_PKT_iiiPKbib
; %bb.0:
	s_clause 0x1
	s_load_dword s0, s[4:5], 0x3c
	s_load_dwordx8 s[16:23], s[4:5], 0x0
	v_mov_b32_e32 v5, 0
	v_mov_b32_e32 v6, 0xfff00000
	s_waitcnt lgkmcnt(0)
	s_lshr_b32 s0, s0, 16
	v_mad_u64_u32 v[1:2], null, s6, s0, v[1:2]
	v_cmp_gt_i32_e64 s6, s22, v0
	v_mad_u64_u32 v[2:3], null, v1, s21, v[0:1]
	v_sub_nc_u32_e32 v23, s20, v1
	v_cmp_lt_i32_e64 s7, 0, v23
	v_ashrrev_i32_e32 v3, 31, v2
	s_and_b32 s1, s7, s6
	v_lshlrev_b64 v[1:2], 3, v[2:3]
	v_mov_b32_e32 v3, 0
	v_mov_b32_e32 v4, 0xfff00000
	v_add_co_u32 v19, vcc_lo, s18, v1
	v_add_co_ci_u32_e64 v20, null, s19, v2, vcc_lo
	s_and_saveexec_b32 s0, s1
	s_cbranch_execz .LBB18_2
; %bb.1:
	global_load_dwordx2 v[3:4], v[19:20], off
.LBB18_2:
	s_or_b32 exec_lo, exec_lo, s0
	v_add_nc_u32_e32 v7, 64, v0
	v_cmp_gt_i32_e32 vcc_lo, s22, v7
	s_and_b32 s1, s7, vcc_lo
	s_and_saveexec_b32 s0, s1
	s_cbranch_execz .LBB18_4
; %bb.3:
	global_load_dwordx2 v[5:6], v[19:20], off offset:512
.LBB18_4:
	s_or_b32 exec_lo, exec_lo, s0
	v_add_nc_u32_e32 v7, 0x80, v0
	v_mov_b32_e32 v9, 0
	v_mov_b32_e32 v10, 0xfff00000
	v_cmp_gt_i32_e64 s0, s22, v7
	v_mov_b32_e32 v7, 0
	v_mov_b32_e32 v8, 0xfff00000
	s_and_b32 s2, s7, s0
	s_and_saveexec_b32 s1, s2
	s_cbranch_execz .LBB18_6
; %bb.5:
	global_load_dwordx2 v[7:8], v[19:20], off offset:1024
.LBB18_6:
	s_or_b32 exec_lo, exec_lo, s1
	v_add_nc_u32_e32 v11, 0xc0, v0
	v_cmp_gt_i32_e64 s1, s22, v11
	s_and_b32 s3, s7, s1
	s_and_saveexec_b32 s2, s3
	s_cbranch_execz .LBB18_8
; %bb.7:
	global_load_dwordx2 v[9:10], v[19:20], off offset:1536
.LBB18_8:
	s_or_b32 exec_lo, exec_lo, s2
	v_add_nc_u32_e32 v11, 0x100, v0
	v_mov_b32_e32 v13, 0
	v_mov_b32_e32 v14, 0xfff00000
	v_cmp_gt_i32_e64 s2, s22, v11
	v_mov_b32_e32 v11, 0
	v_mov_b32_e32 v12, 0xfff00000
	s_and_b32 s3, s7, s2
	s_and_saveexec_b32 s4, s3
	s_cbranch_execz .LBB18_10
; %bb.9:
	v_add_co_u32 v11, s3, 0x800, v19
	v_add_co_ci_u32_e64 v12, null, 0, v20, s3
	global_load_dwordx2 v[11:12], v[11:12], off
.LBB18_10:
	s_or_b32 exec_lo, exec_lo, s4
	v_add_nc_u32_e32 v15, 0x140, v0
	v_cmp_gt_i32_e64 s3, s22, v15
	s_and_b32 s4, s7, s3
	s_and_saveexec_b32 s5, s4
	s_cbranch_execz .LBB18_12
; %bb.11:
	v_add_co_u32 v13, s4, 0x800, v19
	v_add_co_ci_u32_e64 v14, null, 0, v20, s4
	global_load_dwordx2 v[13:14], v[13:14], off offset:512
.LBB18_12:
	s_or_b32 exec_lo, exec_lo, s5
	v_add_nc_u32_e32 v15, 0x180, v0
	v_mov_b32_e32 v17, 0
	v_mov_b32_e32 v18, 0xfff00000
	v_cmp_gt_i32_e64 s4, s22, v15
	v_mov_b32_e32 v15, 0
	v_mov_b32_e32 v16, 0xfff00000
	s_and_b32 s5, s7, s4
	s_and_saveexec_b32 s8, s5
	s_cbranch_execz .LBB18_14
; %bb.13:
	v_add_co_u32 v17, s5, 0x800, v19
	v_add_co_ci_u32_e64 v18, null, 0, v20, s5
	global_load_dwordx2 v[17:18], v[17:18], off offset:1024
.LBB18_14:
	s_or_b32 exec_lo, exec_lo, s8
	v_add_nc_u32_e32 v0, 0x1c0, v0
	v_cmp_gt_i32_e64 s5, s22, v0
	s_and_b32 s7, s7, s5
	s_and_saveexec_b32 s8, s7
	s_cbranch_execz .LBB18_16
; %bb.15:
	v_add_co_u32 v15, s7, 0x800, v19
	v_add_co_ci_u32_e64 v16, null, 0, v20, s7
	global_load_dwordx2 v[15:16], v[15:16], off offset:1536
.LBB18_16:
	s_or_b32 exec_lo, exec_lo, s8
	s_waitcnt vmcnt(0)
	v_cmp_gt_f64_e64 s7, v[3:4], v[5:6]
	v_mbcnt_lo_u32_b32 v29, -1, 0
	s_mov_b32 s18, 0xfefa39ef
	s_mov_b32 s19, 0xbfe62e42
	;; [unrolled: 1-line block ×4, first 2 shown]
	v_or_b32_e32 v0, 32, v29
	v_xor_b32_e32 v21, 16, v29
	v_xor_b32_e32 v22, 8, v29
	s_mov_b32 s10, 0xfca7ab0c
	s_mov_b32 s12, 0x6a5dcb37
	v_cmp_gt_i32_e64 s8, 64, v0
	s_mov_b32 s11, 0x3e928af3
	s_mov_b32 s13, 0x3e5ade15
	;; [unrolled: 1-line block ×4, first 2 shown]
	v_cndmask_b32_e64 v0, v29, v0, s8
	v_cmp_gt_i32_e64 s8, 64, v21
	s_mov_b32 s22, 0x7c89e6b0
	s_mov_b32 s23, 0x3efa0199
	;; [unrolled: 1-line block ×3, first 2 shown]
	v_lshlrev_b32_e32 v0, 2, v0
	v_cndmask_b32_e64 v20, v6, v4, s7
	v_cndmask_b32_e64 v19, v5, v3, s7
	;; [unrolled: 1-line block ×3, first 2 shown]
	v_cmp_gt_i32_e64 s8, 64, v22
	s_mov_b32 s25, 0x3f2a01a0
	s_mov_b32 s26, 0x1852b7b0
	v_cmp_gt_f64_e64 s7, v[19:20], v[7:8]
	v_lshlrev_b32_e32 v21, 2, v21
	v_cndmask_b32_e64 v22, v29, v22, s8
	s_mov_b32 s27, 0x3f56c16c
	s_mov_b32 s28, 0x11122322
	;; [unrolled: 1-line block ×4, first 2 shown]
	v_lshlrev_b32_e32 v22, 2, v22
	s_mov_b32 s31, 0x3fa55555
	s_mov_b32 s34, 0x55555511
	;; [unrolled: 1-line block ×5, first 2 shown]
	v_cndmask_b32_e64 v20, v8, v20, s7
	v_cndmask_b32_e64 v19, v7, v19, s7
	v_cmp_gt_f64_e64 s7, v[19:20], v[9:10]
	v_cndmask_b32_e64 v20, v10, v20, s7
	v_cndmask_b32_e64 v19, v9, v19, s7
	v_cmp_gt_f64_e64 s7, v[19:20], v[11:12]
	;; [unrolled: 3-line block ×5, first 2 shown]
	v_cndmask_b32_e64 v20, v16, v20, s7
	v_cndmask_b32_e64 v19, v15, v19, s7
	ds_bpermute_b32 v25, v0, v20
	ds_bpermute_b32 v24, v0, v19
	s_waitcnt lgkmcnt(0)
	v_cmp_lt_f64_e64 s7, v[19:20], v[24:25]
	v_cndmask_b32_e64 v20, v20, v25, s7
	v_cndmask_b32_e64 v19, v19, v24, s7
	ds_bpermute_b32 v25, v21, v20
	ds_bpermute_b32 v24, v21, v19
	s_waitcnt lgkmcnt(0)
	v_cmp_lt_f64_e64 s7, v[19:20], v[24:25]
	v_cndmask_b32_e64 v20, v20, v25, s7
	v_cndmask_b32_e64 v19, v19, v24, s7
	v_xor_b32_e32 v24, 4, v29
	ds_bpermute_b32 v26, v22, v20
	ds_bpermute_b32 v25, v22, v19
	v_cmp_gt_i32_e64 s8, 64, v24
	v_cndmask_b32_e64 v24, v29, v24, s8
	v_lshlrev_b32_e32 v24, 2, v24
	s_waitcnt lgkmcnt(0)
	v_cmp_lt_f64_e64 s7, v[19:20], v[25:26]
	v_cndmask_b32_e64 v20, v20, v26, s7
	v_cndmask_b32_e64 v19, v19, v25, s7
	v_xor_b32_e32 v25, 2, v29
	ds_bpermute_b32 v27, v24, v20
	ds_bpermute_b32 v26, v24, v19
	v_cmp_gt_i32_e64 s8, 64, v25
	v_cndmask_b32_e64 v25, v29, v25, s8
	v_lshlrev_b32_e32 v25, 2, v25
	s_waitcnt lgkmcnt(0)
	v_cmp_lt_f64_e64 s7, v[19:20], v[26:27]
	v_cndmask_b32_e64 v20, v20, v27, s7
	v_cndmask_b32_e64 v19, v19, v26, s7
	v_xor_b32_e32 v26, 1, v29
	ds_bpermute_b32 v28, v25, v20
	ds_bpermute_b32 v27, v25, v19
	v_cmp_gt_i32_e64 s8, 64, v26
	v_cndmask_b32_e64 v26, v29, v26, s8
	s_mov_b32 s8, 0x652b82fe
	s_mov_b32 s9, 0x3ff71547
	v_lshlrev_b32_e32 v26, 2, v26
	s_waitcnt lgkmcnt(0)
	v_cmp_lt_f64_e64 s7, v[19:20], v[27:28]
	v_cndmask_b32_e64 v20, v20, v28, s7
	v_cndmask_b32_e64 v19, v19, v27, s7
	ds_bpermute_b32 v28, v26, v20
	ds_bpermute_b32 v27, v26, v19
	s_waitcnt lgkmcnt(0)
	v_cmp_lt_f64_e64 s7, v[19:20], v[27:28]
	v_cndmask_b32_e64 v20, v20, v28, s7
	v_cndmask_b32_e64 v19, v19, v27, s7
	v_add_f64 v[3:4], v[3:4], -v[19:20]
	v_add_f64 v[5:6], v[5:6], -v[19:20]
	v_add_f64 v[7:8], v[7:8], -v[19:20]
	v_add_f64 v[9:10], v[9:10], -v[19:20]
	v_add_f64 v[11:12], v[11:12], -v[19:20]
	v_add_f64 v[13:14], v[13:14], -v[19:20]
	v_add_f64 v[17:18], v[17:18], -v[19:20]
	v_add_f64 v[15:16], v[15:16], -v[19:20]
	v_mul_f64 v[27:28], v[3:4], s[8:9]
	v_mul_f64 v[29:30], v[5:6], s[8:9]
	;; [unrolled: 1-line block ×6, first 2 shown]
	v_cmp_nlt_f64_e64 s7, 0x40900000, v[5:6]
	v_mul_f64 v[55:56], v[15:16], s[8:9]
	v_rndne_f64_e32 v[27:28], v[27:28]
	v_rndne_f64_e32 v[29:30], v[29:30]
	;; [unrolled: 1-line block ×7, first 2 shown]
	v_fma_f64 v[33:34], v[27:28], s[18:19], v[3:4]
	v_fma_f64 v[35:36], v[29:30], s[18:19], v[5:6]
	;; [unrolled: 1-line block ×6, first 2 shown]
	v_cvt_i32_f64_e32 v62, v[29:30]
	v_cvt_i32_f64_e32 v63, v[31:32]
	;; [unrolled: 1-line block ×3, first 2 shown]
	v_fma_f64 v[33:34], v[27:28], s[14:15], v[33:34]
	v_fma_f64 v[35:36], v[29:30], s[14:15], v[35:36]
	;; [unrolled: 1-line block ×29, first 2 shown]
	v_mul_f64 v[39:40], v[17:18], s[8:9]
	v_fma_f64 v[43:44], v[37:38], v[43:44], s[34:35]
	v_cmp_nlt_f64_e64 s9, 0x40900000, v[3:4]
	v_cmp_ngt_f64_e64 s8, 0xc090cc00, v[5:6]
	v_fma_f64 v[19:20], v[33:34], v[19:20], s[36:37]
	v_fma_f64 v[41:42], v[35:36], v[41:42], s[36:37]
	v_rndne_f64_e32 v[39:40], v[39:40]
	v_fma_f64 v[29:30], v[37:38], v[43:44], s[36:37]
	v_fma_f64 v[43:44], v[53:54], s[12:13], s[10:11]
	v_fma_f64 v[19:20], v[33:34], v[19:20], 1.0
	v_fma_f64 v[31:32], v[35:36], v[41:42], 1.0
	v_fma_f64 v[41:42], v[49:50], s[14:15], v[57:58]
	v_fma_f64 v[27:28], v[39:40], s[18:19], v[17:18]
	;; [unrolled: 1-line block ×4, first 2 shown]
	v_fma_f64 v[29:30], v[37:38], v[29:30], 1.0
	v_fma_f64 v[19:20], v[33:34], v[19:20], 1.0
	v_fma_f64 v[33:34], v[55:56], s[18:19], v[15:16]
	v_fma_f64 v[31:32], v[35:36], v[31:32], 1.0
	v_fma_f64 v[35:36], v[41:42], s[12:13], s[10:11]
	v_fma_f64 v[27:28], v[39:40], s[14:15], v[27:28]
	;; [unrolled: 1-line block ×4, first 2 shown]
	v_fma_f64 v[29:30], v[37:38], v[29:30], 1.0
	v_cvt_i32_f64_e32 v39, v[39:40]
	v_ldexp_f64 v[19:20], v[19:20], v61
	v_fma_f64 v[33:34], v[55:56], s[14:15], v[33:34]
	v_ldexp_f64 v[31:32], v[31:32], v62
	v_fma_f64 v[35:36], v[41:42], v[35:36], s[20:21]
	v_fma_f64 v[37:38], v[27:28], s[12:13], s[10:11]
	;; [unrolled: 1-line block ×4, first 2 shown]
	v_cvt_i32_f64_e32 v61, v[45:46]
	v_ldexp_f64 v[29:30], v[29:30], v63
	v_add_f64 v[19:20], v[19:20], 0
	v_fma_f64 v[59:60], v[33:34], s[12:13], s[10:11]
	v_cmp_ngt_f64_e64 s10, 0xc090cc00, v[3:4]
	v_fma_f64 v[35:36], v[41:42], v[35:36], s[22:23]
	v_fma_f64 v[37:38], v[27:28], v[37:38], s[20:21]
	;; [unrolled: 1-line block ×4, first 2 shown]
	v_cndmask_b32_e64 v32, 0x7ff00000, v32, s7
	v_cmp_nlt_f64_e64 s11, 0x40900000, v[7:8]
	s_and_b32 s7, s8, s7
	v_cmp_ngt_f64_e64 s12, 0xc090cc00, v[7:8]
	v_cndmask_b32_e64 v31, 0, v31, s7
	v_cndmask_b32_e64 v32, 0, v32, s8
	v_cmp_ngt_f64_e64 s8, 0xc090cc00, v[9:10]
	v_cndmask_b32_e64 v20, 0x7ff00000, v20, s9
	v_fma_f64 v[59:60], v[33:34], v[59:60], s[20:21]
	s_and_b32 s7, s10, s9
	v_fma_f64 v[35:36], v[41:42], v[35:36], s[24:25]
	v_fma_f64 v[37:38], v[27:28], v[37:38], s[22:23]
	;; [unrolled: 1-line block ×4, first 2 shown]
	v_cndmask_b32_e64 v20, 0, v20, s10
	v_cndmask_b32_e64 v19, 0, v19, s7
	v_cmp_nlt_f64_e64 s7, 0x40900000, v[9:10]
	s_and_b32 s9, s12, s11
	v_cmp_ngt_f64_e64 s10, 0xc090cc00, v[11:12]
	v_add_f64 v[19:20], v[19:20], v[31:32]
	v_cvt_i32_f64_e32 v32, v[49:50]
	v_fma_f64 v[59:60], v[33:34], v[59:60], s[22:23]
	v_fma_f64 v[35:36], v[41:42], v[35:36], s[26:27]
	;; [unrolled: 1-line block ×18, first 2 shown]
	v_fma_f64 v[57:58], v[51:52], v[57:58], 1.0
	v_fma_f64 v[43:44], v[53:54], v[43:44], 1.0
	v_fma_f64 v[45:46], v[33:34], v[59:60], s[30:31]
	v_fma_f64 v[35:36], v[41:42], v[35:36], s[36:37]
	;; [unrolled: 1-line block ×3, first 2 shown]
	v_fma_f64 v[51:52], v[51:52], v[57:58], 1.0
	v_cvt_i32_f64_e32 v57, v[47:48]
	v_fma_f64 v[43:44], v[53:54], v[43:44], 1.0
	v_fma_f64 v[45:46], v[33:34], v[45:46], s[34:35]
	v_fma_f64 v[35:36], v[41:42], v[35:36], 1.0
	v_fma_f64 v[37:38], v[27:28], v[37:38], s[36:37]
	v_ldexp_f64 v[47:48], v[51:52], v61
	v_cndmask_b32_e64 v51, 0x7ff00000, v30, s11
	v_fma_f64 v[30:31], v[33:34], v[45:46], s[36:37]
	v_fma_f64 v[35:36], v[41:42], v[35:36], 1.0
	v_ldexp_f64 v[41:42], v[43:44], v57
	v_cndmask_b32_e64 v44, 0, v51, s12
	v_cndmask_b32_e64 v43, 0, v29, s9
	v_fma_f64 v[37:38], v[27:28], v[37:38], 1.0
	v_cndmask_b32_e64 v45, 0x7ff00000, v48, s7
	v_cmp_nlt_f64_e64 s9, 0x40900000, v[11:12]
	s_and_b32 s7, s8, s7
	v_add_f64 v[19:20], v[19:20], v[43:44]
	v_fma_f64 v[29:30], v[33:34], v[30:31], 1.0
	v_ldexp_f64 v[31:32], v[35:36], v32
	v_cndmask_b32_e64 v36, 0, v45, s8
	v_cndmask_b32_e64 v35, 0, v47, s7
	v_cmp_nlt_f64_e64 s7, 0x40900000, v[13:14]
	v_fma_f64 v[27:28], v[27:28], v[37:38], 1.0
	v_cmp_ngt_f64_e64 s8, 0xc090cc00, v[13:14]
	v_cndmask_b32_e64 v37, 0x7ff00000, v42, s9
	s_and_b32 s9, s10, s9
	v_add_f64 v[19:20], v[19:20], v[35:36]
	v_cvt_i32_f64_e32 v35, v[55:56]
	v_fma_f64 v[29:30], v[33:34], v[29:30], 1.0
	v_cndmask_b32_e64 v33, 0, v37, s10
	v_cmp_ngt_f64_e64 s10, 0xc090cc00, v[17:18]
	v_cndmask_b32_e64 v34, 0x7ff00000, v32, s7
	v_cndmask_b32_e64 v32, 0, v41, s9
	v_ldexp_f64 v[27:28], v[27:28], v39
	v_cmp_nlt_f64_e64 s9, 0x40900000, v[17:18]
	s_and_b32 s7, s8, s7
	v_add_f64 v[19:20], v[19:20], v[32:33]
	v_cndmask_b32_e64 v32, 0, v34, s8
	v_cndmask_b32_e64 v31, 0, v31, s7
	v_cmp_nlt_f64_e64 s7, 0x40900000, v[15:16]
	v_cmp_ngt_f64_e64 s8, 0xc090cc00, v[15:16]
	v_ldexp_f64 v[29:30], v[29:30], v35
	v_cndmask_b32_e64 v28, 0x7ff00000, v28, s9
	s_and_b32 s9, s10, s9
	v_add_f64 v[19:20], v[19:20], v[31:32]
	v_cndmask_b32_e64 v27, 0, v27, s9
	v_cndmask_b32_e64 v28, 0, v28, s10
	;; [unrolled: 1-line block ×3, first 2 shown]
	s_and_b32 s7, s8, s7
	v_add_f64 v[19:20], v[19:20], v[27:28]
	v_cndmask_b32_e64 v28, 0, v30, s8
	v_cndmask_b32_e64 v27, 0, v29, s7
	s_mov_b32 s8, exec_lo
	v_add_f64 v[19:20], v[19:20], v[27:28]
	ds_bpermute_b32 v27, v0, v19
	ds_bpermute_b32 v28, v0, v20
	s_waitcnt lgkmcnt(0)
	v_add_f64 v[19:20], v[19:20], v[27:28]
	ds_bpermute_b32 v27, v21, v19
	ds_bpermute_b32 v28, v21, v20
	s_waitcnt lgkmcnt(0)
	v_add_f64 v[19:20], v[19:20], v[27:28]
	ds_bpermute_b32 v21, v22, v19
	ds_bpermute_b32 v22, v22, v20
	s_waitcnt lgkmcnt(0)
	v_add_f64 v[19:20], v[19:20], v[21:22]
	ds_bpermute_b32 v21, v24, v19
	ds_bpermute_b32 v22, v24, v20
	s_waitcnt lgkmcnt(0)
	v_add_f64 v[19:20], v[19:20], v[21:22]
	ds_bpermute_b32 v21, v25, v19
	ds_bpermute_b32 v22, v25, v20
	s_waitcnt lgkmcnt(0)
	v_add_f64 v[19:20], v[19:20], v[21:22]
	ds_bpermute_b32 v21, v26, v19
	ds_bpermute_b32 v22, v26, v20
	v_cmpx_lt_i32_e32 0, v23
	s_cbranch_execz .LBB18_26
; %bb.17:
	s_and_b32 exec_lo, exec_lo, s6
	s_cbranch_execz .LBB18_26
; %bb.18:
	s_waitcnt lgkmcnt(0)
	v_add_f64 v[20:21], v[19:20], v[21:22]
	s_mov_b32 s9, 0x3fe55555
	s_mov_b32 s8, 0x55555555
	;; [unrolled: 1-line block ×6, first 2 shown]
	v_frexp_mant_f64_e32 v[22:23], v[20:21]
	v_cmp_gt_f64_e64 s6, s[8:9], v[22:23]
	s_mov_b32 s8, 0x55555780
	v_cndmask_b32_e64 v0, 0, 1, s6
	v_ldexp_f64 v[22:23], v[22:23], v0
	v_frexp_exp_i32_f64_e32 v0, v[20:21]
	v_add_f64 v[24:25], v[22:23], 1.0
	v_add_f64 v[30:31], v[22:23], -1.0
	v_subrev_co_ci_u32_e64 v0, null, 0, v0, s6
	s_mov_b32 s6, 0xfefa39ef
	s_mov_b32 s7, 0x3fe62e42
	v_rcp_f64_e32 v[26:27], v[24:25]
	v_add_f64 v[32:33], v[24:25], -1.0
	v_add_f64 v[22:23], v[22:23], -v[32:33]
	v_fma_f64 v[28:29], -v[24:25], v[26:27], 1.0
	v_fma_f64 v[26:27], v[28:29], v[26:27], v[26:27]
	v_fma_f64 v[28:29], -v[24:25], v[26:27], 1.0
	v_fma_f64 v[26:27], v[28:29], v[26:27], v[26:27]
	v_mul_f64 v[28:29], v[30:31], v[26:27]
	v_mul_f64 v[34:35], v[24:25], v[28:29]
	v_fma_f64 v[24:25], v[28:29], v[24:25], -v[34:35]
	v_fma_f64 v[22:23], v[28:29], v[22:23], v[24:25]
	v_add_f64 v[24:25], v[34:35], v[22:23]
	v_add_f64 v[32:33], v[30:31], -v[24:25]
	v_add_f64 v[34:35], v[24:25], -v[34:35]
	;; [unrolled: 1-line block ×5, first 2 shown]
	v_add_f64 v[22:23], v[22:23], v[24:25]
	v_add_f64 v[22:23], v[32:33], v[22:23]
	v_mul_f64 v[22:23], v[26:27], v[22:23]
	v_add_f64 v[24:25], v[28:29], v[22:23]
	v_mul_f64 v[26:27], v[24:25], v[24:25]
	v_fma_f64 v[30:31], v[26:27], s[12:13], s[10:11]
	s_mov_b32 s10, 0xd7f4df2e
	s_mov_b32 s11, 0x3fc7474d
	v_mul_f64 v[32:33], v[24:25], v[26:27]
	v_fma_f64 v[30:31], v[26:27], v[30:31], s[10:11]
	s_mov_b32 s10, 0x16291751
	s_mov_b32 s11, 0x3fcc71c0
	v_fma_f64 v[30:31], v[26:27], v[30:31], s[10:11]
	s_mov_b32 s10, 0x9b27acf1
	s_mov_b32 s11, 0x3fd24924
	;; [unrolled: 3-line block ×3, first 2 shown]
	v_fma_f64 v[30:31], v[26:27], v[30:31], s[10:11]
	v_fma_f64 v[26:27], v[26:27], v[30:31], s[8:9]
	v_ldexp_f64 v[30:31], v[24:25], 1
	v_add_f64 v[24:25], v[24:25], -v[28:29]
	v_mul_f64 v[26:27], v[32:33], v[26:27]
	v_cvt_f64_i32_e32 v[32:33], v0
	v_add_f64 v[22:23], v[22:23], -v[24:25]
	v_add_f64 v[28:29], v[30:31], v[26:27]
	v_mul_f64 v[34:35], v[32:33], s[6:7]
	v_ldexp_f64 v[22:23], v[22:23], 1
	v_add_f64 v[24:25], v[28:29], -v[30:31]
	v_fma_f64 v[30:31], v[32:33], s[6:7], -v[34:35]
	s_mov_b32 s6, 0x3b39803f
	s_mov_b32 s7, 0x3c7abc9e
	v_add_f64 v[24:25], v[26:27], -v[24:25]
	v_fma_f64 v[26:27], v[32:33], s[6:7], v[30:31]
	v_cmp_class_f64_e64 s6, v[20:21], 0x204
	v_add_f64 v[22:23], v[22:23], v[24:25]
	v_add_f64 v[24:25], v[34:35], v[26:27]
	;; [unrolled: 1-line block ×3, first 2 shown]
	v_add_f64 v[34:35], v[24:25], -v[34:35]
	v_add_f64 v[32:33], v[24:25], v[30:31]
	v_add_f64 v[28:29], v[30:31], -v[28:29]
	v_add_f64 v[26:27], v[26:27], -v[34:35]
	;; [unrolled: 1-line block ×6, first 2 shown]
	v_add_f64 v[30:31], v[26:27], v[22:23]
	v_add_f64 v[24:25], v[24:25], -v[38:39]
	v_add_f64 v[24:25], v[28:29], v[24:25]
	v_add_f64 v[28:29], v[30:31], -v[26:27]
	;; [unrolled: 2-line block ×3, first 2 shown]
	v_add_f64 v[22:23], v[22:23], -v[28:29]
	v_add_f64 v[34:35], v[32:33], v[24:25]
	v_add_f64 v[26:27], v[26:27], -v[30:31]
	v_add_f64 v[28:29], v[34:35], -v[32:33]
	v_add_f64 v[22:23], v[22:23], v[26:27]
	v_add_f64 v[24:25], v[24:25], -v[28:29]
	v_add_f64 v[22:23], v[22:23], v[24:25]
	v_add_f64 v[22:23], v[34:35], v[22:23]
	v_cndmask_b32_e64 v0, v22, v20, s6
	v_cndmask_b32_e64 v19, v23, v21, s6
	v_cmp_ngt_f64_e64 s6, 0, v[20:21]
	v_cndmask_b32_e64 v22, 0x7ff80000, v19, s6
	v_cmp_nge_f64_e64 s6, 0, v[20:21]
	v_cndmask_b32_e64 v19, 0, v0, s6
	v_cmp_neq_f64_e64 s6, 0, v[20:21]
	v_cndmask_b32_e64 v20, 0xfff00000, v22, s6
	v_add_co_u32 v0, s6, s16, v1
	v_add_co_ci_u32_e64 v1, null, s17, v2, s6
	v_add_f64 v[3:4], v[3:4], -v[19:20]
	global_store_dwordx2 v[0:1], v[3:4], off
	s_and_b32 exec_lo, exec_lo, vcc_lo
	s_cbranch_execz .LBB18_26
; %bb.19:
	v_add_f64 v[2:3], v[5:6], -v[19:20]
	global_store_dwordx2 v[0:1], v[2:3], off offset:512
	s_and_b32 exec_lo, exec_lo, s0
	s_cbranch_execz .LBB18_26
; %bb.20:
	v_add_f64 v[2:3], v[7:8], -v[19:20]
	global_store_dwordx2 v[0:1], v[2:3], off offset:1024
	s_and_b32 exec_lo, exec_lo, s1
	;; [unrolled: 5-line block ×3, first 2 shown]
	s_cbranch_execz .LBB18_26
; %bb.22:
	v_add_f64 v[2:3], v[11:12], -v[19:20]
	v_add_co_u32 v0, vcc_lo, 0x800, v0
	v_add_co_ci_u32_e64 v1, null, 0, v1, vcc_lo
	global_store_dwordx2 v[0:1], v[2:3], off
	s_and_b32 exec_lo, exec_lo, s3
	s_cbranch_execz .LBB18_26
; %bb.23:
	v_add_f64 v[2:3], v[13:14], -v[19:20]
	global_store_dwordx2 v[0:1], v[2:3], off offset:512
	s_and_b32 exec_lo, exec_lo, s4
	s_cbranch_execz .LBB18_26
; %bb.24:
	v_add_f64 v[2:3], v[17:18], -v[19:20]
	global_store_dwordx2 v[0:1], v[2:3], off offset:1024
	;; [unrolled: 5-line block ×3, first 2 shown]
.LBB18_26:
	s_endpgm
	.section	.rodata,"a",@progbits
	.p2align	6, 0x0
	.amdhsa_kernel _ZN12_GLOBAL__N_120softmax_warp_forwardIdddLi9ELb1ELb0ELi64EEEvPT0_PKT_iiiPKbib
		.amdhsa_group_segment_fixed_size 0
		.amdhsa_private_segment_fixed_size 0
		.amdhsa_kernarg_size 304
		.amdhsa_user_sgpr_count 6
		.amdhsa_user_sgpr_private_segment_buffer 1
		.amdhsa_user_sgpr_dispatch_ptr 0
		.amdhsa_user_sgpr_queue_ptr 0
		.amdhsa_user_sgpr_kernarg_segment_ptr 1
		.amdhsa_user_sgpr_dispatch_id 0
		.amdhsa_user_sgpr_flat_scratch_init 0
		.amdhsa_user_sgpr_private_segment_size 0
		.amdhsa_wavefront_size32 1
		.amdhsa_uses_dynamic_stack 0
		.amdhsa_system_sgpr_private_segment_wavefront_offset 0
		.amdhsa_system_sgpr_workgroup_id_x 1
		.amdhsa_system_sgpr_workgroup_id_y 0
		.amdhsa_system_sgpr_workgroup_id_z 0
		.amdhsa_system_sgpr_workgroup_info 0
		.amdhsa_system_vgpr_workitem_id 1
		.amdhsa_next_free_vgpr 64
		.amdhsa_next_free_sgpr 38
		.amdhsa_reserve_vcc 1
		.amdhsa_reserve_flat_scratch 0
		.amdhsa_float_round_mode_32 0
		.amdhsa_float_round_mode_16_64 0
		.amdhsa_float_denorm_mode_32 3
		.amdhsa_float_denorm_mode_16_64 3
		.amdhsa_dx10_clamp 1
		.amdhsa_ieee_mode 1
		.amdhsa_fp16_overflow 0
		.amdhsa_workgroup_processor_mode 1
		.amdhsa_memory_ordered 1
		.amdhsa_forward_progress 1
		.amdhsa_shared_vgpr_count 0
		.amdhsa_exception_fp_ieee_invalid_op 0
		.amdhsa_exception_fp_denorm_src 0
		.amdhsa_exception_fp_ieee_div_zero 0
		.amdhsa_exception_fp_ieee_overflow 0
		.amdhsa_exception_fp_ieee_underflow 0
		.amdhsa_exception_fp_ieee_inexact 0
		.amdhsa_exception_int_div_zero 0
	.end_amdhsa_kernel
	.section	.text._ZN12_GLOBAL__N_120softmax_warp_forwardIdddLi9ELb1ELb0ELi64EEEvPT0_PKT_iiiPKbib,"axG",@progbits,_ZN12_GLOBAL__N_120softmax_warp_forwardIdddLi9ELb1ELb0ELi64EEEvPT0_PKT_iiiPKbib,comdat
.Lfunc_end18:
	.size	_ZN12_GLOBAL__N_120softmax_warp_forwardIdddLi9ELb1ELb0ELi64EEEvPT0_PKT_iiiPKbib, .Lfunc_end18-_ZN12_GLOBAL__N_120softmax_warp_forwardIdddLi9ELb1ELb0ELi64EEEvPT0_PKT_iiiPKbib
                                        ; -- End function
	.set _ZN12_GLOBAL__N_120softmax_warp_forwardIdddLi9ELb1ELb0ELi64EEEvPT0_PKT_iiiPKbib.num_vgpr, 64
	.set _ZN12_GLOBAL__N_120softmax_warp_forwardIdddLi9ELb1ELb0ELi64EEEvPT0_PKT_iiiPKbib.num_agpr, 0
	.set _ZN12_GLOBAL__N_120softmax_warp_forwardIdddLi9ELb1ELb0ELi64EEEvPT0_PKT_iiiPKbib.numbered_sgpr, 38
	.set _ZN12_GLOBAL__N_120softmax_warp_forwardIdddLi9ELb1ELb0ELi64EEEvPT0_PKT_iiiPKbib.num_named_barrier, 0
	.set _ZN12_GLOBAL__N_120softmax_warp_forwardIdddLi9ELb1ELb0ELi64EEEvPT0_PKT_iiiPKbib.private_seg_size, 0
	.set _ZN12_GLOBAL__N_120softmax_warp_forwardIdddLi9ELb1ELb0ELi64EEEvPT0_PKT_iiiPKbib.uses_vcc, 1
	.set _ZN12_GLOBAL__N_120softmax_warp_forwardIdddLi9ELb1ELb0ELi64EEEvPT0_PKT_iiiPKbib.uses_flat_scratch, 0
	.set _ZN12_GLOBAL__N_120softmax_warp_forwardIdddLi9ELb1ELb0ELi64EEEvPT0_PKT_iiiPKbib.has_dyn_sized_stack, 0
	.set _ZN12_GLOBAL__N_120softmax_warp_forwardIdddLi9ELb1ELb0ELi64EEEvPT0_PKT_iiiPKbib.has_recursion, 0
	.set _ZN12_GLOBAL__N_120softmax_warp_forwardIdddLi9ELb1ELb0ELi64EEEvPT0_PKT_iiiPKbib.has_indirect_call, 0
	.section	.AMDGPU.csdata,"",@progbits
; Kernel info:
; codeLenInByte = 4180
; TotalNumSgprs: 40
; NumVgprs: 64
; ScratchSize: 0
; MemoryBound: 1
; FloatMode: 240
; IeeeMode: 1
; LDSByteSize: 0 bytes/workgroup (compile time only)
; SGPRBlocks: 0
; VGPRBlocks: 7
; NumSGPRsForWavesPerEU: 40
; NumVGPRsForWavesPerEU: 64
; Occupancy: 16
; WaveLimiterHint : 0
; COMPUTE_PGM_RSRC2:SCRATCH_EN: 0
; COMPUTE_PGM_RSRC2:USER_SGPR: 6
; COMPUTE_PGM_RSRC2:TRAP_HANDLER: 0
; COMPUTE_PGM_RSRC2:TGID_X_EN: 1
; COMPUTE_PGM_RSRC2:TGID_Y_EN: 0
; COMPUTE_PGM_RSRC2:TGID_Z_EN: 0
; COMPUTE_PGM_RSRC2:TIDIG_COMP_CNT: 1
	.section	.text._ZN12_GLOBAL__N_120softmax_warp_forwardIdddLi9ELb1ELb0ELi32EEEvPT0_PKT_iiiPKbib,"axG",@progbits,_ZN12_GLOBAL__N_120softmax_warp_forwardIdddLi9ELb1ELb0ELi32EEEvPT0_PKT_iiiPKbib,comdat
	.globl	_ZN12_GLOBAL__N_120softmax_warp_forwardIdddLi9ELb1ELb0ELi32EEEvPT0_PKT_iiiPKbib ; -- Begin function _ZN12_GLOBAL__N_120softmax_warp_forwardIdddLi9ELb1ELb0ELi32EEEvPT0_PKT_iiiPKbib
	.p2align	8
	.type	_ZN12_GLOBAL__N_120softmax_warp_forwardIdddLi9ELb1ELb0ELi32EEEvPT0_PKT_iiiPKbib,@function
_ZN12_GLOBAL__N_120softmax_warp_forwardIdddLi9ELb1ELb0ELi32EEEvPT0_PKT_iiiPKbib: ; @_ZN12_GLOBAL__N_120softmax_warp_forwardIdddLi9ELb1ELb0ELi32EEEvPT0_PKT_iiiPKbib
; %bb.0:
	s_clause 0x1
	s_load_dword s0, s[4:5], 0x3c
	s_load_dwordx8 s[20:27], s[4:5], 0x0
	v_mov_b32_e32 v5, 0
	v_mov_b32_e32 v6, 0xfff00000
	s_waitcnt lgkmcnt(0)
	s_lshr_b32 s0, s0, 16
	v_cmp_gt_i32_e64 s14, s26, v0
	v_mad_u64_u32 v[1:2], null, s6, s0, v[1:2]
	v_mad_u64_u32 v[2:3], null, v1, s25, v[0:1]
	v_sub_nc_u32_e32 v73, s24, v1
	v_cmp_lt_i32_e64 s15, 0, v73
	v_ashrrev_i32_e32 v3, 31, v2
	s_and_b32 s1, s15, s14
	v_lshlrev_b64 v[1:2], 3, v[2:3]
	v_mov_b32_e32 v3, 0
	v_mov_b32_e32 v4, 0xfff00000
	v_add_co_u32 v35, vcc_lo, s22, v1
	v_add_co_ci_u32_e64 v36, null, s23, v2, vcc_lo
	s_and_saveexec_b32 s0, s1
	s_cbranch_execz .LBB19_2
; %bb.1:
	global_load_dwordx2 v[3:4], v[35:36], off
.LBB19_2:
	s_or_b32 exec_lo, exec_lo, s0
	v_add_nc_u32_e32 v7, 32, v0
	v_cmp_gt_i32_e32 vcc_lo, s26, v7
	s_and_b32 s1, s15, vcc_lo
	s_and_saveexec_b32 s0, s1
	s_cbranch_execz .LBB19_4
; %bb.3:
	global_load_dwordx2 v[5:6], v[35:36], off offset:256
.LBB19_4:
	s_or_b32 exec_lo, exec_lo, s0
	v_add_nc_u32_e32 v7, 64, v0
	v_mov_b32_e32 v15, 0
	v_mov_b32_e32 v16, 0xfff00000
	v_cmp_gt_i32_e64 s0, s26, v7
	v_mov_b32_e32 v7, 0
	v_mov_b32_e32 v8, 0xfff00000
	s_and_b32 s2, s15, s0
	s_and_saveexec_b32 s1, s2
	s_cbranch_execz .LBB19_6
; %bb.5:
	global_load_dwordx2 v[7:8], v[35:36], off offset:512
.LBB19_6:
	s_or_b32 exec_lo, exec_lo, s1
	v_add_nc_u32_e32 v9, 0x60, v0
	v_cmp_gt_i32_e64 s1, s26, v9
	s_and_b32 s3, s15, s1
	s_and_saveexec_b32 s2, s3
	s_cbranch_execz .LBB19_8
; %bb.7:
	global_load_dwordx2 v[15:16], v[35:36], off offset:768
.LBB19_8:
	s_or_b32 exec_lo, exec_lo, s2
	v_add_nc_u32_e32 v9, 0x80, v0
	v_mov_b32_e32 v27, 0
	v_mov_b32_e32 v19, 0
	;; [unrolled: 1-line block ×4, first 2 shown]
	v_cmp_gt_i32_e64 s2, s26, v9
	s_and_b32 s4, s15, s2
	s_and_saveexec_b32 s3, s4
	s_cbranch_execz .LBB19_10
; %bb.9:
	global_load_dwordx2 v[19:20], v[35:36], off offset:1024
.LBB19_10:
	s_or_b32 exec_lo, exec_lo, s3
	v_add_nc_u32_e32 v9, 0xa0, v0
	v_cmp_gt_i32_e64 s3, s26, v9
	s_and_b32 s5, s15, s3
	s_and_saveexec_b32 s4, s5
	s_cbranch_execz .LBB19_12
; %bb.11:
	global_load_dwordx2 v[27:28], v[35:36], off offset:1280
.LBB19_12:
	s_or_b32 exec_lo, exec_lo, s4
	v_add_nc_u32_e32 v9, 0xc0, v0
	v_mov_b32_e32 v29, 0
	v_mov_b32_e32 v31, 0
	;; [unrolled: 1-line block ×4, first 2 shown]
	v_cmp_gt_i32_e64 s4, s26, v9
	s_and_b32 s6, s15, s4
	s_and_saveexec_b32 s5, s6
	s_cbranch_execz .LBB19_14
; %bb.13:
	global_load_dwordx2 v[31:32], v[35:36], off offset:1536
.LBB19_14:
	s_or_b32 exec_lo, exec_lo, s5
	v_add_nc_u32_e32 v9, 0xe0, v0
	v_cmp_gt_i32_e64 s5, s26, v9
	s_and_b32 s7, s15, s5
	s_and_saveexec_b32 s6, s7
	s_cbranch_execz .LBB19_16
; %bb.15:
	global_load_dwordx2 v[29:30], v[35:36], off offset:1792
.LBB19_16:
	s_or_b32 exec_lo, exec_lo, s6
	v_add_nc_u32_e32 v9, 0x100, v0
	v_mov_b32_e32 v33, 0
	v_mov_b32_e32 v34, 0xfff00000
	v_cmp_gt_i32_e64 s6, s26, v9
	v_mov_b32_e32 v9, 0
	v_mov_b32_e32 v10, 0xfff00000
	s_and_b32 s7, s15, s6
	s_and_saveexec_b32 s8, s7
	s_cbranch_execz .LBB19_18
; %bb.17:
	v_add_co_u32 v11, s7, 0x800, v35
	v_add_co_ci_u32_e64 v12, null, 0, v36, s7
	global_load_dwordx2 v[33:34], v[11:12], off
.LBB19_18:
	s_or_b32 exec_lo, exec_lo, s8
	v_add_nc_u32_e32 v11, 0x120, v0
	v_cmp_gt_i32_e64 s7, s26, v11
	s_and_b32 s8, s15, s7
	s_and_saveexec_b32 s9, s8
	s_cbranch_execz .LBB19_20
; %bb.19:
	v_add_co_u32 v9, s8, 0x800, v35
	v_add_co_ci_u32_e64 v10, null, 0, v36, s8
	global_load_dwordx2 v[9:10], v[9:10], off offset:256
.LBB19_20:
	s_or_b32 exec_lo, exec_lo, s9
	v_add_nc_u32_e32 v11, 0x140, v0
	v_mov_b32_e32 v17, 0
	v_mov_b32_e32 v21, 0
	;; [unrolled: 1-line block ×4, first 2 shown]
	v_cmp_gt_i32_e64 s8, s26, v11
	s_and_b32 s9, s15, s8
	s_and_saveexec_b32 s10, s9
	s_cbranch_execz .LBB19_22
; %bb.21:
	v_add_co_u32 v11, s9, 0x800, v35
	v_add_co_ci_u32_e64 v12, null, 0, v36, s9
	global_load_dwordx2 v[21:22], v[11:12], off offset:512
.LBB19_22:
	s_or_b32 exec_lo, exec_lo, s10
	v_add_nc_u32_e32 v11, 0x160, v0
	v_cmp_gt_i32_e64 s9, s26, v11
	s_and_b32 s10, s15, s9
	s_and_saveexec_b32 s11, s10
	s_cbranch_execz .LBB19_24
; %bb.23:
	v_add_co_u32 v11, s10, 0x800, v35
	v_add_co_ci_u32_e64 v12, null, 0, v36, s10
	global_load_dwordx2 v[17:18], v[11:12], off offset:768
.LBB19_24:
	s_or_b32 exec_lo, exec_lo, s11
	v_add_nc_u32_e32 v11, 0x180, v0
	v_mov_b32_e32 v13, 0
	v_mov_b32_e32 v14, 0xfff00000
	v_cmp_gt_i32_e64 s10, s26, v11
	v_mov_b32_e32 v11, 0
	v_mov_b32_e32 v12, 0xfff00000
	s_and_b32 s11, s15, s10
	s_and_saveexec_b32 s12, s11
	s_cbranch_execz .LBB19_26
; %bb.25:
	v_add_co_u32 v13, s11, 0x800, v35
	v_add_co_ci_u32_e64 v14, null, 0, v36, s11
	global_load_dwordx2 v[13:14], v[13:14], off offset:1024
.LBB19_26:
	s_or_b32 exec_lo, exec_lo, s12
	v_add_nc_u32_e32 v23, 0x1a0, v0
	v_cmp_gt_i32_e64 s11, s26, v23
	s_and_b32 s12, s15, s11
	s_and_saveexec_b32 s13, s12
	s_cbranch_execz .LBB19_28
; %bb.27:
	v_add_co_u32 v11, s12, 0x800, v35
	v_add_co_ci_u32_e64 v12, null, 0, v36, s12
	global_load_dwordx2 v[11:12], v[11:12], off offset:1280
.LBB19_28:
	s_or_b32 exec_lo, exec_lo, s13
	v_add_nc_u32_e32 v23, 0x1c0, v0
	v_mov_b32_e32 v25, 0
	v_mov_b32_e32 v26, 0xfff00000
	v_cmp_gt_i32_e64 s12, s26, v23
	v_mov_b32_e32 v23, 0
	v_mov_b32_e32 v24, 0xfff00000
	s_and_b32 s13, s15, s12
	s_and_saveexec_b32 s16, s13
	s_cbranch_execz .LBB19_30
; %bb.29:
	v_add_co_u32 v25, s13, 0x800, v35
	v_add_co_ci_u32_e64 v26, null, 0, v36, s13
	global_load_dwordx2 v[25:26], v[25:26], off offset:1536
.LBB19_30:
	s_or_b32 exec_lo, exec_lo, s16
	v_add_nc_u32_e32 v0, 0x1e0, v0
	v_cmp_gt_i32_e64 s13, s26, v0
	s_and_b32 s15, s15, s13
	s_and_saveexec_b32 s16, s15
	s_cbranch_execz .LBB19_32
; %bb.31:
	v_add_co_u32 v23, s15, 0x800, v35
	v_add_co_ci_u32_e64 v24, null, 0, v36, s15
	global_load_dwordx2 v[23:24], v[23:24], off offset:1792
.LBB19_32:
	s_or_b32 exec_lo, exec_lo, s16
	s_waitcnt vmcnt(0)
	v_cmp_gt_f64_e64 s15, v[3:4], v[5:6]
	v_mbcnt_lo_u32_b32 v39, -1, 0
	s_mov_b32 s22, 0x652b82fe
	s_mov_b32 s23, 0x3ff71547
	;; [unrolled: 1-line block ×4, first 2 shown]
	v_xor_b32_e32 v0, 16, v39
	v_xor_b32_e32 v40, 8, v39
	s_mov_b32 s26, 0x3b39803f
	s_mov_b32 s27, 0xbc7abc9e
	;; [unrolled: 1-line block ×3, first 2 shown]
	v_cmp_gt_i32_e64 s16, 32, v0
	s_mov_b32 s30, 0x6a5dcb37
	s_mov_b32 s29, 0x3e928af3
	;; [unrolled: 1-line block ×4, first 2 shown]
	v_cndmask_b32_e64 v0, v39, v0, s16
	v_cmp_gt_i32_e64 s16, 32, v40
	s_mov_b32 s35, 0x3ec71dee
	s_mov_b32 s36, 0x7c89e6b0
	;; [unrolled: 1-line block ×3, first 2 shown]
	v_lshlrev_b32_e32 v0, 2, v0
	v_cndmask_b32_e64 v36, v6, v4, s15
	v_cndmask_b32_e64 v35, v5, v3, s15
	;; [unrolled: 1-line block ×3, first 2 shown]
	s_mov_b32 s40, 0x14761f6e
	s_mov_b32 s41, 0x3f2a01a0
	;; [unrolled: 1-line block ×3, first 2 shown]
	v_cmp_gt_f64_e64 s15, v[35:36], v[7:8]
	v_lshlrev_b32_e32 v74, 2, v40
	v_xor_b32_e32 v40, 4, v39
	s_mov_b32 s47, 0x3f56c16c
	s_mov_b32 s44, 0x11122322
	;; [unrolled: 1-line block ×4, first 2 shown]
	v_cmp_gt_i32_e64 s16, 32, v40
	s_mov_b32 s43, 0x3fa55555
	s_mov_b32 s38, 0x55555511
	;; [unrolled: 1-line block ×4, first 2 shown]
	v_cndmask_b32_e64 v40, v39, v40, s16
	s_mov_b32 s49, 0x3fe00000
	v_lshlrev_b32_e32 v75, 2, v40
	v_xor_b32_e32 v40, 2, v39
	v_cndmask_b32_e64 v36, v8, v36, s15
	v_cndmask_b32_e64 v35, v7, v35, s15
	v_cmp_gt_i32_e64 s16, 32, v40
	v_cmp_gt_f64_e64 s15, v[35:36], v[15:16]
	v_cndmask_b32_e64 v40, v39, v40, s16
	v_lshlrev_b32_e32 v76, 2, v40
	v_xor_b32_e32 v40, 1, v39
	v_cmp_gt_i32_e64 s16, 32, v40
	v_cndmask_b32_e64 v39, v39, v40, s16
	v_lshlrev_b32_e32 v77, 2, v39
	v_cndmask_b32_e64 v36, v16, v36, s15
	v_cndmask_b32_e64 v35, v15, v35, s15
	v_cmp_gt_f64_e64 s15, v[35:36], v[19:20]
	v_cndmask_b32_e64 v36, v20, v36, s15
	v_cndmask_b32_e64 v35, v19, v35, s15
	v_cmp_gt_f64_e64 s15, v[35:36], v[27:28]
	v_cndmask_b32_e64 v36, v28, v36, s15
	v_cndmask_b32_e64 v35, v27, v35, s15
	v_cmp_gt_f64_e64 s15, v[35:36], v[31:32]
	v_cndmask_b32_e64 v36, v32, v36, s15
	v_cndmask_b32_e64 v35, v31, v35, s15
	v_cmp_gt_f64_e64 s15, v[35:36], v[29:30]
	v_cndmask_b32_e64 v36, v30, v36, s15
	v_cndmask_b32_e64 v35, v29, v35, s15
	v_cmp_gt_f64_e64 s15, v[35:36], v[33:34]
	v_cndmask_b32_e64 v36, v34, v36, s15
	v_cndmask_b32_e64 v35, v33, v35, s15
	v_cmp_gt_f64_e64 s15, v[35:36], v[9:10]
	v_cndmask_b32_e64 v36, v10, v36, s15
	v_cndmask_b32_e64 v35, v9, v35, s15
	v_cmp_gt_f64_e64 s15, v[35:36], v[21:22]
	v_cndmask_b32_e64 v36, v22, v36, s15
	v_cndmask_b32_e64 v35, v21, v35, s15
	v_cmp_gt_f64_e64 s15, v[35:36], v[17:18]
	v_cndmask_b32_e64 v36, v18, v36, s15
	v_cndmask_b32_e64 v35, v17, v35, s15
	v_cmp_gt_f64_e64 s15, v[35:36], v[13:14]
	v_cndmask_b32_e64 v36, v14, v36, s15
	v_cndmask_b32_e64 v35, v13, v35, s15
	v_cmp_gt_f64_e64 s15, v[35:36], v[11:12]
	v_cndmask_b32_e64 v36, v12, v36, s15
	v_cndmask_b32_e64 v35, v11, v35, s15
	v_cmp_gt_f64_e64 s15, v[35:36], v[25:26]
	v_cndmask_b32_e64 v36, v26, v36, s15
	v_cndmask_b32_e64 v35, v25, v35, s15
	v_cmp_gt_f64_e64 s15, v[35:36], v[23:24]
	v_cndmask_b32_e64 v36, v24, v36, s15
	v_cndmask_b32_e64 v35, v23, v35, s15
	ds_bpermute_b32 v38, v0, v36
	ds_bpermute_b32 v37, v0, v35
	s_waitcnt lgkmcnt(0)
	v_cmp_lt_f64_e64 s15, v[35:36], v[37:38]
	v_cndmask_b32_e64 v36, v36, v38, s15
	v_cndmask_b32_e64 v35, v35, v37, s15
	ds_bpermute_b32 v38, v74, v36
	ds_bpermute_b32 v37, v74, v35
	s_waitcnt lgkmcnt(0)
	v_cmp_lt_f64_e64 s15, v[35:36], v[37:38]
	;; [unrolled: 6-line block ×5, first 2 shown]
	v_cndmask_b32_e64 v36, v36, v38, s15
	v_cndmask_b32_e64 v35, v35, v37, s15
	v_add_f64 v[3:4], v[3:4], -v[35:36]
	v_add_f64 v[5:6], v[5:6], -v[35:36]
	;; [unrolled: 1-line block ×10, first 2 shown]
	v_mul_f64 v[37:38], v[3:4], s[22:23]
	v_mul_f64 v[39:40], v[5:6], s[22:23]
	;; [unrolled: 1-line block ×3, first 2 shown]
	v_cmp_nlt_f64_e64 s15, 0x40900000, v[5:6]
	v_mul_f64 v[47:48], v[19:20], s[22:23]
	v_mul_f64 v[49:50], v[27:28], s[22:23]
	v_cmp_nlt_f64_e64 s17, 0x40900000, v[3:4]
	v_mul_f64 v[63:64], v[29:30], s[22:23]
	v_cmp_ngt_f64_e64 s16, 0xc090cc00, v[5:6]
	v_cmp_ngt_f64_e64 s18, 0xc090cc00, v[3:4]
	v_rndne_f64_e32 v[37:38], v[37:38]
	v_rndne_f64_e32 v[39:40], v[39:40]
	;; [unrolled: 1-line block ×3, first 2 shown]
	v_fma_f64 v[41:42], v[37:38], s[24:25], v[3:4]
	v_fma_f64 v[45:46], v[39:40], s[24:25], v[5:6]
	v_cvt_i32_f64_e32 v96, v[39:40]
	v_cvt_i32_f64_e32 v97, v[37:38]
	v_fma_f64 v[69:70], v[37:38], s[26:27], v[41:42]
	v_mul_f64 v[41:42], v[15:16], s[22:23]
	v_fma_f64 v[71:72], v[39:40], s[26:27], v[45:46]
	v_rndne_f64_e32 v[45:46], v[47:48]
	v_rndne_f64_e32 v[47:48], v[49:50]
	v_mul_f64 v[49:50], v[31:32], s[22:23]
	v_fma_f64 v[43:44], v[69:70], s[30:31], s[28:29]
	v_rndne_f64_e32 v[61:62], v[41:42]
	v_fma_f64 v[41:42], v[53:54], s[24:25], v[7:8]
	v_fma_f64 v[51:52], v[71:72], s[30:31], s[28:29]
	;; [unrolled: 1-line block ×3, first 2 shown]
	v_rndne_f64_e32 v[59:60], v[49:50]
	v_mul_f64 v[49:50], v[33:34], s[22:23]
	v_fma_f64 v[43:44], v[69:70], v[43:44], s[34:35]
	v_fma_f64 v[55:56], v[61:62], s[24:25], v[15:16]
	;; [unrolled: 1-line block ×6, first 2 shown]
	v_cvt_i32_f64_e32 v98, v[59:60]
	v_fma_f64 v[43:44], v[69:70], v[43:44], s[36:37]
	v_fma_f64 v[57:58], v[61:62], s[26:27], v[55:56]
	v_rndne_f64_e32 v[55:56], v[63:64]
	v_fma_f64 v[78:79], v[67:68], s[30:31], s[28:29]
	v_fma_f64 v[80:81], v[71:72], v[41:42], s[36:37]
	;; [unrolled: 1-line block ×4, first 2 shown]
	v_rndne_f64_e32 v[41:42], v[49:50]
	v_fma_f64 v[84:85], v[65:66], s[30:31], s[28:29]
	v_fma_f64 v[43:44], v[69:70], v[43:44], s[40:41]
	;; [unrolled: 1-line block ×49, first 2 shown]
	v_add_f64 v[37:38], v[9:10], -v[35:36]
	v_fma_f64 v[78:79], v[67:68], v[78:79], s[42:43]
	v_fma_f64 v[80:81], v[71:72], v[80:81], s[48:49]
	;; [unrolled: 1-line block ×4, first 2 shown]
	v_fma_f64 v[88:89], v[69:70], v[88:89], 1.0
	v_fma_f64 v[86:87], v[51:52], v[90:91], s[46:47]
	v_fma_f64 v[39:40], v[57:58], v[39:40], s[42:43]
	;; [unrolled: 1-line block ×5, first 2 shown]
	v_fma_f64 v[80:81], v[71:72], v[80:81], 1.0
	v_fma_f64 v[92:93], v[63:64], v[9:10], s[42:43]
	v_add_f64 v[9:10], v[17:18], -v[35:36]
	v_fma_f64 v[84:85], v[65:66], v[84:85], s[38:39]
	v_add_f64 v[17:18], v[11:12], -v[35:36]
	v_add_f64 v[11:12], v[23:24], -v[35:36]
	v_fma_f64 v[88:89], v[69:70], v[88:89], 1.0
	v_mul_f64 v[69:70], v[37:38], s[22:23]
	v_fma_f64 v[86:87], v[51:52], v[86:87], s[44:45]
	v_fma_f64 v[94:95], v[57:58], v[39:40], s[38:39]
	;; [unrolled: 1-line block ×5, first 2 shown]
	v_fma_f64 v[71:72], v[71:72], v[80:81], 1.0
	v_mul_f64 v[80:81], v[21:22], s[22:23]
	v_fma_f64 v[92:93], v[63:64], v[92:93], s[38:39]
	v_add_f64 v[39:40], v[13:14], -v[35:36]
	v_add_f64 v[13:14], v[25:26], -v[35:36]
	v_mul_f64 v[35:36], v[9:10], s[22:23]
	v_fma_f64 v[84:85], v[65:66], v[84:85], s[48:49]
	v_ldexp_f64 v[88:89], v[88:89], v97
	v_rndne_f64_e32 v[69:70], v[69:70]
	v_fma_f64 v[86:87], v[51:52], v[86:87], s[42:43]
	v_fma_f64 v[25:26], v[57:58], v[94:95], s[48:49]
	v_fma_f64 v[90:91], v[43:44], v[90:91], s[44:45]
	v_fma_f64 v[82:83], v[49:50], v[82:83], s[42:43]
	v_cvt_i32_f64_e32 v94, v[53:54]
	v_fma_f64 v[78:79], v[67:68], v[78:79], 1.0
	v_rndne_f64_e32 v[23:24], v[80:81]
	v_cvt_i32_f64_e32 v95, v[61:62]
	v_fma_f64 v[61:62], v[63:64], v[92:93], s[48:49]
	v_mul_f64 v[80:81], v[39:40], s[22:23]
	v_ldexp_f64 v[71:72], v[71:72], v96
	v_fma_f64 v[84:85], v[65:66], v[84:85], 1.0
	v_cvt_i32_f64_e32 v96, v[45:46]
	v_cvt_i32_f64_e32 v97, v[47:48]
	v_mul_f64 v[45:46], v[17:18], s[22:23]
	v_add_f64 v[88:89], v[88:89], 0
	v_fma_f64 v[53:54], v[69:70], s[24:25], v[37:38]
	v_fma_f64 v[86:87], v[51:52], v[86:87], s[38:39]
	v_fma_f64 v[92:93], v[57:58], v[25:26], 1.0
	v_rndne_f64_e32 v[25:26], v[35:36]
	v_fma_f64 v[90:91], v[43:44], v[90:91], s[42:43]
	v_fma_f64 v[82:83], v[49:50], v[82:83], s[38:39]
	v_fma_f64 v[67:68], v[67:68], v[78:79], 1.0
	v_fma_f64 v[78:79], v[23:24], s[24:25], v[21:22]
	v_fma_f64 v[47:48], v[63:64], v[61:62], 1.0
	v_rndne_f64_e32 v[35:36], v[80:81]
	v_cndmask_b32_e64 v72, 0x7ff00000, v72, s15
	v_fma_f64 v[65:66], v[65:66], v[84:85], 1.0
	s_and_b32 s15, s16, s15
	v_rndne_f64_e32 v[45:46], v[45:46]
	v_fma_f64 v[53:54], v[69:70], s[26:27], v[53:54]
	v_fma_f64 v[59:60], v[51:52], v[86:87], s[48:49]
	v_cndmask_b32_e64 v86, 0x7ff00000, v89, s17
	v_fma_f64 v[61:62], v[25:26], s[24:25], v[9:10]
	v_fma_f64 v[80:81], v[43:44], v[90:91], s[38:39]
	;; [unrolled: 1-line block ×3, first 2 shown]
	v_ldexp_f64 v[67:68], v[67:68], v94
	v_fma_f64 v[78:79], v[23:24], s[26:27], v[78:79]
	v_cvt_i32_f64_e32 v94, v[55:56]
	v_cndmask_b32_e64 v87, 0, v86, s18
	v_fma_f64 v[57:58], v[57:58], v[92:93], 1.0
	v_fma_f64 v[47:48], v[63:64], v[47:48], 1.0
	v_mul_f64 v[63:64], v[13:14], s[22:23]
	v_ldexp_f64 v[65:66], v[65:66], v96
	v_fma_f64 v[84:85], v[53:54], s[30:31], s[28:29]
	v_fma_f64 v[55:56], v[51:52], v[59:60], 1.0
	v_cndmask_b32_e64 v59, 0, v71, s15
	s_and_b32 s15, s18, s17
	v_cndmask_b32_e64 v60, 0, v72, s16
	v_cndmask_b32_e64 v86, 0, v88, s15
	v_cmp_nlt_f64_e64 s15, 0x40900000, v[7:8]
	v_cmp_ngt_f64_e64 s16, 0xc090cc00, v[7:8]
	v_fma_f64 v[71:72], v[35:36], s[24:25], v[39:40]
	v_fma_f64 v[61:62], v[25:26], s[26:27], v[61:62]
	;; [unrolled: 1-line block ×3, first 2 shown]
	v_fma_f64 v[82:83], v[49:50], v[82:83], 1.0
	v_fma_f64 v[88:89], v[78:79], s[30:31], s[28:29]
	v_ldexp_f64 v[57:58], v[57:58], v95
	v_rndne_f64_e32 v[63:64], v[63:64]
	v_add_f64 v[59:60], v[86:87], v[59:60]
	v_fma_f64 v[86:87], v[45:46], s[24:25], v[17:18]
	v_cmp_nlt_f64_e64 s17, 0x40900000, v[19:20]
	v_cmp_ngt_f64_e64 s18, 0xc090cc00, v[19:20]
	v_cvt_i32_f64_e32 v95, v[41:42]
	v_ldexp_f64 v[47:48], v[47:48], v97
	v_fma_f64 v[84:85], v[53:54], v[84:85], s[34:35]
	v_fma_f64 v[51:52], v[51:52], v[55:56], 1.0
	v_mul_f64 v[55:56], v[11:12], s[22:23]
	v_cndmask_b32_e64 v68, 0x7ff00000, v68, s15
	s_and_b32 s15, s16, s15
	v_fma_f64 v[71:72], v[35:36], s[26:27], v[71:72]
	v_cndmask_b32_e64 v67, 0, v67, s15
	v_fma_f64 v[80:81], v[43:44], v[80:81], 1.0
	v_fma_f64 v[49:50], v[49:50], v[82:83], 1.0
	v_fma_f64 v[82:83], v[61:62], s[30:31], s[28:29]
	v_cmp_nlt_f64_e64 s15, 0x40900000, v[15:16]
	v_cndmask_b32_e64 v68, 0, v68, s16
	v_cmp_ngt_f64_e64 s16, 0xc090cc00, v[15:16]
	v_fma_f64 v[88:89], v[78:79], v[88:89], s[34:35]
	v_cndmask_b32_e64 v91, 0x7ff00000, v66, s17
	v_fma_f64 v[86:87], v[45:46], s[26:27], v[86:87]
	v_fma_f64 v[84:85], v[53:54], v[84:85], s[36:37]
	v_cndmask_b32_e64 v91, 0, v91, s18
	v_rndne_f64_e32 v[55:56], v[55:56]
	v_ldexp_f64 v[51:52], v[51:52], v98
	v_fma_f64 v[43:44], v[43:44], v[80:81], 1.0
	v_fma_f64 v[80:81], v[71:72], s[30:31], s[28:29]
	v_fma_f64 v[82:83], v[61:62], v[82:83], s[34:35]
	v_cndmask_b32_e64 v90, 0x7ff00000, v58, s15
	v_add_f64 v[58:59], v[59:60], v[67:68]
	v_fma_f64 v[66:67], v[63:64], s[24:25], v[13:14]
	s_and_b32 s15, s16, s15
	v_fma_f64 v[88:89], v[78:79], v[88:89], s[36:37]
	v_cndmask_b32_e64 v42, 0, v90, s16
	v_cndmask_b32_e64 v41, 0, v57, s15
	s_and_b32 s15, s18, s17
	v_cmp_ngt_f64_e64 s16, 0xc090cc00, v[27:28]
	v_fma_f64 v[84:85], v[53:54], v[84:85], s[40:41]
	v_cndmask_b32_e64 v90, 0, v65, s15
	v_fma_f64 v[92:93], v[55:56], s[24:25], v[11:12]
	v_cmp_nlt_f64_e64 s15, 0x40900000, v[27:28]
	v_ldexp_f64 v[49:50], v[49:50], v94
	v_cmp_nlt_f64_e64 s17, 0x40900000, v[29:30]
	v_cmp_ngt_f64_e64 s18, 0xc090cc00, v[29:30]
	v_ldexp_f64 v[43:44], v[43:44], v95
	v_add_f64 v[41:42], v[58:59], v[41:42]
	v_fma_f64 v[65:66], v[63:64], s[26:27], v[66:67]
	v_fma_f64 v[57:58], v[86:87], s[30:31], s[28:29]
	;; [unrolled: 1-line block ×7, first 2 shown]
	v_cndmask_b32_e64 v48, 0x7ff00000, v48, s15
	s_and_b32 s15, s16, s15
	v_cvt_i32_f64_e32 v93, v[69:70]
	v_cndmask_b32_e64 v47, 0, v47, s15
	v_cmp_nlt_f64_e64 s15, 0x40900000, v[31:32]
	v_cndmask_b32_e64 v48, 0, v48, s16
	v_cmp_ngt_f64_e64 s16, 0xc090cc00, v[31:32]
	v_add_f64 v[41:42], v[41:42], v[90:91]
	v_fma_f64 v[88:89], v[65:66], s[30:31], s[28:29]
	v_fma_f64 v[57:58], v[86:87], v[57:58], s[34:35]
	;; [unrolled: 1-line block ×7, first 2 shown]
	v_cndmask_b32_e64 v92, 0x7ff00000, v52, s15
	s_and_b32 s15, s16, s15
	v_add_f64 v[41:42], v[41:42], v[47:48]
	v_fma_f64 v[88:89], v[65:66], v[88:89], s[34:35]
	v_fma_f64 v[57:58], v[86:87], v[57:58], s[36:37]
	;; [unrolled: 1-line block ×26, first 2 shown]
	v_fma_f64 v[82:83], v[53:54], v[82:83], 1.0
	v_fma_f64 v[47:48], v[84:85], v[90:91], s[46:47]
	v_fma_f64 v[69:70], v[65:66], v[88:89], s[44:45]
	;; [unrolled: 1-line block ×5, first 2 shown]
	v_fma_f64 v[80:81], v[78:79], v[80:81], 1.0
	v_fma_f64 v[52:53], v[53:54], v[82:83], 1.0
	v_cndmask_b32_e64 v83, 0, v92, s16
	v_cndmask_b32_e64 v82, 0, v51, s15
	;; [unrolled: 1-line block ×3, first 2 shown]
	v_cmp_nlt_f64_e64 s15, 0x40900000, v[33:34]
	v_cmp_ngt_f64_e64 s16, 0xc090cc00, v[33:34]
	s_and_b32 s17, s18, s17
	v_add_f64 v[41:42], v[41:42], v[82:83]
	v_cvt_i32_f64_e32 v82, v[23:24]
	v_fma_f64 v[23:24], v[84:85], v[47:48], s[44:45]
	v_fma_f64 v[47:48], v[65:66], v[69:70], s[42:43]
	;; [unrolled: 1-line block ×4, first 2 shown]
	v_cndmask_b32_e64 v70, 0, v54, s18
	v_cndmask_b32_e64 v69, 0, v49, s17
	v_fma_f64 v[59:60], v[61:62], v[67:68], 1.0
	v_fma_f64 v[67:68], v[78:79], v[80:81], 1.0
	v_ldexp_f64 v[52:53], v[52:53], v93
	v_cmp_nlt_f64_e64 s17, 0x40900000, v[37:38]
	v_cmp_ngt_f64_e64 s18, 0xc090cc00, v[37:38]
	v_cvt_i32_f64_e32 v54, v[25:26]
	v_cndmask_b32_e64 v44, 0x7ff00000, v44, s15
	s_and_b32 s15, s16, s15
	v_add_f64 v[41:42], v[41:42], v[69:70]
	v_cndmask_b32_e64 v43, 0, v43, s15
	v_cndmask_b32_e64 v44, 0, v44, s16
	v_fma_f64 v[23:24], v[84:85], v[23:24], s[42:43]
	v_cmp_nlt_f64_e64 s15, 0x40900000, v[21:22]
	v_cmp_ngt_f64_e64 s16, 0xc090cc00, v[21:22]
	v_fma_f64 v[25:26], v[65:66], v[47:48], s[38:39]
	v_fma_f64 v[47:48], v[86:87], v[50:51], s[48:49]
	v_fma_f64 v[49:50], v[71:72], v[57:58], 1.0
	v_fma_f64 v[57:58], v[61:62], v[59:60], 1.0
	v_ldexp_f64 v[59:60], v[67:68], v82
	v_cndmask_b32_e64 v51, 0x7ff00000, v53, s17
	s_and_b32 s17, s18, s17
	v_cvt_i32_f64_e32 v53, v[35:36]
	v_add_f64 v[41:42], v[41:42], v[43:44]
	v_fma_f64 v[23:24], v[84:85], v[23:24], s[38:39]
	v_fma_f64 v[25:26], v[65:66], v[25:26], s[48:49]
	v_fma_f64 v[35:36], v[86:87], v[47:48], 1.0
	v_fma_f64 v[43:44], v[71:72], v[49:50], 1.0
	v_cndmask_b32_e64 v50, 0, v51, s18
	v_cndmask_b32_e64 v49, 0, v52, s17
	v_ldexp_f64 v[47:48], v[57:58], v54
	v_cndmask_b32_e64 v54, 0x7ff00000, v60, s15
	v_cmp_nlt_f64_e64 s17, 0x40900000, v[9:10]
	v_cmp_ngt_f64_e64 s18, 0xc090cc00, v[9:10]
	s_and_b32 s15, s16, s15
	v_add_f64 v[41:42], v[41:42], v[49:50]
	v_cvt_i32_f64_e32 v49, v[45:46]
	v_cndmask_b32_e64 v46, 0, v54, s16
	v_cndmask_b32_e64 v45, 0, v59, s15
	v_cmp_nlt_f64_e64 s15, 0x40900000, v[39:40]
	v_fma_f64 v[23:24], v[84:85], v[23:24], s[48:49]
	v_cmp_ngt_f64_e64 s16, 0xc090cc00, v[39:40]
	v_fma_f64 v[25:26], v[65:66], v[25:26], 1.0
	v_fma_f64 v[35:36], v[86:87], v[35:36], 1.0
	v_ldexp_f64 v[43:44], v[43:44], v53
	v_cndmask_b32_e64 v48, 0x7ff00000, v48, s17
	s_and_b32 s17, s18, s17
	v_add_f64 v[41:42], v[41:42], v[45:46]
	v_cndmask_b32_e64 v45, 0, v48, s18
	v_cvt_i32_f64_e32 v46, v[63:64]
	v_cmp_ngt_f64_e64 s18, 0xc090cc00, v[17:18]
	v_fma_f64 v[23:24], v[84:85], v[23:24], 1.0
	v_fma_f64 v[25:26], v[65:66], v[25:26], 1.0
	v_ldexp_f64 v[35:36], v[35:36], v49
	v_cndmask_b32_e64 v49, 0x7ff00000, v44, s15
	v_cndmask_b32_e64 v44, 0, v47, s17
	v_cmp_nlt_f64_e64 s17, 0x40900000, v[17:18]
	s_and_b32 s15, s16, s15
	v_cndmask_b32_e64 v43, 0, v43, s15
	v_cmp_nlt_f64_e64 s15, 0x40900000, v[13:14]
	v_add_f64 v[41:42], v[41:42], v[44:45]
	v_cndmask_b32_e64 v44, 0, v49, s16
	v_cvt_i32_f64_e32 v45, v[55:56]
	v_cmp_ngt_f64_e64 s16, 0xc090cc00, v[13:14]
	v_fma_f64 v[23:24], v[84:85], v[23:24], 1.0
	v_ldexp_f64 v[25:26], v[25:26], v46
	v_cndmask_b32_e64 v36, 0x7ff00000, v36, s17
	s_and_b32 s17, s18, s17
	v_cndmask_b32_e64 v35, 0, v35, s17
	v_cmp_nlt_f64_e64 s17, 0x40900000, v[11:12]
	v_cndmask_b32_e64 v36, 0, v36, s18
	v_cmp_ngt_f64_e64 s18, 0xc090cc00, v[11:12]
	v_add_f64 v[41:42], v[41:42], v[43:44]
	v_ldexp_f64 v[23:24], v[23:24], v45
	v_cndmask_b32_e64 v26, 0x7ff00000, v26, s15
	s_and_b32 s15, s16, s15
	v_cndmask_b32_e64 v25, 0, v25, s15
	v_cndmask_b32_e64 v26, 0, v26, s16
	s_mov_b32 s16, exec_lo
	s_and_b32 s15, s18, s17
	v_add_f64 v[35:36], v[41:42], v[35:36]
	v_cndmask_b32_e64 v41, 0x7ff00000, v24, s17
	v_add_f64 v[24:25], v[35:36], v[25:26]
	v_cndmask_b32_e64 v36, 0, v41, s18
	v_cndmask_b32_e64 v35, 0, v23, s15
	v_add_f64 v[23:24], v[24:25], v[35:36]
	ds_bpermute_b32 v25, v0, v23
	ds_bpermute_b32 v26, v0, v24
	s_waitcnt lgkmcnt(0)
	v_add_f64 v[23:24], v[23:24], v[25:26]
	ds_bpermute_b32 v25, v74, v23
	ds_bpermute_b32 v26, v74, v24
	s_waitcnt lgkmcnt(0)
	v_add_f64 v[23:24], v[23:24], v[25:26]
	ds_bpermute_b32 v25, v75, v23
	ds_bpermute_b32 v26, v75, v24
	s_waitcnt lgkmcnt(0)
	v_add_f64 v[23:24], v[23:24], v[25:26]
	ds_bpermute_b32 v25, v76, v23
	ds_bpermute_b32 v26, v76, v24
	s_waitcnt lgkmcnt(0)
	v_add_f64 v[23:24], v[23:24], v[25:26]
	ds_bpermute_b32 v25, v77, v23
	ds_bpermute_b32 v26, v77, v24
	v_cmpx_lt_i32_e32 0, v73
	s_cbranch_execz .LBB19_50
; %bb.33:
	s_and_b32 exec_lo, exec_lo, s14
	s_cbranch_execz .LBB19_50
; %bb.34:
	s_waitcnt lgkmcnt(0)
	v_add_f64 v[24:25], v[23:24], v[25:26]
	s_mov_b32 s17, 0x3fe55555
	s_mov_b32 s16, 0x55555555
	;; [unrolled: 1-line block ×6, first 2 shown]
	v_frexp_mant_f64_e32 v[35:36], v[24:25]
	v_cmp_gt_f64_e64 s14, s[16:17], v[35:36]
	s_mov_b32 s16, 0x55555780
	v_cndmask_b32_e64 v0, 0, 1, s14
	v_ldexp_f64 v[35:36], v[35:36], v0
	v_frexp_exp_i32_f64_e32 v0, v[24:25]
	v_add_f64 v[41:42], v[35:36], 1.0
	v_add_f64 v[47:48], v[35:36], -1.0
	v_subrev_co_ci_u32_e64 v0, null, 0, v0, s14
	s_mov_b32 s14, 0xfefa39ef
	s_mov_b32 s15, 0x3fe62e42
	v_rcp_f64_e32 v[43:44], v[41:42]
	v_add_f64 v[49:50], v[41:42], -1.0
	v_add_f64 v[35:36], v[35:36], -v[49:50]
	v_fma_f64 v[45:46], -v[41:42], v[43:44], 1.0
	v_fma_f64 v[43:44], v[45:46], v[43:44], v[43:44]
	v_fma_f64 v[45:46], -v[41:42], v[43:44], 1.0
	v_fma_f64 v[43:44], v[45:46], v[43:44], v[43:44]
	v_mul_f64 v[45:46], v[47:48], v[43:44]
	v_mul_f64 v[51:52], v[41:42], v[45:46]
	v_fma_f64 v[41:42], v[45:46], v[41:42], -v[51:52]
	v_fma_f64 v[35:36], v[45:46], v[35:36], v[41:42]
	v_add_f64 v[41:42], v[51:52], v[35:36]
	v_add_f64 v[49:50], v[47:48], -v[41:42]
	v_add_f64 v[51:52], v[41:42], -v[51:52]
	;; [unrolled: 1-line block ×5, first 2 shown]
	v_add_f64 v[35:36], v[35:36], v[41:42]
	v_add_f64 v[35:36], v[49:50], v[35:36]
	v_mul_f64 v[35:36], v[43:44], v[35:36]
	v_add_f64 v[41:42], v[45:46], v[35:36]
	v_mul_f64 v[43:44], v[41:42], v[41:42]
	v_fma_f64 v[47:48], v[43:44], s[22:23], s[18:19]
	s_mov_b32 s18, 0xd7f4df2e
	s_mov_b32 s19, 0x3fc7474d
	v_mul_f64 v[49:50], v[41:42], v[43:44]
	v_fma_f64 v[47:48], v[43:44], v[47:48], s[18:19]
	s_mov_b32 s18, 0x16291751
	s_mov_b32 s19, 0x3fcc71c0
	v_fma_f64 v[47:48], v[43:44], v[47:48], s[18:19]
	s_mov_b32 s18, 0x9b27acf1
	s_mov_b32 s19, 0x3fd24924
	;; [unrolled: 3-line block ×3, first 2 shown]
	v_fma_f64 v[47:48], v[43:44], v[47:48], s[18:19]
	v_fma_f64 v[43:44], v[43:44], v[47:48], s[16:17]
	v_ldexp_f64 v[47:48], v[41:42], 1
	v_add_f64 v[41:42], v[41:42], -v[45:46]
	v_mul_f64 v[43:44], v[49:50], v[43:44]
	v_cvt_f64_i32_e32 v[49:50], v0
	v_add_f64 v[35:36], v[35:36], -v[41:42]
	v_add_f64 v[45:46], v[47:48], v[43:44]
	v_mul_f64 v[51:52], v[49:50], s[14:15]
	v_ldexp_f64 v[35:36], v[35:36], 1
	v_add_f64 v[41:42], v[45:46], -v[47:48]
	v_fma_f64 v[47:48], v[49:50], s[14:15], -v[51:52]
	s_mov_b32 s14, 0x3b39803f
	s_mov_b32 s15, 0x3c7abc9e
	v_add_f64 v[41:42], v[43:44], -v[41:42]
	v_fma_f64 v[43:44], v[49:50], s[14:15], v[47:48]
	v_cmp_class_f64_e64 s14, v[24:25], 0x204
	v_add_f64 v[35:36], v[35:36], v[41:42]
	v_add_f64 v[41:42], v[51:52], v[43:44]
	;; [unrolled: 1-line block ×3, first 2 shown]
	v_add_f64 v[51:52], v[41:42], -v[51:52]
	v_add_f64 v[49:50], v[41:42], v[47:48]
	v_add_f64 v[45:46], v[47:48], -v[45:46]
	v_add_f64 v[43:44], v[43:44], -v[51:52]
	;; [unrolled: 1-line block ×6, first 2 shown]
	v_add_f64 v[47:48], v[43:44], v[35:36]
	v_add_f64 v[41:42], v[41:42], -v[55:56]
	v_add_f64 v[41:42], v[45:46], v[41:42]
	v_add_f64 v[45:46], v[47:48], -v[43:44]
	;; [unrolled: 2-line block ×3, first 2 shown]
	v_add_f64 v[35:36], v[35:36], -v[45:46]
	v_add_f64 v[51:52], v[49:50], v[41:42]
	v_add_f64 v[43:44], v[43:44], -v[47:48]
	v_add_f64 v[45:46], v[51:52], -v[49:50]
	v_add_f64 v[35:36], v[35:36], v[43:44]
	v_add_f64 v[41:42], v[41:42], -v[45:46]
	v_add_f64 v[35:36], v[35:36], v[41:42]
	v_add_f64 v[35:36], v[51:52], v[35:36]
	v_cndmask_b32_e64 v0, v35, v24, s14
	v_cndmask_b32_e64 v23, v36, v25, s14
	v_cmp_ngt_f64_e64 s14, 0, v[24:25]
	v_cndmask_b32_e64 v26, 0x7ff80000, v23, s14
	v_cmp_nge_f64_e64 s14, 0, v[24:25]
	v_cndmask_b32_e64 v23, 0, v0, s14
	v_cmp_neq_f64_e64 s14, 0, v[24:25]
	v_cndmask_b32_e64 v24, 0xfff00000, v26, s14
	v_add_co_u32 v0, s14, s20, v1
	v_add_co_ci_u32_e64 v1, null, s21, v2, s14
	v_add_f64 v[3:4], v[3:4], -v[23:24]
	global_store_dwordx2 v[0:1], v[3:4], off
	s_and_b32 exec_lo, exec_lo, vcc_lo
	s_cbranch_execz .LBB19_50
; %bb.35:
	v_add_f64 v[2:3], v[5:6], -v[23:24]
	global_store_dwordx2 v[0:1], v[2:3], off offset:256
	s_and_b32 exec_lo, exec_lo, s0
	s_cbranch_execz .LBB19_50
; %bb.36:
	v_add_f64 v[2:3], v[7:8], -v[23:24]
	global_store_dwordx2 v[0:1], v[2:3], off offset:512
	s_and_b32 exec_lo, exec_lo, s1
	;; [unrolled: 5-line block ×7, first 2 shown]
	s_cbranch_execz .LBB19_50
; %bb.42:
	v_add_f64 v[2:3], v[33:34], -v[23:24]
	v_add_co_u32 v0, vcc_lo, 0x800, v0
	v_add_co_ci_u32_e64 v1, null, 0, v1, vcc_lo
	global_store_dwordx2 v[0:1], v[2:3], off
	s_and_b32 exec_lo, exec_lo, s7
	s_cbranch_execz .LBB19_50
; %bb.43:
	v_add_f64 v[2:3], v[37:38], -v[23:24]
	global_store_dwordx2 v[0:1], v[2:3], off offset:256
	s_and_b32 exec_lo, exec_lo, s8
	s_cbranch_execz .LBB19_50
; %bb.44:
	v_add_f64 v[2:3], v[21:22], -v[23:24]
	global_store_dwordx2 v[0:1], v[2:3], off offset:512
	;; [unrolled: 5-line block ×7, first 2 shown]
.LBB19_50:
	s_endpgm
	.section	.rodata,"a",@progbits
	.p2align	6, 0x0
	.amdhsa_kernel _ZN12_GLOBAL__N_120softmax_warp_forwardIdddLi9ELb1ELb0ELi32EEEvPT0_PKT_iiiPKbib
		.amdhsa_group_segment_fixed_size 0
		.amdhsa_private_segment_fixed_size 0
		.amdhsa_kernarg_size 304
		.amdhsa_user_sgpr_count 6
		.amdhsa_user_sgpr_private_segment_buffer 1
		.amdhsa_user_sgpr_dispatch_ptr 0
		.amdhsa_user_sgpr_queue_ptr 0
		.amdhsa_user_sgpr_kernarg_segment_ptr 1
		.amdhsa_user_sgpr_dispatch_id 0
		.amdhsa_user_sgpr_flat_scratch_init 0
		.amdhsa_user_sgpr_private_segment_size 0
		.amdhsa_wavefront_size32 1
		.amdhsa_uses_dynamic_stack 0
		.amdhsa_system_sgpr_private_segment_wavefront_offset 0
		.amdhsa_system_sgpr_workgroup_id_x 1
		.amdhsa_system_sgpr_workgroup_id_y 0
		.amdhsa_system_sgpr_workgroup_id_z 0
		.amdhsa_system_sgpr_workgroup_info 0
		.amdhsa_system_vgpr_workitem_id 1
		.amdhsa_next_free_vgpr 99
		.amdhsa_next_free_sgpr 50
		.amdhsa_reserve_vcc 1
		.amdhsa_reserve_flat_scratch 0
		.amdhsa_float_round_mode_32 0
		.amdhsa_float_round_mode_16_64 0
		.amdhsa_float_denorm_mode_32 3
		.amdhsa_float_denorm_mode_16_64 3
		.amdhsa_dx10_clamp 1
		.amdhsa_ieee_mode 1
		.amdhsa_fp16_overflow 0
		.amdhsa_workgroup_processor_mode 1
		.amdhsa_memory_ordered 1
		.amdhsa_forward_progress 1
		.amdhsa_shared_vgpr_count 0
		.amdhsa_exception_fp_ieee_invalid_op 0
		.amdhsa_exception_fp_denorm_src 0
		.amdhsa_exception_fp_ieee_div_zero 0
		.amdhsa_exception_fp_ieee_overflow 0
		.amdhsa_exception_fp_ieee_underflow 0
		.amdhsa_exception_fp_ieee_inexact 0
		.amdhsa_exception_int_div_zero 0
	.end_amdhsa_kernel
	.section	.text._ZN12_GLOBAL__N_120softmax_warp_forwardIdddLi9ELb1ELb0ELi32EEEvPT0_PKT_iiiPKbib,"axG",@progbits,_ZN12_GLOBAL__N_120softmax_warp_forwardIdddLi9ELb1ELb0ELi32EEEvPT0_PKT_iiiPKbib,comdat
.Lfunc_end19:
	.size	_ZN12_GLOBAL__N_120softmax_warp_forwardIdddLi9ELb1ELb0ELi32EEEvPT0_PKT_iiiPKbib, .Lfunc_end19-_ZN12_GLOBAL__N_120softmax_warp_forwardIdddLi9ELb1ELb0ELi32EEEvPT0_PKT_iiiPKbib
                                        ; -- End function
	.set _ZN12_GLOBAL__N_120softmax_warp_forwardIdddLi9ELb1ELb0ELi32EEEvPT0_PKT_iiiPKbib.num_vgpr, 99
	.set _ZN12_GLOBAL__N_120softmax_warp_forwardIdddLi9ELb1ELb0ELi32EEEvPT0_PKT_iiiPKbib.num_agpr, 0
	.set _ZN12_GLOBAL__N_120softmax_warp_forwardIdddLi9ELb1ELb0ELi32EEEvPT0_PKT_iiiPKbib.numbered_sgpr, 50
	.set _ZN12_GLOBAL__N_120softmax_warp_forwardIdddLi9ELb1ELb0ELi32EEEvPT0_PKT_iiiPKbib.num_named_barrier, 0
	.set _ZN12_GLOBAL__N_120softmax_warp_forwardIdddLi9ELb1ELb0ELi32EEEvPT0_PKT_iiiPKbib.private_seg_size, 0
	.set _ZN12_GLOBAL__N_120softmax_warp_forwardIdddLi9ELb1ELb0ELi32EEEvPT0_PKT_iiiPKbib.uses_vcc, 1
	.set _ZN12_GLOBAL__N_120softmax_warp_forwardIdddLi9ELb1ELb0ELi32EEEvPT0_PKT_iiiPKbib.uses_flat_scratch, 0
	.set _ZN12_GLOBAL__N_120softmax_warp_forwardIdddLi9ELb1ELb0ELi32EEEvPT0_PKT_iiiPKbib.has_dyn_sized_stack, 0
	.set _ZN12_GLOBAL__N_120softmax_warp_forwardIdddLi9ELb1ELb0ELi32EEEvPT0_PKT_iiiPKbib.has_recursion, 0
	.set _ZN12_GLOBAL__N_120softmax_warp_forwardIdddLi9ELb1ELb0ELi32EEEvPT0_PKT_iiiPKbib.has_indirect_call, 0
	.section	.AMDGPU.csdata,"",@progbits
; Kernel info:
; codeLenInByte = 6560
; TotalNumSgprs: 52
; NumVgprs: 99
; ScratchSize: 0
; MemoryBound: 1
; FloatMode: 240
; IeeeMode: 1
; LDSByteSize: 0 bytes/workgroup (compile time only)
; SGPRBlocks: 0
; VGPRBlocks: 12
; NumSGPRsForWavesPerEU: 52
; NumVGPRsForWavesPerEU: 99
; Occupancy: 9
; WaveLimiterHint : 0
; COMPUTE_PGM_RSRC2:SCRATCH_EN: 0
; COMPUTE_PGM_RSRC2:USER_SGPR: 6
; COMPUTE_PGM_RSRC2:TRAP_HANDLER: 0
; COMPUTE_PGM_RSRC2:TGID_X_EN: 1
; COMPUTE_PGM_RSRC2:TGID_Y_EN: 0
; COMPUTE_PGM_RSRC2:TGID_Z_EN: 0
; COMPUTE_PGM_RSRC2:TIDIG_COMP_CNT: 1
	.section	.text._ZN12_GLOBAL__N_120softmax_warp_forwardIdddLi10ELb1ELb0ELi64EEEvPT0_PKT_iiiPKbib,"axG",@progbits,_ZN12_GLOBAL__N_120softmax_warp_forwardIdddLi10ELb1ELb0ELi64EEEvPT0_PKT_iiiPKbib,comdat
	.globl	_ZN12_GLOBAL__N_120softmax_warp_forwardIdddLi10ELb1ELb0ELi64EEEvPT0_PKT_iiiPKbib ; -- Begin function _ZN12_GLOBAL__N_120softmax_warp_forwardIdddLi10ELb1ELb0ELi64EEEvPT0_PKT_iiiPKbib
	.p2align	8
	.type	_ZN12_GLOBAL__N_120softmax_warp_forwardIdddLi10ELb1ELb0ELi64EEEvPT0_PKT_iiiPKbib,@function
_ZN12_GLOBAL__N_120softmax_warp_forwardIdddLi10ELb1ELb0ELi64EEEvPT0_PKT_iiiPKbib: ; @_ZN12_GLOBAL__N_120softmax_warp_forwardIdddLi10ELb1ELb0ELi64EEEvPT0_PKT_iiiPKbib
; %bb.0:
	s_clause 0x1
	s_load_dword s0, s[4:5], 0x3c
	s_load_dwordx8 s[20:27], s[4:5], 0x0
	v_mov_b32_e32 v5, 0
	v_mov_b32_e32 v6, 0xfff00000
	s_waitcnt lgkmcnt(0)
	s_lshr_b32 s0, s0, 16
	v_cmp_gt_i32_e64 s14, s26, v0
	v_mad_u64_u32 v[1:2], null, s6, s0, v[1:2]
	v_mad_u64_u32 v[2:3], null, v1, s25, v[0:1]
	v_sub_nc_u32_e32 v73, s24, v1
	v_cmp_lt_i32_e64 s15, 0, v73
	v_ashrrev_i32_e32 v3, 31, v2
	s_and_b32 s1, s15, s14
	v_lshlrev_b64 v[1:2], 3, v[2:3]
	v_mov_b32_e32 v3, 0
	v_mov_b32_e32 v4, 0xfff00000
	v_add_co_u32 v11, vcc_lo, s22, v1
	v_add_co_ci_u32_e64 v12, null, s23, v2, vcc_lo
	s_and_saveexec_b32 s0, s1
	s_cbranch_execz .LBB20_2
; %bb.1:
	global_load_dwordx2 v[3:4], v[11:12], off
.LBB20_2:
	s_or_b32 exec_lo, exec_lo, s0
	v_add_nc_u32_e32 v7, 64, v0
	v_cmp_gt_i32_e32 vcc_lo, s26, v7
	s_and_b32 s1, s15, vcc_lo
	s_and_saveexec_b32 s0, s1
	s_cbranch_execz .LBB20_4
; %bb.3:
	global_load_dwordx2 v[5:6], v[11:12], off offset:512
.LBB20_4:
	s_or_b32 exec_lo, exec_lo, s0
	v_add_nc_u32_e32 v7, 0x80, v0
	v_mov_b32_e32 v9, 0
	v_mov_b32_e32 v10, 0xfff00000
	v_cmp_gt_i32_e64 s0, s26, v7
	v_mov_b32_e32 v7, 0
	v_mov_b32_e32 v8, 0xfff00000
	s_and_b32 s2, s15, s0
	s_and_saveexec_b32 s1, s2
	s_cbranch_execz .LBB20_6
; %bb.5:
	global_load_dwordx2 v[7:8], v[11:12], off offset:1024
.LBB20_6:
	s_or_b32 exec_lo, exec_lo, s1
	v_add_nc_u32_e32 v13, 0xc0, v0
	v_cmp_gt_i32_e64 s1, s26, v13
	s_and_b32 s3, s15, s1
	s_and_saveexec_b32 s2, s3
	s_cbranch_execz .LBB20_8
; %bb.7:
	global_load_dwordx2 v[9:10], v[11:12], off offset:1536
.LBB20_8:
	s_or_b32 exec_lo, exec_lo, s2
	v_add_nc_u32_e32 v13, 0x100, v0
	v_mov_b32_e32 v15, 0
	v_mov_b32_e32 v35, 0
	;; [unrolled: 1-line block ×4, first 2 shown]
	v_cmp_gt_i32_e64 s2, s26, v13
	s_and_b32 s3, s15, s2
	s_and_saveexec_b32 s4, s3
	s_cbranch_execz .LBB20_10
; %bb.9:
	v_add_co_u32 v13, s3, 0x800, v11
	v_add_co_ci_u32_e64 v14, null, 0, v12, s3
	global_load_dwordx2 v[35:36], v[13:14], off
.LBB20_10:
	s_or_b32 exec_lo, exec_lo, s4
	v_add_nc_u32_e32 v13, 0x140, v0
	v_cmp_gt_i32_e64 s3, s26, v13
	s_and_b32 s4, s15, s3
	s_and_saveexec_b32 s5, s4
	s_cbranch_execz .LBB20_12
; %bb.11:
	v_add_co_u32 v13, s4, 0x800, v11
	v_add_co_ci_u32_e64 v14, null, 0, v12, s4
	global_load_dwordx2 v[15:16], v[13:14], off offset:512
.LBB20_12:
	s_or_b32 exec_lo, exec_lo, s5
	v_add_nc_u32_e32 v13, 0x180, v0
	v_mov_b32_e32 v23, 0
	v_mov_b32_e32 v17, 0
	;; [unrolled: 1-line block ×4, first 2 shown]
	v_cmp_gt_i32_e64 s4, s26, v13
	s_and_b32 s5, s15, s4
	s_and_saveexec_b32 s6, s5
	s_cbranch_execz .LBB20_14
; %bb.13:
	v_add_co_u32 v13, s5, 0x800, v11
	v_add_co_ci_u32_e64 v14, null, 0, v12, s5
	global_load_dwordx2 v[17:18], v[13:14], off offset:1024
.LBB20_14:
	s_or_b32 exec_lo, exec_lo, s6
	v_add_nc_u32_e32 v13, 0x1c0, v0
	v_cmp_gt_i32_e64 s5, s26, v13
	s_and_b32 s6, s15, s5
	s_and_saveexec_b32 s7, s6
	s_cbranch_execz .LBB20_16
; %bb.15:
	v_add_co_u32 v13, s6, 0x800, v11
	v_add_co_ci_u32_e64 v14, null, 0, v12, s6
	global_load_dwordx2 v[23:24], v[13:14], off offset:1536
.LBB20_16:
	s_or_b32 exec_lo, exec_lo, s7
	v_add_nc_u32_e32 v13, 0x200, v0
	v_mov_b32_e32 v29, 0
	v_mov_b32_e32 v30, 0xfff00000
	v_cmp_gt_i32_e64 s6, s26, v13
	v_mov_b32_e32 v13, 0
	v_mov_b32_e32 v14, 0xfff00000
	s_and_b32 s7, s15, s6
	s_and_saveexec_b32 s8, s7
	s_cbranch_execz .LBB20_18
; %bb.17:
	v_add_co_u32 v19, s7, 0x1000, v11
	v_add_co_ci_u32_e64 v20, null, 0, v12, s7
	global_load_dwordx2 v[29:30], v[19:20], off
.LBB20_18:
	s_or_b32 exec_lo, exec_lo, s8
	v_add_nc_u32_e32 v19, 0x240, v0
	v_cmp_gt_i32_e64 s7, s26, v19
	s_and_b32 s8, s15, s7
	s_and_saveexec_b32 s9, s8
	s_cbranch_execz .LBB20_20
; %bb.19:
	v_add_co_u32 v13, s8, 0x1000, v11
	v_add_co_ci_u32_e64 v14, null, 0, v12, s8
	global_load_dwordx2 v[13:14], v[13:14], off offset:512
.LBB20_20:
	s_or_b32 exec_lo, exec_lo, s9
	v_add_nc_u32_e32 v19, 0x280, v0
	v_mov_b32_e32 v21, 0
	v_mov_b32_e32 v22, 0xfff00000
	v_cmp_gt_i32_e64 s8, s26, v19
	v_mov_b32_e32 v19, 0
	v_mov_b32_e32 v20, 0xfff00000
	s_and_b32 s9, s15, s8
	s_and_saveexec_b32 s10, s9
	s_cbranch_execz .LBB20_22
; %bb.21:
	v_add_co_u32 v21, s9, 0x1000, v11
	v_add_co_ci_u32_e64 v22, null, 0, v12, s9
	global_load_dwordx2 v[21:22], v[21:22], off offset:1024
.LBB20_22:
	s_or_b32 exec_lo, exec_lo, s10
	v_add_nc_u32_e32 v25, 0x2c0, v0
	v_cmp_gt_i32_e64 s9, s26, v25
	s_and_b32 s10, s15, s9
	s_and_saveexec_b32 s11, s10
	s_cbranch_execz .LBB20_24
; %bb.23:
	v_add_co_u32 v19, s10, 0x1000, v11
	v_add_co_ci_u32_e64 v20, null, 0, v12, s10
	global_load_dwordx2 v[19:20], v[19:20], off offset:1536
.LBB20_24:
	s_or_b32 exec_lo, exec_lo, s11
	v_add_nc_u32_e32 v25, 0x300, v0
	v_mov_b32_e32 v27, 0
	v_mov_b32_e32 v28, 0xfff00000
	v_cmp_gt_i32_e64 s10, s26, v25
	v_mov_b32_e32 v25, 0
	v_mov_b32_e32 v26, 0xfff00000
	s_and_b32 s11, s15, s10
	s_and_saveexec_b32 s12, s11
	s_cbranch_execz .LBB20_26
; %bb.25:
	v_add_co_u32 v27, s11, 0x1800, v11
	v_add_co_ci_u32_e64 v28, null, 0, v12, s11
	global_load_dwordx2 v[27:28], v[27:28], off
.LBB20_26:
	s_or_b32 exec_lo, exec_lo, s12
	v_add_nc_u32_e32 v31, 0x340, v0
	v_cmp_gt_i32_e64 s11, s26, v31
	s_and_b32 s12, s15, s11
	s_and_saveexec_b32 s13, s12
	s_cbranch_execz .LBB20_28
; %bb.27:
	v_add_co_u32 v25, s12, 0x1800, v11
	v_add_co_ci_u32_e64 v26, null, 0, v12, s12
	global_load_dwordx2 v[25:26], v[25:26], off offset:512
.LBB20_28:
	s_or_b32 exec_lo, exec_lo, s13
	v_add_nc_u32_e32 v31, 0x380, v0
	v_mov_b32_e32 v33, 0
	v_mov_b32_e32 v34, 0xfff00000
	v_cmp_gt_i32_e64 s12, s26, v31
	v_mov_b32_e32 v31, 0
	v_mov_b32_e32 v32, 0xfff00000
	s_and_b32 s13, s15, s12
	s_and_saveexec_b32 s16, s13
	s_cbranch_execz .LBB20_30
; %bb.29:
	v_add_co_u32 v33, s13, 0x1800, v11
	v_add_co_ci_u32_e64 v34, null, 0, v12, s13
	global_load_dwordx2 v[33:34], v[33:34], off offset:1024
.LBB20_30:
	s_or_b32 exec_lo, exec_lo, s16
	v_add_nc_u32_e32 v0, 0x3c0, v0
	v_cmp_gt_i32_e64 s13, s26, v0
	s_and_b32 s15, s15, s13
	s_and_saveexec_b32 s16, s15
	s_cbranch_execz .LBB20_32
; %bb.31:
	v_add_co_u32 v11, s15, 0x1800, v11
	v_add_co_ci_u32_e64 v12, null, 0, v12, s15
	global_load_dwordx2 v[31:32], v[11:12], off offset:1536
.LBB20_32:
	s_or_b32 exec_lo, exec_lo, s16
	s_waitcnt vmcnt(0)
	v_cmp_gt_f64_e64 s15, v[3:4], v[5:6]
	v_mbcnt_lo_u32_b32 v39, -1, 0
	s_mov_b32 s22, 0x652b82fe
	s_mov_b32 s23, 0x3ff71547
	;; [unrolled: 1-line block ×4, first 2 shown]
	v_or_b32_e32 v0, 32, v39
	v_xor_b32_e32 v40, 16, v39
	s_mov_b32 s26, 0x3b39803f
	s_mov_b32 s27, 0xbc7abc9e
	;; [unrolled: 1-line block ×3, first 2 shown]
	v_cmp_gt_i32_e64 s16, 64, v0
	s_mov_b32 s30, 0x6a5dcb37
	s_mov_b32 s29, 0x3e928af3
	;; [unrolled: 1-line block ×4, first 2 shown]
	v_cndmask_b32_e64 v0, v39, v0, s16
	v_cmp_gt_i32_e64 s16, 64, v40
	s_mov_b32 s35, 0x3ec71dee
	s_mov_b32 s36, 0x7c89e6b0
	;; [unrolled: 1-line block ×3, first 2 shown]
	v_lshlrev_b32_e32 v0, 2, v0
	v_cndmask_b32_e64 v12, v6, v4, s15
	v_cndmask_b32_e64 v11, v5, v3, s15
	;; [unrolled: 1-line block ×3, first 2 shown]
	s_mov_b32 s42, 0x14761f6e
	s_mov_b32 s43, 0x3f2a01a0
	;; [unrolled: 1-line block ×3, first 2 shown]
	v_cmp_gt_f64_e64 s15, v[11:12], v[7:8]
	v_lshlrev_b32_e32 v74, 2, v40
	v_xor_b32_e32 v40, 8, v39
	s_mov_b32 s45, 0x3f56c16c
	s_mov_b32 s48, 0x11122322
	s_mov_b32 s49, 0x3f811111
	s_mov_b32 s46, 0x555502a1
	v_cmp_gt_i32_e64 s16, 64, v40
	s_mov_b32 s47, 0x3fa55555
	s_mov_b32 s40, 0x55555511
	;; [unrolled: 1-line block ×4, first 2 shown]
	v_cndmask_b32_e64 v40, v39, v40, s16
	s_mov_b32 s39, 0x3fe00000
	v_lshlrev_b32_e32 v75, 2, v40
	v_xor_b32_e32 v40, 4, v39
	v_cndmask_b32_e64 v12, v8, v12, s15
	v_cndmask_b32_e64 v11, v7, v11, s15
	v_cmp_gt_i32_e64 s16, 64, v40
	v_cmp_gt_f64_e64 s15, v[11:12], v[9:10]
	v_cndmask_b32_e64 v40, v39, v40, s16
	v_lshlrev_b32_e32 v76, 2, v40
	v_xor_b32_e32 v40, 2, v39
	v_cmp_gt_i32_e64 s16, 64, v40
	v_cndmask_b32_e64 v40, v39, v40, s16
	v_lshlrev_b32_e32 v77, 2, v40
	v_cndmask_b32_e64 v12, v10, v12, s15
	v_cndmask_b32_e64 v11, v9, v11, s15
	v_xor_b32_e32 v40, 1, v39
	v_cmp_gt_f64_e64 s15, v[11:12], v[35:36]
	v_cmp_gt_i32_e64 s16, 64, v40
	v_cndmask_b32_e64 v39, v39, v40, s16
	v_lshlrev_b32_e32 v78, 2, v39
	v_cndmask_b32_e64 v12, v36, v12, s15
	v_cndmask_b32_e64 v11, v35, v11, s15
	v_cmp_gt_f64_e64 s15, v[11:12], v[15:16]
	v_cndmask_b32_e64 v12, v16, v12, s15
	v_cndmask_b32_e64 v11, v15, v11, s15
	v_cmp_gt_f64_e64 s15, v[11:12], v[17:18]
	;; [unrolled: 3-line block ×11, first 2 shown]
	v_cndmask_b32_e64 v12, v32, v12, s15
	v_cndmask_b32_e64 v11, v31, v11, s15
	ds_bpermute_b32 v38, v0, v12
	ds_bpermute_b32 v37, v0, v11
	s_waitcnt lgkmcnt(0)
	v_cmp_lt_f64_e64 s15, v[11:12], v[37:38]
	v_cndmask_b32_e64 v12, v12, v38, s15
	v_cndmask_b32_e64 v11, v11, v37, s15
	ds_bpermute_b32 v38, v74, v12
	ds_bpermute_b32 v37, v74, v11
	s_waitcnt lgkmcnt(0)
	v_cmp_lt_f64_e64 s15, v[11:12], v[37:38]
	;; [unrolled: 6-line block ×6, first 2 shown]
	v_cndmask_b32_e64 v42, v12, v38, s15
	v_cndmask_b32_e64 v41, v11, v37, s15
	v_add_f64 v[3:4], v[3:4], -v[41:42]
	v_add_f64 v[5:6], v[5:6], -v[41:42]
	;; [unrolled: 1-line block ×8, first 2 shown]
	v_mul_f64 v[11:12], v[3:4], s[22:23]
	v_mul_f64 v[37:38], v[5:6], s[22:23]
	v_cmp_nlt_f64_e64 s15, 0x40900000, v[5:6]
	v_cmp_nlt_f64_e64 s17, 0x40900000, v[3:4]
	v_cmp_ngt_f64_e64 s16, 0xc090cc00, v[5:6]
	v_mul_f64 v[59:60], v[23:24], s[22:23]
	v_cmp_ngt_f64_e64 s18, 0xc090cc00, v[3:4]
	v_rndne_f64_e32 v[45:46], v[11:12]
	v_rndne_f64_e32 v[43:44], v[37:38]
	v_mul_f64 v[37:38], v[7:8], s[22:23]
	v_add_f64 v[11:12], v[9:10], -v[41:42]
	v_add_f64 v[9:10], v[35:36], -v[41:42]
	v_fma_f64 v[39:40], v[45:46], s[24:25], v[3:4]
	v_fma_f64 v[35:36], v[43:44], s[24:25], v[5:6]
	v_rndne_f64_e32 v[51:52], v[37:38]
	v_mul_f64 v[37:38], v[11:12], s[22:23]
	v_fma_f64 v[57:58], v[45:46], s[26:27], v[39:40]
	v_mul_f64 v[39:40], v[9:10], s[22:23]
	v_fma_f64 v[65:66], v[43:44], s[26:27], v[35:36]
	;; [unrolled: 2-line block ×3, first 2 shown]
	v_rndne_f64_e32 v[53:54], v[37:38]
	v_mul_f64 v[37:38], v[17:18], s[22:23]
	v_cvt_i32_f64_e32 v99, v[51:52]
	v_fma_f64 v[49:50], v[57:58], s[30:31], s[28:29]
	v_rndne_f64_e32 v[61:62], v[39:40]
	v_fma_f64 v[39:40], v[65:66], s[30:31], s[28:29]
	v_rndne_f64_e32 v[55:56], v[35:36]
	v_fma_f64 v[67:68], v[51:52], s[26:27], v[47:48]
	v_fma_f64 v[63:64], v[53:54], s[24:25], v[11:12]
	v_rndne_f64_e32 v[47:48], v[59:60]
	v_mul_f64 v[59:60], v[29:30], s[22:23]
	v_fma_f64 v[35:36], v[57:58], v[49:50], s[34:35]
	v_rndne_f64_e32 v[49:50], v[37:38]
	v_fma_f64 v[37:38], v[61:62], s[24:25], v[9:10]
	v_fma_f64 v[39:40], v[65:66], v[39:40], s[34:35]
	v_fma_f64 v[69:70], v[55:56], s[24:25], v[15:16]
	v_fma_f64 v[71:72], v[67:68], s[30:31], s[28:29]
	v_fma_f64 v[63:64], v[53:54], s[26:27], v[63:64]
	v_fma_f64 v[81:82], v[47:48], s[24:25], v[23:24]
	v_rndne_f64_e32 v[59:60], v[59:60]
	v_cvt_i32_f64_e32 v100, v[55:56]
	v_fma_f64 v[35:36], v[57:58], v[35:36], s[36:37]
	v_fma_f64 v[79:80], v[49:50], s[24:25], v[17:18]
	;; [unrolled: 1-line block ×9, first 2 shown]
	v_add_f64 v[39:40], v[13:14], -v[41:42]
	v_add_f64 v[37:38], v[21:22], -v[41:42]
	;; [unrolled: 1-line block ×4, first 2 shown]
	v_fma_f64 v[89:90], v[57:58], v[35:36], s[42:43]
	v_fma_f64 v[79:80], v[49:50], s[26:27], v[79:80]
	;; [unrolled: 1-line block ×5, first 2 shown]
	v_add_f64 v[35:36], v[19:20], -v[41:42]
	v_fma_f64 v[97:98], v[67:68], v[69:70], s[36:37]
	v_fma_f64 v[25:26], v[63:64], v[91:92], s[34:35]
	v_add_f64 v[19:20], v[33:34], -v[41:42]
	v_fma_f64 v[31:32], v[71:72], s[30:31], s[28:29]
	v_fma_f64 v[69:70], v[59:60], s[26:27], v[93:94]
	;; [unrolled: 1-line block ×7, first 2 shown]
	v_cvt_i32_f64_e32 v95, v[45:46]
	v_fma_f64 v[85:86], v[67:68], v[97:98], s[42:43]
	v_fma_f64 v[25:26], v[63:64], v[25:26], s[36:37]
	v_cvt_i32_f64_e32 v96, v[43:44]
	v_fma_f64 v[31:32], v[71:72], v[31:32], s[34:35]
	v_fma_f64 v[45:46], v[69:70], s[30:31], s[28:29]
	;; [unrolled: 1-line block ×38, first 2 shown]
	v_fma_f64 v[89:90], v[57:58], v[89:90], 1.0
	v_fma_f64 v[91:92], v[79:80], v[91:92], s[48:49]
	v_fma_f64 v[33:34], v[83:84], v[33:34], s[46:47]
	v_fma_f64 v[41:42], v[65:66], v[41:42], 1.0
	v_fma_f64 v[81:82], v[87:88], v[81:82], s[46:47]
	v_fma_f64 v[85:86], v[67:68], v[85:86], s[38:39]
	;; [unrolled: 1-line block ×5, first 2 shown]
	v_fma_f64 v[57:58], v[57:58], v[89:90], 1.0
	v_mul_f64 v[89:90], v[39:40], s[22:23]
	v_fma_f64 v[91:92], v[79:80], v[91:92], s[46:47]
	v_fma_f64 v[33:34], v[83:84], v[33:34], s[40:41]
	v_fma_f64 v[41:42], v[65:66], v[41:42], 1.0
	v_mul_f64 v[65:66], v[37:38], s[22:23]
	v_fma_f64 v[81:82], v[87:88], v[81:82], s[40:41]
	v_fma_f64 v[85:86], v[67:68], v[85:86], 1.0
	v_fma_f64 v[43:44], v[71:72], v[31:32], s[40:41]
	v_fma_f64 v[45:46], v[69:70], v[45:46], s[46:47]
	v_ldexp_f64 v[57:58], v[57:58], v95
	v_rndne_f64_e32 v[25:26], v[89:90]
	v_fma_f64 v[89:90], v[63:64], v[93:94], s[38:39]
	v_fma_f64 v[91:92], v[79:80], v[91:92], s[40:41]
	;; [unrolled: 1-line block ×3, first 2 shown]
	v_mul_f64 v[93:94], v[35:36], s[22:23]
	v_rndne_f64_e32 v[31:32], v[65:66]
	v_fma_f64 v[65:66], v[87:88], v[81:82], s[38:39]
	v_fma_f64 v[67:68], v[67:68], v[85:86], 1.0
	v_fma_f64 v[45:46], v[69:70], v[45:46], s[40:41]
	v_fma_f64 v[81:82], v[25:26], s[24:25], v[39:40]
	v_fma_f64 v[51:52], v[63:64], v[89:90], 1.0
	v_fma_f64 v[85:86], v[79:80], v[91:92], s[38:39]
	v_ldexp_f64 v[89:90], v[41:42], v96
	v_fma_f64 v[95:96], v[71:72], v[43:44], s[38:39]
	v_fma_f64 v[97:98], v[83:84], v[33:34], 1.0
	v_rndne_f64_e32 v[41:42], v[93:94]
	v_cvt_i32_f64_e32 v93, v[53:54]
	v_add_f64 v[53:54], v[57:58], 0
	v_fma_f64 v[57:58], v[31:32], s[24:25], v[37:38]
	v_mul_f64 v[91:92], v[27:28], s[22:23]
	v_cvt_i32_f64_e32 v94, v[61:62]
	v_fma_f64 v[61:62], v[87:88], v[65:66], 1.0
	v_ldexp_f64 v[67:68], v[67:68], v99
	v_fma_f64 v[43:44], v[25:26], s[26:27], v[81:82]
	v_fma_f64 v[51:52], v[63:64], v[51:52], 1.0
	v_mul_f64 v[63:64], v[21:22], s[22:23]
	v_fma_f64 v[65:66], v[79:80], v[85:86], 1.0
	v_fma_f64 v[55:56], v[71:72], v[95:96], 1.0
	v_fma_f64 v[81:82], v[83:84], v[97:98], 1.0
	v_fma_f64 v[83:84], v[41:42], s[24:25], v[35:36]
	v_fma_f64 v[85:86], v[69:70], v[45:46], s[38:39]
	v_cndmask_b32_e64 v90, 0x7ff00000, v90, s15
	v_fma_f64 v[57:58], v[31:32], s[26:27], v[57:58]
	v_rndne_f64_e32 v[33:34], v[91:92]
	v_cndmask_b32_e64 v91, 0x7ff00000, v54, s17
	v_fma_f64 v[61:62], v[87:88], v[61:62], 1.0
	s_and_b32 s15, s16, s15
	s_and_b32 s17, s18, s17
	v_cvt_i32_f64_e32 v95, v[49:50]
	v_cvt_i32_f64_e32 v97, v[25:26]
	v_fma_f64 v[87:88], v[43:44], s[30:31], s[28:29]
	v_ldexp_f64 v[51:52], v[51:52], v93
	v_rndne_f64_e32 v[45:46], v[63:64]
	v_fma_f64 v[65:66], v[79:80], v[65:66], 1.0
	v_fma_f64 v[54:55], v[71:72], v[55:56], 1.0
	v_mul_f64 v[79:80], v[19:20], s[22:23]
	v_fma_f64 v[71:72], v[41:42], s[26:27], v[83:84]
	v_fma_f64 v[83:84], v[69:70], v[85:86], 1.0
	v_cndmask_b32_e64 v86, 0, v90, s16
	v_cndmask_b32_e64 v85, 0, v89, s15
	v_cmp_nlt_f64_e64 s15, 0x40900000, v[7:8]
	v_cndmask_b32_e64 v90, 0, v91, s18
	v_fma_f64 v[91:92], v[57:58], s[30:31], s[28:29]
	v_cmp_ngt_f64_e64 s16, 0xc090cc00, v[7:8]
	v_fma_f64 v[63:64], v[33:34], s[24:25], v[27:28]
	v_cndmask_b32_e64 v89, 0, v53, s17
	v_cmp_nlt_f64_e64 s17, 0x40900000, v[11:12]
	v_cmp_ngt_f64_e64 s18, 0xc090cc00, v[11:12]
	v_ldexp_f64 v[49:50], v[81:82], v94
	v_mul_f64 v[81:82], v[13:14], s[22:23]
	v_add_f64 v[85:86], v[89:90], v[85:86]
	v_ldexp_f64 v[61:62], v[61:62], v100
	v_fma_f64 v[87:88], v[43:44], v[87:88], s[34:35]
	v_fma_f64 v[89:90], v[45:46], s[24:25], v[21:22]
	v_ldexp_f64 v[65:66], v[65:66], v95
	v_rndne_f64_e32 v[79:80], v[79:80]
	v_cndmask_b32_e64 v56, 0x7ff00000, v68, s15
	v_fma_f64 v[68:69], v[69:70], v[83:84], 1.0
	v_fma_f64 v[83:84], v[71:72], s[30:31], s[28:29]
	v_fma_f64 v[91:92], v[57:58], v[91:92], s[34:35]
	s_and_b32 s15, s16, s15
	v_fma_f64 v[63:64], v[33:34], s[26:27], v[63:64]
	v_cndmask_b32_e64 v70, 0x7ff00000, v52, s17
	v_cndmask_b32_e64 v52, 0, v67, s15
	v_cmp_nlt_f64_e64 s15, 0x40900000, v[9:10]
	v_cndmask_b32_e64 v53, 0, v56, s16
	v_cmp_ngt_f64_e64 s16, 0xc090cc00, v[9:10]
	s_and_b32 s17, s18, s17
	v_fma_f64 v[87:88], v[43:44], v[87:88], s[36:37]
	v_cvt_i32_f64_e32 v56, v[47:48]
	v_add_f64 v[52:53], v[85:86], v[52:53]
	v_fma_f64 v[85:86], v[45:46], s[26:27], v[89:90]
	v_rndne_f64_e32 v[47:48], v[81:82]
	v_fma_f64 v[81:82], v[79:80], s[24:25], v[19:20]
	v_cndmask_b32_e64 v89, 0, v51, s17
	v_cndmask_b32_e64 v90, 0, v70, s18
	v_cvt_i32_f64_e32 v70, v[59:60]
	v_cmp_nlt_f64_e64 s17, 0x40900000, v[23:24]
	v_cmp_ngt_f64_e64 s18, 0xc090cc00, v[23:24]
	v_fma_f64 v[83:84], v[71:72], v[83:84], s[34:35]
	v_fma_f64 v[91:92], v[57:58], v[91:92], s[36:37]
	v_cndmask_b32_e64 v67, 0x7ff00000, v50, s15
	v_fma_f64 v[50:51], v[63:64], s[30:31], s[28:29]
	s_and_b32 s15, s16, s15
	v_fma_f64 v[87:88], v[43:44], v[87:88], s[42:43]
	v_cndmask_b32_e64 v59, 0, v49, s15
	v_add_f64 v[52:53], v[52:53], v[89:90]
	v_fma_f64 v[89:90], v[85:86], s[30:31], s[28:29]
	v_fma_f64 v[93:94], v[47:48], s[24:25], v[13:14]
	;; [unrolled: 1-line block ×3, first 2 shown]
	v_cndmask_b32_e64 v60, 0, v67, s16
	v_cmp_nlt_f64_e64 s15, 0x40900000, v[15:16]
	v_cmp_ngt_f64_e64 s16, 0xc090cc00, v[15:16]
	v_ldexp_f64 v[54:55], v[54:55], v56
	v_ldexp_f64 v[68:69], v[68:69], v70
	v_fma_f64 v[83:84], v[71:72], v[83:84], s[36:37]
	v_fma_f64 v[91:92], v[57:58], v[91:92], s[42:43]
	;; [unrolled: 1-line block ×4, first 2 shown]
	v_add_f64 v[51:52], v[52:53], v[59:60]
	v_fma_f64 v[89:90], v[85:86], v[89:90], s[34:35]
	v_fma_f64 v[93:94], v[47:48], s[26:27], v[93:94]
	;; [unrolled: 1-line block ×3, first 2 shown]
	v_cndmask_b32_e64 v62, 0x7ff00000, v62, s15
	s_and_b32 s15, s16, s15
	v_cndmask_b32_e64 v70, 0x7ff00000, v55, s17
	v_cndmask_b32_e64 v61, 0, v61, s15
	v_cmp_nlt_f64_e64 s15, 0x40900000, v[17:18]
	v_fma_f64 v[83:84], v[71:72], v[83:84], s[42:43]
	v_fma_f64 v[91:92], v[57:58], v[91:92], s[44:45]
	v_cndmask_b32_e64 v62, 0, v62, s16
	v_cmp_ngt_f64_e64 s16, 0xc090cc00, v[17:18]
	s_and_b32 s17, s18, s17
	v_fma_f64 v[49:50], v[63:64], v[49:50], s[36:37]
	v_fma_f64 v[87:88], v[43:44], v[87:88], s[48:49]
	v_add_f64 v[51:52], v[51:52], v[61:62]
	v_fma_f64 v[89:90], v[85:86], v[89:90], s[36:37]
	v_fma_f64 v[59:60], v[93:94], s[30:31], s[28:29]
	v_fma_f64 v[95:96], v[81:82], v[95:96], s[34:35]
	v_cndmask_b32_e64 v53, 0x7ff00000, v66, s15
	v_fma_f64 v[83:84], v[71:72], v[83:84], s[44:45]
	v_fma_f64 v[91:92], v[57:58], v[91:92], s[48:49]
	s_and_b32 s15, s16, s15
	v_cndmask_b32_e64 v56, 0, v53, s16
	v_cndmask_b32_e64 v55, 0, v65, s15
	v_cmp_nlt_f64_e64 s15, 0x40900000, v[29:30]
	v_fma_f64 v[49:50], v[63:64], v[49:50], s[42:43]
	v_cmp_ngt_f64_e64 s16, 0xc090cc00, v[29:30]
	v_cvt_i32_f64_e32 v65, v[31:32]
	v_fma_f64 v[87:88], v[43:44], v[87:88], s[46:47]
	v_add_f64 v[51:52], v[51:52], v[55:56]
	v_fma_f64 v[89:90], v[85:86], v[89:90], s[42:43]
	v_fma_f64 v[59:60], v[93:94], v[59:60], s[34:35]
	;; [unrolled: 1-line block ×20, first 2 shown]
	v_fma_f64 v[87:88], v[43:44], v[87:88], 1.0
	v_fma_f64 v[61:62], v[85:86], v[89:90], s[46:47]
	v_fma_f64 v[25:26], v[93:94], v[59:60], s[44:45]
	;; [unrolled: 1-line block ×4, first 2 shown]
	v_fma_f64 v[83:84], v[57:58], v[91:92], 1.0
	v_fma_f64 v[49:50], v[63:64], v[49:50], s[40:41]
	v_fma_f64 v[43:44], v[43:44], v[87:88], 1.0
	v_fma_f64 v[55:56], v[85:86], v[61:62], s[40:41]
	v_cndmask_b32_e64 v62, 0, v70, s18
	v_cndmask_b32_e64 v61, 0, v54, s17
	v_fma_f64 v[31:32], v[81:82], v[59:60], s[46:47]
	v_fma_f64 v[25:26], v[93:94], v[25:26], s[48:49]
	v_cmp_nlt_f64_e64 s17, 0x40900000, v[39:40]
	v_cmp_ngt_f64_e64 s18, 0xc090cc00, v[39:40]
	v_add_f64 v[51:52], v[51:52], v[61:62]
	v_cvt_i32_f64_e32 v61, v[41:42]
	v_fma_f64 v[59:60], v[71:72], v[66:67], 1.0
	v_fma_f64 v[57:58], v[57:58], v[83:84], 1.0
	v_cndmask_b32_e64 v66, 0x7ff00000, v69, s15
	s_and_b32 s15, s16, s15
	v_fma_f64 v[49:50], v[63:64], v[49:50], s[38:39]
	v_ldexp_f64 v[43:44], v[43:44], v97
	v_fma_f64 v[41:42], v[85:86], v[55:56], s[38:39]
	v_fma_f64 v[31:32], v[81:82], v[31:32], s[40:41]
	v_fma_f64 v[25:26], v[93:94], v[25:26], s[46:47]
	v_fma_f64 v[53:54], v[71:72], v[59:60], 1.0
	v_ldexp_f64 v[55:56], v[57:58], v65
	v_cndmask_b32_e64 v58, 0, v66, s16
	v_cndmask_b32_e64 v57, 0, v68, s15
	v_cmp_nlt_f64_e64 s15, 0x40900000, v[37:38]
	v_cmp_ngt_f64_e64 s16, 0xc090cc00, v[37:38]
	v_fma_f64 v[49:50], v[63:64], v[49:50], 1.0
	v_add_f64 v[51:52], v[51:52], v[57:58]
	v_cvt_i32_f64_e32 v57, v[33:34]
	v_cndmask_b32_e64 v44, 0x7ff00000, v44, s17
	s_and_b32 s17, s18, s17
	v_cndmask_b32_e64 v43, 0, v43, s17
	v_fma_f64 v[33:34], v[85:86], v[41:42], 1.0
	v_cndmask_b32_e64 v44, 0, v44, s18
	v_fma_f64 v[31:32], v[81:82], v[31:32], s[38:39]
	v_fma_f64 v[25:26], v[93:94], v[25:26], s[40:41]
	v_cmp_nlt_f64_e64 s17, 0x40900000, v[35:36]
	v_cmp_ngt_f64_e64 s18, 0xc090cc00, v[35:36]
	v_fma_f64 v[41:42], v[63:64], v[49:50], 1.0
	v_add_f64 v[43:44], v[51:52], v[43:44]
	v_ldexp_f64 v[49:50], v[53:54], v61
	v_cndmask_b32_e64 v53, 0x7ff00000, v56, s15
	s_and_b32 s15, s16, s15
	v_cvt_i32_f64_e32 v51, v[45:46]
	v_cndmask_b32_e64 v45, 0, v55, s15
	v_fma_f64 v[33:34], v[85:86], v[33:34], 1.0
	v_cndmask_b32_e64 v46, 0, v53, s16
	v_fma_f64 v[31:32], v[81:82], v[31:32], 1.0
	v_cmp_nlt_f64_e64 s15, 0x40900000, v[27:28]
	v_fma_f64 v[25:26], v[93:94], v[25:26], s[38:39]
	v_cmp_ngt_f64_e64 s16, 0xc090cc00, v[27:28]
	v_cvt_i32_f64_e32 v52, v[79:80]
	v_ldexp_f64 v[41:42], v[41:42], v57
	v_add_f64 v[43:44], v[43:44], v[45:46]
	v_cndmask_b32_e64 v50, 0x7ff00000, v50, s17
	s_and_b32 s17, s18, s17
	v_cndmask_b32_e64 v45, 0, v49, s17
	v_cmp_nlt_f64_e64 s17, 0x40900000, v[21:22]
	v_cndmask_b32_e64 v46, 0, v50, s18
	v_ldexp_f64 v[33:34], v[33:34], v51
	v_fma_f64 v[31:32], v[81:82], v[31:32], 1.0
	v_cmp_ngt_f64_e64 s18, 0xc090cc00, v[21:22]
	v_fma_f64 v[25:26], v[93:94], v[25:26], 1.0
	v_cndmask_b32_e64 v51, 0x7ff00000, v42, s15
	v_add_f64 v[42:43], v[43:44], v[45:46]
	s_and_b32 s15, s16, s15
	v_cvt_i32_f64_e32 v46, v[47:48]
	v_cndmask_b32_e64 v44, 0, v41, s15
	v_cndmask_b32_e64 v45, 0, v51, s16
	v_cmp_nlt_f64_e64 s15, 0x40900000, v[19:20]
	v_cmp_ngt_f64_e64 s16, 0xc090cc00, v[19:20]
	v_cndmask_b32_e64 v34, 0x7ff00000, v34, s17
	v_ldexp_f64 v[31:32], v[31:32], v52
	s_and_b32 s17, s18, s17
	v_fma_f64 v[25:26], v[93:94], v[25:26], 1.0
	v_cndmask_b32_e64 v33, 0, v33, s17
	v_cndmask_b32_e64 v34, 0, v34, s18
	v_cmp_nlt_f64_e64 s17, 0x40900000, v[13:14]
	v_cmp_ngt_f64_e64 s18, 0xc090cc00, v[13:14]
	v_add_f64 v[41:42], v[42:43], v[44:45]
	v_cndmask_b32_e64 v43, 0x7ff00000, v32, s15
	s_and_b32 s15, s16, s15
	v_ldexp_f64 v[25:26], v[25:26], v46
	v_add_f64 v[32:33], v[41:42], v[33:34]
	v_cndmask_b32_e64 v42, 0, v43, s16
	v_cndmask_b32_e64 v41, 0, v31, s15
	s_and_b32 s15, s18, s17
	s_mov_b32 s16, exec_lo
	v_cndmask_b32_e64 v26, 0x7ff00000, v26, s17
	v_cndmask_b32_e64 v25, 0, v25, s15
	;; [unrolled: 1-line block ×3, first 2 shown]
	v_add_f64 v[31:32], v[32:33], v[41:42]
	v_add_f64 v[25:26], v[31:32], v[25:26]
	ds_bpermute_b32 v31, v0, v25
	ds_bpermute_b32 v32, v0, v26
	s_waitcnt lgkmcnt(0)
	v_add_f64 v[25:26], v[25:26], v[31:32]
	ds_bpermute_b32 v31, v74, v25
	ds_bpermute_b32 v32, v74, v26
	s_waitcnt lgkmcnt(0)
	;; [unrolled: 4-line block ×5, first 2 shown]
	v_add_f64 v[25:26], v[25:26], v[31:32]
	ds_bpermute_b32 v31, v78, v25
	ds_bpermute_b32 v32, v78, v26
	v_cmpx_lt_i32_e32 0, v73
	s_cbranch_execz .LBB20_50
; %bb.33:
	s_and_b32 exec_lo, exec_lo, s14
	s_cbranch_execz .LBB20_50
; %bb.34:
	s_waitcnt lgkmcnt(0)
	v_add_f64 v[31:32], v[25:26], v[31:32]
	s_mov_b32 s17, 0x3fe55555
	s_mov_b32 s16, 0x55555555
	;; [unrolled: 1-line block ×6, first 2 shown]
	v_frexp_mant_f64_e32 v[25:26], v[31:32]
	v_cmp_gt_f64_e64 s14, s[16:17], v[25:26]
	s_mov_b32 s16, 0x55555780
	v_cndmask_b32_e64 v0, 0, 1, s14
	v_ldexp_f64 v[25:26], v[25:26], v0
	v_frexp_exp_i32_f64_e32 v0, v[31:32]
	v_add_f64 v[33:34], v[25:26], 1.0
	v_add_f64 v[45:46], v[25:26], -1.0
	v_subrev_co_ci_u32_e64 v0, null, 0, v0, s14
	s_mov_b32 s14, 0xfefa39ef
	s_mov_b32 s15, 0x3fe62e42
	v_rcp_f64_e32 v[41:42], v[33:34]
	v_add_f64 v[47:48], v[33:34], -1.0
	v_add_f64 v[25:26], v[25:26], -v[47:48]
	v_fma_f64 v[43:44], -v[33:34], v[41:42], 1.0
	v_fma_f64 v[41:42], v[43:44], v[41:42], v[41:42]
	v_fma_f64 v[43:44], -v[33:34], v[41:42], 1.0
	v_fma_f64 v[41:42], v[43:44], v[41:42], v[41:42]
	v_mul_f64 v[43:44], v[45:46], v[41:42]
	v_mul_f64 v[49:50], v[33:34], v[43:44]
	v_fma_f64 v[33:34], v[43:44], v[33:34], -v[49:50]
	v_fma_f64 v[25:26], v[43:44], v[25:26], v[33:34]
	v_add_f64 v[33:34], v[49:50], v[25:26]
	v_add_f64 v[47:48], v[45:46], -v[33:34]
	v_add_f64 v[49:50], v[33:34], -v[49:50]
	v_add_f64 v[45:46], v[45:46], -v[47:48]
	v_add_f64 v[25:26], v[49:50], -v[25:26]
	v_add_f64 v[33:34], v[45:46], -v[33:34]
	v_add_f64 v[25:26], v[25:26], v[33:34]
	v_add_f64 v[25:26], v[47:48], v[25:26]
	v_mul_f64 v[25:26], v[41:42], v[25:26]
	v_add_f64 v[33:34], v[43:44], v[25:26]
	v_mul_f64 v[41:42], v[33:34], v[33:34]
	v_fma_f64 v[45:46], v[41:42], s[22:23], s[18:19]
	s_mov_b32 s18, 0xd7f4df2e
	s_mov_b32 s19, 0x3fc7474d
	v_mul_f64 v[47:48], v[33:34], v[41:42]
	v_fma_f64 v[45:46], v[41:42], v[45:46], s[18:19]
	s_mov_b32 s18, 0x16291751
	s_mov_b32 s19, 0x3fcc71c0
	v_fma_f64 v[45:46], v[41:42], v[45:46], s[18:19]
	s_mov_b32 s18, 0x9b27acf1
	s_mov_b32 s19, 0x3fd24924
	;; [unrolled: 3-line block ×3, first 2 shown]
	v_fma_f64 v[45:46], v[41:42], v[45:46], s[18:19]
	v_fma_f64 v[41:42], v[41:42], v[45:46], s[16:17]
	v_ldexp_f64 v[45:46], v[33:34], 1
	v_add_f64 v[33:34], v[33:34], -v[43:44]
	v_mul_f64 v[41:42], v[47:48], v[41:42]
	v_cvt_f64_i32_e32 v[47:48], v0
	v_add_f64 v[25:26], v[25:26], -v[33:34]
	v_add_f64 v[43:44], v[45:46], v[41:42]
	v_mul_f64 v[49:50], v[47:48], s[14:15]
	v_ldexp_f64 v[25:26], v[25:26], 1
	v_add_f64 v[33:34], v[43:44], -v[45:46]
	v_fma_f64 v[45:46], v[47:48], s[14:15], -v[49:50]
	s_mov_b32 s14, 0x3b39803f
	s_mov_b32 s15, 0x3c7abc9e
	v_add_f64 v[33:34], v[41:42], -v[33:34]
	v_fma_f64 v[41:42], v[47:48], s[14:15], v[45:46]
	v_cmp_class_f64_e64 s14, v[31:32], 0x204
	v_add_f64 v[25:26], v[25:26], v[33:34]
	v_add_f64 v[33:34], v[49:50], v[41:42]
	;; [unrolled: 1-line block ×3, first 2 shown]
	v_add_f64 v[49:50], v[33:34], -v[49:50]
	v_add_f64 v[47:48], v[33:34], v[45:46]
	v_add_f64 v[43:44], v[45:46], -v[43:44]
	v_add_f64 v[41:42], v[41:42], -v[49:50]
	;; [unrolled: 1-line block ×6, first 2 shown]
	v_add_f64 v[45:46], v[41:42], v[25:26]
	v_add_f64 v[33:34], v[33:34], -v[53:54]
	v_add_f64 v[33:34], v[43:44], v[33:34]
	v_add_f64 v[43:44], v[45:46], -v[41:42]
	;; [unrolled: 2-line block ×3, first 2 shown]
	v_add_f64 v[25:26], v[25:26], -v[43:44]
	v_add_f64 v[49:50], v[47:48], v[33:34]
	v_add_f64 v[41:42], v[41:42], -v[45:46]
	v_add_f64 v[43:44], v[49:50], -v[47:48]
	v_add_f64 v[25:26], v[25:26], v[41:42]
	v_add_f64 v[33:34], v[33:34], -v[43:44]
	v_add_f64 v[25:26], v[25:26], v[33:34]
	v_add_f64 v[25:26], v[49:50], v[25:26]
	v_cndmask_b32_e64 v0, v25, v31, s14
	v_cndmask_b32_e64 v25, v26, v32, s14
	v_cmp_ngt_f64_e64 s14, 0, v[31:32]
	v_cndmask_b32_e64 v26, 0x7ff80000, v25, s14
	v_cmp_nge_f64_e64 s14, 0, v[31:32]
	v_cndmask_b32_e64 v25, 0, v0, s14
	v_cmp_neq_f64_e64 s14, 0, v[31:32]
	v_cndmask_b32_e64 v26, 0xfff00000, v26, s14
	v_add_co_u32 v0, s14, s20, v1
	v_add_co_ci_u32_e64 v1, null, s21, v2, s14
	v_add_f64 v[3:4], v[3:4], -v[25:26]
	global_store_dwordx2 v[0:1], v[3:4], off
	s_and_b32 exec_lo, exec_lo, vcc_lo
	s_cbranch_execz .LBB20_50
; %bb.35:
	v_add_f64 v[2:3], v[5:6], -v[25:26]
	global_store_dwordx2 v[0:1], v[2:3], off offset:512
	s_and_b32 exec_lo, exec_lo, s0
	s_cbranch_execz .LBB20_50
; %bb.36:
	v_add_f64 v[2:3], v[7:8], -v[25:26]
	global_store_dwordx2 v[0:1], v[2:3], off offset:1024
	s_and_b32 exec_lo, exec_lo, s1
	s_cbranch_execz .LBB20_50
; %bb.37:
	v_add_f64 v[2:3], v[11:12], -v[25:26]
	global_store_dwordx2 v[0:1], v[2:3], off offset:1536
	s_and_b32 exec_lo, exec_lo, s2
	s_cbranch_execz .LBB20_50
; %bb.38:
	v_add_f64 v[4:5], v[9:10], -v[25:26]
	v_add_co_u32 v2, vcc_lo, 0x800, v0
	v_add_co_ci_u32_e64 v3, null, 0, v1, vcc_lo
	global_store_dwordx2 v[2:3], v[4:5], off
	s_and_b32 exec_lo, exec_lo, s3
	s_cbranch_execz .LBB20_50
; %bb.39:
	v_add_f64 v[4:5], v[15:16], -v[25:26]
	global_store_dwordx2 v[2:3], v[4:5], off offset:512
	s_and_b32 exec_lo, exec_lo, s4
	s_cbranch_execz .LBB20_50
; %bb.40:
	v_add_f64 v[4:5], v[17:18], -v[25:26]
	global_store_dwordx2 v[2:3], v[4:5], off offset:1024
	s_and_b32 exec_lo, exec_lo, s5
	s_cbranch_execz .LBB20_50
; %bb.41:
	v_add_f64 v[4:5], v[23:24], -v[25:26]
	global_store_dwordx2 v[2:3], v[4:5], off offset:1536
	s_and_b32 exec_lo, exec_lo, s6
	s_cbranch_execz .LBB20_50
; %bb.42:
	v_add_f64 v[4:5], v[29:30], -v[25:26]
	v_add_co_u32 v2, vcc_lo, 0x1000, v0
	v_add_co_ci_u32_e64 v3, null, 0, v1, vcc_lo
	global_store_dwordx2 v[2:3], v[4:5], off
	s_and_b32 exec_lo, exec_lo, s7
	;; [unrolled: 22-line block ×3, first 2 shown]
	s_cbranch_execz .LBB20_50
; %bb.47:
	v_add_f64 v[2:3], v[21:22], -v[25:26]
	global_store_dwordx2 v[0:1], v[2:3], off offset:512
	s_and_b32 exec_lo, exec_lo, s12
	s_cbranch_execz .LBB20_50
; %bb.48:
	v_add_f64 v[2:3], v[19:20], -v[25:26]
	global_store_dwordx2 v[0:1], v[2:3], off offset:1024
	s_and_b32 exec_lo, exec_lo, s13
	s_cbranch_execz .LBB20_50
; %bb.49:
	v_add_f64 v[2:3], v[13:14], -v[25:26]
	global_store_dwordx2 v[0:1], v[2:3], off offset:1536
.LBB20_50:
	s_endpgm
	.section	.rodata,"a",@progbits
	.p2align	6, 0x0
	.amdhsa_kernel _ZN12_GLOBAL__N_120softmax_warp_forwardIdddLi10ELb1ELb0ELi64EEEvPT0_PKT_iiiPKbib
		.amdhsa_group_segment_fixed_size 0
		.amdhsa_private_segment_fixed_size 0
		.amdhsa_kernarg_size 304
		.amdhsa_user_sgpr_count 6
		.amdhsa_user_sgpr_private_segment_buffer 1
		.amdhsa_user_sgpr_dispatch_ptr 0
		.amdhsa_user_sgpr_queue_ptr 0
		.amdhsa_user_sgpr_kernarg_segment_ptr 1
		.amdhsa_user_sgpr_dispatch_id 0
		.amdhsa_user_sgpr_flat_scratch_init 0
		.amdhsa_user_sgpr_private_segment_size 0
		.amdhsa_wavefront_size32 1
		.amdhsa_uses_dynamic_stack 0
		.amdhsa_system_sgpr_private_segment_wavefront_offset 0
		.amdhsa_system_sgpr_workgroup_id_x 1
		.amdhsa_system_sgpr_workgroup_id_y 0
		.amdhsa_system_sgpr_workgroup_id_z 0
		.amdhsa_system_sgpr_workgroup_info 0
		.amdhsa_system_vgpr_workitem_id 1
		.amdhsa_next_free_vgpr 101
		.amdhsa_next_free_sgpr 50
		.amdhsa_reserve_vcc 1
		.amdhsa_reserve_flat_scratch 0
		.amdhsa_float_round_mode_32 0
		.amdhsa_float_round_mode_16_64 0
		.amdhsa_float_denorm_mode_32 3
		.amdhsa_float_denorm_mode_16_64 3
		.amdhsa_dx10_clamp 1
		.amdhsa_ieee_mode 1
		.amdhsa_fp16_overflow 0
		.amdhsa_workgroup_processor_mode 1
		.amdhsa_memory_ordered 1
		.amdhsa_forward_progress 1
		.amdhsa_shared_vgpr_count 0
		.amdhsa_exception_fp_ieee_invalid_op 0
		.amdhsa_exception_fp_denorm_src 0
		.amdhsa_exception_fp_ieee_div_zero 0
		.amdhsa_exception_fp_ieee_overflow 0
		.amdhsa_exception_fp_ieee_underflow 0
		.amdhsa_exception_fp_ieee_inexact 0
		.amdhsa_exception_int_div_zero 0
	.end_amdhsa_kernel
	.section	.text._ZN12_GLOBAL__N_120softmax_warp_forwardIdddLi10ELb1ELb0ELi64EEEvPT0_PKT_iiiPKbib,"axG",@progbits,_ZN12_GLOBAL__N_120softmax_warp_forwardIdddLi10ELb1ELb0ELi64EEEvPT0_PKT_iiiPKbib,comdat
.Lfunc_end20:
	.size	_ZN12_GLOBAL__N_120softmax_warp_forwardIdddLi10ELb1ELb0ELi64EEEvPT0_PKT_iiiPKbib, .Lfunc_end20-_ZN12_GLOBAL__N_120softmax_warp_forwardIdddLi10ELb1ELb0ELi64EEEvPT0_PKT_iiiPKbib
                                        ; -- End function
	.set _ZN12_GLOBAL__N_120softmax_warp_forwardIdddLi10ELb1ELb0ELi64EEEvPT0_PKT_iiiPKbib.num_vgpr, 101
	.set _ZN12_GLOBAL__N_120softmax_warp_forwardIdddLi10ELb1ELb0ELi64EEEvPT0_PKT_iiiPKbib.num_agpr, 0
	.set _ZN12_GLOBAL__N_120softmax_warp_forwardIdddLi10ELb1ELb0ELi64EEEvPT0_PKT_iiiPKbib.numbered_sgpr, 50
	.set _ZN12_GLOBAL__N_120softmax_warp_forwardIdddLi10ELb1ELb0ELi64EEEvPT0_PKT_iiiPKbib.num_named_barrier, 0
	.set _ZN12_GLOBAL__N_120softmax_warp_forwardIdddLi10ELb1ELb0ELi64EEEvPT0_PKT_iiiPKbib.private_seg_size, 0
	.set _ZN12_GLOBAL__N_120softmax_warp_forwardIdddLi10ELb1ELb0ELi64EEEvPT0_PKT_iiiPKbib.uses_vcc, 1
	.set _ZN12_GLOBAL__N_120softmax_warp_forwardIdddLi10ELb1ELb0ELi64EEEvPT0_PKT_iiiPKbib.uses_flat_scratch, 0
	.set _ZN12_GLOBAL__N_120softmax_warp_forwardIdddLi10ELb1ELb0ELi64EEEvPT0_PKT_iiiPKbib.has_dyn_sized_stack, 0
	.set _ZN12_GLOBAL__N_120softmax_warp_forwardIdddLi10ELb1ELb0ELi64EEEvPT0_PKT_iiiPKbib.has_recursion, 0
	.set _ZN12_GLOBAL__N_120softmax_warp_forwardIdddLi10ELb1ELb0ELi64EEEvPT0_PKT_iiiPKbib.has_indirect_call, 0
	.section	.AMDGPU.csdata,"",@progbits
; Kernel info:
; codeLenInByte = 6780
; TotalNumSgprs: 52
; NumVgprs: 101
; ScratchSize: 0
; MemoryBound: 1
; FloatMode: 240
; IeeeMode: 1
; LDSByteSize: 0 bytes/workgroup (compile time only)
; SGPRBlocks: 0
; VGPRBlocks: 12
; NumSGPRsForWavesPerEU: 52
; NumVGPRsForWavesPerEU: 101
; Occupancy: 9
; WaveLimiterHint : 0
; COMPUTE_PGM_RSRC2:SCRATCH_EN: 0
; COMPUTE_PGM_RSRC2:USER_SGPR: 6
; COMPUTE_PGM_RSRC2:TRAP_HANDLER: 0
; COMPUTE_PGM_RSRC2:TGID_X_EN: 1
; COMPUTE_PGM_RSRC2:TGID_Y_EN: 0
; COMPUTE_PGM_RSRC2:TGID_Z_EN: 0
; COMPUTE_PGM_RSRC2:TIDIG_COMP_CNT: 1
	.section	.text._ZN12_GLOBAL__N_120softmax_warp_forwardIdddLi10ELb1ELb0ELi32EEEvPT0_PKT_iiiPKbib,"axG",@progbits,_ZN12_GLOBAL__N_120softmax_warp_forwardIdddLi10ELb1ELb0ELi32EEEvPT0_PKT_iiiPKbib,comdat
	.globl	_ZN12_GLOBAL__N_120softmax_warp_forwardIdddLi10ELb1ELb0ELi32EEEvPT0_PKT_iiiPKbib ; -- Begin function _ZN12_GLOBAL__N_120softmax_warp_forwardIdddLi10ELb1ELb0ELi32EEEvPT0_PKT_iiiPKbib
	.p2align	8
	.type	_ZN12_GLOBAL__N_120softmax_warp_forwardIdddLi10ELb1ELb0ELi32EEEvPT0_PKT_iiiPKbib,@function
_ZN12_GLOBAL__N_120softmax_warp_forwardIdddLi10ELb1ELb0ELi32EEEvPT0_PKT_iiiPKbib: ; @_ZN12_GLOBAL__N_120softmax_warp_forwardIdddLi10ELb1ELb0ELi32EEEvPT0_PKT_iiiPKbib
; %bb.0:
	s_clause 0x1
	s_load_dword s0, s[4:5], 0x3c
	s_load_dwordx8 s[36:43], s[4:5], 0x0
	v_mov_b32_e32 v5, 0
	v_mov_b32_e32 v6, 0xfff00000
	s_waitcnt lgkmcnt(0)
	s_lshr_b32 s0, s0, 16
	v_cmp_gt_i32_e64 s16, s42, v0
	v_mad_u64_u32 v[1:2], null, s6, s0, v[1:2]
	v_mad_u64_u32 v[2:3], null, v1, s41, v[0:1]
	v_sub_nc_u32_e32 v73, s40, v1
	v_cmp_lt_i32_e64 s31, 0, v73
	v_ashrrev_i32_e32 v3, 31, v2
	s_and_b32 s1, s31, s16
	v_lshlrev_b64 v[1:2], 3, v[2:3]
	v_mov_b32_e32 v3, 0
	v_mov_b32_e32 v4, 0xfff00000
	v_add_co_u32 v65, vcc_lo, s38, v1
	v_add_co_ci_u32_e64 v66, null, s39, v2, vcc_lo
	s_and_saveexec_b32 s0, s1
	s_cbranch_execz .LBB21_2
; %bb.1:
	global_load_dwordx2 v[3:4], v[65:66], off
.LBB21_2:
	s_or_b32 exec_lo, exec_lo, s0
	v_add_nc_u32_e32 v7, 32, v0
	v_cmp_gt_i32_e32 vcc_lo, s42, v7
	s_and_b32 s1, s31, vcc_lo
	s_and_saveexec_b32 s0, s1
	s_cbranch_execz .LBB21_4
; %bb.3:
	global_load_dwordx2 v[5:6], v[65:66], off offset:256
.LBB21_4:
	s_or_b32 exec_lo, exec_lo, s0
	v_add_nc_u32_e32 v7, 64, v0
	v_mov_b32_e32 v9, 0
	v_mov_b32_e32 v10, 0xfff00000
	v_cmp_gt_i32_e64 s0, s42, v7
	v_mov_b32_e32 v7, 0
	v_mov_b32_e32 v8, 0xfff00000
	s_and_b32 s2, s31, s0
	s_and_saveexec_b32 s1, s2
	s_cbranch_execz .LBB21_6
; %bb.5:
	global_load_dwordx2 v[7:8], v[65:66], off offset:512
.LBB21_6:
	s_or_b32 exec_lo, exec_lo, s1
	v_add_nc_u32_e32 v11, 0x60, v0
	v_cmp_gt_i32_e64 s1, s42, v11
	s_and_b32 s3, s31, s1
	s_and_saveexec_b32 s2, s3
	s_cbranch_execz .LBB21_8
; %bb.7:
	global_load_dwordx2 v[9:10], v[65:66], off offset:768
.LBB21_8:
	s_or_b32 exec_lo, exec_lo, s2
	v_add_nc_u32_e32 v11, 0x80, v0
	v_mov_b32_e32 v13, 0
	v_mov_b32_e32 v14, 0xfff00000
	v_cmp_gt_i32_e64 s2, s42, v11
	v_mov_b32_e32 v11, 0
	v_mov_b32_e32 v12, 0xfff00000
	s_and_b32 s4, s31, s2
	s_and_saveexec_b32 s3, s4
	s_cbranch_execz .LBB21_10
; %bb.9:
	global_load_dwordx2 v[11:12], v[65:66], off offset:1024
.LBB21_10:
	s_or_b32 exec_lo, exec_lo, s3
	v_add_nc_u32_e32 v15, 0xa0, v0
	v_cmp_gt_i32_e64 s3, s42, v15
	s_and_b32 s5, s31, s3
	;; [unrolled: 22-line block ×3, first 2 shown]
	s_and_saveexec_b32 s6, s7
	s_cbranch_execz .LBB21_16
; %bb.15:
	global_load_dwordx2 v[17:18], v[65:66], off offset:1792
.LBB21_16:
	s_or_b32 exec_lo, exec_lo, s6
	v_add_nc_u32_e32 v19, 0x100, v0
	v_mov_b32_e32 v21, 0
	v_mov_b32_e32 v22, 0xfff00000
	v_cmp_gt_i32_e64 s6, s42, v19
	v_mov_b32_e32 v19, 0
	v_mov_b32_e32 v20, 0xfff00000
	s_and_b32 s7, s31, s6
	s_and_saveexec_b32 s8, s7
	s_cbranch_execz .LBB21_18
; %bb.17:
	v_add_co_u32 v19, s7, 0x800, v65
	v_add_co_ci_u32_e64 v20, null, 0, v66, s7
	global_load_dwordx2 v[19:20], v[19:20], off
.LBB21_18:
	s_or_b32 exec_lo, exec_lo, s8
	v_add_nc_u32_e32 v23, 0x120, v0
	v_cmp_gt_i32_e64 s7, s42, v23
	s_and_b32 s8, s31, s7
	s_and_saveexec_b32 s9, s8
	s_cbranch_execz .LBB21_20
; %bb.19:
	v_add_co_u32 v21, s8, 0x800, v65
	v_add_co_ci_u32_e64 v22, null, 0, v66, s8
	global_load_dwordx2 v[21:22], v[21:22], off offset:256
.LBB21_20:
	s_or_b32 exec_lo, exec_lo, s9
	v_add_nc_u32_e32 v23, 0x140, v0
	v_mov_b32_e32 v25, 0
	v_mov_b32_e32 v26, 0xfff00000
	v_cmp_gt_i32_e64 s8, s42, v23
	v_mov_b32_e32 v23, 0
	v_mov_b32_e32 v24, 0xfff00000
	s_and_b32 s9, s31, s8
	s_and_saveexec_b32 s10, s9
	s_cbranch_execz .LBB21_22
; %bb.21:
	v_add_co_u32 v23, s9, 0x800, v65
	v_add_co_ci_u32_e64 v24, null, 0, v66, s9
	global_load_dwordx2 v[23:24], v[23:24], off offset:512
.LBB21_22:
	s_or_b32 exec_lo, exec_lo, s10
	v_add_nc_u32_e32 v27, 0x160, v0
	v_cmp_gt_i32_e64 s9, s42, v27
	s_and_b32 s10, s31, s9
	s_and_saveexec_b32 s11, s10
	s_cbranch_execz .LBB21_24
; %bb.23:
	v_add_co_u32 v25, s10, 0x800, v65
	v_add_co_ci_u32_e64 v26, null, 0, v66, s10
	global_load_dwordx2 v[25:26], v[25:26], off offset:768
.LBB21_24:
	s_or_b32 exec_lo, exec_lo, s11
	v_add_nc_u32_e32 v27, 0x180, v0
	v_mov_b32_e32 v29, 0
	v_mov_b32_e32 v30, 0xfff00000
	v_cmp_gt_i32_e64 s10, s42, v27
	v_mov_b32_e32 v27, 0
	v_mov_b32_e32 v28, 0xfff00000
	s_and_b32 s11, s31, s10
	s_and_saveexec_b32 s12, s11
	s_cbranch_execz .LBB21_26
; %bb.25:
	v_add_co_u32 v27, s11, 0x800, v65
	v_add_co_ci_u32_e64 v28, null, 0, v66, s11
	global_load_dwordx2 v[27:28], v[27:28], off offset:1024
.LBB21_26:
	s_or_b32 exec_lo, exec_lo, s12
	v_add_nc_u32_e32 v31, 0x1a0, v0
	v_cmp_gt_i32_e64 s11, s42, v31
	s_and_b32 s12, s31, s11
	s_and_saveexec_b32 s13, s12
	s_cbranch_execz .LBB21_28
; %bb.27:
	v_add_co_u32 v29, s12, 0x800, v65
	v_add_co_ci_u32_e64 v30, null, 0, v66, s12
	global_load_dwordx2 v[29:30], v[29:30], off offset:1280
.LBB21_28:
	s_or_b32 exec_lo, exec_lo, s13
	v_add_nc_u32_e32 v31, 0x1c0, v0
	v_mov_b32_e32 v33, 0
	v_mov_b32_e32 v34, 0xfff00000
	v_cmp_gt_i32_e64 s12, s42, v31
	v_mov_b32_e32 v31, 0
	v_mov_b32_e32 v32, 0xfff00000
	s_and_b32 s13, s31, s12
	s_and_saveexec_b32 s14, s13
	s_cbranch_execz .LBB21_30
; %bb.29:
	v_add_co_u32 v31, s13, 0x800, v65
	v_add_co_ci_u32_e64 v32, null, 0, v66, s13
	global_load_dwordx2 v[31:32], v[31:32], off offset:1536
.LBB21_30:
	s_or_b32 exec_lo, exec_lo, s14
	v_add_nc_u32_e32 v35, 0x1e0, v0
	v_cmp_gt_i32_e64 s13, s42, v35
	s_and_b32 s14, s31, s13
	s_and_saveexec_b32 s15, s14
	s_cbranch_execz .LBB21_32
; %bb.31:
	v_add_co_u32 v33, s14, 0x800, v65
	v_add_co_ci_u32_e64 v34, null, 0, v66, s14
	global_load_dwordx2 v[33:34], v[33:34], off offset:1792
.LBB21_32:
	s_or_b32 exec_lo, exec_lo, s15
	v_add_nc_u32_e32 v35, 0x200, v0
	v_mov_b32_e32 v37, 0
	v_mov_b32_e32 v38, 0xfff00000
	v_cmp_gt_i32_e64 s14, s42, v35
	v_mov_b32_e32 v35, 0
	v_mov_b32_e32 v36, 0xfff00000
	s_and_b32 s15, s31, s14
	s_and_saveexec_b32 s17, s15
	s_cbranch_execz .LBB21_34
; %bb.33:
	v_add_co_u32 v35, s15, 0x1000, v65
	v_add_co_ci_u32_e64 v36, null, 0, v66, s15
	global_load_dwordx2 v[35:36], v[35:36], off
.LBB21_34:
	s_or_b32 exec_lo, exec_lo, s17
	v_add_nc_u32_e32 v39, 0x220, v0
	v_cmp_gt_i32_e64 s15, s42, v39
	s_and_b32 s17, s31, s15
	s_and_saveexec_b32 s18, s17
	s_cbranch_execz .LBB21_36
; %bb.35:
	v_add_co_u32 v37, s17, 0x1000, v65
	v_add_co_ci_u32_e64 v38, null, 0, v66, s17
	global_load_dwordx2 v[37:38], v[37:38], off offset:256
.LBB21_36:
	s_or_b32 exec_lo, exec_lo, s18
	v_add_nc_u32_e32 v39, 0x240, v0
	v_mov_b32_e32 v41, 0
	v_mov_b32_e32 v42, 0xfff00000
	v_cmp_gt_i32_e64 s17, s42, v39
	v_mov_b32_e32 v39, 0
	v_mov_b32_e32 v40, 0xfff00000
	s_and_b32 s18, s31, s17
	s_and_saveexec_b32 s19, s18
	s_cbranch_execz .LBB21_38
; %bb.37:
	v_add_co_u32 v39, s18, 0x1000, v65
	v_add_co_ci_u32_e64 v40, null, 0, v66, s18
	global_load_dwordx2 v[39:40], v[39:40], off offset:512
.LBB21_38:
	s_or_b32 exec_lo, exec_lo, s19
	v_add_nc_u32_e32 v43, 0x260, v0
	v_cmp_gt_i32_e64 s18, s42, v43
	s_and_b32 s19, s31, s18
	s_and_saveexec_b32 s20, s19
	s_cbranch_execz .LBB21_40
; %bb.39:
	v_add_co_u32 v41, s19, 0x1000, v65
	v_add_co_ci_u32_e64 v42, null, 0, v66, s19
	global_load_dwordx2 v[41:42], v[41:42], off offset:768
.LBB21_40:
	s_or_b32 exec_lo, exec_lo, s20
	v_add_nc_u32_e32 v43, 0x280, v0
	v_mov_b32_e32 v45, 0
	v_mov_b32_e32 v46, 0xfff00000
	v_cmp_gt_i32_e64 s19, s42, v43
	v_mov_b32_e32 v43, 0
	v_mov_b32_e32 v44, 0xfff00000
	s_and_b32 s20, s31, s19
	s_and_saveexec_b32 s21, s20
	s_cbranch_execz .LBB21_42
; %bb.41:
	v_add_co_u32 v43, s20, 0x1000, v65
	v_add_co_ci_u32_e64 v44, null, 0, v66, s20
	global_load_dwordx2 v[43:44], v[43:44], off offset:1024
.LBB21_42:
	;; [unrolled: 26-line block ×3, first 2 shown]
	s_or_b32 exec_lo, exec_lo, s23
	v_add_nc_u32_e32 v51, 0x2e0, v0
	v_cmp_gt_i32_e64 s22, s42, v51
	s_and_b32 s23, s31, s22
	s_and_saveexec_b32 s24, s23
	s_cbranch_execz .LBB21_48
; %bb.47:
	v_add_co_u32 v49, s23, 0x1000, v65
	v_add_co_ci_u32_e64 v50, null, 0, v66, s23
	global_load_dwordx2 v[49:50], v[49:50], off offset:1792
.LBB21_48:
	s_or_b32 exec_lo, exec_lo, s24
	v_add_nc_u32_e32 v51, 0x300, v0
	v_mov_b32_e32 v57, 0
	v_mov_b32_e32 v53, 0
	;; [unrolled: 1-line block ×4, first 2 shown]
	v_cmp_gt_i32_e64 s23, s42, v51
	s_and_b32 s24, s31, s23
	s_and_saveexec_b32 s25, s24
	s_cbranch_execz .LBB21_50
; %bb.49:
	v_add_co_u32 v51, s24, 0x1800, v65
	v_add_co_ci_u32_e64 v52, null, 0, v66, s24
	global_load_dwordx2 v[53:54], v[51:52], off
.LBB21_50:
	s_or_b32 exec_lo, exec_lo, s25
	v_add_nc_u32_e32 v51, 0x320, v0
	v_cmp_gt_i32_e64 s24, s42, v51
	s_and_b32 s25, s31, s24
	s_and_saveexec_b32 s26, s25
	s_cbranch_execz .LBB21_52
; %bb.51:
	v_add_co_u32 v51, s25, 0x1800, v65
	v_add_co_ci_u32_e64 v52, null, 0, v66, s25
	global_load_dwordx2 v[57:58], v[51:52], off offset:256
.LBB21_52:
	s_or_b32 exec_lo, exec_lo, s26
	v_add_nc_u32_e32 v51, 0x340, v0
	v_mov_b32_e32 v67, 0
	v_mov_b32_e32 v61, 0
	;; [unrolled: 1-line block ×4, first 2 shown]
	v_cmp_gt_i32_e64 s25, s42, v51
	s_and_b32 s26, s31, s25
	s_and_saveexec_b32 s27, s26
	s_cbranch_execz .LBB21_54
; %bb.53:
	v_add_co_u32 v51, s26, 0x1800, v65
	v_add_co_ci_u32_e64 v52, null, 0, v66, s26
	global_load_dwordx2 v[61:62], v[51:52], off offset:512
.LBB21_54:
	s_or_b32 exec_lo, exec_lo, s27
	v_add_nc_u32_e32 v51, 0x360, v0
	v_cmp_gt_i32_e64 s26, s42, v51
	s_and_b32 s27, s31, s26
	s_and_saveexec_b32 s28, s27
	s_cbranch_execz .LBB21_56
; %bb.55:
	v_add_co_u32 v51, s27, 0x1800, v65
	v_add_co_ci_u32_e64 v52, null, 0, v66, s27
	global_load_dwordx2 v[67:68], v[51:52], off offset:768
.LBB21_56:
	s_or_b32 exec_lo, exec_lo, s28
	v_add_nc_u32_e32 v51, 0x380, v0
	v_mov_b32_e32 v59, 0
	v_mov_b32_e32 v63, 0
	v_mov_b32_e32 v60, 0xfff00000
	v_mov_b32_e32 v64, 0xfff00000
	v_cmp_gt_i32_e64 s27, s42, v51
	s_and_b32 s28, s31, s27
	s_and_saveexec_b32 s29, s28
	s_cbranch_execz .LBB21_58
; %bb.57:
	v_add_co_u32 v51, s28, 0x1800, v65
	v_add_co_ci_u32_e64 v52, null, 0, v66, s28
	global_load_dwordx2 v[63:64], v[51:52], off offset:1024
.LBB21_58:
	s_or_b32 exec_lo, exec_lo, s29
	v_add_nc_u32_e32 v51, 0x3a0, v0
	v_cmp_gt_i32_e64 s28, s42, v51
	s_and_b32 s29, s31, s28
	s_and_saveexec_b32 s30, s29
	s_cbranch_execz .LBB21_60
; %bb.59:
	v_add_co_u32 v51, s29, 0x1800, v65
	v_add_co_ci_u32_e64 v52, null, 0, v66, s29
	global_load_dwordx2 v[59:60], v[51:52], off offset:1280
.LBB21_60:
	s_or_b32 exec_lo, exec_lo, s30
	v_add_nc_u32_e32 v51, 0x3c0, v0
	v_mov_b32_e32 v55, 0
	v_mov_b32_e32 v56, 0xfff00000
	v_cmp_gt_i32_e64 s29, s42, v51
	v_mov_b32_e32 v51, 0
	v_mov_b32_e32 v52, 0xfff00000
	s_and_b32 s30, s31, s29
	s_and_saveexec_b32 s33, s30
	s_cbranch_execz .LBB21_62
; %bb.61:
	v_add_co_u32 v55, s30, 0x1800, v65
	v_add_co_ci_u32_e64 v56, null, 0, v66, s30
	global_load_dwordx2 v[55:56], v[55:56], off offset:1536
.LBB21_62:
	s_or_b32 exec_lo, exec_lo, s33
	v_add_nc_u32_e32 v0, 0x3e0, v0
	v_cmp_gt_i32_e64 s30, s42, v0
	s_and_b32 s31, s31, s30
	s_and_saveexec_b32 s33, s31
	s_cbranch_execz .LBB21_64
; %bb.63:
	v_add_co_u32 v51, s31, 0x1800, v65
	v_add_co_ci_u32_e64 v52, null, 0, v66, s31
	global_load_dwordx2 v[51:52], v[51:52], off offset:1792
.LBB21_64:
	s_or_b32 exec_lo, exec_lo, s33
	s_waitcnt vmcnt(0)
	v_cmp_gt_f64_e64 s31, v[3:4], v[5:6]
	v_mbcnt_lo_u32_b32 v71, -1, 0
	s_mov_b32 s34, 0x652b82fe
	s_mov_b32 s35, 0x3ff71547
	;; [unrolled: 1-line block ×4, first 2 shown]
	v_xor_b32_e32 v0, 16, v71
	s_mov_b32 s40, 0x3b39803f
	s_mov_b32 s41, 0xbc7abc9e
	s_mov_b32 s42, 0xfca7ab0c
	s_mov_b32 s44, 0x6a5dcb37
	s_mov_b32 s43, 0x3e928af3
	s_mov_b32 s45, 0x3e5ade15
	s_mov_b32 s46, 0x623fde64
	s_mov_b32 s47, 0x3ec71dee
	s_mov_b32 s48, 0x7c89e6b0
	s_mov_b32 s49, 0x3efa0199
	s_mov_b32 s50, 0x14761f6e
	s_mov_b32 s51, 0x3f2a01a0
	s_mov_b32 s52, 0x1852b7b0
	s_mov_b32 s53, 0x3f56c16c
	s_mov_b32 s54, 0x11122322
	v_cndmask_b32_e64 v66, v6, v4, s31
	v_cndmask_b32_e64 v65, v5, v3, s31
	s_mov_b32 s55, 0x3f811111
	s_mov_b32 s56, 0x555502a1
	s_mov_b32 s57, 0x3fa55555
	s_mov_b32 s58, 0x55555511
	v_cmp_gt_f64_e64 s31, v[65:66], v[7:8]
	s_mov_b32 s59, 0x3fc55555
	s_mov_b32 s60, 11
	;; [unrolled: 1-line block ×3, first 2 shown]
	v_cndmask_b32_e64 v66, v8, v66, s31
	v_cndmask_b32_e64 v65, v7, v65, s31
	v_cmp_gt_f64_e64 s31, v[65:66], v[9:10]
	v_cndmask_b32_e64 v66, v10, v66, s31
	v_cndmask_b32_e64 v65, v9, v65, s31
	v_cmp_gt_f64_e64 s31, v[65:66], v[11:12]
	;; [unrolled: 3-line block ×29, first 2 shown]
	v_cndmask_b32_e64 v66, v52, v66, s31
	v_cndmask_b32_e64 v65, v51, v65, s31
	v_cmp_gt_i32_e64 s31, 32, v0
	v_cndmask_b32_e64 v0, v71, v0, s31
	v_lshlrev_b32_e32 v0, 2, v0
	ds_bpermute_b32 v69, v0, v65
	ds_bpermute_b32 v70, v0, v66
	s_waitcnt lgkmcnt(0)
	v_cmp_lt_f64_e64 s31, v[65:66], v[69:70]
	v_cndmask_b32_e64 v65, v65, v69, s31
	v_xor_b32_e32 v69, 8, v71
	v_cndmask_b32_e64 v66, v66, v70, s31
	v_cmp_gt_i32_e64 s31, 32, v69
	v_cndmask_b32_e64 v69, v71, v69, s31
	v_lshlrev_b32_e32 v74, 2, v69
	ds_bpermute_b32 v69, v74, v65
	ds_bpermute_b32 v70, v74, v66
	s_waitcnt lgkmcnt(0)
	v_cmp_lt_f64_e64 s31, v[65:66], v[69:70]
	v_cndmask_b32_e64 v65, v65, v69, s31
	v_xor_b32_e32 v69, 4, v71
	;; [unrolled: 10-line block ×4, first 2 shown]
	v_cndmask_b32_e64 v66, v66, v70, s31
	v_cmp_gt_i32_e64 s31, 32, v69
	v_cndmask_b32_e64 v69, v71, v69, s31
	v_lshlrev_b32_e32 v77, 2, v69
	ds_bpermute_b32 v69, v77, v65
	ds_bpermute_b32 v70, v77, v66
	s_waitcnt lgkmcnt(0)
	v_cmp_lt_f64_e64 s31, v[65:66], v[69:70]
	v_cndmask_b32_e64 v66, v66, v70, s31
	v_cndmask_b32_e64 v65, v65, v69, s31
	v_add_f64 v[3:4], v[3:4], -v[65:66]
	v_add_f64 v[5:6], v[5:6], -v[65:66]
	;; [unrolled: 1-line block ×22, first 2 shown]
	v_mul_f64 v[69:70], v[3:4], s[34:35]
	v_cmp_nlt_f64_e64 s31, 0x40900000, v[3:4]
	v_cmp_ngt_f64_e64 s33, 0xc090cc00, v[3:4]
	v_add_f64 v[47:48], v[47:48], -v[65:66]
	v_add_f64 v[49:50], v[49:50], -v[65:66]
	;; [unrolled: 1-line block ×10, first 2 shown]
	v_rndne_f64_e32 v[69:70], v[69:70]
	v_mul_f64 v[65:66], v[51:52], s[34:35]
	v_fma_f64 v[71:72], v[69:70], s[38:39], v[3:4]
	v_rndne_f64_e32 v[65:66], v[65:66]
	v_fma_f64 v[71:72], v[69:70], s[40:41], v[71:72]
	v_cvt_i32_f64_e32 v69, v[69:70]
	v_fma_f64 v[78:79], v[71:72], s[44:45], s[42:43]
	v_fma_f64 v[78:79], v[71:72], v[78:79], s[46:47]
	v_fma_f64 v[78:79], v[71:72], v[78:79], s[48:49]
	v_fma_f64 v[78:79], v[71:72], v[78:79], s[50:51]
	v_fma_f64 v[78:79], v[71:72], v[78:79], s[52:53]
	v_fma_f64 v[78:79], v[71:72], v[78:79], s[54:55]
	v_fma_f64 v[78:79], v[71:72], v[78:79], s[56:57]
	v_fma_f64 v[78:79], v[71:72], v[78:79], s[58:59]
	v_fma_f64 v[78:79], v[71:72], v[78:79], s[60:61]
	v_fma_f64 v[78:79], v[71:72], v[78:79], 1.0
	v_fma_f64 v[71:72], v[71:72], v[78:79], 1.0
	v_ldexp_f64 v[69:70], v[71:72], v69
	v_mul_f64 v[71:72], v[5:6], s[34:35]
	v_add_f64 v[69:70], v[69:70], 0
	v_rndne_f64_e32 v[71:72], v[71:72]
	v_cndmask_b32_e64 v70, 0x7ff00000, v70, s31
	v_fma_f64 v[78:79], v[71:72], s[38:39], v[5:6]
	s_and_b32 s31, s33, s31
	v_cndmask_b32_e64 v69, 0, v69, s31
	v_cmp_nlt_f64_e64 s31, 0x40900000, v[5:6]
	v_cndmask_b32_e64 v70, 0, v70, s33
	v_cmp_ngt_f64_e64 s33, 0xc090cc00, v[5:6]
	v_fma_f64 v[78:79], v[71:72], s[40:41], v[78:79]
	v_cvt_i32_f64_e32 v71, v[71:72]
	v_fma_f64 v[80:81], v[78:79], s[44:45], s[42:43]
	v_fma_f64 v[80:81], v[78:79], v[80:81], s[46:47]
	v_fma_f64 v[80:81], v[78:79], v[80:81], s[48:49]
	v_fma_f64 v[80:81], v[78:79], v[80:81], s[50:51]
	v_fma_f64 v[80:81], v[78:79], v[80:81], s[52:53]
	v_fma_f64 v[80:81], v[78:79], v[80:81], s[54:55]
	v_fma_f64 v[80:81], v[78:79], v[80:81], s[56:57]
	v_fma_f64 v[80:81], v[78:79], v[80:81], s[58:59]
	v_fma_f64 v[80:81], v[78:79], v[80:81], s[60:61]
	v_fma_f64 v[80:81], v[78:79], v[80:81], 1.0
	v_fma_f64 v[78:79], v[78:79], v[80:81], 1.0
	v_ldexp_f64 v[71:72], v[78:79], v71
	v_cndmask_b32_e64 v72, 0x7ff00000, v72, s31
	s_and_b32 s31, s33, s31
	v_cndmask_b32_e64 v71, 0, v71, s31
	v_cmp_nlt_f64_e64 s31, 0x40900000, v[7:8]
	v_cndmask_b32_e64 v72, 0, v72, s33
	v_cmp_ngt_f64_e64 s33, 0xc090cc00, v[7:8]
	v_add_f64 v[69:70], v[69:70], v[71:72]
	v_mul_f64 v[71:72], v[7:8], s[34:35]
	v_rndne_f64_e32 v[71:72], v[71:72]
	v_fma_f64 v[78:79], v[71:72], s[38:39], v[7:8]
	v_fma_f64 v[78:79], v[71:72], s[40:41], v[78:79]
	v_cvt_i32_f64_e32 v71, v[71:72]
	v_fma_f64 v[80:81], v[78:79], s[44:45], s[42:43]
	v_fma_f64 v[80:81], v[78:79], v[80:81], s[46:47]
	v_fma_f64 v[80:81], v[78:79], v[80:81], s[48:49]
	v_fma_f64 v[80:81], v[78:79], v[80:81], s[50:51]
	v_fma_f64 v[80:81], v[78:79], v[80:81], s[52:53]
	v_fma_f64 v[80:81], v[78:79], v[80:81], s[54:55]
	v_fma_f64 v[80:81], v[78:79], v[80:81], s[56:57]
	v_fma_f64 v[80:81], v[78:79], v[80:81], s[58:59]
	v_fma_f64 v[80:81], v[78:79], v[80:81], s[60:61]
	v_fma_f64 v[80:81], v[78:79], v[80:81], 1.0
	v_fma_f64 v[78:79], v[78:79], v[80:81], 1.0
	v_ldexp_f64 v[71:72], v[78:79], v71
	v_cndmask_b32_e64 v72, 0x7ff00000, v72, s31
	s_and_b32 s31, s33, s31
	v_cndmask_b32_e64 v71, 0, v71, s31
	v_cmp_nlt_f64_e64 s31, 0x40900000, v[9:10]
	v_cndmask_b32_e64 v72, 0, v72, s33
	v_cmp_ngt_f64_e64 s33, 0xc090cc00, v[9:10]
	v_add_f64 v[69:70], v[69:70], v[71:72]
	v_mul_f64 v[71:72], v[9:10], s[34:35]
	v_rndne_f64_e32 v[71:72], v[71:72]
	v_fma_f64 v[78:79], v[71:72], s[38:39], v[9:10]
	;; [unrolled: 24-line block ×29, first 2 shown]
	v_fma_f64 v[78:79], v[71:72], s[40:41], v[78:79]
	v_cvt_i32_f64_e32 v71, v[71:72]
	v_fma_f64 v[80:81], v[78:79], s[44:45], s[42:43]
	v_fma_f64 v[80:81], v[78:79], v[80:81], s[46:47]
	;; [unrolled: 1-line block ×9, first 2 shown]
	v_fma_f64 v[80:81], v[78:79], v[80:81], 1.0
	v_fma_f64 v[78:79], v[78:79], v[80:81], 1.0
	v_ldexp_f64 v[71:72], v[78:79], v71
	v_cndmask_b32_e64 v72, 0x7ff00000, v72, s31
	s_and_b32 s31, s33, s31
	v_cndmask_b32_e64 v71, 0, v71, s31
	v_cmp_nlt_f64_e64 s31, 0x40900000, v[51:52]
	v_cndmask_b32_e64 v72, 0, v72, s33
	v_cmp_ngt_f64_e64 s33, 0xc090cc00, v[51:52]
	v_add_f64 v[69:70], v[69:70], v[71:72]
	v_fma_f64 v[71:72], v[65:66], s[38:39], v[51:52]
	v_fma_f64 v[71:72], v[65:66], s[40:41], v[71:72]
	v_cvt_i32_f64_e32 v65, v[65:66]
	v_fma_f64 v[78:79], v[71:72], s[44:45], s[42:43]
	v_fma_f64 v[78:79], v[71:72], v[78:79], s[46:47]
	;; [unrolled: 1-line block ×9, first 2 shown]
	v_fma_f64 v[78:79], v[71:72], v[78:79], 1.0
	v_fma_f64 v[71:72], v[71:72], v[78:79], 1.0
	v_ldexp_f64 v[65:66], v[71:72], v65
	v_cndmask_b32_e64 v66, 0x7ff00000, v66, s31
	s_and_b32 s31, s33, s31
	v_cndmask_b32_e64 v65, 0, v65, s31
	v_cndmask_b32_e64 v66, 0, v66, s33
	s_mov_b32 s33, exec_lo
	v_add_f64 v[65:66], v[69:70], v[65:66]
	ds_bpermute_b32 v69, v0, v65
	ds_bpermute_b32 v70, v0, v66
	s_waitcnt lgkmcnt(0)
	v_add_f64 v[65:66], v[65:66], v[69:70]
	ds_bpermute_b32 v69, v74, v65
	ds_bpermute_b32 v70, v74, v66
	s_waitcnt lgkmcnt(0)
	;; [unrolled: 4-line block ×4, first 2 shown]
	v_add_f64 v[65:66], v[65:66], v[69:70]
	ds_bpermute_b32 v69, v77, v65
	ds_bpermute_b32 v70, v77, v66
	v_cmpx_lt_i32_e32 0, v73
	s_cbranch_execz .LBB21_98
; %bb.65:
	s_and_b32 exec_lo, exec_lo, s16
	s_cbranch_execz .LBB21_98
; %bb.66:
	s_waitcnt lgkmcnt(0)
	v_add_f64 v[69:70], v[65:66], v[69:70]
	s_mov_b32 s35, 0x3fe55555
	s_mov_b32 s34, 0x55555555
	;; [unrolled: 1-line block ×6, first 2 shown]
	v_frexp_mant_f64_e32 v[65:66], v[69:70]
	v_cmp_gt_f64_e64 s16, s[34:35], v[65:66]
	s_mov_b32 s34, 0x55555780
	v_cndmask_b32_e64 v0, 0, 1, s16
	v_ldexp_f64 v[65:66], v[65:66], v0
	v_frexp_exp_i32_f64_e32 v0, v[69:70]
	v_add_f64 v[71:72], v[65:66], 1.0
	v_add_f64 v[77:78], v[65:66], -1.0
	v_subrev_co_ci_u32_e64 v0, null, 0, v0, s16
	v_cmp_class_f64_e64 s16, v[69:70], 0x204
	v_rcp_f64_e32 v[73:74], v[71:72]
	v_add_f64 v[79:80], v[71:72], -1.0
	v_add_f64 v[65:66], v[65:66], -v[79:80]
	v_fma_f64 v[75:76], -v[71:72], v[73:74], 1.0
	v_fma_f64 v[73:74], v[75:76], v[73:74], v[73:74]
	v_fma_f64 v[75:76], -v[71:72], v[73:74], 1.0
	v_fma_f64 v[73:74], v[75:76], v[73:74], v[73:74]
	v_mul_f64 v[75:76], v[77:78], v[73:74]
	v_mul_f64 v[81:82], v[71:72], v[75:76]
	v_fma_f64 v[71:72], v[75:76], v[71:72], -v[81:82]
	v_fma_f64 v[65:66], v[75:76], v[65:66], v[71:72]
	v_add_f64 v[71:72], v[81:82], v[65:66]
	v_add_f64 v[79:80], v[77:78], -v[71:72]
	v_add_f64 v[81:82], v[71:72], -v[81:82]
	v_add_f64 v[77:78], v[77:78], -v[79:80]
	v_add_f64 v[65:66], v[81:82], -v[65:66]
	v_add_f64 v[71:72], v[77:78], -v[71:72]
	v_add_f64 v[65:66], v[65:66], v[71:72]
	v_add_f64 v[65:66], v[79:80], v[65:66]
	v_mul_f64 v[65:66], v[73:74], v[65:66]
	v_add_f64 v[71:72], v[75:76], v[65:66]
	v_mul_f64 v[73:74], v[71:72], v[71:72]
	v_fma_f64 v[77:78], v[73:74], s[40:41], s[38:39]
	s_mov_b32 s38, 0xd7f4df2e
	s_mov_b32 s39, 0x3fc7474d
	v_mul_f64 v[79:80], v[71:72], v[73:74]
	v_fma_f64 v[77:78], v[73:74], v[77:78], s[38:39]
	s_mov_b32 s38, 0x16291751
	s_mov_b32 s39, 0x3fcc71c0
	v_fma_f64 v[77:78], v[73:74], v[77:78], s[38:39]
	s_mov_b32 s38, 0x9b27acf1
	s_mov_b32 s39, 0x3fd24924
	;; [unrolled: 3-line block ×3, first 2 shown]
	v_fma_f64 v[77:78], v[73:74], v[77:78], s[38:39]
	v_fma_f64 v[73:74], v[73:74], v[77:78], s[34:35]
	v_ldexp_f64 v[77:78], v[71:72], 1
	v_add_f64 v[71:72], v[71:72], -v[75:76]
	s_mov_b32 s34, 0xfefa39ef
	s_mov_b32 s35, 0x3fe62e42
	v_mul_f64 v[73:74], v[79:80], v[73:74]
	v_cvt_f64_i32_e32 v[79:80], v0
	v_add_f64 v[65:66], v[65:66], -v[71:72]
	v_add_f64 v[75:76], v[77:78], v[73:74]
	v_mul_f64 v[81:82], v[79:80], s[34:35]
	v_ldexp_f64 v[65:66], v[65:66], 1
	v_add_f64 v[71:72], v[75:76], -v[77:78]
	v_fma_f64 v[77:78], v[79:80], s[34:35], -v[81:82]
	s_mov_b32 s34, 0x3b39803f
	s_mov_b32 s35, 0x3c7abc9e
	v_add_f64 v[71:72], v[73:74], -v[71:72]
	v_fma_f64 v[73:74], v[79:80], s[34:35], v[77:78]
	v_add_f64 v[65:66], v[65:66], v[71:72]
	v_add_f64 v[71:72], v[81:82], v[73:74]
	;; [unrolled: 1-line block ×3, first 2 shown]
	v_add_f64 v[81:82], v[71:72], -v[81:82]
	v_add_f64 v[79:80], v[71:72], v[77:78]
	v_add_f64 v[75:76], v[77:78], -v[75:76]
	v_add_f64 v[73:74], v[73:74], -v[81:82]
	;; [unrolled: 1-line block ×6, first 2 shown]
	v_add_f64 v[77:78], v[73:74], v[65:66]
	v_add_f64 v[71:72], v[71:72], -v[85:86]
	v_add_f64 v[71:72], v[75:76], v[71:72]
	v_add_f64 v[75:76], v[77:78], -v[73:74]
	;; [unrolled: 2-line block ×3, first 2 shown]
	v_add_f64 v[65:66], v[65:66], -v[75:76]
	v_add_f64 v[81:82], v[79:80], v[71:72]
	v_add_f64 v[73:74], v[73:74], -v[77:78]
	v_add_f64 v[75:76], v[81:82], -v[79:80]
	v_add_f64 v[65:66], v[65:66], v[73:74]
	v_add_f64 v[71:72], v[71:72], -v[75:76]
	v_add_f64 v[65:66], v[65:66], v[71:72]
	v_add_f64 v[65:66], v[81:82], v[65:66]
	v_cndmask_b32_e64 v0, v65, v69, s16
	v_cndmask_b32_e64 v65, v66, v70, s16
	v_cmp_ngt_f64_e64 s16, 0, v[69:70]
	v_cndmask_b32_e64 v66, 0x7ff80000, v65, s16
	v_cmp_nge_f64_e64 s16, 0, v[69:70]
	v_cndmask_b32_e64 v65, 0, v0, s16
	v_cmp_neq_f64_e64 s16, 0, v[69:70]
	v_cndmask_b32_e64 v66, 0xfff00000, v66, s16
	v_add_co_u32 v0, s16, s36, v1
	v_add_co_ci_u32_e64 v1, null, s37, v2, s16
	v_add_f64 v[3:4], v[3:4], -v[65:66]
	global_store_dwordx2 v[0:1], v[3:4], off
	s_and_b32 exec_lo, exec_lo, vcc_lo
	s_cbranch_execz .LBB21_98
; %bb.67:
	v_add_f64 v[2:3], v[5:6], -v[65:66]
	global_store_dwordx2 v[0:1], v[2:3], off offset:256
	s_and_b32 exec_lo, exec_lo, s0
	s_cbranch_execz .LBB21_98
; %bb.68:
	v_add_f64 v[2:3], v[7:8], -v[65:66]
	global_store_dwordx2 v[0:1], v[2:3], off offset:512
	s_and_b32 exec_lo, exec_lo, s1
	s_cbranch_execz .LBB21_98
; %bb.69:
	v_add_f64 v[2:3], v[9:10], -v[65:66]
	global_store_dwordx2 v[0:1], v[2:3], off offset:768
	s_and_b32 exec_lo, exec_lo, s2
	s_cbranch_execz .LBB21_98
; %bb.70:
	v_add_f64 v[2:3], v[11:12], -v[65:66]
	global_store_dwordx2 v[0:1], v[2:3], off offset:1024
	s_and_b32 exec_lo, exec_lo, s3
	s_cbranch_execz .LBB21_98
; %bb.71:
	v_add_f64 v[2:3], v[13:14], -v[65:66]
	global_store_dwordx2 v[0:1], v[2:3], off offset:1280
	s_and_b32 exec_lo, exec_lo, s4
	s_cbranch_execz .LBB21_98
; %bb.72:
	v_add_f64 v[2:3], v[15:16], -v[65:66]
	global_store_dwordx2 v[0:1], v[2:3], off offset:1536
	s_and_b32 exec_lo, exec_lo, s5
	s_cbranch_execz .LBB21_98
; %bb.73:
	v_add_f64 v[2:3], v[17:18], -v[65:66]
	global_store_dwordx2 v[0:1], v[2:3], off offset:1792
	s_and_b32 exec_lo, exec_lo, s6
	s_cbranch_execz .LBB21_98
; %bb.74:
	v_add_f64 v[4:5], v[19:20], -v[65:66]
	v_add_co_u32 v2, vcc_lo, 0x800, v0
	v_add_co_ci_u32_e64 v3, null, 0, v1, vcc_lo
	global_store_dwordx2 v[2:3], v[4:5], off
	s_and_b32 exec_lo, exec_lo, s7
	s_cbranch_execz .LBB21_98
; %bb.75:
	v_add_f64 v[4:5], v[21:22], -v[65:66]
	global_store_dwordx2 v[2:3], v[4:5], off offset:256
	s_and_b32 exec_lo, exec_lo, s8
	s_cbranch_execz .LBB21_98
; %bb.76:
	v_add_f64 v[4:5], v[23:24], -v[65:66]
	global_store_dwordx2 v[2:3], v[4:5], off offset:512
	s_and_b32 exec_lo, exec_lo, s9
	s_cbranch_execz .LBB21_98
; %bb.77:
	v_add_f64 v[4:5], v[25:26], -v[65:66]
	global_store_dwordx2 v[2:3], v[4:5], off offset:768
	s_and_b32 exec_lo, exec_lo, s10
	s_cbranch_execz .LBB21_98
; %bb.78:
	v_add_f64 v[4:5], v[27:28], -v[65:66]
	global_store_dwordx2 v[2:3], v[4:5], off offset:1024
	s_and_b32 exec_lo, exec_lo, s11
	s_cbranch_execz .LBB21_98
; %bb.79:
	v_add_f64 v[4:5], v[29:30], -v[65:66]
	global_store_dwordx2 v[2:3], v[4:5], off offset:1280
	s_and_b32 exec_lo, exec_lo, s12
	s_cbranch_execz .LBB21_98
; %bb.80:
	v_add_f64 v[4:5], v[31:32], -v[65:66]
	global_store_dwordx2 v[2:3], v[4:5], off offset:1536
	s_and_b32 exec_lo, exec_lo, s13
	s_cbranch_execz .LBB21_98
; %bb.81:
	v_add_f64 v[4:5], v[33:34], -v[65:66]
	global_store_dwordx2 v[2:3], v[4:5], off offset:1792
	s_and_b32 exec_lo, exec_lo, s14
	s_cbranch_execz .LBB21_98
; %bb.82:
	v_add_f64 v[4:5], v[35:36], -v[65:66]
	v_add_co_u32 v2, vcc_lo, 0x1000, v0
	v_add_co_ci_u32_e64 v3, null, 0, v1, vcc_lo
	global_store_dwordx2 v[2:3], v[4:5], off
	s_and_b32 exec_lo, exec_lo, s15
	;; [unrolled: 42-line block ×3, first 2 shown]
	s_cbranch_execz .LBB21_98
; %bb.91:
	v_add_f64 v[2:3], v[57:58], -v[65:66]
	global_store_dwordx2 v[0:1], v[2:3], off offset:256
	s_and_b32 exec_lo, exec_lo, s25
	s_cbranch_execz .LBB21_98
; %bb.92:
	v_add_f64 v[2:3], v[61:62], -v[65:66]
	global_store_dwordx2 v[0:1], v[2:3], off offset:512
	s_and_b32 exec_lo, exec_lo, s26
	;; [unrolled: 5-line block ×6, first 2 shown]
	s_cbranch_execz .LBB21_98
; %bb.97:
	v_add_f64 v[2:3], v[51:52], -v[65:66]
	global_store_dwordx2 v[0:1], v[2:3], off offset:1792
.LBB21_98:
	s_endpgm
	.section	.rodata,"a",@progbits
	.p2align	6, 0x0
	.amdhsa_kernel _ZN12_GLOBAL__N_120softmax_warp_forwardIdddLi10ELb1ELb0ELi32EEEvPT0_PKT_iiiPKbib
		.amdhsa_group_segment_fixed_size 0
		.amdhsa_private_segment_fixed_size 0
		.amdhsa_kernarg_size 304
		.amdhsa_user_sgpr_count 6
		.amdhsa_user_sgpr_private_segment_buffer 1
		.amdhsa_user_sgpr_dispatch_ptr 0
		.amdhsa_user_sgpr_queue_ptr 0
		.amdhsa_user_sgpr_kernarg_segment_ptr 1
		.amdhsa_user_sgpr_dispatch_id 0
		.amdhsa_user_sgpr_flat_scratch_init 0
		.amdhsa_user_sgpr_private_segment_size 0
		.amdhsa_wavefront_size32 1
		.amdhsa_uses_dynamic_stack 0
		.amdhsa_system_sgpr_private_segment_wavefront_offset 0
		.amdhsa_system_sgpr_workgroup_id_x 1
		.amdhsa_system_sgpr_workgroup_id_y 0
		.amdhsa_system_sgpr_workgroup_id_z 0
		.amdhsa_system_sgpr_workgroup_info 0
		.amdhsa_system_vgpr_workitem_id 1
		.amdhsa_next_free_vgpr 87
		.amdhsa_next_free_sgpr 62
		.amdhsa_reserve_vcc 1
		.amdhsa_reserve_flat_scratch 0
		.amdhsa_float_round_mode_32 0
		.amdhsa_float_round_mode_16_64 0
		.amdhsa_float_denorm_mode_32 3
		.amdhsa_float_denorm_mode_16_64 3
		.amdhsa_dx10_clamp 1
		.amdhsa_ieee_mode 1
		.amdhsa_fp16_overflow 0
		.amdhsa_workgroup_processor_mode 1
		.amdhsa_memory_ordered 1
		.amdhsa_forward_progress 1
		.amdhsa_shared_vgpr_count 0
		.amdhsa_exception_fp_ieee_invalid_op 0
		.amdhsa_exception_fp_denorm_src 0
		.amdhsa_exception_fp_ieee_div_zero 0
		.amdhsa_exception_fp_ieee_overflow 0
		.amdhsa_exception_fp_ieee_underflow 0
		.amdhsa_exception_fp_ieee_inexact 0
		.amdhsa_exception_int_div_zero 0
	.end_amdhsa_kernel
	.section	.text._ZN12_GLOBAL__N_120softmax_warp_forwardIdddLi10ELb1ELb0ELi32EEEvPT0_PKT_iiiPKbib,"axG",@progbits,_ZN12_GLOBAL__N_120softmax_warp_forwardIdddLi10ELb1ELb0ELi32EEEvPT0_PKT_iiiPKbib,comdat
.Lfunc_end21:
	.size	_ZN12_GLOBAL__N_120softmax_warp_forwardIdddLi10ELb1ELb0ELi32EEEvPT0_PKT_iiiPKbib, .Lfunc_end21-_ZN12_GLOBAL__N_120softmax_warp_forwardIdddLi10ELb1ELb0ELi32EEEvPT0_PKT_iiiPKbib
                                        ; -- End function
	.set _ZN12_GLOBAL__N_120softmax_warp_forwardIdddLi10ELb1ELb0ELi32EEEvPT0_PKT_iiiPKbib.num_vgpr, 87
	.set _ZN12_GLOBAL__N_120softmax_warp_forwardIdddLi10ELb1ELb0ELi32EEEvPT0_PKT_iiiPKbib.num_agpr, 0
	.set _ZN12_GLOBAL__N_120softmax_warp_forwardIdddLi10ELb1ELb0ELi32EEEvPT0_PKT_iiiPKbib.numbered_sgpr, 62
	.set _ZN12_GLOBAL__N_120softmax_warp_forwardIdddLi10ELb1ELb0ELi32EEEvPT0_PKT_iiiPKbib.num_named_barrier, 0
	.set _ZN12_GLOBAL__N_120softmax_warp_forwardIdddLi10ELb1ELb0ELi32EEEvPT0_PKT_iiiPKbib.private_seg_size, 0
	.set _ZN12_GLOBAL__N_120softmax_warp_forwardIdddLi10ELb1ELb0ELi32EEEvPT0_PKT_iiiPKbib.uses_vcc, 1
	.set _ZN12_GLOBAL__N_120softmax_warp_forwardIdddLi10ELb1ELb0ELi32EEEvPT0_PKT_iiiPKbib.uses_flat_scratch, 0
	.set _ZN12_GLOBAL__N_120softmax_warp_forwardIdddLi10ELb1ELb0ELi32EEEvPT0_PKT_iiiPKbib.has_dyn_sized_stack, 0
	.set _ZN12_GLOBAL__N_120softmax_warp_forwardIdddLi10ELb1ELb0ELi32EEEvPT0_PKT_iiiPKbib.has_recursion, 0
	.set _ZN12_GLOBAL__N_120softmax_warp_forwardIdddLi10ELb1ELb0ELi32EEEvPT0_PKT_iiiPKbib.has_indirect_call, 0
	.section	.AMDGPU.csdata,"",@progbits
; Kernel info:
; codeLenInByte = 11720
; TotalNumSgprs: 64
; NumVgprs: 87
; ScratchSize: 0
; MemoryBound: 0
; FloatMode: 240
; IeeeMode: 1
; LDSByteSize: 0 bytes/workgroup (compile time only)
; SGPRBlocks: 0
; VGPRBlocks: 10
; NumSGPRsForWavesPerEU: 64
; NumVGPRsForWavesPerEU: 87
; Occupancy: 10
; WaveLimiterHint : 0
; COMPUTE_PGM_RSRC2:SCRATCH_EN: 0
; COMPUTE_PGM_RSRC2:USER_SGPR: 6
; COMPUTE_PGM_RSRC2:TRAP_HANDLER: 0
; COMPUTE_PGM_RSRC2:TGID_X_EN: 1
; COMPUTE_PGM_RSRC2:TGID_Y_EN: 0
; COMPUTE_PGM_RSRC2:TGID_Z_EN: 0
; COMPUTE_PGM_RSRC2:TIDIG_COMP_CNT: 1
	.section	.text._ZN12_GLOBAL__N_120softmax_warp_forwardIdddLi11ELb1ELb0ELi64EEEvPT0_PKT_iiiPKbib,"axG",@progbits,_ZN12_GLOBAL__N_120softmax_warp_forwardIdddLi11ELb1ELb0ELi64EEEvPT0_PKT_iiiPKbib,comdat
	.globl	_ZN12_GLOBAL__N_120softmax_warp_forwardIdddLi11ELb1ELb0ELi64EEEvPT0_PKT_iiiPKbib ; -- Begin function _ZN12_GLOBAL__N_120softmax_warp_forwardIdddLi11ELb1ELb0ELi64EEEvPT0_PKT_iiiPKbib
	.p2align	8
	.type	_ZN12_GLOBAL__N_120softmax_warp_forwardIdddLi11ELb1ELb0ELi64EEEvPT0_PKT_iiiPKbib,@function
_ZN12_GLOBAL__N_120softmax_warp_forwardIdddLi11ELb1ELb0ELi64EEEvPT0_PKT_iiiPKbib: ; @_ZN12_GLOBAL__N_120softmax_warp_forwardIdddLi11ELb1ELb0ELi64EEEvPT0_PKT_iiiPKbib
; %bb.0:
	s_clause 0x1
	s_load_dword s0, s[4:5], 0x3c
	s_load_dwordx8 s[36:43], s[4:5], 0x0
	v_mov_b32_e32 v5, 0
	v_mov_b32_e32 v6, 0xfff00000
	s_waitcnt lgkmcnt(0)
	s_lshr_b32 s0, s0, 16
	v_cmp_gt_i32_e64 s16, s42, v0
	v_mad_u64_u32 v[1:2], null, s6, s0, v[1:2]
	v_mad_u64_u32 v[2:3], null, v1, s41, v[0:1]
	v_sub_nc_u32_e32 v73, s40, v1
	v_cmp_lt_i32_e64 s31, 0, v73
	v_ashrrev_i32_e32 v3, 31, v2
	s_and_b32 s1, s31, s16
	v_lshlrev_b64 v[1:2], 3, v[2:3]
	v_mov_b32_e32 v3, 0
	v_mov_b32_e32 v4, 0xfff00000
	v_add_co_u32 v65, vcc_lo, s38, v1
	v_add_co_ci_u32_e64 v66, null, s39, v2, vcc_lo
	s_and_saveexec_b32 s0, s1
	s_cbranch_execz .LBB22_2
; %bb.1:
	global_load_dwordx2 v[3:4], v[65:66], off
.LBB22_2:
	s_or_b32 exec_lo, exec_lo, s0
	v_add_nc_u32_e32 v7, 64, v0
	v_cmp_gt_i32_e32 vcc_lo, s42, v7
	s_and_b32 s1, s31, vcc_lo
	s_and_saveexec_b32 s0, s1
	s_cbranch_execz .LBB22_4
; %bb.3:
	global_load_dwordx2 v[5:6], v[65:66], off offset:512
.LBB22_4:
	s_or_b32 exec_lo, exec_lo, s0
	v_add_nc_u32_e32 v7, 0x80, v0
	v_mov_b32_e32 v9, 0
	v_mov_b32_e32 v10, 0xfff00000
	v_cmp_gt_i32_e64 s0, s42, v7
	v_mov_b32_e32 v7, 0
	v_mov_b32_e32 v8, 0xfff00000
	s_and_b32 s2, s31, s0
	s_and_saveexec_b32 s1, s2
	s_cbranch_execz .LBB22_6
; %bb.5:
	global_load_dwordx2 v[7:8], v[65:66], off offset:1024
.LBB22_6:
	s_or_b32 exec_lo, exec_lo, s1
	v_add_nc_u32_e32 v11, 0xc0, v0
	v_cmp_gt_i32_e64 s1, s42, v11
	s_and_b32 s3, s31, s1
	s_and_saveexec_b32 s2, s3
	s_cbranch_execz .LBB22_8
; %bb.7:
	global_load_dwordx2 v[9:10], v[65:66], off offset:1536
.LBB22_8:
	s_or_b32 exec_lo, exec_lo, s2
	v_add_nc_u32_e32 v11, 0x100, v0
	v_mov_b32_e32 v13, 0
	v_mov_b32_e32 v14, 0xfff00000
	v_cmp_gt_i32_e64 s2, s42, v11
	v_mov_b32_e32 v11, 0
	v_mov_b32_e32 v12, 0xfff00000
	s_and_b32 s3, s31, s2
	s_and_saveexec_b32 s4, s3
	s_cbranch_execz .LBB22_10
; %bb.9:
	v_add_co_u32 v11, s3, 0x800, v65
	v_add_co_ci_u32_e64 v12, null, 0, v66, s3
	global_load_dwordx2 v[11:12], v[11:12], off
.LBB22_10:
	s_or_b32 exec_lo, exec_lo, s4
	v_add_nc_u32_e32 v15, 0x140, v0
	v_cmp_gt_i32_e64 s3, s42, v15
	s_and_b32 s4, s31, s3
	s_and_saveexec_b32 s5, s4
	s_cbranch_execz .LBB22_12
; %bb.11:
	v_add_co_u32 v13, s4, 0x800, v65
	v_add_co_ci_u32_e64 v14, null, 0, v66, s4
	global_load_dwordx2 v[13:14], v[13:14], off offset:512
.LBB22_12:
	s_or_b32 exec_lo, exec_lo, s5
	v_add_nc_u32_e32 v15, 0x180, v0
	v_mov_b32_e32 v17, 0
	v_mov_b32_e32 v18, 0xfff00000
	v_cmp_gt_i32_e64 s4, s42, v15
	v_mov_b32_e32 v15, 0
	v_mov_b32_e32 v16, 0xfff00000
	s_and_b32 s5, s31, s4
	s_and_saveexec_b32 s6, s5
	s_cbranch_execz .LBB22_14
; %bb.13:
	v_add_co_u32 v15, s5, 0x800, v65
	v_add_co_ci_u32_e64 v16, null, 0, v66, s5
	global_load_dwordx2 v[15:16], v[15:16], off offset:1024
.LBB22_14:
	s_or_b32 exec_lo, exec_lo, s6
	v_add_nc_u32_e32 v19, 0x1c0, v0
	v_cmp_gt_i32_e64 s5, s42, v19
	s_and_b32 s6, s31, s5
	s_and_saveexec_b32 s7, s6
	s_cbranch_execz .LBB22_16
; %bb.15:
	v_add_co_u32 v17, s6, 0x800, v65
	v_add_co_ci_u32_e64 v18, null, 0, v66, s6
	global_load_dwordx2 v[17:18], v[17:18], off offset:1536
.LBB22_16:
	s_or_b32 exec_lo, exec_lo, s7
	v_add_nc_u32_e32 v19, 0x200, v0
	v_mov_b32_e32 v21, 0
	v_mov_b32_e32 v22, 0xfff00000
	v_cmp_gt_i32_e64 s6, s42, v19
	v_mov_b32_e32 v19, 0
	v_mov_b32_e32 v20, 0xfff00000
	s_and_b32 s7, s31, s6
	s_and_saveexec_b32 s8, s7
	s_cbranch_execz .LBB22_18
; %bb.17:
	v_add_co_u32 v19, s7, 0x1000, v65
	v_add_co_ci_u32_e64 v20, null, 0, v66, s7
	global_load_dwordx2 v[19:20], v[19:20], off
.LBB22_18:
	s_or_b32 exec_lo, exec_lo, s8
	v_add_nc_u32_e32 v23, 0x240, v0
	v_cmp_gt_i32_e64 s7, s42, v23
	s_and_b32 s8, s31, s7
	s_and_saveexec_b32 s9, s8
	s_cbranch_execz .LBB22_20
; %bb.19:
	v_add_co_u32 v21, s8, 0x1000, v65
	v_add_co_ci_u32_e64 v22, null, 0, v66, s8
	global_load_dwordx2 v[21:22], v[21:22], off offset:512
.LBB22_20:
	s_or_b32 exec_lo, exec_lo, s9
	v_add_nc_u32_e32 v23, 0x280, v0
	v_mov_b32_e32 v25, 0
	v_mov_b32_e32 v26, 0xfff00000
	v_cmp_gt_i32_e64 s8, s42, v23
	v_mov_b32_e32 v23, 0
	v_mov_b32_e32 v24, 0xfff00000
	s_and_b32 s9, s31, s8
	s_and_saveexec_b32 s10, s9
	s_cbranch_execz .LBB22_22
; %bb.21:
	v_add_co_u32 v23, s9, 0x1000, v65
	v_add_co_ci_u32_e64 v24, null, 0, v66, s9
	global_load_dwordx2 v[23:24], v[23:24], off offset:1024
.LBB22_22:
	s_or_b32 exec_lo, exec_lo, s10
	v_add_nc_u32_e32 v27, 0x2c0, v0
	v_cmp_gt_i32_e64 s9, s42, v27
	s_and_b32 s10, s31, s9
	s_and_saveexec_b32 s11, s10
	s_cbranch_execz .LBB22_24
; %bb.23:
	v_add_co_u32 v25, s10, 0x1000, v65
	v_add_co_ci_u32_e64 v26, null, 0, v66, s10
	global_load_dwordx2 v[25:26], v[25:26], off offset:1536
.LBB22_24:
	;; [unrolled: 52-line block ×3, first 2 shown]
	s_or_b32 exec_lo, exec_lo, s15
	v_or_b32_e32 v35, 0x400, v0
	v_mov_b32_e32 v37, 0
	v_mov_b32_e32 v38, 0xfff00000
	v_cmp_gt_i32_e64 s14, s42, v35
	v_mov_b32_e32 v35, 0
	v_mov_b32_e32 v36, 0xfff00000
	s_and_b32 s15, s31, s14
	s_and_saveexec_b32 s17, s15
	s_cbranch_execz .LBB22_34
; %bb.33:
	v_add_co_u32 v35, s15, 0x2000, v65
	v_add_co_ci_u32_e64 v36, null, 0, v66, s15
	global_load_dwordx2 v[35:36], v[35:36], off
.LBB22_34:
	s_or_b32 exec_lo, exec_lo, s17
	v_add_nc_u32_e32 v39, 0x440, v0
	v_cmp_gt_i32_e64 s15, s42, v39
	s_and_b32 s17, s31, s15
	s_and_saveexec_b32 s18, s17
	s_cbranch_execz .LBB22_36
; %bb.35:
	v_add_co_u32 v37, s17, 0x2000, v65
	v_add_co_ci_u32_e64 v38, null, 0, v66, s17
	global_load_dwordx2 v[37:38], v[37:38], off offset:512
.LBB22_36:
	s_or_b32 exec_lo, exec_lo, s18
	v_add_nc_u32_e32 v39, 0x480, v0
	v_mov_b32_e32 v41, 0
	v_mov_b32_e32 v42, 0xfff00000
	v_cmp_gt_i32_e64 s17, s42, v39
	v_mov_b32_e32 v39, 0
	v_mov_b32_e32 v40, 0xfff00000
	s_and_b32 s18, s31, s17
	s_and_saveexec_b32 s19, s18
	s_cbranch_execz .LBB22_38
; %bb.37:
	v_add_co_u32 v39, s18, 0x2000, v65
	v_add_co_ci_u32_e64 v40, null, 0, v66, s18
	global_load_dwordx2 v[39:40], v[39:40], off offset:1024
.LBB22_38:
	s_or_b32 exec_lo, exec_lo, s19
	v_add_nc_u32_e32 v43, 0x4c0, v0
	v_cmp_gt_i32_e64 s18, s42, v43
	s_and_b32 s19, s31, s18
	s_and_saveexec_b32 s20, s19
	s_cbranch_execz .LBB22_40
; %bb.39:
	v_add_co_u32 v41, s19, 0x2000, v65
	v_add_co_ci_u32_e64 v42, null, 0, v66, s19
	global_load_dwordx2 v[41:42], v[41:42], off offset:1536
.LBB22_40:
	s_or_b32 exec_lo, exec_lo, s20
	v_add_nc_u32_e32 v43, 0x500, v0
	v_mov_b32_e32 v45, 0
	v_mov_b32_e32 v46, 0xfff00000
	v_cmp_gt_i32_e64 s19, s42, v43
	v_mov_b32_e32 v43, 0
	v_mov_b32_e32 v44, 0xfff00000
	s_and_b32 s20, s31, s19
	s_and_saveexec_b32 s21, s20
	s_cbranch_execz .LBB22_42
; %bb.41:
	v_add_co_u32 v43, s20, 0x2800, v65
	v_add_co_ci_u32_e64 v44, null, 0, v66, s20
	global_load_dwordx2 v[43:44], v[43:44], off
.LBB22_42:
	s_or_b32 exec_lo, exec_lo, s21
	v_add_nc_u32_e32 v47, 0x540, v0
	v_cmp_gt_i32_e64 s20, s42, v47
	s_and_b32 s21, s31, s20
	s_and_saveexec_b32 s22, s21
	s_cbranch_execz .LBB22_44
; %bb.43:
	v_add_co_u32 v45, s21, 0x2800, v65
	v_add_co_ci_u32_e64 v46, null, 0, v66, s21
	global_load_dwordx2 v[45:46], v[45:46], off offset:512
.LBB22_44:
	s_or_b32 exec_lo, exec_lo, s22
	v_add_nc_u32_e32 v47, 0x580, v0
	v_mov_b32_e32 v49, 0
	v_mov_b32_e32 v50, 0xfff00000
	v_cmp_gt_i32_e64 s21, s42, v47
	v_mov_b32_e32 v47, 0
	v_mov_b32_e32 v48, 0xfff00000
	s_and_b32 s22, s31, s21
	s_and_saveexec_b32 s23, s22
	s_cbranch_execz .LBB22_46
; %bb.45:
	v_add_co_u32 v47, s22, 0x2800, v65
	v_add_co_ci_u32_e64 v48, null, 0, v66, s22
	global_load_dwordx2 v[47:48], v[47:48], off offset:1024
.LBB22_46:
	s_or_b32 exec_lo, exec_lo, s23
	v_add_nc_u32_e32 v51, 0x5c0, v0
	v_cmp_gt_i32_e64 s22, s42, v51
	s_and_b32 s23, s31, s22
	s_and_saveexec_b32 s24, s23
	s_cbranch_execz .LBB22_48
; %bb.47:
	v_add_co_u32 v49, s23, 0x2800, v65
	v_add_co_ci_u32_e64 v50, null, 0, v66, s23
	global_load_dwordx2 v[49:50], v[49:50], off offset:1536
.LBB22_48:
	s_or_b32 exec_lo, exec_lo, s24
	v_add_nc_u32_e32 v51, 0x600, v0
	v_mov_b32_e32 v57, 0
	v_mov_b32_e32 v53, 0
	;; [unrolled: 1-line block ×4, first 2 shown]
	v_cmp_gt_i32_e64 s23, s42, v51
	s_and_b32 s24, s31, s23
	s_and_saveexec_b32 s25, s24
	s_cbranch_execz .LBB22_50
; %bb.49:
	v_add_co_u32 v51, s24, 0x3000, v65
	v_add_co_ci_u32_e64 v52, null, 0, v66, s24
	global_load_dwordx2 v[53:54], v[51:52], off
.LBB22_50:
	s_or_b32 exec_lo, exec_lo, s25
	v_add_nc_u32_e32 v51, 0x640, v0
	v_cmp_gt_i32_e64 s24, s42, v51
	s_and_b32 s25, s31, s24
	s_and_saveexec_b32 s26, s25
	s_cbranch_execz .LBB22_52
; %bb.51:
	v_add_co_u32 v51, s25, 0x3000, v65
	v_add_co_ci_u32_e64 v52, null, 0, v66, s25
	global_load_dwordx2 v[57:58], v[51:52], off offset:512
.LBB22_52:
	s_or_b32 exec_lo, exec_lo, s26
	v_add_nc_u32_e32 v51, 0x680, v0
	v_mov_b32_e32 v67, 0
	v_mov_b32_e32 v61, 0
	;; [unrolled: 1-line block ×4, first 2 shown]
	v_cmp_gt_i32_e64 s25, s42, v51
	s_and_b32 s26, s31, s25
	s_and_saveexec_b32 s27, s26
	s_cbranch_execz .LBB22_54
; %bb.53:
	v_add_co_u32 v51, s26, 0x3000, v65
	v_add_co_ci_u32_e64 v52, null, 0, v66, s26
	global_load_dwordx2 v[61:62], v[51:52], off offset:1024
.LBB22_54:
	s_or_b32 exec_lo, exec_lo, s27
	v_add_nc_u32_e32 v51, 0x6c0, v0
	v_cmp_gt_i32_e64 s26, s42, v51
	s_and_b32 s27, s31, s26
	s_and_saveexec_b32 s28, s27
	s_cbranch_execz .LBB22_56
; %bb.55:
	v_add_co_u32 v51, s27, 0x3000, v65
	v_add_co_ci_u32_e64 v52, null, 0, v66, s27
	global_load_dwordx2 v[67:68], v[51:52], off offset:1536
.LBB22_56:
	s_or_b32 exec_lo, exec_lo, s28
	v_add_nc_u32_e32 v51, 0x700, v0
	v_mov_b32_e32 v59, 0
	v_mov_b32_e32 v63, 0
	;; [unrolled: 1-line block ×4, first 2 shown]
	v_cmp_gt_i32_e64 s27, s42, v51
	s_and_b32 s28, s31, s27
	s_and_saveexec_b32 s29, s28
	s_cbranch_execz .LBB22_58
; %bb.57:
	v_add_co_u32 v51, s28, 0x3800, v65
	v_add_co_ci_u32_e64 v52, null, 0, v66, s28
	global_load_dwordx2 v[63:64], v[51:52], off
.LBB22_58:
	s_or_b32 exec_lo, exec_lo, s29
	v_add_nc_u32_e32 v51, 0x740, v0
	v_cmp_gt_i32_e64 s28, s42, v51
	s_and_b32 s29, s31, s28
	s_and_saveexec_b32 s30, s29
	s_cbranch_execz .LBB22_60
; %bb.59:
	v_add_co_u32 v51, s29, 0x3800, v65
	v_add_co_ci_u32_e64 v52, null, 0, v66, s29
	global_load_dwordx2 v[59:60], v[51:52], off offset:512
.LBB22_60:
	s_or_b32 exec_lo, exec_lo, s30
	v_add_nc_u32_e32 v51, 0x780, v0
	v_mov_b32_e32 v55, 0
	v_mov_b32_e32 v56, 0xfff00000
	v_cmp_gt_i32_e64 s29, s42, v51
	v_mov_b32_e32 v51, 0
	v_mov_b32_e32 v52, 0xfff00000
	s_and_b32 s30, s31, s29
	s_and_saveexec_b32 s33, s30
	s_cbranch_execz .LBB22_62
; %bb.61:
	v_add_co_u32 v55, s30, 0x3800, v65
	v_add_co_ci_u32_e64 v56, null, 0, v66, s30
	global_load_dwordx2 v[55:56], v[55:56], off offset:1024
.LBB22_62:
	s_or_b32 exec_lo, exec_lo, s33
	v_add_nc_u32_e32 v0, 0x7c0, v0
	v_cmp_gt_i32_e64 s30, s42, v0
	s_and_b32 s31, s31, s30
	s_and_saveexec_b32 s33, s31
	s_cbranch_execz .LBB22_64
; %bb.63:
	v_add_co_u32 v51, s31, 0x3800, v65
	v_add_co_ci_u32_e64 v52, null, 0, v66, s31
	global_load_dwordx2 v[51:52], v[51:52], off offset:1536
.LBB22_64:
	s_or_b32 exec_lo, exec_lo, s33
	s_waitcnt vmcnt(0)
	v_cmp_gt_f64_e64 s31, v[3:4], v[5:6]
	v_mbcnt_lo_u32_b32 v71, -1, 0
	s_mov_b32 s34, 0x652b82fe
	s_mov_b32 s35, 0x3ff71547
	;; [unrolled: 1-line block ×4, first 2 shown]
	v_or_b32_e32 v0, 32, v71
	s_mov_b32 s40, 0x3b39803f
	s_mov_b32 s41, 0xbc7abc9e
	;; [unrolled: 1-line block ×15, first 2 shown]
	v_cndmask_b32_e64 v66, v6, v4, s31
	v_cndmask_b32_e64 v65, v5, v3, s31
	s_mov_b32 s55, 0x3f811111
	s_mov_b32 s56, 0x555502a1
	;; [unrolled: 1-line block ×4, first 2 shown]
	v_cmp_gt_f64_e64 s31, v[65:66], v[7:8]
	s_mov_b32 s59, 0x3fc55555
	s_mov_b32 s60, 11
	;; [unrolled: 1-line block ×3, first 2 shown]
	v_cndmask_b32_e64 v66, v8, v66, s31
	v_cndmask_b32_e64 v65, v7, v65, s31
	v_cmp_gt_f64_e64 s31, v[65:66], v[9:10]
	v_cndmask_b32_e64 v66, v10, v66, s31
	v_cndmask_b32_e64 v65, v9, v65, s31
	v_cmp_gt_f64_e64 s31, v[65:66], v[11:12]
	;; [unrolled: 3-line block ×29, first 2 shown]
	v_cndmask_b32_e64 v66, v52, v66, s31
	v_cndmask_b32_e64 v65, v51, v65, s31
	v_cmp_gt_i32_e64 s31, 64, v0
	v_cndmask_b32_e64 v0, v71, v0, s31
	v_lshlrev_b32_e32 v0, 2, v0
	ds_bpermute_b32 v69, v0, v65
	ds_bpermute_b32 v70, v0, v66
	s_waitcnt lgkmcnt(0)
	v_cmp_lt_f64_e64 s31, v[65:66], v[69:70]
	v_cndmask_b32_e64 v65, v65, v69, s31
	v_xor_b32_e32 v69, 16, v71
	v_cndmask_b32_e64 v66, v66, v70, s31
	v_cmp_gt_i32_e64 s31, 64, v69
	v_cndmask_b32_e64 v69, v71, v69, s31
	v_lshlrev_b32_e32 v74, 2, v69
	ds_bpermute_b32 v69, v74, v65
	ds_bpermute_b32 v70, v74, v66
	s_waitcnt lgkmcnt(0)
	v_cmp_lt_f64_e64 s31, v[65:66], v[69:70]
	v_cndmask_b32_e64 v65, v65, v69, s31
	v_xor_b32_e32 v69, 8, v71
	;; [unrolled: 10-line block ×5, first 2 shown]
	v_cndmask_b32_e64 v66, v66, v70, s31
	v_cmp_gt_i32_e64 s31, 64, v69
	v_cndmask_b32_e64 v69, v71, v69, s31
	v_lshlrev_b32_e32 v78, 2, v69
	ds_bpermute_b32 v69, v78, v65
	ds_bpermute_b32 v70, v78, v66
	s_waitcnt lgkmcnt(0)
	v_cmp_lt_f64_e64 s31, v[65:66], v[69:70]
	v_cndmask_b32_e64 v66, v66, v70, s31
	v_cndmask_b32_e64 v65, v65, v69, s31
	v_add_f64 v[3:4], v[3:4], -v[65:66]
	v_add_f64 v[5:6], v[5:6], -v[65:66]
	;; [unrolled: 1-line block ×22, first 2 shown]
	v_mul_f64 v[69:70], v[3:4], s[34:35]
	v_cmp_nlt_f64_e64 s31, 0x40900000, v[3:4]
	v_cmp_ngt_f64_e64 s33, 0xc090cc00, v[3:4]
	v_add_f64 v[47:48], v[47:48], -v[65:66]
	v_add_f64 v[49:50], v[49:50], -v[65:66]
	;; [unrolled: 1-line block ×10, first 2 shown]
	v_rndne_f64_e32 v[69:70], v[69:70]
	v_mul_f64 v[65:66], v[51:52], s[34:35]
	v_fma_f64 v[71:72], v[69:70], s[38:39], v[3:4]
	v_rndne_f64_e32 v[65:66], v[65:66]
	v_fma_f64 v[71:72], v[69:70], s[40:41], v[71:72]
	v_cvt_i32_f64_e32 v69, v[69:70]
	v_fma_f64 v[79:80], v[71:72], s[44:45], s[42:43]
	v_fma_f64 v[79:80], v[71:72], v[79:80], s[46:47]
	;; [unrolled: 1-line block ×9, first 2 shown]
	v_fma_f64 v[79:80], v[71:72], v[79:80], 1.0
	v_fma_f64 v[71:72], v[71:72], v[79:80], 1.0
	v_ldexp_f64 v[69:70], v[71:72], v69
	v_mul_f64 v[71:72], v[5:6], s[34:35]
	v_add_f64 v[69:70], v[69:70], 0
	v_rndne_f64_e32 v[71:72], v[71:72]
	v_cndmask_b32_e64 v70, 0x7ff00000, v70, s31
	v_fma_f64 v[79:80], v[71:72], s[38:39], v[5:6]
	s_and_b32 s31, s33, s31
	v_cndmask_b32_e64 v69, 0, v69, s31
	v_cmp_nlt_f64_e64 s31, 0x40900000, v[5:6]
	v_cndmask_b32_e64 v70, 0, v70, s33
	v_cmp_ngt_f64_e64 s33, 0xc090cc00, v[5:6]
	v_fma_f64 v[79:80], v[71:72], s[40:41], v[79:80]
	v_cvt_i32_f64_e32 v71, v[71:72]
	v_fma_f64 v[81:82], v[79:80], s[44:45], s[42:43]
	v_fma_f64 v[81:82], v[79:80], v[81:82], s[46:47]
	v_fma_f64 v[81:82], v[79:80], v[81:82], s[48:49]
	v_fma_f64 v[81:82], v[79:80], v[81:82], s[50:51]
	v_fma_f64 v[81:82], v[79:80], v[81:82], s[52:53]
	v_fma_f64 v[81:82], v[79:80], v[81:82], s[54:55]
	v_fma_f64 v[81:82], v[79:80], v[81:82], s[56:57]
	v_fma_f64 v[81:82], v[79:80], v[81:82], s[58:59]
	v_fma_f64 v[81:82], v[79:80], v[81:82], s[60:61]
	v_fma_f64 v[81:82], v[79:80], v[81:82], 1.0
	v_fma_f64 v[79:80], v[79:80], v[81:82], 1.0
	v_ldexp_f64 v[71:72], v[79:80], v71
	v_cndmask_b32_e64 v72, 0x7ff00000, v72, s31
	s_and_b32 s31, s33, s31
	v_cndmask_b32_e64 v71, 0, v71, s31
	v_cmp_nlt_f64_e64 s31, 0x40900000, v[7:8]
	v_cndmask_b32_e64 v72, 0, v72, s33
	v_cmp_ngt_f64_e64 s33, 0xc090cc00, v[7:8]
	v_add_f64 v[69:70], v[69:70], v[71:72]
	v_mul_f64 v[71:72], v[7:8], s[34:35]
	v_rndne_f64_e32 v[71:72], v[71:72]
	v_fma_f64 v[79:80], v[71:72], s[38:39], v[7:8]
	v_fma_f64 v[79:80], v[71:72], s[40:41], v[79:80]
	v_cvt_i32_f64_e32 v71, v[71:72]
	v_fma_f64 v[81:82], v[79:80], s[44:45], s[42:43]
	v_fma_f64 v[81:82], v[79:80], v[81:82], s[46:47]
	v_fma_f64 v[81:82], v[79:80], v[81:82], s[48:49]
	v_fma_f64 v[81:82], v[79:80], v[81:82], s[50:51]
	v_fma_f64 v[81:82], v[79:80], v[81:82], s[52:53]
	v_fma_f64 v[81:82], v[79:80], v[81:82], s[54:55]
	v_fma_f64 v[81:82], v[79:80], v[81:82], s[56:57]
	v_fma_f64 v[81:82], v[79:80], v[81:82], s[58:59]
	v_fma_f64 v[81:82], v[79:80], v[81:82], s[60:61]
	v_fma_f64 v[81:82], v[79:80], v[81:82], 1.0
	v_fma_f64 v[79:80], v[79:80], v[81:82], 1.0
	v_ldexp_f64 v[71:72], v[79:80], v71
	v_cndmask_b32_e64 v72, 0x7ff00000, v72, s31
	s_and_b32 s31, s33, s31
	v_cndmask_b32_e64 v71, 0, v71, s31
	v_cmp_nlt_f64_e64 s31, 0x40900000, v[9:10]
	v_cndmask_b32_e64 v72, 0, v72, s33
	v_cmp_ngt_f64_e64 s33, 0xc090cc00, v[9:10]
	v_add_f64 v[69:70], v[69:70], v[71:72]
	v_mul_f64 v[71:72], v[9:10], s[34:35]
	v_rndne_f64_e32 v[71:72], v[71:72]
	v_fma_f64 v[79:80], v[71:72], s[38:39], v[9:10]
	v_fma_f64 v[79:80], v[71:72], s[40:41], v[79:80]
	v_cvt_i32_f64_e32 v71, v[71:72]
	v_fma_f64 v[81:82], v[79:80], s[44:45], s[42:43]
	v_fma_f64 v[81:82], v[79:80], v[81:82], s[46:47]
	v_fma_f64 v[81:82], v[79:80], v[81:82], s[48:49]
	v_fma_f64 v[81:82], v[79:80], v[81:82], s[50:51]
	v_fma_f64 v[81:82], v[79:80], v[81:82], s[52:53]
	v_fma_f64 v[81:82], v[79:80], v[81:82], s[54:55]
	v_fma_f64 v[81:82], v[79:80], v[81:82], s[56:57]
	v_fma_f64 v[81:82], v[79:80], v[81:82], s[58:59]
	v_fma_f64 v[81:82], v[79:80], v[81:82], s[60:61]
	v_fma_f64 v[81:82], v[79:80], v[81:82], 1.0
	v_fma_f64 v[79:80], v[79:80], v[81:82], 1.0
	v_ldexp_f64 v[71:72], v[79:80], v71
	v_cndmask_b32_e64 v72, 0x7ff00000, v72, s31
	s_and_b32 s31, s33, s31
	v_cndmask_b32_e64 v71, 0, v71, s31
	v_cmp_nlt_f64_e64 s31, 0x40900000, v[11:12]
	v_cndmask_b32_e64 v72, 0, v72, s33
	v_cmp_ngt_f64_e64 s33, 0xc090cc00, v[11:12]
	v_add_f64 v[69:70], v[69:70], v[71:72]
	v_mul_f64 v[71:72], v[11:12], s[34:35]
	v_rndne_f64_e32 v[71:72], v[71:72]
	v_fma_f64 v[79:80], v[71:72], s[38:39], v[11:12]
	v_fma_f64 v[79:80], v[71:72], s[40:41], v[79:80]
	v_cvt_i32_f64_e32 v71, v[71:72]
	v_fma_f64 v[81:82], v[79:80], s[44:45], s[42:43]
	v_fma_f64 v[81:82], v[79:80], v[81:82], s[46:47]
	v_fma_f64 v[81:82], v[79:80], v[81:82], s[48:49]
	v_fma_f64 v[81:82], v[79:80], v[81:82], s[50:51]
	v_fma_f64 v[81:82], v[79:80], v[81:82], s[52:53]
	v_fma_f64 v[81:82], v[79:80], v[81:82], s[54:55]
	v_fma_f64 v[81:82], v[79:80], v[81:82], s[56:57]
	v_fma_f64 v[81:82], v[79:80], v[81:82], s[58:59]
	v_fma_f64 v[81:82], v[79:80], v[81:82], s[60:61]
	v_fma_f64 v[81:82], v[79:80], v[81:82], 1.0
	v_fma_f64 v[79:80], v[79:80], v[81:82], 1.0
	v_ldexp_f64 v[71:72], v[79:80], v71
	v_cndmask_b32_e64 v72, 0x7ff00000, v72, s31
	s_and_b32 s31, s33, s31
	v_cndmask_b32_e64 v71, 0, v71, s31
	v_cmp_nlt_f64_e64 s31, 0x40900000, v[13:14]
	v_cndmask_b32_e64 v72, 0, v72, s33
	v_cmp_ngt_f64_e64 s33, 0xc090cc00, v[13:14]
	v_add_f64 v[69:70], v[69:70], v[71:72]
	v_mul_f64 v[71:72], v[13:14], s[34:35]
	v_rndne_f64_e32 v[71:72], v[71:72]
	v_fma_f64 v[79:80], v[71:72], s[38:39], v[13:14]
	v_fma_f64 v[79:80], v[71:72], s[40:41], v[79:80]
	v_cvt_i32_f64_e32 v71, v[71:72]
	v_fma_f64 v[81:82], v[79:80], s[44:45], s[42:43]
	v_fma_f64 v[81:82], v[79:80], v[81:82], s[46:47]
	v_fma_f64 v[81:82], v[79:80], v[81:82], s[48:49]
	v_fma_f64 v[81:82], v[79:80], v[81:82], s[50:51]
	v_fma_f64 v[81:82], v[79:80], v[81:82], s[52:53]
	v_fma_f64 v[81:82], v[79:80], v[81:82], s[54:55]
	v_fma_f64 v[81:82], v[79:80], v[81:82], s[56:57]
	v_fma_f64 v[81:82], v[79:80], v[81:82], s[58:59]
	v_fma_f64 v[81:82], v[79:80], v[81:82], s[60:61]
	v_fma_f64 v[81:82], v[79:80], v[81:82], 1.0
	v_fma_f64 v[79:80], v[79:80], v[81:82], 1.0
	v_ldexp_f64 v[71:72], v[79:80], v71
	v_cndmask_b32_e64 v72, 0x7ff00000, v72, s31
	s_and_b32 s31, s33, s31
	v_cndmask_b32_e64 v71, 0, v71, s31
	v_cmp_nlt_f64_e64 s31, 0x40900000, v[15:16]
	v_cndmask_b32_e64 v72, 0, v72, s33
	v_cmp_ngt_f64_e64 s33, 0xc090cc00, v[15:16]
	v_add_f64 v[69:70], v[69:70], v[71:72]
	v_mul_f64 v[71:72], v[15:16], s[34:35]
	v_rndne_f64_e32 v[71:72], v[71:72]
	v_fma_f64 v[79:80], v[71:72], s[38:39], v[15:16]
	v_fma_f64 v[79:80], v[71:72], s[40:41], v[79:80]
	v_cvt_i32_f64_e32 v71, v[71:72]
	v_fma_f64 v[81:82], v[79:80], s[44:45], s[42:43]
	v_fma_f64 v[81:82], v[79:80], v[81:82], s[46:47]
	v_fma_f64 v[81:82], v[79:80], v[81:82], s[48:49]
	v_fma_f64 v[81:82], v[79:80], v[81:82], s[50:51]
	v_fma_f64 v[81:82], v[79:80], v[81:82], s[52:53]
	v_fma_f64 v[81:82], v[79:80], v[81:82], s[54:55]
	v_fma_f64 v[81:82], v[79:80], v[81:82], s[56:57]
	v_fma_f64 v[81:82], v[79:80], v[81:82], s[58:59]
	v_fma_f64 v[81:82], v[79:80], v[81:82], s[60:61]
	v_fma_f64 v[81:82], v[79:80], v[81:82], 1.0
	v_fma_f64 v[79:80], v[79:80], v[81:82], 1.0
	v_ldexp_f64 v[71:72], v[79:80], v71
	v_cndmask_b32_e64 v72, 0x7ff00000, v72, s31
	s_and_b32 s31, s33, s31
	v_cndmask_b32_e64 v71, 0, v71, s31
	v_cmp_nlt_f64_e64 s31, 0x40900000, v[17:18]
	v_cndmask_b32_e64 v72, 0, v72, s33
	v_cmp_ngt_f64_e64 s33, 0xc090cc00, v[17:18]
	v_add_f64 v[69:70], v[69:70], v[71:72]
	v_mul_f64 v[71:72], v[17:18], s[34:35]
	v_rndne_f64_e32 v[71:72], v[71:72]
	v_fma_f64 v[79:80], v[71:72], s[38:39], v[17:18]
	v_fma_f64 v[79:80], v[71:72], s[40:41], v[79:80]
	v_cvt_i32_f64_e32 v71, v[71:72]
	v_fma_f64 v[81:82], v[79:80], s[44:45], s[42:43]
	v_fma_f64 v[81:82], v[79:80], v[81:82], s[46:47]
	v_fma_f64 v[81:82], v[79:80], v[81:82], s[48:49]
	v_fma_f64 v[81:82], v[79:80], v[81:82], s[50:51]
	v_fma_f64 v[81:82], v[79:80], v[81:82], s[52:53]
	v_fma_f64 v[81:82], v[79:80], v[81:82], s[54:55]
	v_fma_f64 v[81:82], v[79:80], v[81:82], s[56:57]
	v_fma_f64 v[81:82], v[79:80], v[81:82], s[58:59]
	v_fma_f64 v[81:82], v[79:80], v[81:82], s[60:61]
	v_fma_f64 v[81:82], v[79:80], v[81:82], 1.0
	v_fma_f64 v[79:80], v[79:80], v[81:82], 1.0
	v_ldexp_f64 v[71:72], v[79:80], v71
	v_cndmask_b32_e64 v72, 0x7ff00000, v72, s31
	s_and_b32 s31, s33, s31
	v_cndmask_b32_e64 v71, 0, v71, s31
	v_cmp_nlt_f64_e64 s31, 0x40900000, v[19:20]
	v_cndmask_b32_e64 v72, 0, v72, s33
	v_cmp_ngt_f64_e64 s33, 0xc090cc00, v[19:20]
	v_add_f64 v[69:70], v[69:70], v[71:72]
	v_mul_f64 v[71:72], v[19:20], s[34:35]
	v_rndne_f64_e32 v[71:72], v[71:72]
	v_fma_f64 v[79:80], v[71:72], s[38:39], v[19:20]
	v_fma_f64 v[79:80], v[71:72], s[40:41], v[79:80]
	v_cvt_i32_f64_e32 v71, v[71:72]
	v_fma_f64 v[81:82], v[79:80], s[44:45], s[42:43]
	v_fma_f64 v[81:82], v[79:80], v[81:82], s[46:47]
	v_fma_f64 v[81:82], v[79:80], v[81:82], s[48:49]
	v_fma_f64 v[81:82], v[79:80], v[81:82], s[50:51]
	v_fma_f64 v[81:82], v[79:80], v[81:82], s[52:53]
	v_fma_f64 v[81:82], v[79:80], v[81:82], s[54:55]
	v_fma_f64 v[81:82], v[79:80], v[81:82], s[56:57]
	v_fma_f64 v[81:82], v[79:80], v[81:82], s[58:59]
	v_fma_f64 v[81:82], v[79:80], v[81:82], s[60:61]
	v_fma_f64 v[81:82], v[79:80], v[81:82], 1.0
	v_fma_f64 v[79:80], v[79:80], v[81:82], 1.0
	v_ldexp_f64 v[71:72], v[79:80], v71
	v_cndmask_b32_e64 v72, 0x7ff00000, v72, s31
	s_and_b32 s31, s33, s31
	v_cndmask_b32_e64 v71, 0, v71, s31
	v_cmp_nlt_f64_e64 s31, 0x40900000, v[21:22]
	v_cndmask_b32_e64 v72, 0, v72, s33
	v_cmp_ngt_f64_e64 s33, 0xc090cc00, v[21:22]
	v_add_f64 v[69:70], v[69:70], v[71:72]
	v_mul_f64 v[71:72], v[21:22], s[34:35]
	v_rndne_f64_e32 v[71:72], v[71:72]
	v_fma_f64 v[79:80], v[71:72], s[38:39], v[21:22]
	v_fma_f64 v[79:80], v[71:72], s[40:41], v[79:80]
	v_cvt_i32_f64_e32 v71, v[71:72]
	v_fma_f64 v[81:82], v[79:80], s[44:45], s[42:43]
	v_fma_f64 v[81:82], v[79:80], v[81:82], s[46:47]
	v_fma_f64 v[81:82], v[79:80], v[81:82], s[48:49]
	v_fma_f64 v[81:82], v[79:80], v[81:82], s[50:51]
	v_fma_f64 v[81:82], v[79:80], v[81:82], s[52:53]
	v_fma_f64 v[81:82], v[79:80], v[81:82], s[54:55]
	v_fma_f64 v[81:82], v[79:80], v[81:82], s[56:57]
	v_fma_f64 v[81:82], v[79:80], v[81:82], s[58:59]
	v_fma_f64 v[81:82], v[79:80], v[81:82], s[60:61]
	v_fma_f64 v[81:82], v[79:80], v[81:82], 1.0
	v_fma_f64 v[79:80], v[79:80], v[81:82], 1.0
	v_ldexp_f64 v[71:72], v[79:80], v71
	v_cndmask_b32_e64 v72, 0x7ff00000, v72, s31
	s_and_b32 s31, s33, s31
	v_cndmask_b32_e64 v71, 0, v71, s31
	v_cmp_nlt_f64_e64 s31, 0x40900000, v[23:24]
	v_cndmask_b32_e64 v72, 0, v72, s33
	v_cmp_ngt_f64_e64 s33, 0xc090cc00, v[23:24]
	v_add_f64 v[69:70], v[69:70], v[71:72]
	v_mul_f64 v[71:72], v[23:24], s[34:35]
	v_rndne_f64_e32 v[71:72], v[71:72]
	v_fma_f64 v[79:80], v[71:72], s[38:39], v[23:24]
	v_fma_f64 v[79:80], v[71:72], s[40:41], v[79:80]
	v_cvt_i32_f64_e32 v71, v[71:72]
	v_fma_f64 v[81:82], v[79:80], s[44:45], s[42:43]
	v_fma_f64 v[81:82], v[79:80], v[81:82], s[46:47]
	v_fma_f64 v[81:82], v[79:80], v[81:82], s[48:49]
	v_fma_f64 v[81:82], v[79:80], v[81:82], s[50:51]
	v_fma_f64 v[81:82], v[79:80], v[81:82], s[52:53]
	v_fma_f64 v[81:82], v[79:80], v[81:82], s[54:55]
	v_fma_f64 v[81:82], v[79:80], v[81:82], s[56:57]
	v_fma_f64 v[81:82], v[79:80], v[81:82], s[58:59]
	v_fma_f64 v[81:82], v[79:80], v[81:82], s[60:61]
	v_fma_f64 v[81:82], v[79:80], v[81:82], 1.0
	v_fma_f64 v[79:80], v[79:80], v[81:82], 1.0
	v_ldexp_f64 v[71:72], v[79:80], v71
	v_cndmask_b32_e64 v72, 0x7ff00000, v72, s31
	s_and_b32 s31, s33, s31
	v_cndmask_b32_e64 v71, 0, v71, s31
	v_cmp_nlt_f64_e64 s31, 0x40900000, v[25:26]
	v_cndmask_b32_e64 v72, 0, v72, s33
	v_cmp_ngt_f64_e64 s33, 0xc090cc00, v[25:26]
	v_add_f64 v[69:70], v[69:70], v[71:72]
	v_mul_f64 v[71:72], v[25:26], s[34:35]
	v_rndne_f64_e32 v[71:72], v[71:72]
	v_fma_f64 v[79:80], v[71:72], s[38:39], v[25:26]
	v_fma_f64 v[79:80], v[71:72], s[40:41], v[79:80]
	v_cvt_i32_f64_e32 v71, v[71:72]
	v_fma_f64 v[81:82], v[79:80], s[44:45], s[42:43]
	v_fma_f64 v[81:82], v[79:80], v[81:82], s[46:47]
	v_fma_f64 v[81:82], v[79:80], v[81:82], s[48:49]
	v_fma_f64 v[81:82], v[79:80], v[81:82], s[50:51]
	v_fma_f64 v[81:82], v[79:80], v[81:82], s[52:53]
	v_fma_f64 v[81:82], v[79:80], v[81:82], s[54:55]
	v_fma_f64 v[81:82], v[79:80], v[81:82], s[56:57]
	v_fma_f64 v[81:82], v[79:80], v[81:82], s[58:59]
	v_fma_f64 v[81:82], v[79:80], v[81:82], s[60:61]
	v_fma_f64 v[81:82], v[79:80], v[81:82], 1.0
	v_fma_f64 v[79:80], v[79:80], v[81:82], 1.0
	v_ldexp_f64 v[71:72], v[79:80], v71
	v_cndmask_b32_e64 v72, 0x7ff00000, v72, s31
	s_and_b32 s31, s33, s31
	v_cndmask_b32_e64 v71, 0, v71, s31
	v_cmp_nlt_f64_e64 s31, 0x40900000, v[27:28]
	v_cndmask_b32_e64 v72, 0, v72, s33
	v_cmp_ngt_f64_e64 s33, 0xc090cc00, v[27:28]
	v_add_f64 v[69:70], v[69:70], v[71:72]
	v_mul_f64 v[71:72], v[27:28], s[34:35]
	v_rndne_f64_e32 v[71:72], v[71:72]
	v_fma_f64 v[79:80], v[71:72], s[38:39], v[27:28]
	v_fma_f64 v[79:80], v[71:72], s[40:41], v[79:80]
	v_cvt_i32_f64_e32 v71, v[71:72]
	v_fma_f64 v[81:82], v[79:80], s[44:45], s[42:43]
	v_fma_f64 v[81:82], v[79:80], v[81:82], s[46:47]
	v_fma_f64 v[81:82], v[79:80], v[81:82], s[48:49]
	v_fma_f64 v[81:82], v[79:80], v[81:82], s[50:51]
	v_fma_f64 v[81:82], v[79:80], v[81:82], s[52:53]
	v_fma_f64 v[81:82], v[79:80], v[81:82], s[54:55]
	v_fma_f64 v[81:82], v[79:80], v[81:82], s[56:57]
	v_fma_f64 v[81:82], v[79:80], v[81:82], s[58:59]
	v_fma_f64 v[81:82], v[79:80], v[81:82], s[60:61]
	v_fma_f64 v[81:82], v[79:80], v[81:82], 1.0
	v_fma_f64 v[79:80], v[79:80], v[81:82], 1.0
	v_ldexp_f64 v[71:72], v[79:80], v71
	v_cndmask_b32_e64 v72, 0x7ff00000, v72, s31
	s_and_b32 s31, s33, s31
	v_cndmask_b32_e64 v71, 0, v71, s31
	v_cmp_nlt_f64_e64 s31, 0x40900000, v[29:30]
	v_cndmask_b32_e64 v72, 0, v72, s33
	v_cmp_ngt_f64_e64 s33, 0xc090cc00, v[29:30]
	v_add_f64 v[69:70], v[69:70], v[71:72]
	v_mul_f64 v[71:72], v[29:30], s[34:35]
	v_rndne_f64_e32 v[71:72], v[71:72]
	v_fma_f64 v[79:80], v[71:72], s[38:39], v[29:30]
	v_fma_f64 v[79:80], v[71:72], s[40:41], v[79:80]
	v_cvt_i32_f64_e32 v71, v[71:72]
	v_fma_f64 v[81:82], v[79:80], s[44:45], s[42:43]
	v_fma_f64 v[81:82], v[79:80], v[81:82], s[46:47]
	v_fma_f64 v[81:82], v[79:80], v[81:82], s[48:49]
	v_fma_f64 v[81:82], v[79:80], v[81:82], s[50:51]
	v_fma_f64 v[81:82], v[79:80], v[81:82], s[52:53]
	v_fma_f64 v[81:82], v[79:80], v[81:82], s[54:55]
	v_fma_f64 v[81:82], v[79:80], v[81:82], s[56:57]
	v_fma_f64 v[81:82], v[79:80], v[81:82], s[58:59]
	v_fma_f64 v[81:82], v[79:80], v[81:82], s[60:61]
	v_fma_f64 v[81:82], v[79:80], v[81:82], 1.0
	v_fma_f64 v[79:80], v[79:80], v[81:82], 1.0
	v_ldexp_f64 v[71:72], v[79:80], v71
	v_cndmask_b32_e64 v72, 0x7ff00000, v72, s31
	s_and_b32 s31, s33, s31
	v_cndmask_b32_e64 v71, 0, v71, s31
	v_cmp_nlt_f64_e64 s31, 0x40900000, v[31:32]
	v_cndmask_b32_e64 v72, 0, v72, s33
	v_cmp_ngt_f64_e64 s33, 0xc090cc00, v[31:32]
	v_add_f64 v[69:70], v[69:70], v[71:72]
	v_mul_f64 v[71:72], v[31:32], s[34:35]
	v_rndne_f64_e32 v[71:72], v[71:72]
	v_fma_f64 v[79:80], v[71:72], s[38:39], v[31:32]
	v_fma_f64 v[79:80], v[71:72], s[40:41], v[79:80]
	v_cvt_i32_f64_e32 v71, v[71:72]
	v_fma_f64 v[81:82], v[79:80], s[44:45], s[42:43]
	v_fma_f64 v[81:82], v[79:80], v[81:82], s[46:47]
	v_fma_f64 v[81:82], v[79:80], v[81:82], s[48:49]
	v_fma_f64 v[81:82], v[79:80], v[81:82], s[50:51]
	v_fma_f64 v[81:82], v[79:80], v[81:82], s[52:53]
	v_fma_f64 v[81:82], v[79:80], v[81:82], s[54:55]
	v_fma_f64 v[81:82], v[79:80], v[81:82], s[56:57]
	v_fma_f64 v[81:82], v[79:80], v[81:82], s[58:59]
	v_fma_f64 v[81:82], v[79:80], v[81:82], s[60:61]
	v_fma_f64 v[81:82], v[79:80], v[81:82], 1.0
	v_fma_f64 v[79:80], v[79:80], v[81:82], 1.0
	v_ldexp_f64 v[71:72], v[79:80], v71
	v_cndmask_b32_e64 v72, 0x7ff00000, v72, s31
	s_and_b32 s31, s33, s31
	v_cndmask_b32_e64 v71, 0, v71, s31
	v_cmp_nlt_f64_e64 s31, 0x40900000, v[33:34]
	v_cndmask_b32_e64 v72, 0, v72, s33
	v_cmp_ngt_f64_e64 s33, 0xc090cc00, v[33:34]
	v_add_f64 v[69:70], v[69:70], v[71:72]
	v_mul_f64 v[71:72], v[33:34], s[34:35]
	v_rndne_f64_e32 v[71:72], v[71:72]
	v_fma_f64 v[79:80], v[71:72], s[38:39], v[33:34]
	v_fma_f64 v[79:80], v[71:72], s[40:41], v[79:80]
	v_cvt_i32_f64_e32 v71, v[71:72]
	v_fma_f64 v[81:82], v[79:80], s[44:45], s[42:43]
	v_fma_f64 v[81:82], v[79:80], v[81:82], s[46:47]
	v_fma_f64 v[81:82], v[79:80], v[81:82], s[48:49]
	v_fma_f64 v[81:82], v[79:80], v[81:82], s[50:51]
	v_fma_f64 v[81:82], v[79:80], v[81:82], s[52:53]
	v_fma_f64 v[81:82], v[79:80], v[81:82], s[54:55]
	v_fma_f64 v[81:82], v[79:80], v[81:82], s[56:57]
	v_fma_f64 v[81:82], v[79:80], v[81:82], s[58:59]
	v_fma_f64 v[81:82], v[79:80], v[81:82], s[60:61]
	v_fma_f64 v[81:82], v[79:80], v[81:82], 1.0
	v_fma_f64 v[79:80], v[79:80], v[81:82], 1.0
	v_ldexp_f64 v[71:72], v[79:80], v71
	v_cndmask_b32_e64 v72, 0x7ff00000, v72, s31
	s_and_b32 s31, s33, s31
	v_cndmask_b32_e64 v71, 0, v71, s31
	v_cmp_nlt_f64_e64 s31, 0x40900000, v[35:36]
	v_cndmask_b32_e64 v72, 0, v72, s33
	v_cmp_ngt_f64_e64 s33, 0xc090cc00, v[35:36]
	v_add_f64 v[69:70], v[69:70], v[71:72]
	v_mul_f64 v[71:72], v[35:36], s[34:35]
	v_rndne_f64_e32 v[71:72], v[71:72]
	v_fma_f64 v[79:80], v[71:72], s[38:39], v[35:36]
	v_fma_f64 v[79:80], v[71:72], s[40:41], v[79:80]
	v_cvt_i32_f64_e32 v71, v[71:72]
	v_fma_f64 v[81:82], v[79:80], s[44:45], s[42:43]
	v_fma_f64 v[81:82], v[79:80], v[81:82], s[46:47]
	v_fma_f64 v[81:82], v[79:80], v[81:82], s[48:49]
	v_fma_f64 v[81:82], v[79:80], v[81:82], s[50:51]
	v_fma_f64 v[81:82], v[79:80], v[81:82], s[52:53]
	v_fma_f64 v[81:82], v[79:80], v[81:82], s[54:55]
	v_fma_f64 v[81:82], v[79:80], v[81:82], s[56:57]
	v_fma_f64 v[81:82], v[79:80], v[81:82], s[58:59]
	v_fma_f64 v[81:82], v[79:80], v[81:82], s[60:61]
	v_fma_f64 v[81:82], v[79:80], v[81:82], 1.0
	v_fma_f64 v[79:80], v[79:80], v[81:82], 1.0
	v_ldexp_f64 v[71:72], v[79:80], v71
	v_cndmask_b32_e64 v72, 0x7ff00000, v72, s31
	s_and_b32 s31, s33, s31
	v_cndmask_b32_e64 v71, 0, v71, s31
	v_cmp_nlt_f64_e64 s31, 0x40900000, v[37:38]
	v_cndmask_b32_e64 v72, 0, v72, s33
	v_cmp_ngt_f64_e64 s33, 0xc090cc00, v[37:38]
	v_add_f64 v[69:70], v[69:70], v[71:72]
	v_mul_f64 v[71:72], v[37:38], s[34:35]
	v_rndne_f64_e32 v[71:72], v[71:72]
	v_fma_f64 v[79:80], v[71:72], s[38:39], v[37:38]
	v_fma_f64 v[79:80], v[71:72], s[40:41], v[79:80]
	v_cvt_i32_f64_e32 v71, v[71:72]
	v_fma_f64 v[81:82], v[79:80], s[44:45], s[42:43]
	v_fma_f64 v[81:82], v[79:80], v[81:82], s[46:47]
	v_fma_f64 v[81:82], v[79:80], v[81:82], s[48:49]
	v_fma_f64 v[81:82], v[79:80], v[81:82], s[50:51]
	v_fma_f64 v[81:82], v[79:80], v[81:82], s[52:53]
	v_fma_f64 v[81:82], v[79:80], v[81:82], s[54:55]
	v_fma_f64 v[81:82], v[79:80], v[81:82], s[56:57]
	v_fma_f64 v[81:82], v[79:80], v[81:82], s[58:59]
	v_fma_f64 v[81:82], v[79:80], v[81:82], s[60:61]
	v_fma_f64 v[81:82], v[79:80], v[81:82], 1.0
	v_fma_f64 v[79:80], v[79:80], v[81:82], 1.0
	v_ldexp_f64 v[71:72], v[79:80], v71
	v_cndmask_b32_e64 v72, 0x7ff00000, v72, s31
	s_and_b32 s31, s33, s31
	v_cndmask_b32_e64 v71, 0, v71, s31
	v_cmp_nlt_f64_e64 s31, 0x40900000, v[39:40]
	v_cndmask_b32_e64 v72, 0, v72, s33
	v_cmp_ngt_f64_e64 s33, 0xc090cc00, v[39:40]
	v_add_f64 v[69:70], v[69:70], v[71:72]
	v_mul_f64 v[71:72], v[39:40], s[34:35]
	v_rndne_f64_e32 v[71:72], v[71:72]
	v_fma_f64 v[79:80], v[71:72], s[38:39], v[39:40]
	v_fma_f64 v[79:80], v[71:72], s[40:41], v[79:80]
	v_cvt_i32_f64_e32 v71, v[71:72]
	v_fma_f64 v[81:82], v[79:80], s[44:45], s[42:43]
	v_fma_f64 v[81:82], v[79:80], v[81:82], s[46:47]
	v_fma_f64 v[81:82], v[79:80], v[81:82], s[48:49]
	v_fma_f64 v[81:82], v[79:80], v[81:82], s[50:51]
	v_fma_f64 v[81:82], v[79:80], v[81:82], s[52:53]
	v_fma_f64 v[81:82], v[79:80], v[81:82], s[54:55]
	v_fma_f64 v[81:82], v[79:80], v[81:82], s[56:57]
	v_fma_f64 v[81:82], v[79:80], v[81:82], s[58:59]
	v_fma_f64 v[81:82], v[79:80], v[81:82], s[60:61]
	v_fma_f64 v[81:82], v[79:80], v[81:82], 1.0
	v_fma_f64 v[79:80], v[79:80], v[81:82], 1.0
	v_ldexp_f64 v[71:72], v[79:80], v71
	v_cndmask_b32_e64 v72, 0x7ff00000, v72, s31
	s_and_b32 s31, s33, s31
	v_cndmask_b32_e64 v71, 0, v71, s31
	v_cmp_nlt_f64_e64 s31, 0x40900000, v[41:42]
	v_cndmask_b32_e64 v72, 0, v72, s33
	v_cmp_ngt_f64_e64 s33, 0xc090cc00, v[41:42]
	v_add_f64 v[69:70], v[69:70], v[71:72]
	v_mul_f64 v[71:72], v[41:42], s[34:35]
	v_rndne_f64_e32 v[71:72], v[71:72]
	v_fma_f64 v[79:80], v[71:72], s[38:39], v[41:42]
	v_fma_f64 v[79:80], v[71:72], s[40:41], v[79:80]
	v_cvt_i32_f64_e32 v71, v[71:72]
	v_fma_f64 v[81:82], v[79:80], s[44:45], s[42:43]
	v_fma_f64 v[81:82], v[79:80], v[81:82], s[46:47]
	v_fma_f64 v[81:82], v[79:80], v[81:82], s[48:49]
	v_fma_f64 v[81:82], v[79:80], v[81:82], s[50:51]
	v_fma_f64 v[81:82], v[79:80], v[81:82], s[52:53]
	v_fma_f64 v[81:82], v[79:80], v[81:82], s[54:55]
	v_fma_f64 v[81:82], v[79:80], v[81:82], s[56:57]
	v_fma_f64 v[81:82], v[79:80], v[81:82], s[58:59]
	v_fma_f64 v[81:82], v[79:80], v[81:82], s[60:61]
	v_fma_f64 v[81:82], v[79:80], v[81:82], 1.0
	v_fma_f64 v[79:80], v[79:80], v[81:82], 1.0
	v_ldexp_f64 v[71:72], v[79:80], v71
	v_cndmask_b32_e64 v72, 0x7ff00000, v72, s31
	s_and_b32 s31, s33, s31
	v_cndmask_b32_e64 v71, 0, v71, s31
	v_cmp_nlt_f64_e64 s31, 0x40900000, v[43:44]
	v_cndmask_b32_e64 v72, 0, v72, s33
	v_cmp_ngt_f64_e64 s33, 0xc090cc00, v[43:44]
	v_add_f64 v[69:70], v[69:70], v[71:72]
	v_mul_f64 v[71:72], v[43:44], s[34:35]
	v_rndne_f64_e32 v[71:72], v[71:72]
	v_fma_f64 v[79:80], v[71:72], s[38:39], v[43:44]
	v_fma_f64 v[79:80], v[71:72], s[40:41], v[79:80]
	v_cvt_i32_f64_e32 v71, v[71:72]
	v_fma_f64 v[81:82], v[79:80], s[44:45], s[42:43]
	v_fma_f64 v[81:82], v[79:80], v[81:82], s[46:47]
	v_fma_f64 v[81:82], v[79:80], v[81:82], s[48:49]
	v_fma_f64 v[81:82], v[79:80], v[81:82], s[50:51]
	v_fma_f64 v[81:82], v[79:80], v[81:82], s[52:53]
	v_fma_f64 v[81:82], v[79:80], v[81:82], s[54:55]
	v_fma_f64 v[81:82], v[79:80], v[81:82], s[56:57]
	v_fma_f64 v[81:82], v[79:80], v[81:82], s[58:59]
	v_fma_f64 v[81:82], v[79:80], v[81:82], s[60:61]
	v_fma_f64 v[81:82], v[79:80], v[81:82], 1.0
	v_fma_f64 v[79:80], v[79:80], v[81:82], 1.0
	v_ldexp_f64 v[71:72], v[79:80], v71
	v_cndmask_b32_e64 v72, 0x7ff00000, v72, s31
	s_and_b32 s31, s33, s31
	v_cndmask_b32_e64 v71, 0, v71, s31
	v_cmp_nlt_f64_e64 s31, 0x40900000, v[45:46]
	v_cndmask_b32_e64 v72, 0, v72, s33
	v_cmp_ngt_f64_e64 s33, 0xc090cc00, v[45:46]
	v_add_f64 v[69:70], v[69:70], v[71:72]
	v_mul_f64 v[71:72], v[45:46], s[34:35]
	v_rndne_f64_e32 v[71:72], v[71:72]
	v_fma_f64 v[79:80], v[71:72], s[38:39], v[45:46]
	v_fma_f64 v[79:80], v[71:72], s[40:41], v[79:80]
	v_cvt_i32_f64_e32 v71, v[71:72]
	v_fma_f64 v[81:82], v[79:80], s[44:45], s[42:43]
	v_fma_f64 v[81:82], v[79:80], v[81:82], s[46:47]
	v_fma_f64 v[81:82], v[79:80], v[81:82], s[48:49]
	v_fma_f64 v[81:82], v[79:80], v[81:82], s[50:51]
	v_fma_f64 v[81:82], v[79:80], v[81:82], s[52:53]
	v_fma_f64 v[81:82], v[79:80], v[81:82], s[54:55]
	v_fma_f64 v[81:82], v[79:80], v[81:82], s[56:57]
	v_fma_f64 v[81:82], v[79:80], v[81:82], s[58:59]
	v_fma_f64 v[81:82], v[79:80], v[81:82], s[60:61]
	v_fma_f64 v[81:82], v[79:80], v[81:82], 1.0
	v_fma_f64 v[79:80], v[79:80], v[81:82], 1.0
	v_ldexp_f64 v[71:72], v[79:80], v71
	v_cndmask_b32_e64 v72, 0x7ff00000, v72, s31
	s_and_b32 s31, s33, s31
	v_cndmask_b32_e64 v71, 0, v71, s31
	v_cmp_nlt_f64_e64 s31, 0x40900000, v[47:48]
	v_cndmask_b32_e64 v72, 0, v72, s33
	v_cmp_ngt_f64_e64 s33, 0xc090cc00, v[47:48]
	v_add_f64 v[69:70], v[69:70], v[71:72]
	v_mul_f64 v[71:72], v[47:48], s[34:35]
	v_rndne_f64_e32 v[71:72], v[71:72]
	v_fma_f64 v[79:80], v[71:72], s[38:39], v[47:48]
	v_fma_f64 v[79:80], v[71:72], s[40:41], v[79:80]
	v_cvt_i32_f64_e32 v71, v[71:72]
	v_fma_f64 v[81:82], v[79:80], s[44:45], s[42:43]
	v_fma_f64 v[81:82], v[79:80], v[81:82], s[46:47]
	v_fma_f64 v[81:82], v[79:80], v[81:82], s[48:49]
	v_fma_f64 v[81:82], v[79:80], v[81:82], s[50:51]
	v_fma_f64 v[81:82], v[79:80], v[81:82], s[52:53]
	v_fma_f64 v[81:82], v[79:80], v[81:82], s[54:55]
	v_fma_f64 v[81:82], v[79:80], v[81:82], s[56:57]
	v_fma_f64 v[81:82], v[79:80], v[81:82], s[58:59]
	v_fma_f64 v[81:82], v[79:80], v[81:82], s[60:61]
	v_fma_f64 v[81:82], v[79:80], v[81:82], 1.0
	v_fma_f64 v[79:80], v[79:80], v[81:82], 1.0
	v_ldexp_f64 v[71:72], v[79:80], v71
	v_cndmask_b32_e64 v72, 0x7ff00000, v72, s31
	s_and_b32 s31, s33, s31
	v_cndmask_b32_e64 v71, 0, v71, s31
	v_cmp_nlt_f64_e64 s31, 0x40900000, v[49:50]
	v_cndmask_b32_e64 v72, 0, v72, s33
	v_cmp_ngt_f64_e64 s33, 0xc090cc00, v[49:50]
	v_add_f64 v[69:70], v[69:70], v[71:72]
	v_mul_f64 v[71:72], v[49:50], s[34:35]
	v_rndne_f64_e32 v[71:72], v[71:72]
	v_fma_f64 v[79:80], v[71:72], s[38:39], v[49:50]
	v_fma_f64 v[79:80], v[71:72], s[40:41], v[79:80]
	v_cvt_i32_f64_e32 v71, v[71:72]
	v_fma_f64 v[81:82], v[79:80], s[44:45], s[42:43]
	v_fma_f64 v[81:82], v[79:80], v[81:82], s[46:47]
	v_fma_f64 v[81:82], v[79:80], v[81:82], s[48:49]
	v_fma_f64 v[81:82], v[79:80], v[81:82], s[50:51]
	v_fma_f64 v[81:82], v[79:80], v[81:82], s[52:53]
	v_fma_f64 v[81:82], v[79:80], v[81:82], s[54:55]
	v_fma_f64 v[81:82], v[79:80], v[81:82], s[56:57]
	v_fma_f64 v[81:82], v[79:80], v[81:82], s[58:59]
	v_fma_f64 v[81:82], v[79:80], v[81:82], s[60:61]
	v_fma_f64 v[81:82], v[79:80], v[81:82], 1.0
	v_fma_f64 v[79:80], v[79:80], v[81:82], 1.0
	v_ldexp_f64 v[71:72], v[79:80], v71
	v_cndmask_b32_e64 v72, 0x7ff00000, v72, s31
	s_and_b32 s31, s33, s31
	v_cndmask_b32_e64 v71, 0, v71, s31
	v_cmp_nlt_f64_e64 s31, 0x40900000, v[53:54]
	v_cndmask_b32_e64 v72, 0, v72, s33
	v_cmp_ngt_f64_e64 s33, 0xc090cc00, v[53:54]
	v_add_f64 v[69:70], v[69:70], v[71:72]
	v_mul_f64 v[71:72], v[53:54], s[34:35]
	v_rndne_f64_e32 v[71:72], v[71:72]
	v_fma_f64 v[79:80], v[71:72], s[38:39], v[53:54]
	v_fma_f64 v[79:80], v[71:72], s[40:41], v[79:80]
	v_cvt_i32_f64_e32 v71, v[71:72]
	v_fma_f64 v[81:82], v[79:80], s[44:45], s[42:43]
	v_fma_f64 v[81:82], v[79:80], v[81:82], s[46:47]
	v_fma_f64 v[81:82], v[79:80], v[81:82], s[48:49]
	v_fma_f64 v[81:82], v[79:80], v[81:82], s[50:51]
	v_fma_f64 v[81:82], v[79:80], v[81:82], s[52:53]
	v_fma_f64 v[81:82], v[79:80], v[81:82], s[54:55]
	v_fma_f64 v[81:82], v[79:80], v[81:82], s[56:57]
	v_fma_f64 v[81:82], v[79:80], v[81:82], s[58:59]
	v_fma_f64 v[81:82], v[79:80], v[81:82], s[60:61]
	v_fma_f64 v[81:82], v[79:80], v[81:82], 1.0
	v_fma_f64 v[79:80], v[79:80], v[81:82], 1.0
	v_ldexp_f64 v[71:72], v[79:80], v71
	v_cndmask_b32_e64 v72, 0x7ff00000, v72, s31
	s_and_b32 s31, s33, s31
	v_cndmask_b32_e64 v71, 0, v71, s31
	v_cmp_nlt_f64_e64 s31, 0x40900000, v[57:58]
	v_cndmask_b32_e64 v72, 0, v72, s33
	v_cmp_ngt_f64_e64 s33, 0xc090cc00, v[57:58]
	v_add_f64 v[69:70], v[69:70], v[71:72]
	v_mul_f64 v[71:72], v[57:58], s[34:35]
	v_rndne_f64_e32 v[71:72], v[71:72]
	v_fma_f64 v[79:80], v[71:72], s[38:39], v[57:58]
	v_fma_f64 v[79:80], v[71:72], s[40:41], v[79:80]
	v_cvt_i32_f64_e32 v71, v[71:72]
	v_fma_f64 v[81:82], v[79:80], s[44:45], s[42:43]
	v_fma_f64 v[81:82], v[79:80], v[81:82], s[46:47]
	v_fma_f64 v[81:82], v[79:80], v[81:82], s[48:49]
	v_fma_f64 v[81:82], v[79:80], v[81:82], s[50:51]
	v_fma_f64 v[81:82], v[79:80], v[81:82], s[52:53]
	v_fma_f64 v[81:82], v[79:80], v[81:82], s[54:55]
	v_fma_f64 v[81:82], v[79:80], v[81:82], s[56:57]
	v_fma_f64 v[81:82], v[79:80], v[81:82], s[58:59]
	v_fma_f64 v[81:82], v[79:80], v[81:82], s[60:61]
	v_fma_f64 v[81:82], v[79:80], v[81:82], 1.0
	v_fma_f64 v[79:80], v[79:80], v[81:82], 1.0
	v_ldexp_f64 v[71:72], v[79:80], v71
	v_cndmask_b32_e64 v72, 0x7ff00000, v72, s31
	s_and_b32 s31, s33, s31
	v_cndmask_b32_e64 v71, 0, v71, s31
	v_cmp_nlt_f64_e64 s31, 0x40900000, v[61:62]
	v_cndmask_b32_e64 v72, 0, v72, s33
	v_cmp_ngt_f64_e64 s33, 0xc090cc00, v[61:62]
	v_add_f64 v[69:70], v[69:70], v[71:72]
	v_mul_f64 v[71:72], v[61:62], s[34:35]
	v_rndne_f64_e32 v[71:72], v[71:72]
	v_fma_f64 v[79:80], v[71:72], s[38:39], v[61:62]
	v_fma_f64 v[79:80], v[71:72], s[40:41], v[79:80]
	v_cvt_i32_f64_e32 v71, v[71:72]
	v_fma_f64 v[81:82], v[79:80], s[44:45], s[42:43]
	v_fma_f64 v[81:82], v[79:80], v[81:82], s[46:47]
	v_fma_f64 v[81:82], v[79:80], v[81:82], s[48:49]
	v_fma_f64 v[81:82], v[79:80], v[81:82], s[50:51]
	v_fma_f64 v[81:82], v[79:80], v[81:82], s[52:53]
	v_fma_f64 v[81:82], v[79:80], v[81:82], s[54:55]
	v_fma_f64 v[81:82], v[79:80], v[81:82], s[56:57]
	v_fma_f64 v[81:82], v[79:80], v[81:82], s[58:59]
	v_fma_f64 v[81:82], v[79:80], v[81:82], s[60:61]
	v_fma_f64 v[81:82], v[79:80], v[81:82], 1.0
	v_fma_f64 v[79:80], v[79:80], v[81:82], 1.0
	v_ldexp_f64 v[71:72], v[79:80], v71
	v_cndmask_b32_e64 v72, 0x7ff00000, v72, s31
	s_and_b32 s31, s33, s31
	v_cndmask_b32_e64 v71, 0, v71, s31
	v_cmp_nlt_f64_e64 s31, 0x40900000, v[67:68]
	v_cndmask_b32_e64 v72, 0, v72, s33
	v_cmp_ngt_f64_e64 s33, 0xc090cc00, v[67:68]
	v_add_f64 v[69:70], v[69:70], v[71:72]
	v_mul_f64 v[71:72], v[67:68], s[34:35]
	v_rndne_f64_e32 v[71:72], v[71:72]
	v_fma_f64 v[79:80], v[71:72], s[38:39], v[67:68]
	v_fma_f64 v[79:80], v[71:72], s[40:41], v[79:80]
	v_cvt_i32_f64_e32 v71, v[71:72]
	v_fma_f64 v[81:82], v[79:80], s[44:45], s[42:43]
	v_fma_f64 v[81:82], v[79:80], v[81:82], s[46:47]
	v_fma_f64 v[81:82], v[79:80], v[81:82], s[48:49]
	v_fma_f64 v[81:82], v[79:80], v[81:82], s[50:51]
	v_fma_f64 v[81:82], v[79:80], v[81:82], s[52:53]
	v_fma_f64 v[81:82], v[79:80], v[81:82], s[54:55]
	v_fma_f64 v[81:82], v[79:80], v[81:82], s[56:57]
	v_fma_f64 v[81:82], v[79:80], v[81:82], s[58:59]
	v_fma_f64 v[81:82], v[79:80], v[81:82], s[60:61]
	v_fma_f64 v[81:82], v[79:80], v[81:82], 1.0
	v_fma_f64 v[79:80], v[79:80], v[81:82], 1.0
	v_ldexp_f64 v[71:72], v[79:80], v71
	v_cndmask_b32_e64 v72, 0x7ff00000, v72, s31
	s_and_b32 s31, s33, s31
	v_cndmask_b32_e64 v71, 0, v71, s31
	v_cmp_nlt_f64_e64 s31, 0x40900000, v[63:64]
	v_cndmask_b32_e64 v72, 0, v72, s33
	v_cmp_ngt_f64_e64 s33, 0xc090cc00, v[63:64]
	v_add_f64 v[69:70], v[69:70], v[71:72]
	v_mul_f64 v[71:72], v[63:64], s[34:35]
	v_rndne_f64_e32 v[71:72], v[71:72]
	v_fma_f64 v[79:80], v[71:72], s[38:39], v[63:64]
	v_fma_f64 v[79:80], v[71:72], s[40:41], v[79:80]
	v_cvt_i32_f64_e32 v71, v[71:72]
	v_fma_f64 v[81:82], v[79:80], s[44:45], s[42:43]
	v_fma_f64 v[81:82], v[79:80], v[81:82], s[46:47]
	v_fma_f64 v[81:82], v[79:80], v[81:82], s[48:49]
	v_fma_f64 v[81:82], v[79:80], v[81:82], s[50:51]
	v_fma_f64 v[81:82], v[79:80], v[81:82], s[52:53]
	v_fma_f64 v[81:82], v[79:80], v[81:82], s[54:55]
	v_fma_f64 v[81:82], v[79:80], v[81:82], s[56:57]
	v_fma_f64 v[81:82], v[79:80], v[81:82], s[58:59]
	v_fma_f64 v[81:82], v[79:80], v[81:82], s[60:61]
	v_fma_f64 v[81:82], v[79:80], v[81:82], 1.0
	v_fma_f64 v[79:80], v[79:80], v[81:82], 1.0
	v_ldexp_f64 v[71:72], v[79:80], v71
	v_cndmask_b32_e64 v72, 0x7ff00000, v72, s31
	s_and_b32 s31, s33, s31
	v_cndmask_b32_e64 v71, 0, v71, s31
	v_cmp_nlt_f64_e64 s31, 0x40900000, v[59:60]
	v_cndmask_b32_e64 v72, 0, v72, s33
	v_cmp_ngt_f64_e64 s33, 0xc090cc00, v[59:60]
	v_add_f64 v[69:70], v[69:70], v[71:72]
	v_mul_f64 v[71:72], v[59:60], s[34:35]
	v_rndne_f64_e32 v[71:72], v[71:72]
	v_fma_f64 v[79:80], v[71:72], s[38:39], v[59:60]
	v_fma_f64 v[79:80], v[71:72], s[40:41], v[79:80]
	v_cvt_i32_f64_e32 v71, v[71:72]
	v_fma_f64 v[81:82], v[79:80], s[44:45], s[42:43]
	v_fma_f64 v[81:82], v[79:80], v[81:82], s[46:47]
	v_fma_f64 v[81:82], v[79:80], v[81:82], s[48:49]
	v_fma_f64 v[81:82], v[79:80], v[81:82], s[50:51]
	v_fma_f64 v[81:82], v[79:80], v[81:82], s[52:53]
	v_fma_f64 v[81:82], v[79:80], v[81:82], s[54:55]
	v_fma_f64 v[81:82], v[79:80], v[81:82], s[56:57]
	v_fma_f64 v[81:82], v[79:80], v[81:82], s[58:59]
	v_fma_f64 v[81:82], v[79:80], v[81:82], s[60:61]
	v_fma_f64 v[81:82], v[79:80], v[81:82], 1.0
	v_fma_f64 v[79:80], v[79:80], v[81:82], 1.0
	v_ldexp_f64 v[71:72], v[79:80], v71
	v_cndmask_b32_e64 v72, 0x7ff00000, v72, s31
	s_and_b32 s31, s33, s31
	v_cndmask_b32_e64 v71, 0, v71, s31
	v_cmp_nlt_f64_e64 s31, 0x40900000, v[55:56]
	v_cndmask_b32_e64 v72, 0, v72, s33
	v_cmp_ngt_f64_e64 s33, 0xc090cc00, v[55:56]
	v_add_f64 v[69:70], v[69:70], v[71:72]
	v_mul_f64 v[71:72], v[55:56], s[34:35]
	v_rndne_f64_e32 v[71:72], v[71:72]
	v_fma_f64 v[79:80], v[71:72], s[38:39], v[55:56]
	v_fma_f64 v[79:80], v[71:72], s[40:41], v[79:80]
	v_cvt_i32_f64_e32 v71, v[71:72]
	v_fma_f64 v[81:82], v[79:80], s[44:45], s[42:43]
	v_fma_f64 v[81:82], v[79:80], v[81:82], s[46:47]
	;; [unrolled: 1-line block ×9, first 2 shown]
	v_fma_f64 v[81:82], v[79:80], v[81:82], 1.0
	v_fma_f64 v[79:80], v[79:80], v[81:82], 1.0
	v_ldexp_f64 v[71:72], v[79:80], v71
	v_cndmask_b32_e64 v72, 0x7ff00000, v72, s31
	s_and_b32 s31, s33, s31
	v_cndmask_b32_e64 v71, 0, v71, s31
	v_cmp_nlt_f64_e64 s31, 0x40900000, v[51:52]
	v_cndmask_b32_e64 v72, 0, v72, s33
	v_cmp_ngt_f64_e64 s33, 0xc090cc00, v[51:52]
	v_add_f64 v[69:70], v[69:70], v[71:72]
	v_fma_f64 v[71:72], v[65:66], s[38:39], v[51:52]
	v_fma_f64 v[71:72], v[65:66], s[40:41], v[71:72]
	v_cvt_i32_f64_e32 v65, v[65:66]
	v_fma_f64 v[79:80], v[71:72], s[44:45], s[42:43]
	v_fma_f64 v[79:80], v[71:72], v[79:80], s[46:47]
	v_fma_f64 v[79:80], v[71:72], v[79:80], s[48:49]
	v_fma_f64 v[79:80], v[71:72], v[79:80], s[50:51]
	v_fma_f64 v[79:80], v[71:72], v[79:80], s[52:53]
	v_fma_f64 v[79:80], v[71:72], v[79:80], s[54:55]
	v_fma_f64 v[79:80], v[71:72], v[79:80], s[56:57]
	v_fma_f64 v[79:80], v[71:72], v[79:80], s[58:59]
	v_fma_f64 v[79:80], v[71:72], v[79:80], s[60:61]
	v_fma_f64 v[79:80], v[71:72], v[79:80], 1.0
	v_fma_f64 v[71:72], v[71:72], v[79:80], 1.0
	v_ldexp_f64 v[65:66], v[71:72], v65
	v_cndmask_b32_e64 v66, 0x7ff00000, v66, s31
	s_and_b32 s31, s33, s31
	v_cndmask_b32_e64 v65, 0, v65, s31
	v_cndmask_b32_e64 v66, 0, v66, s33
	s_mov_b32 s33, exec_lo
	v_add_f64 v[65:66], v[69:70], v[65:66]
	ds_bpermute_b32 v69, v0, v65
	ds_bpermute_b32 v70, v0, v66
	s_waitcnt lgkmcnt(0)
	v_add_f64 v[65:66], v[65:66], v[69:70]
	ds_bpermute_b32 v69, v74, v65
	ds_bpermute_b32 v70, v74, v66
	s_waitcnt lgkmcnt(0)
	;; [unrolled: 4-line block ×5, first 2 shown]
	v_add_f64 v[65:66], v[65:66], v[69:70]
	ds_bpermute_b32 v69, v78, v65
	ds_bpermute_b32 v70, v78, v66
	v_cmpx_lt_i32_e32 0, v73
	s_cbranch_execz .LBB22_98
; %bb.65:
	s_and_b32 exec_lo, exec_lo, s16
	s_cbranch_execz .LBB22_98
; %bb.66:
	s_waitcnt lgkmcnt(0)
	v_add_f64 v[69:70], v[65:66], v[69:70]
	s_mov_b32 s35, 0x3fe55555
	s_mov_b32 s34, 0x55555555
	;; [unrolled: 1-line block ×6, first 2 shown]
	v_frexp_mant_f64_e32 v[65:66], v[69:70]
	v_cmp_gt_f64_e64 s16, s[34:35], v[65:66]
	s_mov_b32 s34, 0x55555780
	v_cndmask_b32_e64 v0, 0, 1, s16
	v_ldexp_f64 v[65:66], v[65:66], v0
	v_frexp_exp_i32_f64_e32 v0, v[69:70]
	v_add_f64 v[71:72], v[65:66], 1.0
	v_add_f64 v[77:78], v[65:66], -1.0
	v_subrev_co_ci_u32_e64 v0, null, 0, v0, s16
	v_cmp_class_f64_e64 s16, v[69:70], 0x204
	v_rcp_f64_e32 v[73:74], v[71:72]
	v_add_f64 v[79:80], v[71:72], -1.0
	v_add_f64 v[65:66], v[65:66], -v[79:80]
	v_fma_f64 v[75:76], -v[71:72], v[73:74], 1.0
	v_fma_f64 v[73:74], v[75:76], v[73:74], v[73:74]
	v_fma_f64 v[75:76], -v[71:72], v[73:74], 1.0
	v_fma_f64 v[73:74], v[75:76], v[73:74], v[73:74]
	v_mul_f64 v[75:76], v[77:78], v[73:74]
	v_mul_f64 v[81:82], v[71:72], v[75:76]
	v_fma_f64 v[71:72], v[75:76], v[71:72], -v[81:82]
	v_fma_f64 v[65:66], v[75:76], v[65:66], v[71:72]
	v_add_f64 v[71:72], v[81:82], v[65:66]
	v_add_f64 v[79:80], v[77:78], -v[71:72]
	v_add_f64 v[81:82], v[71:72], -v[81:82]
	;; [unrolled: 1-line block ×5, first 2 shown]
	v_add_f64 v[65:66], v[65:66], v[71:72]
	v_add_f64 v[65:66], v[79:80], v[65:66]
	v_mul_f64 v[65:66], v[73:74], v[65:66]
	v_add_f64 v[71:72], v[75:76], v[65:66]
	v_mul_f64 v[73:74], v[71:72], v[71:72]
	v_fma_f64 v[77:78], v[73:74], s[40:41], s[38:39]
	s_mov_b32 s38, 0xd7f4df2e
	s_mov_b32 s39, 0x3fc7474d
	v_mul_f64 v[79:80], v[71:72], v[73:74]
	v_fma_f64 v[77:78], v[73:74], v[77:78], s[38:39]
	s_mov_b32 s38, 0x16291751
	s_mov_b32 s39, 0x3fcc71c0
	v_fma_f64 v[77:78], v[73:74], v[77:78], s[38:39]
	s_mov_b32 s38, 0x9b27acf1
	s_mov_b32 s39, 0x3fd24924
	;; [unrolled: 3-line block ×3, first 2 shown]
	v_fma_f64 v[77:78], v[73:74], v[77:78], s[38:39]
	v_fma_f64 v[73:74], v[73:74], v[77:78], s[34:35]
	v_ldexp_f64 v[77:78], v[71:72], 1
	v_add_f64 v[71:72], v[71:72], -v[75:76]
	s_mov_b32 s34, 0xfefa39ef
	s_mov_b32 s35, 0x3fe62e42
	v_mul_f64 v[73:74], v[79:80], v[73:74]
	v_cvt_f64_i32_e32 v[79:80], v0
	v_add_f64 v[65:66], v[65:66], -v[71:72]
	v_add_f64 v[75:76], v[77:78], v[73:74]
	v_mul_f64 v[81:82], v[79:80], s[34:35]
	v_ldexp_f64 v[65:66], v[65:66], 1
	v_add_f64 v[71:72], v[75:76], -v[77:78]
	v_fma_f64 v[77:78], v[79:80], s[34:35], -v[81:82]
	s_mov_b32 s34, 0x3b39803f
	s_mov_b32 s35, 0x3c7abc9e
	v_add_f64 v[71:72], v[73:74], -v[71:72]
	v_fma_f64 v[73:74], v[79:80], s[34:35], v[77:78]
	v_add_f64 v[65:66], v[65:66], v[71:72]
	v_add_f64 v[71:72], v[81:82], v[73:74]
	v_add_f64 v[77:78], v[75:76], v[65:66]
	v_add_f64 v[81:82], v[71:72], -v[81:82]
	v_add_f64 v[79:80], v[71:72], v[77:78]
	v_add_f64 v[75:76], v[77:78], -v[75:76]
	v_add_f64 v[73:74], v[73:74], -v[81:82]
	;; [unrolled: 1-line block ×6, first 2 shown]
	v_add_f64 v[77:78], v[73:74], v[65:66]
	v_add_f64 v[71:72], v[71:72], -v[85:86]
	v_add_f64 v[71:72], v[75:76], v[71:72]
	v_add_f64 v[75:76], v[77:78], -v[73:74]
	;; [unrolled: 2-line block ×3, first 2 shown]
	v_add_f64 v[65:66], v[65:66], -v[75:76]
	v_add_f64 v[81:82], v[79:80], v[71:72]
	v_add_f64 v[73:74], v[73:74], -v[77:78]
	v_add_f64 v[75:76], v[81:82], -v[79:80]
	v_add_f64 v[65:66], v[65:66], v[73:74]
	v_add_f64 v[71:72], v[71:72], -v[75:76]
	v_add_f64 v[65:66], v[65:66], v[71:72]
	v_add_f64 v[65:66], v[81:82], v[65:66]
	v_cndmask_b32_e64 v0, v65, v69, s16
	v_cndmask_b32_e64 v65, v66, v70, s16
	v_cmp_ngt_f64_e64 s16, 0, v[69:70]
	v_cndmask_b32_e64 v66, 0x7ff80000, v65, s16
	v_cmp_nge_f64_e64 s16, 0, v[69:70]
	v_cndmask_b32_e64 v65, 0, v0, s16
	v_cmp_neq_f64_e64 s16, 0, v[69:70]
	v_cndmask_b32_e64 v66, 0xfff00000, v66, s16
	v_add_co_u32 v0, s16, s36, v1
	v_add_co_ci_u32_e64 v1, null, s37, v2, s16
	v_add_f64 v[3:4], v[3:4], -v[65:66]
	global_store_dwordx2 v[0:1], v[3:4], off
	s_and_b32 exec_lo, exec_lo, vcc_lo
	s_cbranch_execz .LBB22_98
; %bb.67:
	v_add_f64 v[2:3], v[5:6], -v[65:66]
	global_store_dwordx2 v[0:1], v[2:3], off offset:512
	s_and_b32 exec_lo, exec_lo, s0
	s_cbranch_execz .LBB22_98
; %bb.68:
	v_add_f64 v[2:3], v[7:8], -v[65:66]
	global_store_dwordx2 v[0:1], v[2:3], off offset:1024
	s_and_b32 exec_lo, exec_lo, s1
	s_cbranch_execz .LBB22_98
; %bb.69:
	v_add_f64 v[2:3], v[9:10], -v[65:66]
	global_store_dwordx2 v[0:1], v[2:3], off offset:1536
	s_and_b32 exec_lo, exec_lo, s2
	s_cbranch_execz .LBB22_98
; %bb.70:
	v_add_f64 v[4:5], v[11:12], -v[65:66]
	v_add_co_u32 v2, vcc_lo, 0x800, v0
	v_add_co_ci_u32_e64 v3, null, 0, v1, vcc_lo
	global_store_dwordx2 v[2:3], v[4:5], off
	s_and_b32 exec_lo, exec_lo, s3
	s_cbranch_execz .LBB22_98
; %bb.71:
	v_add_f64 v[4:5], v[13:14], -v[65:66]
	global_store_dwordx2 v[2:3], v[4:5], off offset:512
	s_and_b32 exec_lo, exec_lo, s4
	s_cbranch_execz .LBB22_98
; %bb.72:
	v_add_f64 v[4:5], v[15:16], -v[65:66]
	global_store_dwordx2 v[2:3], v[4:5], off offset:1024
	s_and_b32 exec_lo, exec_lo, s5
	s_cbranch_execz .LBB22_98
; %bb.73:
	v_add_f64 v[4:5], v[17:18], -v[65:66]
	global_store_dwordx2 v[2:3], v[4:5], off offset:1536
	s_and_b32 exec_lo, exec_lo, s6
	s_cbranch_execz .LBB22_98
; %bb.74:
	v_add_f64 v[4:5], v[19:20], -v[65:66]
	v_add_co_u32 v2, vcc_lo, 0x1000, v0
	v_add_co_ci_u32_e64 v3, null, 0, v1, vcc_lo
	global_store_dwordx2 v[2:3], v[4:5], off
	s_and_b32 exec_lo, exec_lo, s7
	;; [unrolled: 22-line block ×7, first 2 shown]
	s_cbranch_execz .LBB22_98
; %bb.95:
	v_add_f64 v[2:3], v[59:60], -v[65:66]
	global_store_dwordx2 v[0:1], v[2:3], off offset:512
	s_and_b32 exec_lo, exec_lo, s29
	s_cbranch_execz .LBB22_98
; %bb.96:
	v_add_f64 v[2:3], v[55:56], -v[65:66]
	global_store_dwordx2 v[0:1], v[2:3], off offset:1024
	s_and_b32 exec_lo, exec_lo, s30
	s_cbranch_execz .LBB22_98
; %bb.97:
	v_add_f64 v[2:3], v[51:52], -v[65:66]
	global_store_dwordx2 v[0:1], v[2:3], off offset:1536
.LBB22_98:
	s_endpgm
	.section	.rodata,"a",@progbits
	.p2align	6, 0x0
	.amdhsa_kernel _ZN12_GLOBAL__N_120softmax_warp_forwardIdddLi11ELb1ELb0ELi64EEEvPT0_PKT_iiiPKbib
		.amdhsa_group_segment_fixed_size 0
		.amdhsa_private_segment_fixed_size 0
		.amdhsa_kernarg_size 304
		.amdhsa_user_sgpr_count 6
		.amdhsa_user_sgpr_private_segment_buffer 1
		.amdhsa_user_sgpr_dispatch_ptr 0
		.amdhsa_user_sgpr_queue_ptr 0
		.amdhsa_user_sgpr_kernarg_segment_ptr 1
		.amdhsa_user_sgpr_dispatch_id 0
		.amdhsa_user_sgpr_flat_scratch_init 0
		.amdhsa_user_sgpr_private_segment_size 0
		.amdhsa_wavefront_size32 1
		.amdhsa_uses_dynamic_stack 0
		.amdhsa_system_sgpr_private_segment_wavefront_offset 0
		.amdhsa_system_sgpr_workgroup_id_x 1
		.amdhsa_system_sgpr_workgroup_id_y 0
		.amdhsa_system_sgpr_workgroup_id_z 0
		.amdhsa_system_sgpr_workgroup_info 0
		.amdhsa_system_vgpr_workitem_id 1
		.amdhsa_next_free_vgpr 87
		.amdhsa_next_free_sgpr 62
		.amdhsa_reserve_vcc 1
		.amdhsa_reserve_flat_scratch 0
		.amdhsa_float_round_mode_32 0
		.amdhsa_float_round_mode_16_64 0
		.amdhsa_float_denorm_mode_32 3
		.amdhsa_float_denorm_mode_16_64 3
		.amdhsa_dx10_clamp 1
		.amdhsa_ieee_mode 1
		.amdhsa_fp16_overflow 0
		.amdhsa_workgroup_processor_mode 1
		.amdhsa_memory_ordered 1
		.amdhsa_forward_progress 1
		.amdhsa_shared_vgpr_count 0
		.amdhsa_exception_fp_ieee_invalid_op 0
		.amdhsa_exception_fp_denorm_src 0
		.amdhsa_exception_fp_ieee_div_zero 0
		.amdhsa_exception_fp_ieee_overflow 0
		.amdhsa_exception_fp_ieee_underflow 0
		.amdhsa_exception_fp_ieee_inexact 0
		.amdhsa_exception_int_div_zero 0
	.end_amdhsa_kernel
	.section	.text._ZN12_GLOBAL__N_120softmax_warp_forwardIdddLi11ELb1ELb0ELi64EEEvPT0_PKT_iiiPKbib,"axG",@progbits,_ZN12_GLOBAL__N_120softmax_warp_forwardIdddLi11ELb1ELb0ELi64EEEvPT0_PKT_iiiPKbib,comdat
.Lfunc_end22:
	.size	_ZN12_GLOBAL__N_120softmax_warp_forwardIdddLi11ELb1ELb0ELi64EEEvPT0_PKT_iiiPKbib, .Lfunc_end22-_ZN12_GLOBAL__N_120softmax_warp_forwardIdddLi11ELb1ELb0ELi64EEEvPT0_PKT_iiiPKbib
                                        ; -- End function
	.set _ZN12_GLOBAL__N_120softmax_warp_forwardIdddLi11ELb1ELb0ELi64EEEvPT0_PKT_iiiPKbib.num_vgpr, 87
	.set _ZN12_GLOBAL__N_120softmax_warp_forwardIdddLi11ELb1ELb0ELi64EEEvPT0_PKT_iiiPKbib.num_agpr, 0
	.set _ZN12_GLOBAL__N_120softmax_warp_forwardIdddLi11ELb1ELb0ELi64EEEvPT0_PKT_iiiPKbib.numbered_sgpr, 62
	.set _ZN12_GLOBAL__N_120softmax_warp_forwardIdddLi11ELb1ELb0ELi64EEEvPT0_PKT_iiiPKbib.num_named_barrier, 0
	.set _ZN12_GLOBAL__N_120softmax_warp_forwardIdddLi11ELb1ELb0ELi64EEEvPT0_PKT_iiiPKbib.private_seg_size, 0
	.set _ZN12_GLOBAL__N_120softmax_warp_forwardIdddLi11ELb1ELb0ELi64EEEvPT0_PKT_iiiPKbib.uses_vcc, 1
	.set _ZN12_GLOBAL__N_120softmax_warp_forwardIdddLi11ELb1ELb0ELi64EEEvPT0_PKT_iiiPKbib.uses_flat_scratch, 0
	.set _ZN12_GLOBAL__N_120softmax_warp_forwardIdddLi11ELb1ELb0ELi64EEEvPT0_PKT_iiiPKbib.has_dyn_sized_stack, 0
	.set _ZN12_GLOBAL__N_120softmax_warp_forwardIdddLi11ELb1ELb0ELi64EEEvPT0_PKT_iiiPKbib.has_recursion, 0
	.set _ZN12_GLOBAL__N_120softmax_warp_forwardIdddLi11ELb1ELb0ELi64EEEvPT0_PKT_iiiPKbib.has_indirect_call, 0
	.section	.AMDGPU.csdata,"",@progbits
; Kernel info:
; codeLenInByte = 11980
; TotalNumSgprs: 64
; NumVgprs: 87
; ScratchSize: 0
; MemoryBound: 0
; FloatMode: 240
; IeeeMode: 1
; LDSByteSize: 0 bytes/workgroup (compile time only)
; SGPRBlocks: 0
; VGPRBlocks: 10
; NumSGPRsForWavesPerEU: 64
; NumVGPRsForWavesPerEU: 87
; Occupancy: 10
; WaveLimiterHint : 0
; COMPUTE_PGM_RSRC2:SCRATCH_EN: 0
; COMPUTE_PGM_RSRC2:USER_SGPR: 6
; COMPUTE_PGM_RSRC2:TRAP_HANDLER: 0
; COMPUTE_PGM_RSRC2:TGID_X_EN: 1
; COMPUTE_PGM_RSRC2:TGID_Y_EN: 0
; COMPUTE_PGM_RSRC2:TGID_Z_EN: 0
; COMPUTE_PGM_RSRC2:TIDIG_COMP_CNT: 1
	.section	.text._ZN12_GLOBAL__N_120softmax_warp_forwardIdddLi11ELb1ELb0ELi32EEEvPT0_PKT_iiiPKbib,"axG",@progbits,_ZN12_GLOBAL__N_120softmax_warp_forwardIdddLi11ELb1ELb0ELi32EEEvPT0_PKT_iiiPKbib,comdat
	.globl	_ZN12_GLOBAL__N_120softmax_warp_forwardIdddLi11ELb1ELb0ELi32EEEvPT0_PKT_iiiPKbib ; -- Begin function _ZN12_GLOBAL__N_120softmax_warp_forwardIdddLi11ELb1ELb0ELi32EEEvPT0_PKT_iiiPKbib
	.p2align	8
	.type	_ZN12_GLOBAL__N_120softmax_warp_forwardIdddLi11ELb1ELb0ELi32EEEvPT0_PKT_iiiPKbib,@function
_ZN12_GLOBAL__N_120softmax_warp_forwardIdddLi11ELb1ELb0ELi32EEEvPT0_PKT_iiiPKbib: ; @_ZN12_GLOBAL__N_120softmax_warp_forwardIdddLi11ELb1ELb0ELi32EEEvPT0_PKT_iiiPKbib
; %bb.0:
	s_mov_b64 s[98:99], s[2:3]
	s_mov_b64 s[96:97], s[0:1]
	s_clause 0x1
	s_load_dword s0, s[4:5], 0x3c
	s_load_dwordx8 s[68:75], s[4:5], 0x0
	s_add_u32 s96, s96, s7
	s_addc_u32 s97, s97, 0
	v_mov_b32_e32 v101, 0
	v_mov_b32_e32 v105, 0
	;; [unrolled: 1-line block ×4, first 2 shown]
	s_waitcnt lgkmcnt(0)
	s_lshr_b32 s0, s0, 16
	v_cmp_gt_i32_e64 s23, s74, v0
	v_mad_u64_u32 v[1:2], null, s6, s0, v[1:2]
	v_mad_u64_u32 v[2:3], null, v1, s73, v[0:1]
	v_sub_nc_u32_e32 v4, s72, v1
	buffer_store_dword v4, off, s[96:99], 0 offset:24 ; 4-byte Folded Spill
	v_ashrrev_i32_e32 v3, 31, v2
	v_cmp_lt_i32_e64 s64, 0, v4
	v_lshlrev_b64 v[1:2], 3, v[2:3]
	s_and_b32 s1, s64, s23
	v_add_co_u32 v123, vcc_lo, s70, v1
	buffer_store_dword v1, off, s[96:99], 0 offset:220 ; 4-byte Folded Spill
	buffer_store_dword v2, off, s[96:99], 0 offset:224 ; 4-byte Folded Spill
	v_add_co_ci_u32_e64 v124, null, s71, v2, vcc_lo
	s_and_saveexec_b32 s0, s1
	s_cbranch_execz .LBB23_2
; %bb.1:
	global_load_dwordx2 v[105:106], v[123:124], off
.LBB23_2:
	s_or_b32 exec_lo, exec_lo, s0
	v_add_nc_u32_e32 v1, 32, v0
	v_cmp_gt_i32_e32 vcc_lo, s74, v1
	s_and_b32 s1, s64, vcc_lo
	s_and_saveexec_b32 s0, s1
	s_cbranch_execz .LBB23_4
; %bb.3:
	global_load_dwordx2 v[101:102], v[123:124], off offset:256
.LBB23_4:
	s_or_b32 exec_lo, exec_lo, s0
	v_add_nc_u32_e32 v1, 64, v0
	v_mov_b32_e32 v5, 0
	v_mov_b32_e32 v3, 0
	;; [unrolled: 1-line block ×4, first 2 shown]
	v_cmp_gt_i32_e64 s0, s74, v1
	s_and_b32 s2, s64, s0
	s_and_saveexec_b32 s1, s2
	s_cbranch_execz .LBB23_6
; %bb.5:
	global_load_dwordx2 v[3:4], v[123:124], off offset:512
.LBB23_6:
	s_or_b32 exec_lo, exec_lo, s1
	v_add_nc_u32_e32 v1, 0x60, v0
	v_cmp_gt_i32_e64 s1, s74, v1
	s_and_b32 s3, s64, s1
	s_and_saveexec_b32 s2, s3
	s_cbranch_execz .LBB23_8
; %bb.7:
	global_load_dwordx2 v[5:6], v[123:124], off offset:768
.LBB23_8:
	s_or_b32 exec_lo, exec_lo, s2
	v_add_nc_u32_e32 v1, 0x80, v0
	v_mov_b32_e32 v29, 0
	v_mov_b32_e32 v11, 0
	;; [unrolled: 1-line block ×4, first 2 shown]
	v_cmp_gt_i32_e64 s2, s74, v1
	s_and_b32 s4, s64, s2
	s_and_saveexec_b32 s3, s4
	s_cbranch_execz .LBB23_10
; %bb.9:
	global_load_dwordx2 v[11:12], v[123:124], off offset:1024
.LBB23_10:
	s_or_b32 exec_lo, exec_lo, s3
	v_add_nc_u32_e32 v1, 0xa0, v0
	v_cmp_gt_i32_e64 s3, s74, v1
	s_and_b32 s5, s64, s3
	s_and_saveexec_b32 s4, s5
	s_cbranch_execz .LBB23_12
; %bb.11:
	global_load_dwordx2 v[29:30], v[123:124], off offset:1280
.LBB23_12:
	s_or_b32 exec_lo, exec_lo, s4
	v_add_nc_u32_e32 v1, 0xc0, v0
	v_mov_b32_e32 v31, 0
	v_mov_b32_e32 v32, 0xfff00000
	v_cmp_gt_i32_e64 s4, s74, v1
	v_mov_b32_e32 v1, 0
	v_mov_b32_e32 v2, 0xfff00000
	buffer_store_dword v1, off, s[96:99], 0 offset:16 ; 4-byte Folded Spill
	buffer_store_dword v2, off, s[96:99], 0 offset:20 ; 4-byte Folded Spill
	s_and_b32 s6, s64, s4
	s_and_saveexec_b32 s5, s6
	s_cbranch_execz .LBB23_14
; %bb.13:
	global_load_dwordx2 v[31:32], v[123:124], off offset:1536
.LBB23_14:
	s_or_b32 exec_lo, exec_lo, s5
	v_add_nc_u32_e32 v1, 0xe0, v0
	v_cmp_gt_i32_e64 s5, s74, v1
	s_and_b32 s7, s64, s5
	s_and_saveexec_b32 s6, s7
	s_cbranch_execz .LBB23_16
; %bb.15:
	global_load_dwordx2 v[1:2], v[123:124], off offset:1792
	s_waitcnt vmcnt(0)
	buffer_store_dword v1, off, s[96:99], 0 offset:16 ; 4-byte Folded Spill
	buffer_store_dword v2, off, s[96:99], 0 offset:20 ; 4-byte Folded Spill
.LBB23_16:
	s_or_b32 exec_lo, exec_lo, s6
	v_add_nc_u32_e32 v1, 0x100, v0
	v_mov_b32_e32 v15, 0
	v_mov_b32_e32 v13, 0
	;; [unrolled: 1-line block ×4, first 2 shown]
	v_cmp_gt_i32_e64 s6, s74, v1
	s_and_b32 s7, s64, s6
	s_and_saveexec_b32 s8, s7
	s_cbranch_execz .LBB23_18
; %bb.17:
	v_add_co_u32 v1, s7, 0x800, v123
	v_add_co_ci_u32_e64 v2, null, 0, v124, s7
	global_load_dwordx2 v[13:14], v[1:2], off
.LBB23_18:
	s_or_b32 exec_lo, exec_lo, s8
	v_add_nc_u32_e32 v1, 0x120, v0
	v_cmp_gt_i32_e64 s7, s74, v1
	s_and_b32 s8, s64, s7
	s_and_saveexec_b32 s9, s8
	s_cbranch_execz .LBB23_20
; %bb.19:
	v_add_co_u32 v1, s8, 0x800, v123
	v_add_co_ci_u32_e64 v2, null, 0, v124, s8
	global_load_dwordx2 v[15:16], v[1:2], off offset:256
.LBB23_20:
	s_or_b32 exec_lo, exec_lo, s9
	v_add_nc_u32_e32 v1, 0x140, v0
	v_mov_b32_e32 v19, 0
	v_mov_b32_e32 v17, 0
	v_mov_b32_e32 v20, 0xfff00000
	v_mov_b32_e32 v18, 0xfff00000
	v_cmp_gt_i32_e64 s8, s74, v1
	s_and_b32 s9, s64, s8
	s_and_saveexec_b32 s10, s9
	s_cbranch_execz .LBB23_22
; %bb.21:
	v_add_co_u32 v1, s9, 0x800, v123
	v_add_co_ci_u32_e64 v2, null, 0, v124, s9
	global_load_dwordx2 v[17:18], v[1:2], off offset:512
.LBB23_22:
	s_or_b32 exec_lo, exec_lo, s10
	v_add_nc_u32_e32 v1, 0x160, v0
	v_cmp_gt_i32_e64 s9, s74, v1
	s_and_b32 s10, s64, s9
	s_and_saveexec_b32 s11, s10
	s_cbranch_execz .LBB23_24
; %bb.23:
	v_add_co_u32 v1, s10, 0x800, v123
	v_add_co_ci_u32_e64 v2, null, 0, v124, s10
	global_load_dwordx2 v[19:20], v[1:2], off offset:768
.LBB23_24:
	s_or_b32 exec_lo, exec_lo, s11
	v_add_nc_u32_e32 v1, 0x180, v0
	v_mov_b32_e32 v23, 0
	v_mov_b32_e32 v21, 0
	v_mov_b32_e32 v24, 0xfff00000
	v_mov_b32_e32 v22, 0xfff00000
	v_cmp_gt_i32_e64 s10, s74, v1
	s_and_b32 s11, s64, s10
	s_and_saveexec_b32 s12, s11
	s_cbranch_execz .LBB23_26
; %bb.25:
	v_add_co_u32 v1, s11, 0x800, v123
	v_add_co_ci_u32_e64 v2, null, 0, v124, s11
	global_load_dwordx2 v[21:22], v[1:2], off offset:1024
.LBB23_26:
	;; [unrolled: 26-line block ×3, first 2 shown]
	s_or_b32 exec_lo, exec_lo, s14
	v_add_nc_u32_e32 v1, 0x1e0, v0
	v_cmp_gt_i32_e64 s13, s74, v1
	s_and_b32 s14, s64, s13
	s_and_saveexec_b32 s15, s14
	s_cbranch_execz .LBB23_32
; %bb.31:
	v_add_co_u32 v1, s14, 0x800, v123
	v_add_co_ci_u32_e64 v2, null, 0, v124, s14
	global_load_dwordx2 v[27:28], v[1:2], off offset:1792
.LBB23_32:
	s_or_b32 exec_lo, exec_lo, s15
	v_add_nc_u32_e32 v1, 0x200, v0
	v_cmp_gt_i32_e64 s14, s74, v1
	v_mov_b32_e32 v1, 0
	v_mov_b32_e32 v2, 0xfff00000
	buffer_store_dword v1, off, s[96:99], 0 ; 4-byte Folded Spill
	buffer_store_dword v2, off, s[96:99], 0 offset:4 ; 4-byte Folded Spill
	v_mov_b32_e32 v1, 0
	v_mov_b32_e32 v2, 0xfff00000
	s_and_b32 s15, s64, s14
	buffer_store_dword v1, off, s[96:99], 0 offset:8 ; 4-byte Folded Spill
	buffer_store_dword v2, off, s[96:99], 0 offset:12 ; 4-byte Folded Spill
	s_and_saveexec_b32 s16, s15
	s_cbranch_execz .LBB23_34
; %bb.33:
	v_add_co_u32 v1, s15, 0x1000, v123
	v_add_co_ci_u32_e64 v2, null, 0, v124, s15
	global_load_dwordx2 v[1:2], v[1:2], off
	s_waitcnt vmcnt(0)
	buffer_store_dword v1, off, s[96:99], 0 offset:8 ; 4-byte Folded Spill
	buffer_store_dword v2, off, s[96:99], 0 offset:12 ; 4-byte Folded Spill
.LBB23_34:
	s_or_b32 exec_lo, exec_lo, s16
	v_add_nc_u32_e32 v1, 0x220, v0
	v_cmp_gt_i32_e64 s15, s74, v1
	s_and_b32 s16, s64, s15
	s_and_saveexec_b32 s17, s16
	s_cbranch_execz .LBB23_36
; %bb.35:
	v_add_co_u32 v1, s16, 0x1000, v123
	v_add_co_ci_u32_e64 v2, null, 0, v124, s16
	global_load_dwordx2 v[1:2], v[1:2], off offset:256
	s_waitcnt vmcnt(0)
	buffer_store_dword v1, off, s[96:99], 0 ; 4-byte Folded Spill
	buffer_store_dword v2, off, s[96:99], 0 offset:4 ; 4-byte Folded Spill
.LBB23_36:
	s_or_b32 exec_lo, exec_lo, s17
	v_add_nc_u32_e32 v1, 0x240, v0
	v_mov_b32_e32 v35, 0
	v_mov_b32_e32 v33, 0
	v_mov_b32_e32 v36, 0xfff00000
	v_mov_b32_e32 v34, 0xfff00000
	v_cmp_gt_i32_e64 s16, s74, v1
	s_and_b32 s17, s64, s16
	s_and_saveexec_b32 s18, s17
	s_cbranch_execz .LBB23_38
; %bb.37:
	v_add_co_u32 v1, s17, 0x1000, v123
	v_add_co_ci_u32_e64 v2, null, 0, v124, s17
	global_load_dwordx2 v[33:34], v[1:2], off offset:512
.LBB23_38:
	s_or_b32 exec_lo, exec_lo, s18
	v_add_nc_u32_e32 v1, 0x260, v0
	v_cmp_gt_i32_e64 s17, s74, v1
	s_and_b32 s18, s64, s17
	s_and_saveexec_b32 s19, s18
	s_cbranch_execz .LBB23_40
; %bb.39:
	v_add_co_u32 v1, s18, 0x1000, v123
	v_add_co_ci_u32_e64 v2, null, 0, v124, s18
	global_load_dwordx2 v[35:36], v[1:2], off offset:768
.LBB23_40:
	s_or_b32 exec_lo, exec_lo, s19
	v_add_nc_u32_e32 v1, 0x280, v0
	v_mov_b32_e32 v39, 0
	v_mov_b32_e32 v37, 0
	v_mov_b32_e32 v40, 0xfff00000
	v_mov_b32_e32 v38, 0xfff00000
	v_cmp_gt_i32_e64 s18, s74, v1
	s_and_b32 s19, s64, s18
	s_and_saveexec_b32 s20, s19
	s_cbranch_execz .LBB23_42
; %bb.41:
	v_add_co_u32 v1, s19, 0x1000, v123
	v_add_co_ci_u32_e64 v2, null, 0, v124, s19
	global_load_dwordx2 v[37:38], v[1:2], off offset:1024
.LBB23_42:
	s_or_b32 exec_lo, exec_lo, s20
	v_add_nc_u32_e32 v1, 0x2a0, v0
	v_cmp_gt_i32_e64 s19, s74, v1
	s_and_b32 s20, s64, s19
	s_and_saveexec_b32 s21, s20
	s_cbranch_execz .LBB23_44
; %bb.43:
	v_add_co_u32 v1, s20, 0x1000, v123
	v_add_co_ci_u32_e64 v2, null, 0, v124, s20
	global_load_dwordx2 v[39:40], v[1:2], off offset:1280
.LBB23_44:
	;; [unrolled: 26-line block ×3, first 2 shown]
	s_or_b32 exec_lo, exec_lo, s24
	v_add_nc_u32_e32 v1, 0x300, v0
	v_mov_b32_e32 v47, 0
	v_mov_b32_e32 v45, 0
	;; [unrolled: 1-line block ×4, first 2 shown]
	v_cmp_gt_i32_e64 s22, s74, v1
	s_and_b32 s24, s64, s22
	s_and_saveexec_b32 s25, s24
	s_cbranch_execz .LBB23_50
; %bb.49:
	v_add_co_u32 v1, s24, 0x1800, v123
	v_add_co_ci_u32_e64 v2, null, 0, v124, s24
	global_load_dwordx2 v[45:46], v[1:2], off
.LBB23_50:
	s_or_b32 exec_lo, exec_lo, s25
	v_add_nc_u32_e32 v1, 0x320, v0
	v_cmp_gt_i32_e64 s24, s74, v1
	s_and_b32 s25, s64, s24
	s_and_saveexec_b32 s26, s25
	s_cbranch_execz .LBB23_52
; %bb.51:
	v_add_co_u32 v1, s25, 0x1800, v123
	v_add_co_ci_u32_e64 v2, null, 0, v124, s25
	global_load_dwordx2 v[47:48], v[1:2], off offset:256
.LBB23_52:
	s_or_b32 exec_lo, exec_lo, s26
	v_add_nc_u32_e32 v1, 0x340, v0
	v_mov_b32_e32 v51, 0
	v_mov_b32_e32 v49, 0
	v_mov_b32_e32 v52, 0xfff00000
	v_mov_b32_e32 v50, 0xfff00000
	v_cmp_gt_i32_e64 s25, s74, v1
	s_and_b32 s26, s64, s25
	s_and_saveexec_b32 s27, s26
	s_cbranch_execz .LBB23_54
; %bb.53:
	v_add_co_u32 v1, s26, 0x1800, v123
	v_add_co_ci_u32_e64 v2, null, 0, v124, s26
	global_load_dwordx2 v[49:50], v[1:2], off offset:512
.LBB23_54:
	s_or_b32 exec_lo, exec_lo, s27
	v_add_nc_u32_e32 v1, 0x360, v0
	v_cmp_gt_i32_e64 s26, s74, v1
	s_and_b32 s27, s64, s26
	s_and_saveexec_b32 s28, s27
	s_cbranch_execz .LBB23_56
; %bb.55:
	v_add_co_u32 v1, s27, 0x1800, v123
	v_add_co_ci_u32_e64 v2, null, 0, v124, s27
	global_load_dwordx2 v[51:52], v[1:2], off offset:768
.LBB23_56:
	s_or_b32 exec_lo, exec_lo, s28
	v_add_nc_u32_e32 v1, 0x380, v0
	v_mov_b32_e32 v55, 0
	v_mov_b32_e32 v53, 0
	v_mov_b32_e32 v56, 0xfff00000
	v_mov_b32_e32 v54, 0xfff00000
	v_cmp_gt_i32_e64 s27, s74, v1
	s_and_b32 s28, s64, s27
	s_and_saveexec_b32 s29, s28
	s_cbranch_execz .LBB23_58
; %bb.57:
	v_add_co_u32 v1, s28, 0x1800, v123
	v_add_co_ci_u32_e64 v2, null, 0, v124, s28
	global_load_dwordx2 v[53:54], v[1:2], off offset:1024
.LBB23_58:
	;; [unrolled: 26-line block ×3, first 2 shown]
	s_or_b32 exec_lo, exec_lo, s31
	v_add_nc_u32_e32 v1, 0x3e0, v0
	v_cmp_gt_i32_e64 s30, s74, v1
	s_and_b32 s31, s64, s30
	s_and_saveexec_b32 s33, s31
	s_cbranch_execz .LBB23_64
; %bb.63:
	v_add_co_u32 v1, s31, 0x1800, v123
	v_add_co_ci_u32_e64 v2, null, 0, v124, s31
	global_load_dwordx2 v[59:60], v[1:2], off offset:1792
.LBB23_64:
	s_or_b32 exec_lo, exec_lo, s33
	v_or_b32_e32 v1, 0x400, v0
	v_mov_b32_e32 v63, 0
	v_mov_b32_e32 v61, 0
	;; [unrolled: 1-line block ×4, first 2 shown]
	v_cmp_gt_i32_e64 s31, s74, v1
	s_and_b32 s33, s64, s31
	s_and_saveexec_b32 s34, s33
	s_cbranch_execz .LBB23_66
; %bb.65:
	v_add_co_u32 v1, s33, 0x2000, v123
	v_add_co_ci_u32_e64 v2, null, 0, v124, s33
	global_load_dwordx2 v[61:62], v[1:2], off
.LBB23_66:
	s_or_b32 exec_lo, exec_lo, s34
	v_add_nc_u32_e32 v1, 0x420, v0
	v_cmp_gt_i32_e64 s33, s74, v1
	s_and_b32 s34, s64, s33
	s_and_saveexec_b32 s35, s34
	s_cbranch_execz .LBB23_68
; %bb.67:
	v_add_co_u32 v1, s34, 0x2000, v123
	v_add_co_ci_u32_e64 v2, null, 0, v124, s34
	global_load_dwordx2 v[63:64], v[1:2], off offset:256
.LBB23_68:
	s_or_b32 exec_lo, exec_lo, s35
	v_add_nc_u32_e32 v1, 0x440, v0
	v_mov_b32_e32 v67, 0
	v_mov_b32_e32 v65, 0
	v_mov_b32_e32 v68, 0xfff00000
	v_mov_b32_e32 v66, 0xfff00000
	v_cmp_gt_i32_e64 s34, s74, v1
	s_and_b32 s35, s64, s34
	s_and_saveexec_b32 s36, s35
	s_cbranch_execz .LBB23_70
; %bb.69:
	v_add_co_u32 v1, s35, 0x2000, v123
	v_add_co_ci_u32_e64 v2, null, 0, v124, s35
	global_load_dwordx2 v[65:66], v[1:2], off offset:512
.LBB23_70:
	s_or_b32 exec_lo, exec_lo, s36
	v_add_nc_u32_e32 v1, 0x460, v0
	v_cmp_gt_i32_e64 s35, s74, v1
	s_and_b32 s36, s64, s35
	s_and_saveexec_b32 s37, s36
	s_cbranch_execz .LBB23_72
; %bb.71:
	v_add_co_u32 v1, s36, 0x2000, v123
	v_add_co_ci_u32_e64 v2, null, 0, v124, s36
	global_load_dwordx2 v[67:68], v[1:2], off offset:768
.LBB23_72:
	s_or_b32 exec_lo, exec_lo, s37
	v_add_nc_u32_e32 v1, 0x480, v0
	v_mov_b32_e32 v71, 0
	v_mov_b32_e32 v69, 0
	v_mov_b32_e32 v72, 0xfff00000
	v_mov_b32_e32 v70, 0xfff00000
	v_cmp_gt_i32_e64 s36, s74, v1
	s_and_b32 s37, s64, s36
	s_and_saveexec_b32 s38, s37
	s_cbranch_execz .LBB23_74
; %bb.73:
	v_add_co_u32 v1, s37, 0x2000, v123
	v_add_co_ci_u32_e64 v2, null, 0, v124, s37
	global_load_dwordx2 v[69:70], v[1:2], off offset:1024
.LBB23_74:
	;; [unrolled: 26-line block ×3, first 2 shown]
	s_or_b32 exec_lo, exec_lo, s40
	v_add_nc_u32_e32 v1, 0x4e0, v0
	v_cmp_gt_i32_e64 s39, s74, v1
	s_and_b32 s40, s64, s39
	s_and_saveexec_b32 s41, s40
	s_cbranch_execz .LBB23_80
; %bb.79:
	v_add_co_u32 v1, s40, 0x2000, v123
	v_add_co_ci_u32_e64 v2, null, 0, v124, s40
	global_load_dwordx2 v[75:76], v[1:2], off offset:1792
.LBB23_80:
	s_or_b32 exec_lo, exec_lo, s41
	v_add_nc_u32_e32 v1, 0x500, v0
	v_mov_b32_e32 v79, 0
	v_mov_b32_e32 v77, 0
	;; [unrolled: 1-line block ×4, first 2 shown]
	v_cmp_gt_i32_e64 s40, s74, v1
	s_and_b32 s41, s64, s40
	s_and_saveexec_b32 s42, s41
	s_cbranch_execz .LBB23_82
; %bb.81:
	v_add_co_u32 v1, s41, 0x2800, v123
	v_add_co_ci_u32_e64 v2, null, 0, v124, s41
	global_load_dwordx2 v[77:78], v[1:2], off
.LBB23_82:
	s_or_b32 exec_lo, exec_lo, s42
	v_add_nc_u32_e32 v1, 0x520, v0
	v_cmp_gt_i32_e64 s41, s74, v1
	s_and_b32 s42, s64, s41
	s_and_saveexec_b32 s43, s42
	s_cbranch_execz .LBB23_84
; %bb.83:
	v_add_co_u32 v1, s42, 0x2800, v123
	v_add_co_ci_u32_e64 v2, null, 0, v124, s42
	global_load_dwordx2 v[79:80], v[1:2], off offset:256
.LBB23_84:
	s_or_b32 exec_lo, exec_lo, s43
	v_add_nc_u32_e32 v1, 0x540, v0
	v_mov_b32_e32 v83, 0
	v_mov_b32_e32 v81, 0
	v_mov_b32_e32 v84, 0xfff00000
	v_mov_b32_e32 v82, 0xfff00000
	v_cmp_gt_i32_e64 s42, s74, v1
	s_and_b32 s43, s64, s42
	s_and_saveexec_b32 s44, s43
	s_cbranch_execz .LBB23_86
; %bb.85:
	v_add_co_u32 v1, s43, 0x2800, v123
	v_add_co_ci_u32_e64 v2, null, 0, v124, s43
	global_load_dwordx2 v[81:82], v[1:2], off offset:512
.LBB23_86:
	s_or_b32 exec_lo, exec_lo, s44
	v_add_nc_u32_e32 v1, 0x560, v0
	v_cmp_gt_i32_e64 s43, s74, v1
	s_and_b32 s44, s64, s43
	s_and_saveexec_b32 s45, s44
	s_cbranch_execz .LBB23_88
; %bb.87:
	v_add_co_u32 v1, s44, 0x2800, v123
	v_add_co_ci_u32_e64 v2, null, 0, v124, s44
	global_load_dwordx2 v[83:84], v[1:2], off offset:768
.LBB23_88:
	s_or_b32 exec_lo, exec_lo, s45
	v_add_nc_u32_e32 v1, 0x580, v0
	v_mov_b32_e32 v87, 0
	v_mov_b32_e32 v85, 0
	v_mov_b32_e32 v88, 0xfff00000
	v_mov_b32_e32 v86, 0xfff00000
	v_cmp_gt_i32_e64 s44, s74, v1
	s_and_b32 s45, s64, s44
	s_and_saveexec_b32 s46, s45
	s_cbranch_execz .LBB23_90
; %bb.89:
	v_add_co_u32 v1, s45, 0x2800, v123
	v_add_co_ci_u32_e64 v2, null, 0, v124, s45
	global_load_dwordx2 v[85:86], v[1:2], off offset:1024
.LBB23_90:
	;; [unrolled: 26-line block ×3, first 2 shown]
	s_or_b32 exec_lo, exec_lo, s48
	v_add_nc_u32_e32 v1, 0x5e0, v0
	v_cmp_gt_i32_e64 s47, s74, v1
	s_and_b32 s48, s64, s47
	s_and_saveexec_b32 s49, s48
	s_cbranch_execz .LBB23_96
; %bb.95:
	v_add_co_u32 v1, s48, 0x2800, v123
	v_add_co_ci_u32_e64 v2, null, 0, v124, s48
	global_load_dwordx2 v[91:92], v[1:2], off offset:1792
.LBB23_96:
	s_or_b32 exec_lo, exec_lo, s49
	v_add_nc_u32_e32 v1, 0x600, v0
	v_mov_b32_e32 v95, 0
	v_mov_b32_e32 v93, 0
	;; [unrolled: 1-line block ×4, first 2 shown]
	v_cmp_gt_i32_e64 s48, s74, v1
	s_and_b32 s49, s64, s48
	s_and_saveexec_b32 s50, s49
	s_cbranch_execz .LBB23_98
; %bb.97:
	v_add_co_u32 v1, s49, 0x3000, v123
	v_add_co_ci_u32_e64 v2, null, 0, v124, s49
	global_load_dwordx2 v[93:94], v[1:2], off
.LBB23_98:
	s_or_b32 exec_lo, exec_lo, s50
	v_add_nc_u32_e32 v1, 0x620, v0
	v_cmp_gt_i32_e64 s49, s74, v1
	s_and_b32 s50, s64, s49
	s_and_saveexec_b32 s51, s50
	s_cbranch_execz .LBB23_100
; %bb.99:
	v_add_co_u32 v1, s50, 0x3000, v123
	v_add_co_ci_u32_e64 v2, null, 0, v124, s50
	global_load_dwordx2 v[95:96], v[1:2], off offset:256
.LBB23_100:
	s_or_b32 exec_lo, exec_lo, s51
	v_add_nc_u32_e32 v1, 0x640, v0
	v_mov_b32_e32 v99, 0
	v_mov_b32_e32 v97, 0
	v_mov_b32_e32 v100, 0xfff00000
	v_mov_b32_e32 v98, 0xfff00000
	v_cmp_gt_i32_e64 s50, s74, v1
	s_and_b32 s51, s64, s50
	s_and_saveexec_b32 s52, s51
	s_cbranch_execz .LBB23_102
; %bb.101:
	v_add_co_u32 v1, s51, 0x3000, v123
	v_add_co_ci_u32_e64 v2, null, 0, v124, s51
	global_load_dwordx2 v[97:98], v[1:2], off offset:512
.LBB23_102:
	s_or_b32 exec_lo, exec_lo, s52
	v_add_nc_u32_e32 v1, 0x660, v0
	v_cmp_gt_i32_e64 s51, s74, v1
	s_and_b32 s52, s64, s51
	s_and_saveexec_b32 s53, s52
	s_cbranch_execz .LBB23_104
; %bb.103:
	v_add_co_u32 v1, s52, 0x3000, v123
	v_add_co_ci_u32_e64 v2, null, 0, v124, s52
	global_load_dwordx2 v[99:100], v[1:2], off offset:768
.LBB23_104:
	s_or_b32 exec_lo, exec_lo, s53
	v_add_nc_u32_e32 v1, 0x680, v0
	v_mov_b32_e32 v107, 0
	v_mov_b32_e32 v103, 0
	v_mov_b32_e32 v108, 0xfff00000
	v_mov_b32_e32 v104, 0xfff00000
	v_cmp_gt_i32_e64 s52, s74, v1
	s_and_b32 s53, s64, s52
	s_and_saveexec_b32 s54, s53
	s_cbranch_execz .LBB23_106
; %bb.105:
	v_add_co_u32 v1, s53, 0x3000, v123
	v_add_co_ci_u32_e64 v2, null, 0, v124, s53
	global_load_dwordx2 v[103:104], v[1:2], off offset:1024
.LBB23_106:
	;; [unrolled: 26-line block ×3, first 2 shown]
	s_or_b32 exec_lo, exec_lo, s56
	v_add_nc_u32_e32 v7, 0x6e0, v0
	v_cmp_gt_i32_e64 s55, s74, v7
	s_and_b32 s56, s64, s55
	s_and_saveexec_b32 s57, s56
	s_cbranch_execz .LBB23_112
; %bb.111:
	v_add_co_u32 v7, s56, 0x3000, v123
	v_add_co_ci_u32_e64 v8, null, 0, v124, s56
	global_load_dwordx2 v[117:118], v[7:8], off offset:1792
.LBB23_112:
	s_or_b32 exec_lo, exec_lo, s57
	v_add_nc_u32_e32 v7, 0x700, v0
	v_mov_b32_e32 v1, 0
	v_mov_b32_e32 v119, 0
	v_mov_b32_e32 v2, 0xfff00000
	v_mov_b32_e32 v120, 0xfff00000
	v_cmp_gt_i32_e64 s56, s74, v7
	s_and_b32 s57, s64, s56
	s_and_saveexec_b32 s58, s57
	s_cbranch_execz .LBB23_114
; %bb.113:
	v_add_co_u32 v7, s57, 0x3800, v123
	v_add_co_ci_u32_e64 v8, null, 0, v124, s57
	global_load_dwordx2 v[119:120], v[7:8], off
.LBB23_114:
	s_or_b32 exec_lo, exec_lo, s58
	v_add_nc_u32_e32 v109, 0x720, v0
	v_cmp_gt_i32_e64 s57, s74, v109
	s_and_b32 s58, s64, s57
	s_and_saveexec_b32 s59, s58
	s_cbranch_execz .LBB23_116
; %bb.115:
	v_add_co_u32 v109, s58, 0x3800, v123
	v_add_co_ci_u32_e64 v110, null, 0, v124, s58
	global_load_dwordx2 v[1:2], v[109:110], off offset:256
.LBB23_116:
	s_or_b32 exec_lo, exec_lo, s59
	v_add_nc_u32_e32 v109, 0x740, v0
	v_mov_b32_e32 v7, 0
	v_mov_b32_e32 v9, 0
	v_mov_b32_e32 v8, 0xfff00000
	v_mov_b32_e32 v10, 0xfff00000
	v_cmp_gt_i32_e64 s58, s74, v109
	s_and_b32 s59, s64, s58
	s_and_saveexec_b32 s60, s59
	s_cbranch_execz .LBB23_118
; %bb.117:
	v_add_co_u32 v109, s59, 0x3800, v123
	v_add_co_ci_u32_e64 v110, null, 0, v124, s59
	global_load_dwordx2 v[9:10], v[109:110], off offset:512
.LBB23_118:
	s_or_b32 exec_lo, exec_lo, s60
	v_add_nc_u32_e32 v109, 0x760, v0
	v_cmp_gt_i32_e64 s59, s74, v109
	s_and_b32 s60, s64, s59
	s_and_saveexec_b32 s61, s60
	s_cbranch_execz .LBB23_120
; %bb.119:
	v_add_co_u32 v109, s60, 0x3800, v123
	v_add_co_ci_u32_e64 v110, null, 0, v124, s60
	global_load_dwordx2 v[7:8], v[109:110], off offset:768
.LBB23_120:
	s_or_b32 exec_lo, exec_lo, s61
	v_add_nc_u32_e32 v109, 0x780, v0
	v_mov_b32_e32 v121, 0
	v_mov_b32_e32 v125, 0
	v_mov_b32_e32 v122, 0xfff00000
	v_mov_b32_e32 v126, 0xfff00000
	v_cmp_gt_i32_e64 s60, s74, v109
	s_and_b32 s61, s64, s60
	s_and_saveexec_b32 s62, s61
	s_cbranch_execz .LBB23_122
; %bb.121:
	v_add_co_u32 v113, s61, 0x3800, v123
	v_add_co_ci_u32_e64 v114, null, 0, v124, s61
	global_load_dwordx2 v[125:126], v[113:114], off offset:1024
.LBB23_122:
	;; [unrolled: 26-line block ×3, first 2 shown]
	s_or_b32 exec_lo, exec_lo, s65
	v_add_nc_u32_e32 v0, 0x7e0, v0
	v_cmp_gt_i32_e64 s63, s74, v0
	s_and_b32 s64, s64, s63
	s_and_saveexec_b32 s65, s64
	s_cbranch_execz .LBB23_128
; %bb.127:
	v_add_co_u32 v109, s64, 0x3800, v123
	v_add_co_ci_u32_e64 v110, null, 0, v124, s64
	global_load_dwordx2 v[113:114], v[109:110], off offset:1792
.LBB23_128:
	s_or_b32 exec_lo, exec_lo, s65
	s_waitcnt vmcnt(0)
	v_cmp_gt_f64_e64 s64, v[105:106], v[101:102]
	buffer_store_dword v113, off, s[96:99], 0 offset:44 ; 4-byte Folded Spill
	buffer_store_dword v114, off, s[96:99], 0 offset:48 ; 4-byte Folded Spill
	v_mbcnt_lo_u32_b32 v0, -1, 0
	s_mov_b32 s66, 0x652b82fe
	s_mov_b32 s67, 0x3ff71547
	;; [unrolled: 1-line block ×19, first 2 shown]
	v_cndmask_b32_e64 v110, v102, v106, s64
	v_cndmask_b32_e64 v109, v101, v105, s64
	s_mov_b32 s87, 0x3f811111
	s_mov_b32 s88, 0x555502a1
	;; [unrolled: 1-line block ×4, first 2 shown]
	v_cmp_gt_f64_e64 s64, v[109:110], v[3:4]
	s_mov_b32 s91, 0x3fc55555
	s_mov_b32 s92, 11
	;; [unrolled: 1-line block ×3, first 2 shown]
	v_cndmask_b32_e64 v110, v4, v110, s64
	v_cndmask_b32_e64 v109, v3, v109, s64
	v_cmp_gt_f64_e64 s64, v[109:110], v[5:6]
	v_cndmask_b32_e64 v110, v6, v110, s64
	v_cndmask_b32_e64 v109, v5, v109, s64
	v_cmp_gt_f64_e64 s64, v[109:110], v[11:12]
	;; [unrolled: 3-line block ×3, first 2 shown]
	v_cndmask_b32_e64 v110, v30, v110, s64
	v_cndmask_b32_e64 v109, v29, v109, s64
	buffer_store_dword v29, off, s[96:99], 0 offset:212 ; 4-byte Folded Spill
	buffer_store_dword v30, off, s[96:99], 0 offset:216 ; 4-byte Folded Spill
	s_clause 0x3
	buffer_load_dword v29, off, s[96:99], 0 offset:16
	buffer_load_dword v30, off, s[96:99], 0 offset:20
	;; [unrolled: 1-line block ×4, first 2 shown]
	v_cmp_gt_f64_e64 s64, v[109:110], v[31:32]
	v_cndmask_b32_e64 v110, v32, v110, s64
	v_cndmask_b32_e64 v109, v31, v109, s64
	s_waitcnt vmcnt(2)
	v_cmp_gt_f64_e64 s64, v[109:110], v[29:30]
	v_cndmask_b32_e64 v110, v30, v110, s64
	v_cndmask_b32_e64 v109, v29, v109, s64
	v_cmp_gt_f64_e64 s64, v[109:110], v[13:14]
	v_cndmask_b32_e64 v110, v14, v110, s64
	v_cndmask_b32_e64 v109, v13, v109, s64
	;; [unrolled: 3-line block ×9, first 2 shown]
	s_waitcnt vmcnt(0)
	v_cmp_gt_f64_e64 s64, v[109:110], v[123:124]
	v_cndmask_b32_e64 v110, v124, v110, s64
	v_cndmask_b32_e64 v109, v123, v109, s64
	s_clause 0x1
	buffer_load_dword v123, off, s[96:99], 0
	buffer_load_dword v124, off, s[96:99], 0 offset:4
	buffer_store_dword v83, off, s[96:99], 0 offset:204 ; 4-byte Folded Spill
	buffer_store_dword v84, off, s[96:99], 0 offset:208 ; 4-byte Folded Spill
	;; [unrolled: 1-line block ×38, first 2 shown]
	s_waitcnt vmcnt(0)
	v_cmp_gt_f64_e64 s64, v[109:110], v[123:124]
	v_cndmask_b32_e64 v110, v124, v110, s64
	v_cndmask_b32_e64 v109, v123, v109, s64
	v_cmp_gt_f64_e64 s64, v[109:110], v[33:34]
	v_cndmask_b32_e64 v110, v34, v110, s64
	v_cndmask_b32_e64 v109, v33, v109, s64
	;; [unrolled: 3-line block ×46, first 2 shown]
	v_cmp_gt_f64_e64 s64, v[109:110], v[113:114]
	v_cndmask_b32_e64 v109, v113, v109, s64
	v_xor_b32_e32 v113, 16, v0
	v_cndmask_b32_e64 v110, v114, v110, s64
	v_cmp_gt_i32_e64 s64, 32, v113
	v_cndmask_b32_e64 v113, v0, v113, s64
	v_lshlrev_b32_e32 v113, 2, v113
	ds_bpermute_b32 v123, v113, v109
	ds_bpermute_b32 v124, v113, v110
	buffer_store_dword v113, off, s[96:99], 0 offset:28 ; 4-byte Folded Spill
	v_xor_b32_e32 v113, 8, v0
	s_waitcnt lgkmcnt(0)
	v_cmp_lt_f64_e64 s64, v[109:110], v[123:124]
	v_cndmask_b32_e64 v110, v110, v124, s64
	v_cndmask_b32_e64 v109, v109, v123, s64
	v_cmp_gt_i32_e64 s64, 32, v113
	v_cndmask_b32_e64 v113, v0, v113, s64
	v_lshlrev_b32_e32 v113, 2, v113
	ds_bpermute_b32 v123, v113, v109
	ds_bpermute_b32 v124, v113, v110
	buffer_store_dword v113, off, s[96:99], 0 offset:32 ; 4-byte Folded Spill
	v_xor_b32_e32 v113, 4, v0
	s_waitcnt lgkmcnt(0)
	v_cmp_lt_f64_e64 s64, v[109:110], v[123:124]
	v_cndmask_b32_e64 v110, v110, v124, s64
	;; [unrolled: 11-line block ×3, first 2 shown]
	v_cndmask_b32_e64 v109, v109, v123, s64
	v_cmp_gt_i32_e64 s64, 32, v113
	v_cndmask_b32_e64 v113, v0, v113, s64
	v_lshlrev_b32_e32 v113, 2, v113
	ds_bpermute_b32 v123, v113, v109
	ds_bpermute_b32 v124, v113, v110
	buffer_store_dword v113, off, s[96:99], 0 offset:40 ; 4-byte Folded Spill
	v_xor_b32_e32 v113, 1, v0
	buffer_store_dword v115, off, s[96:99], 0 offset:52 ; 4-byte Folded Spill
	buffer_store_dword v116, off, s[96:99], 0 offset:56 ; 4-byte Folded Spill
	s_waitcnt lgkmcnt(0)
	v_cmp_lt_f64_e64 s64, v[109:110], v[123:124]
	v_cndmask_b32_e64 v110, v110, v124, s64
	v_cndmask_b32_e64 v109, v109, v123, s64
	v_cmp_gt_i32_e64 s64, 32, v113
	v_cndmask_b32_e64 v0, v0, v113, s64
	v_lshlrev_b32_e32 v127, 2, v0
	ds_bpermute_b32 v123, v127, v109
	ds_bpermute_b32 v124, v127, v110
	s_waitcnt lgkmcnt(0)
	v_cmp_lt_f64_e64 s64, v[109:110], v[123:124]
	v_cndmask_b32_e64 v124, v110, v124, s64
	v_cndmask_b32_e64 v123, v109, v123, s64
	v_add_f64 v[115:116], v[105:106], -v[123:124]
	v_add_f64 v[11:12], v[11:12], -v[123:124]
	v_add_f64 v[83:84], v[77:78], -v[123:124]
	v_add_f64 v[85:86], v[79:80], -v[123:124]
	v_add_f64 v[87:88], v[81:82], -v[123:124]
	v_mul_f64 v[105:106], v[115:116], s[66:67]
	v_cmp_nlt_f64_e64 s64, 0x40900000, v[115:116]
	v_rndne_f64_e32 v[105:106], v[105:106]
	v_fma_f64 v[109:110], v[105:106], s[70:71], v[115:116]
	buffer_store_dword v115, off, s[96:99], 0 offset:228 ; 4-byte Folded Spill
	buffer_store_dword v116, off, s[96:99], 0 offset:232 ; 4-byte Folded Spill
	v_cvt_i32_f64_e32 v0, v[105:106]
	v_fma_f64 v[109:110], v[105:106], s[72:73], v[109:110]
	v_fma_f64 v[113:114], v[109:110], s[76:77], s[74:75]
	;; [unrolled: 1-line block ×10, first 2 shown]
	v_fma_f64 v[113:114], v[109:110], v[113:114], 1.0
	v_fma_f64 v[109:110], v[109:110], v[113:114], 1.0
	v_ldexp_f64 v[105:106], v[109:110], v0
	v_add_f64 v[105:106], v[105:106], 0
	v_cmp_ngt_f64_e64 s65, 0xc090cc00, v[115:116]
	v_add_f64 v[115:116], v[101:102], -v[123:124]
	v_cndmask_b32_e64 v0, 0x7ff00000, v106, s64
	s_and_b32 s64, s65, s64
	v_mul_f64 v[101:102], v[115:116], s[66:67]
	v_cndmask_b32_e64 v105, 0, v105, s64
	v_cmp_nlt_f64_e64 s64, 0x40900000, v[115:116]
	v_cndmask_b32_e64 v106, 0, v0, s65
	v_rndne_f64_e32 v[101:102], v[101:102]
	v_fma_f64 v[109:110], v[101:102], s[70:71], v[115:116]
	buffer_store_dword v115, off, s[96:99], 0 offset:252 ; 4-byte Folded Spill
	buffer_store_dword v116, off, s[96:99], 0 offset:256 ; 4-byte Folded Spill
	v_cvt_i32_f64_e32 v0, v[101:102]
	v_fma_f64 v[109:110], v[101:102], s[72:73], v[109:110]
	v_fma_f64 v[113:114], v[109:110], s[76:77], s[74:75]
	;; [unrolled: 1-line block ×10, first 2 shown]
	v_fma_f64 v[113:114], v[109:110], v[113:114], 1.0
	v_fma_f64 v[109:110], v[109:110], v[113:114], 1.0
	v_add_f64 v[113:114], v[3:4], -v[123:124]
	v_ldexp_f64 v[101:102], v[109:110], v0
	v_mul_f64 v[3:4], v[113:114], s[66:67]
	v_cndmask_b32_e64 v0, 0x7ff00000, v102, s64
	v_rndne_f64_e32 v[3:4], v[3:4]
	v_cmp_ngt_f64_e64 s65, 0xc090cc00, v[115:116]
	s_and_b32 s64, s65, s64
	v_cndmask_b32_e64 v102, 0, v0, s65
	v_cndmask_b32_e64 v101, 0, v101, s64
	v_cmp_nlt_f64_e64 s64, 0x40900000, v[113:114]
	v_cvt_i32_f64_e32 v0, v[3:4]
	v_add_f64 v[101:102], v[105:106], v[101:102]
	v_fma_f64 v[105:106], v[3:4], s[70:71], v[113:114]
	buffer_store_dword v113, off, s[96:99], 0 offset:260 ; 4-byte Folded Spill
	buffer_store_dword v114, off, s[96:99], 0 offset:264 ; 4-byte Folded Spill
	v_fma_f64 v[105:106], v[3:4], s[72:73], v[105:106]
	v_fma_f64 v[109:110], v[105:106], s[76:77], s[74:75]
	;; [unrolled: 1-line block ×10, first 2 shown]
	v_fma_f64 v[109:110], v[105:106], v[109:110], 1.0
	v_fma_f64 v[105:106], v[105:106], v[109:110], 1.0
	v_add_f64 v[109:110], v[5:6], -v[123:124]
	v_ldexp_f64 v[3:4], v[105:106], v0
	v_mul_f64 v[5:6], v[109:110], s[66:67]
	v_cndmask_b32_e64 v0, 0x7ff00000, v4, s64
	v_rndne_f64_e32 v[5:6], v[5:6]
	v_cmp_ngt_f64_e64 s65, 0xc090cc00, v[113:114]
	s_and_b32 s64, s65, s64
	v_cndmask_b32_e64 v4, 0, v0, s65
	v_cndmask_b32_e64 v3, 0, v3, s64
	v_cmp_nlt_f64_e64 s64, 0x40900000, v[109:110]
	v_cvt_i32_f64_e32 v0, v[5:6]
	v_add_f64 v[3:4], v[101:102], v[3:4]
	v_fma_f64 v[101:102], v[5:6], s[70:71], v[109:110]
	buffer_store_dword v109, off, s[96:99], 0 offset:268 ; 4-byte Folded Spill
	buffer_store_dword v110, off, s[96:99], 0 offset:272 ; 4-byte Folded Spill
	v_fma_f64 v[101:102], v[5:6], s[72:73], v[101:102]
	v_fma_f64 v[105:106], v[101:102], s[76:77], s[74:75]
	;; [unrolled: 1-line block ×10, first 2 shown]
	v_fma_f64 v[105:106], v[101:102], v[105:106], 1.0
	v_fma_f64 v[101:102], v[101:102], v[105:106], 1.0
	v_ldexp_f64 v[5:6], v[101:102], v0
	v_cndmask_b32_e64 v0, 0x7ff00000, v6, s64
	v_cmp_ngt_f64_e64 s65, 0xc090cc00, v[109:110]
	s_and_b32 s64, s65, s64
	v_cndmask_b32_e64 v6, 0, v0, s65
	v_cndmask_b32_e64 v5, 0, v5, s64
	v_cmp_nlt_f64_e64 s64, 0x40900000, v[11:12]
	v_add_f64 v[3:4], v[3:4], v[5:6]
	v_mul_f64 v[5:6], v[11:12], s[66:67]
	v_rndne_f64_e32 v[5:6], v[5:6]
	v_fma_f64 v[101:102], v[5:6], s[70:71], v[11:12]
	buffer_store_dword v11, off, s[96:99], 0 offset:276 ; 4-byte Folded Spill
	buffer_store_dword v12, off, s[96:99], 0 offset:280 ; 4-byte Folded Spill
	v_cvt_i32_f64_e32 v0, v[5:6]
	v_fma_f64 v[101:102], v[5:6], s[72:73], v[101:102]
	v_fma_f64 v[105:106], v[101:102], s[76:77], s[74:75]
	;; [unrolled: 1-line block ×10, first 2 shown]
	v_fma_f64 v[105:106], v[101:102], v[105:106], 1.0
	v_fma_f64 v[101:102], v[101:102], v[105:106], 1.0
	v_ldexp_f64 v[5:6], v[101:102], v0
	v_cndmask_b32_e64 v0, 0x7ff00000, v6, s64
	v_cmp_ngt_f64_e64 s65, 0xc090cc00, v[11:12]
	v_add_f64 v[11:12], v[15:16], -v[123:124]
	v_cndmask_b32_e64 v6, 0, v0, s65
	s_clause 0x1
	buffer_load_dword v0, off, s[96:99], 0 offset:212
	buffer_load_dword v1, off, s[96:99], 0 offset:216
	s_and_b32 s64, s65, s64
	v_cndmask_b32_e64 v5, 0, v5, s64
	v_add_f64 v[3:4], v[3:4], v[5:6]
	s_waitcnt vmcnt(0)
	v_add_f64 v[1:2], v[0:1], -v[123:124]
	v_mul_f64 v[5:6], v[1:2], s[66:67]
	v_cmp_nlt_f64_e64 s64, 0x40900000, v[1:2]
	v_rndne_f64_e32 v[5:6], v[5:6]
	v_fma_f64 v[101:102], v[5:6], s[70:71], v[1:2]
	buffer_store_dword v1, off, s[96:99], 0 offset:244 ; 4-byte Folded Spill
	buffer_store_dword v2, off, s[96:99], 0 offset:248 ; 4-byte Folded Spill
	v_cvt_i32_f64_e32 v0, v[5:6]
	v_fma_f64 v[101:102], v[5:6], s[72:73], v[101:102]
	v_fma_f64 v[105:106], v[101:102], s[76:77], s[74:75]
	;; [unrolled: 1-line block ×10, first 2 shown]
	v_fma_f64 v[105:106], v[101:102], v[105:106], 1.0
	v_fma_f64 v[101:102], v[101:102], v[105:106], 1.0
	v_ldexp_f64 v[5:6], v[101:102], v0
	v_cndmask_b32_e64 v0, 0x7ff00000, v6, s64
	v_cmp_ngt_f64_e64 s65, 0xc090cc00, v[1:2]
	v_add_f64 v[1:2], v[31:32], -v[123:124]
	v_add_f64 v[31:32], v[73:74], -v[123:124]
	s_and_b32 s64, s65, s64
	v_cndmask_b32_e64 v6, 0, v0, s65
	v_cndmask_b32_e64 v5, 0, v5, s64
	v_cmp_nlt_f64_e64 s64, 0x40900000, v[1:2]
	v_add_f64 v[3:4], v[3:4], v[5:6]
	v_mul_f64 v[5:6], v[1:2], s[66:67]
	v_rndne_f64_e32 v[5:6], v[5:6]
	v_fma_f64 v[101:102], v[5:6], s[70:71], v[1:2]
	buffer_store_dword v1, off, s[96:99], 0 offset:236 ; 4-byte Folded Spill
	buffer_store_dword v2, off, s[96:99], 0 offset:240 ; 4-byte Folded Spill
	v_cvt_i32_f64_e32 v0, v[5:6]
	v_fma_f64 v[101:102], v[5:6], s[72:73], v[101:102]
	v_fma_f64 v[105:106], v[101:102], s[76:77], s[74:75]
	;; [unrolled: 1-line block ×10, first 2 shown]
	v_fma_f64 v[105:106], v[101:102], v[105:106], 1.0
	v_fma_f64 v[101:102], v[101:102], v[105:106], 1.0
	v_ldexp_f64 v[5:6], v[101:102], v0
	v_cndmask_b32_e64 v0, 0x7ff00000, v6, s64
	v_cmp_ngt_f64_e64 s65, 0xc090cc00, v[1:2]
	v_add_f64 v[1:2], v[29:30], -v[123:124]
	v_add_f64 v[29:30], v[75:76], -v[123:124]
	s_and_b32 s64, s65, s64
	v_cndmask_b32_e64 v6, 0, v0, s65
	v_cndmask_b32_e64 v5, 0, v5, s64
	v_cmp_nlt_f64_e64 s64, 0x40900000, v[1:2]
	v_add_f64 v[3:4], v[3:4], v[5:6]
	v_mul_f64 v[5:6], v[1:2], s[66:67]
	v_rndne_f64_e32 v[5:6], v[5:6]
	v_fma_f64 v[101:102], v[5:6], s[70:71], v[1:2]
	buffer_store_dword v1, off, s[96:99], 0 offset:212 ; 4-byte Folded Spill
	buffer_store_dword v2, off, s[96:99], 0 offset:216 ; 4-byte Folded Spill
	v_cvt_i32_f64_e32 v0, v[5:6]
	v_fma_f64 v[101:102], v[5:6], s[72:73], v[101:102]
	v_fma_f64 v[105:106], v[101:102], s[76:77], s[74:75]
	v_fma_f64 v[105:106], v[101:102], v[105:106], s[78:79]
	v_fma_f64 v[105:106], v[101:102], v[105:106], s[80:81]
	v_fma_f64 v[105:106], v[101:102], v[105:106], s[82:83]
	v_fma_f64 v[105:106], v[101:102], v[105:106], s[84:85]
	v_fma_f64 v[105:106], v[101:102], v[105:106], s[86:87]
	v_fma_f64 v[105:106], v[101:102], v[105:106], s[88:89]
	v_fma_f64 v[105:106], v[101:102], v[105:106], s[90:91]
	v_fma_f64 v[105:106], v[101:102], v[105:106], s[92:93]
	v_fma_f64 v[105:106], v[101:102], v[105:106], 1.0
	v_fma_f64 v[101:102], v[101:102], v[105:106], 1.0
	v_ldexp_f64 v[5:6], v[101:102], v0
	v_cndmask_b32_e64 v0, 0x7ff00000, v6, s64
	v_cmp_ngt_f64_e64 s65, 0xc090cc00, v[1:2]
	v_add_f64 v[1:2], v[13:14], -v[123:124]
	s_and_b32 s64, s65, s64
	v_cndmask_b32_e64 v6, 0, v0, s65
	v_cndmask_b32_e64 v5, 0, v5, s64
	v_cmp_nlt_f64_e64 s64, 0x40900000, v[1:2]
	v_add_f64 v[3:4], v[3:4], v[5:6]
	v_mul_f64 v[5:6], v[1:2], s[66:67]
	v_rndne_f64_e32 v[5:6], v[5:6]
	v_fma_f64 v[101:102], v[5:6], s[70:71], v[1:2]
	buffer_store_dword v1, off, s[96:99], 0 offset:16 ; 4-byte Folded Spill
	buffer_store_dword v2, off, s[96:99], 0 offset:20 ; 4-byte Folded Spill
	v_cvt_i32_f64_e32 v0, v[5:6]
	v_fma_f64 v[101:102], v[5:6], s[72:73], v[101:102]
	v_fma_f64 v[105:106], v[101:102], s[76:77], s[74:75]
	v_fma_f64 v[105:106], v[101:102], v[105:106], s[78:79]
	v_fma_f64 v[105:106], v[101:102], v[105:106], s[80:81]
	v_fma_f64 v[105:106], v[101:102], v[105:106], s[82:83]
	v_fma_f64 v[105:106], v[101:102], v[105:106], s[84:85]
	v_fma_f64 v[105:106], v[101:102], v[105:106], s[86:87]
	v_fma_f64 v[105:106], v[101:102], v[105:106], s[88:89]
	v_fma_f64 v[105:106], v[101:102], v[105:106], s[90:91]
	v_fma_f64 v[105:106], v[101:102], v[105:106], s[92:93]
	v_fma_f64 v[105:106], v[101:102], v[105:106], 1.0
	v_fma_f64 v[101:102], v[101:102], v[105:106], 1.0
	v_ldexp_f64 v[5:6], v[101:102], v0
	v_cndmask_b32_e64 v0, 0x7ff00000, v6, s64
	v_cmp_ngt_f64_e64 s65, 0xc090cc00, v[1:2]
	;; [unrolled: 27-line block ×6, first 2 shown]
	s_and_b32 s64, s65, s64
	v_cndmask_b32_e64 v6, 0, v0, s65
	v_cndmask_b32_e64 v5, 0, v5, s64
	v_cmp_nlt_f64_e64 s64, 0x40900000, v[1:2]
	v_add_f64 v[3:4], v[3:4], v[5:6]
	v_mul_f64 v[5:6], v[1:2], s[66:67]
	v_rndne_f64_e32 v[5:6], v[5:6]
	v_fma_f64 v[101:102], v[5:6], s[70:71], v[1:2]
	buffer_store_dword v1, off, s[96:99], 0 offset:316 ; 4-byte Folded Spill
	buffer_store_dword v2, off, s[96:99], 0 offset:320 ; 4-byte Folded Spill
	v_cvt_i32_f64_e32 v0, v[5:6]
	v_fma_f64 v[101:102], v[5:6], s[72:73], v[101:102]
	v_fma_f64 v[105:106], v[101:102], s[76:77], s[74:75]
	;; [unrolled: 1-line block ×10, first 2 shown]
	v_fma_f64 v[105:106], v[101:102], v[105:106], 1.0
	v_fma_f64 v[101:102], v[101:102], v[105:106], 1.0
	v_ldexp_f64 v[5:6], v[101:102], v0
	v_cndmask_b32_e64 v0, 0x7ff00000, v6, s64
	v_cmp_ngt_f64_e64 s65, 0xc090cc00, v[1:2]
	v_add_f64 v[1:2], v[25:26], -v[123:124]
	s_and_b32 s64, s65, s64
	v_cndmask_b32_e64 v6, 0, v0, s65
	v_cndmask_b32_e64 v5, 0, v5, s64
	v_cmp_nlt_f64_e64 s64, 0x40900000, v[1:2]
	v_add_f64 v[3:4], v[3:4], v[5:6]
	v_mul_f64 v[5:6], v[1:2], s[66:67]
	v_rndne_f64_e32 v[5:6], v[5:6]
	v_fma_f64 v[101:102], v[5:6], s[70:71], v[1:2]
	buffer_store_dword v1, off, s[96:99], 0 offset:324 ; 4-byte Folded Spill
	buffer_store_dword v2, off, s[96:99], 0 offset:328 ; 4-byte Folded Spill
	v_cvt_i32_f64_e32 v0, v[5:6]
	v_fma_f64 v[101:102], v[5:6], s[72:73], v[101:102]
	v_fma_f64 v[105:106], v[101:102], s[76:77], s[74:75]
	;; [unrolled: 1-line block ×10, first 2 shown]
	v_fma_f64 v[105:106], v[101:102], v[105:106], 1.0
	v_fma_f64 v[101:102], v[101:102], v[105:106], 1.0
	v_ldexp_f64 v[5:6], v[101:102], v0
	v_cndmask_b32_e64 v0, 0x7ff00000, v6, s64
	v_cmp_ngt_f64_e64 s65, 0xc090cc00, v[1:2]
	v_add_f64 v[1:2], v[27:28], -v[123:124]
	s_and_b32 s64, s65, s64
	v_cndmask_b32_e64 v6, 0, v0, s65
	v_cndmask_b32_e64 v5, 0, v5, s64
	v_cmp_nlt_f64_e64 s64, 0x40900000, v[1:2]
	v_add_f64 v[3:4], v[3:4], v[5:6]
	v_mul_f64 v[5:6], v[1:2], s[66:67]
	v_rndne_f64_e32 v[5:6], v[5:6]
	v_fma_f64 v[101:102], v[5:6], s[70:71], v[1:2]
	buffer_store_dword v1, off, s[96:99], 0 offset:332 ; 4-byte Folded Spill
	buffer_store_dword v2, off, s[96:99], 0 offset:336 ; 4-byte Folded Spill
	v_cvt_i32_f64_e32 v0, v[5:6]
	v_fma_f64 v[101:102], v[5:6], s[72:73], v[101:102]
	v_fma_f64 v[105:106], v[101:102], s[76:77], s[74:75]
	;; [unrolled: 1-line block ×10, first 2 shown]
	v_fma_f64 v[105:106], v[101:102], v[105:106], 1.0
	v_fma_f64 v[101:102], v[101:102], v[105:106], 1.0
	v_ldexp_f64 v[5:6], v[101:102], v0
	v_cndmask_b32_e64 v0, 0x7ff00000, v6, s64
	v_cmp_ngt_f64_e64 s65, 0xc090cc00, v[1:2]
	v_cndmask_b32_e64 v6, 0, v0, s65
	s_clause 0x1
	buffer_load_dword v0, off, s[96:99], 0 offset:8
	buffer_load_dword v1, off, s[96:99], 0 offset:12
	s_and_b32 s64, s65, s64
	v_cndmask_b32_e64 v5, 0, v5, s64
	v_add_f64 v[3:4], v[3:4], v[5:6]
	s_waitcnt vmcnt(0)
	v_add_f64 v[1:2], v[0:1], -v[123:124]
	v_mul_f64 v[5:6], v[1:2], s[66:67]
	v_cmp_nlt_f64_e64 s64, 0x40900000, v[1:2]
	v_rndne_f64_e32 v[5:6], v[5:6]
	v_fma_f64 v[101:102], v[5:6], s[70:71], v[1:2]
	buffer_store_dword v1, off, s[96:99], 0 offset:8 ; 4-byte Folded Spill
	buffer_store_dword v2, off, s[96:99], 0 offset:12 ; 4-byte Folded Spill
	v_cvt_i32_f64_e32 v0, v[5:6]
	v_fma_f64 v[101:102], v[5:6], s[72:73], v[101:102]
	v_fma_f64 v[105:106], v[101:102], s[76:77], s[74:75]
	;; [unrolled: 1-line block ×10, first 2 shown]
	v_fma_f64 v[105:106], v[101:102], v[105:106], 1.0
	v_fma_f64 v[101:102], v[101:102], v[105:106], 1.0
	v_ldexp_f64 v[5:6], v[101:102], v0
	v_cndmask_b32_e64 v0, 0x7ff00000, v6, s64
	v_cmp_ngt_f64_e64 s65, 0xc090cc00, v[1:2]
	v_cndmask_b32_e64 v6, 0, v0, s65
	s_clause 0x1
	buffer_load_dword v0, off, s[96:99], 0
	buffer_load_dword v1, off, s[96:99], 0 offset:4
	s_and_b32 s64, s65, s64
	v_cndmask_b32_e64 v5, 0, v5, s64
	v_add_f64 v[3:4], v[3:4], v[5:6]
	s_waitcnt vmcnt(0)
	v_add_f64 v[1:2], v[0:1], -v[123:124]
	v_mul_f64 v[5:6], v[1:2], s[66:67]
	v_cmp_nlt_f64_e64 s64, 0x40900000, v[1:2]
	v_rndne_f64_e32 v[5:6], v[5:6]
	v_fma_f64 v[101:102], v[5:6], s[70:71], v[1:2]
	buffer_store_dword v1, off, s[96:99], 0 ; 4-byte Folded Spill
	buffer_store_dword v2, off, s[96:99], 0 offset:4 ; 4-byte Folded Spill
	v_cvt_i32_f64_e32 v0, v[5:6]
	v_fma_f64 v[101:102], v[5:6], s[72:73], v[101:102]
	v_fma_f64 v[105:106], v[101:102], s[76:77], s[74:75]
	v_fma_f64 v[105:106], v[101:102], v[105:106], s[78:79]
	v_fma_f64 v[105:106], v[101:102], v[105:106], s[80:81]
	v_fma_f64 v[105:106], v[101:102], v[105:106], s[82:83]
	v_fma_f64 v[105:106], v[101:102], v[105:106], s[84:85]
	v_fma_f64 v[105:106], v[101:102], v[105:106], s[86:87]
	v_fma_f64 v[105:106], v[101:102], v[105:106], s[88:89]
	v_fma_f64 v[105:106], v[101:102], v[105:106], s[90:91]
	v_fma_f64 v[105:106], v[101:102], v[105:106], s[92:93]
	v_fma_f64 v[105:106], v[101:102], v[105:106], 1.0
	v_fma_f64 v[101:102], v[101:102], v[105:106], 1.0
	v_ldexp_f64 v[5:6], v[101:102], v0
	v_cndmask_b32_e64 v0, 0x7ff00000, v6, s64
	v_cmp_ngt_f64_e64 s65, 0xc090cc00, v[1:2]
	v_add_f64 v[1:2], v[33:34], -v[123:124]
	v_add_f64 v[33:34], v[71:72], -v[123:124]
	s_and_b32 s64, s65, s64
	v_cndmask_b32_e64 v6, 0, v0, s65
	v_cndmask_b32_e64 v5, 0, v5, s64
	v_cmp_nlt_f64_e64 s64, 0x40900000, v[1:2]
	v_add_f64 v[3:4], v[3:4], v[5:6]
	v_mul_f64 v[5:6], v[1:2], s[66:67]
	v_rndne_f64_e32 v[5:6], v[5:6]
	v_fma_f64 v[101:102], v[5:6], s[70:71], v[1:2]
	buffer_store_dword v1, off, s[96:99], 0 offset:340 ; 4-byte Folded Spill
	buffer_store_dword v2, off, s[96:99], 0 offset:344 ; 4-byte Folded Spill
	v_cvt_i32_f64_e32 v0, v[5:6]
	v_fma_f64 v[101:102], v[5:6], s[72:73], v[101:102]
	v_fma_f64 v[105:106], v[101:102], s[76:77], s[74:75]
	v_fma_f64 v[105:106], v[101:102], v[105:106], s[78:79]
	v_fma_f64 v[105:106], v[101:102], v[105:106], s[80:81]
	v_fma_f64 v[105:106], v[101:102], v[105:106], s[82:83]
	v_fma_f64 v[105:106], v[101:102], v[105:106], s[84:85]
	v_fma_f64 v[105:106], v[101:102], v[105:106], s[86:87]
	v_fma_f64 v[105:106], v[101:102], v[105:106], s[88:89]
	v_fma_f64 v[105:106], v[101:102], v[105:106], s[90:91]
	v_fma_f64 v[105:106], v[101:102], v[105:106], s[92:93]
	v_fma_f64 v[105:106], v[101:102], v[105:106], 1.0
	v_fma_f64 v[101:102], v[101:102], v[105:106], 1.0
	v_ldexp_f64 v[5:6], v[101:102], v0
	v_cndmask_b32_e64 v0, 0x7ff00000, v6, s64
	v_cmp_ngt_f64_e64 s65, 0xc090cc00, v[1:2]
	v_add_f64 v[1:2], v[35:36], -v[123:124]
	v_add_f64 v[35:36], v[69:70], -v[123:124]
	s_and_b32 s64, s65, s64
	v_cndmask_b32_e64 v6, 0, v0, s65
	v_cndmask_b32_e64 v5, 0, v5, s64
	v_cmp_nlt_f64_e64 s64, 0x40900000, v[1:2]
	v_add_f64 v[3:4], v[3:4], v[5:6]
	v_mul_f64 v[5:6], v[1:2], s[66:67]
	v_rndne_f64_e32 v[5:6], v[5:6]
	v_fma_f64 v[101:102], v[5:6], s[70:71], v[1:2]
	buffer_store_dword v1, off, s[96:99], 0 offset:348 ; 4-byte Folded Spill
	;; [unrolled: 28-line block ×10, first 2 shown]
	buffer_store_dword v2, off, s[96:99], 0 offset:416 ; 4-byte Folded Spill
	v_cvt_i32_f64_e32 v0, v[5:6]
	v_fma_f64 v[101:102], v[5:6], s[72:73], v[101:102]
	v_fma_f64 v[105:106], v[101:102], s[76:77], s[74:75]
	;; [unrolled: 1-line block ×10, first 2 shown]
	v_fma_f64 v[105:106], v[101:102], v[105:106], 1.0
	v_fma_f64 v[101:102], v[101:102], v[105:106], 1.0
	v_ldexp_f64 v[5:6], v[101:102], v0
	v_cndmask_b32_e64 v0, 0x7ff00000, v6, s64
	v_cmp_ngt_f64_e64 s65, 0xc090cc00, v[1:2]
	s_and_b32 s64, s65, s64
	v_cndmask_b32_e64 v6, 0, v0, s65
	v_cndmask_b32_e64 v5, 0, v5, s64
	v_cmp_nlt_f64_e64 s64, 0x40900000, v[51:52]
	v_cmp_ngt_f64_e64 s65, 0xc090cc00, v[51:52]
	v_add_f64 v[3:4], v[3:4], v[5:6]
	v_mul_f64 v[5:6], v[51:52], s[66:67]
	v_rndne_f64_e32 v[5:6], v[5:6]
	v_fma_f64 v[101:102], v[5:6], s[70:71], v[51:52]
	v_cvt_i32_f64_e32 v0, v[5:6]
	v_fma_f64 v[101:102], v[5:6], s[72:73], v[101:102]
	v_fma_f64 v[105:106], v[101:102], s[76:77], s[74:75]
	v_fma_f64 v[105:106], v[101:102], v[105:106], s[78:79]
	v_fma_f64 v[105:106], v[101:102], v[105:106], s[80:81]
	v_fma_f64 v[105:106], v[101:102], v[105:106], s[82:83]
	v_fma_f64 v[105:106], v[101:102], v[105:106], s[84:85]
	v_fma_f64 v[105:106], v[101:102], v[105:106], s[86:87]
	v_fma_f64 v[105:106], v[101:102], v[105:106], s[88:89]
	v_fma_f64 v[105:106], v[101:102], v[105:106], s[90:91]
	v_fma_f64 v[105:106], v[101:102], v[105:106], s[92:93]
	v_fma_f64 v[105:106], v[101:102], v[105:106], 1.0
	v_fma_f64 v[101:102], v[101:102], v[105:106], 1.0
	v_ldexp_f64 v[5:6], v[101:102], v0
	v_cndmask_b32_e64 v0, 0x7ff00000, v6, s64
	s_and_b32 s64, s65, s64
	v_cndmask_b32_e64 v5, 0, v5, s64
	v_cmp_nlt_f64_e64 s64, 0x40900000, v[49:50]
	v_cndmask_b32_e64 v6, 0, v0, s65
	v_cmp_ngt_f64_e64 s65, 0xc090cc00, v[49:50]
	v_add_f64 v[3:4], v[3:4], v[5:6]
	v_mul_f64 v[5:6], v[49:50], s[66:67]
	v_rndne_f64_e32 v[5:6], v[5:6]
	v_fma_f64 v[101:102], v[5:6], s[70:71], v[49:50]
	v_cvt_i32_f64_e32 v0, v[5:6]
	v_fma_f64 v[101:102], v[5:6], s[72:73], v[101:102]
	v_fma_f64 v[105:106], v[101:102], s[76:77], s[74:75]
	v_fma_f64 v[105:106], v[101:102], v[105:106], s[78:79]
	v_fma_f64 v[105:106], v[101:102], v[105:106], s[80:81]
	v_fma_f64 v[105:106], v[101:102], v[105:106], s[82:83]
	v_fma_f64 v[105:106], v[101:102], v[105:106], s[84:85]
	v_fma_f64 v[105:106], v[101:102], v[105:106], s[86:87]
	v_fma_f64 v[105:106], v[101:102], v[105:106], s[88:89]
	v_fma_f64 v[105:106], v[101:102], v[105:106], s[90:91]
	v_fma_f64 v[105:106], v[101:102], v[105:106], s[92:93]
	v_fma_f64 v[105:106], v[101:102], v[105:106], 1.0
	v_fma_f64 v[101:102], v[101:102], v[105:106], 1.0
	v_ldexp_f64 v[5:6], v[101:102], v0
	v_cndmask_b32_e64 v0, 0x7ff00000, v6, s64
	s_and_b32 s64, s65, s64
	v_cndmask_b32_e64 v5, 0, v5, s64
	v_cmp_nlt_f64_e64 s64, 0x40900000, v[47:48]
	v_cndmask_b32_e64 v6, 0, v0, s65
	;; [unrolled: 24-line block ×14, first 2 shown]
	v_cmp_ngt_f64_e64 s65, 0xc090cc00, v[87:88]
	v_add_f64 v[3:4], v[3:4], v[5:6]
	v_mul_f64 v[5:6], v[87:88], s[66:67]
	v_rndne_f64_e32 v[5:6], v[5:6]
	v_fma_f64 v[101:102], v[5:6], s[70:71], v[87:88]
	v_cvt_i32_f64_e32 v0, v[5:6]
	v_fma_f64 v[101:102], v[5:6], s[72:73], v[101:102]
	v_fma_f64 v[105:106], v[101:102], s[76:77], s[74:75]
	v_fma_f64 v[105:106], v[101:102], v[105:106], s[78:79]
	v_fma_f64 v[105:106], v[101:102], v[105:106], s[80:81]
	v_fma_f64 v[105:106], v[101:102], v[105:106], s[82:83]
	v_fma_f64 v[105:106], v[101:102], v[105:106], s[84:85]
	v_fma_f64 v[105:106], v[101:102], v[105:106], s[86:87]
	v_fma_f64 v[105:106], v[101:102], v[105:106], s[88:89]
	v_fma_f64 v[105:106], v[101:102], v[105:106], s[90:91]
	v_fma_f64 v[105:106], v[101:102], v[105:106], s[92:93]
	v_fma_f64 v[105:106], v[101:102], v[105:106], 1.0
	v_fma_f64 v[101:102], v[101:102], v[105:106], 1.0
	v_ldexp_f64 v[5:6], v[101:102], v0
	v_cndmask_b32_e64 v0, 0x7ff00000, v6, s64
	s_and_b32 s64, s65, s64
	v_cndmask_b32_e64 v5, 0, v5, s64
	v_cndmask_b32_e64 v6, 0, v0, s65
	s_clause 0x1
	buffer_load_dword v0, off, s[96:99], 0 offset:204
	buffer_load_dword v1, off, s[96:99], 0 offset:208
	v_add_f64 v[3:4], v[3:4], v[5:6]
	s_waitcnt vmcnt(0)
	v_add_f64 v[89:90], v[0:1], -v[123:124]
	v_mul_f64 v[5:6], v[89:90], s[66:67]
	v_cmp_nlt_f64_e64 s64, 0x40900000, v[89:90]
	v_cmp_ngt_f64_e64 s65, 0xc090cc00, v[89:90]
	v_rndne_f64_e32 v[5:6], v[5:6]
	v_fma_f64 v[101:102], v[5:6], s[70:71], v[89:90]
	v_cvt_i32_f64_e32 v0, v[5:6]
	v_fma_f64 v[101:102], v[5:6], s[72:73], v[101:102]
	v_fma_f64 v[105:106], v[101:102], s[76:77], s[74:75]
	v_fma_f64 v[105:106], v[101:102], v[105:106], s[78:79]
	v_fma_f64 v[105:106], v[101:102], v[105:106], s[80:81]
	v_fma_f64 v[105:106], v[101:102], v[105:106], s[82:83]
	v_fma_f64 v[105:106], v[101:102], v[105:106], s[84:85]
	v_fma_f64 v[105:106], v[101:102], v[105:106], s[86:87]
	v_fma_f64 v[105:106], v[101:102], v[105:106], s[88:89]
	v_fma_f64 v[105:106], v[101:102], v[105:106], s[90:91]
	v_fma_f64 v[105:106], v[101:102], v[105:106], s[92:93]
	v_fma_f64 v[105:106], v[101:102], v[105:106], 1.0
	v_fma_f64 v[101:102], v[101:102], v[105:106], 1.0
	v_ldexp_f64 v[5:6], v[101:102], v0
	v_cndmask_b32_e64 v0, 0x7ff00000, v6, s64
	s_and_b32 s64, s65, s64
	v_cndmask_b32_e64 v5, 0, v5, s64
	v_cndmask_b32_e64 v6, 0, v0, s65
	s_clause 0x1
	buffer_load_dword v0, off, s[96:99], 0 offset:196
	buffer_load_dword v1, off, s[96:99], 0 offset:200
	v_add_f64 v[3:4], v[3:4], v[5:6]
	s_waitcnt vmcnt(0)
	v_add_f64 v[91:92], v[0:1], -v[123:124]
	v_mul_f64 v[5:6], v[91:92], s[66:67]
	v_cmp_nlt_f64_e64 s64, 0x40900000, v[91:92]
	v_cmp_ngt_f64_e64 s65, 0xc090cc00, v[91:92]
	;; [unrolled: 29-line block ×12, first 2 shown]
	v_rndne_f64_e32 v[5:6], v[5:6]
	v_fma_f64 v[101:102], v[5:6], s[70:71], v[0:1]
	v_cvt_i32_f64_e32 v2, v[5:6]
	v_fma_f64 v[101:102], v[5:6], s[72:73], v[101:102]
	v_fma_f64 v[105:106], v[101:102], s[76:77], s[74:75]
	;; [unrolled: 1-line block ×10, first 2 shown]
	v_fma_f64 v[105:106], v[101:102], v[105:106], 1.0
	v_fma_f64 v[101:102], v[101:102], v[105:106], 1.0
	v_ldexp_f64 v[5:6], v[101:102], v2
	v_cndmask_b32_e64 v2, 0x7ff00000, v6, s64
	s_and_b32 s64, s65, s64
	v_cndmask_b32_e64 v5, 0, v5, s64
	v_cndmask_b32_e64 v6, 0, v2, s65
	v_add_f64 v[2:3], v[3:4], v[5:6]
	s_clause 0x1
	buffer_load_dword v4, off, s[96:99], 0 offset:108
	buffer_load_dword v5, off, s[96:99], 0 offset:112
	s_waitcnt vmcnt(0)
	v_add_f64 v[9:10], v[4:5], -v[123:124]
	v_mul_f64 v[4:5], v[9:10], s[66:67]
	v_cmp_nlt_f64_e64 s64, 0x40900000, v[9:10]
	v_cmp_ngt_f64_e64 s65, 0xc090cc00, v[9:10]
	v_rndne_f64_e32 v[4:5], v[4:5]
	v_fma_f64 v[101:102], v[4:5], s[70:71], v[9:10]
	v_fma_f64 v[101:102], v[4:5], s[72:73], v[101:102]
	v_cvt_i32_f64_e32 v4, v[4:5]
	v_fma_f64 v[105:106], v[101:102], s[76:77], s[74:75]
	v_fma_f64 v[105:106], v[101:102], v[105:106], s[78:79]
	v_fma_f64 v[105:106], v[101:102], v[105:106], s[80:81]
	v_fma_f64 v[105:106], v[101:102], v[105:106], s[82:83]
	v_fma_f64 v[105:106], v[101:102], v[105:106], s[84:85]
	v_fma_f64 v[105:106], v[101:102], v[105:106], s[86:87]
	v_fma_f64 v[105:106], v[101:102], v[105:106], s[88:89]
	v_fma_f64 v[105:106], v[101:102], v[105:106], s[90:91]
	v_fma_f64 v[105:106], v[101:102], v[105:106], s[92:93]
	v_fma_f64 v[105:106], v[101:102], v[105:106], 1.0
	v_fma_f64 v[101:102], v[101:102], v[105:106], 1.0
	v_ldexp_f64 v[4:5], v[101:102], v4
	v_cndmask_b32_e64 v5, 0x7ff00000, v5, s64
	s_and_b32 s64, s65, s64
	v_cndmask_b32_e64 v4, 0, v4, s64
	v_cndmask_b32_e64 v5, 0, v5, s65
	v_add_f64 v[2:3], v[2:3], v[4:5]
	s_clause 0x1
	buffer_load_dword v4, off, s[96:99], 0 offset:100
	buffer_load_dword v5, off, s[96:99], 0 offset:104
	s_waitcnt vmcnt(0)
	v_add_f64 v[7:8], v[4:5], -v[123:124]
	v_mul_f64 v[4:5], v[7:8], s[66:67]
	v_cmp_nlt_f64_e64 s64, 0x40900000, v[7:8]
	v_cmp_ngt_f64_e64 s65, 0xc090cc00, v[7:8]
	v_rndne_f64_e32 v[4:5], v[4:5]
	v_fma_f64 v[101:102], v[4:5], s[70:71], v[7:8]
	v_fma_f64 v[101:102], v[4:5], s[72:73], v[101:102]
	v_cvt_i32_f64_e32 v4, v[4:5]
	v_fma_f64 v[105:106], v[101:102], s[76:77], s[74:75]
	v_fma_f64 v[105:106], v[101:102], v[105:106], s[78:79]
	v_fma_f64 v[105:106], v[101:102], v[105:106], s[80:81]
	v_fma_f64 v[105:106], v[101:102], v[105:106], s[82:83]
	v_fma_f64 v[105:106], v[101:102], v[105:106], s[84:85]
	v_fma_f64 v[105:106], v[101:102], v[105:106], s[86:87]
	v_fma_f64 v[105:106], v[101:102], v[105:106], s[88:89]
	v_fma_f64 v[105:106], v[101:102], v[105:106], s[90:91]
	v_fma_f64 v[105:106], v[101:102], v[105:106], s[92:93]
	;; [unrolled: 29-line block ×8, first 2 shown]
	v_fma_f64 v[11:12], v[101:102], v[11:12], 1.0
	v_fma_f64 v[11:12], v[101:102], v[11:12], 1.0
	v_ldexp_f64 v[4:5], v[11:12], v4
	v_cndmask_b32_e64 v5, 0x7ff00000, v5, s64
	s_and_b32 s64, s65, s64
	v_cndmask_b32_e64 v4, 0, v4, s64
	v_cndmask_b32_e64 v5, 0, v5, s65
	v_add_f64 v[21:22], v[2:3], v[4:5]
	s_clause 0x2
	buffer_load_dword v2, off, s[96:99], 0 offset:44
	buffer_load_dword v3, off, s[96:99], 0 offset:48
	;; [unrolled: 1-line block ×3, first 2 shown]
	s_waitcnt vmcnt(1)
	v_add_f64 v[101:102], v[2:3], -v[123:124]
	v_mul_f64 v[2:3], v[101:102], s[66:67]
	v_cmp_nlt_f64_e64 s64, 0x40900000, v[101:102]
	v_cmp_ngt_f64_e64 s65, 0xc090cc00, v[101:102]
	v_rndne_f64_e32 v[2:3], v[2:3]
	v_fma_f64 v[4:5], v[2:3], s[70:71], v[101:102]
	v_fma_f64 v[4:5], v[2:3], s[72:73], v[4:5]
	v_cvt_i32_f64_e32 v2, v[2:3]
	v_fma_f64 v[11:12], v[4:5], s[76:77], s[74:75]
	v_fma_f64 v[11:12], v[4:5], v[11:12], s[78:79]
	;; [unrolled: 1-line block ×9, first 2 shown]
	v_fma_f64 v[11:12], v[4:5], v[11:12], 1.0
	v_fma_f64 v[4:5], v[4:5], v[11:12], 1.0
	v_ldexp_f64 v[2:3], v[4:5], v2
	buffer_load_dword v5, off, s[96:99], 0 offset:28 ; 4-byte Folded Reload
	v_cndmask_b32_e64 v3, 0x7ff00000, v3, s64
	s_and_b32 s64, s65, s64
	v_cndmask_b32_e64 v2, 0, v2, s64
	v_cndmask_b32_e64 v3, 0, v3, s65
	s_mov_b32 s65, exec_lo
	v_add_f64 v[2:3], v[21:22], v[2:3]
	s_waitcnt vmcnt(0)
	ds_bpermute_b32 v4, v5, v2
	ds_bpermute_b32 v5, v5, v3
	s_waitcnt lgkmcnt(0)
	v_add_f64 v[2:3], v[2:3], v[4:5]
	buffer_load_dword v5, off, s[96:99], 0 offset:32 ; 4-byte Folded Reload
	s_waitcnt vmcnt(0)
	ds_bpermute_b32 v4, v5, v2
	ds_bpermute_b32 v5, v5, v3
	s_waitcnt lgkmcnt(0)
	v_add_f64 v[2:3], v[2:3], v[4:5]
	buffer_load_dword v5, off, s[96:99], 0 offset:36 ; 4-byte Folded Reload
	;; [unrolled: 6-line block ×3, first 2 shown]
	s_waitcnt vmcnt(0)
	ds_bpermute_b32 v4, v5, v2
	ds_bpermute_b32 v5, v5, v3
	s_waitcnt lgkmcnt(0)
	v_add_f64 v[2:3], v[2:3], v[4:5]
	ds_bpermute_b32 v4, v127, v2
	ds_bpermute_b32 v5, v127, v3
	v_cmpx_lt_i32_e32 0, v6
	s_cbranch_execz .LBB23_194
; %bb.129:
	s_and_b32 exec_lo, exec_lo, s23
	s_cbranch_execz .LBB23_194
; %bb.130:
	s_waitcnt lgkmcnt(0)
	v_add_f64 v[2:3], v[2:3], v[4:5]
	s_mov_b32 s65, 0x3fe55555
	s_mov_b32 s64, 0x55555555
	;; [unrolled: 1-line block ×6, first 2 shown]
	s_clause 0x7
	buffer_load_dword v25, off, s[96:99], 0 offset:212
	buffer_load_dword v26, off, s[96:99], 0 offset:216
	;; [unrolled: 1-line block ×8, first 2 shown]
	v_frexp_mant_f64_e32 v[4:5], v[2:3]
	v_cmp_gt_f64_e64 s23, s[64:65], v[4:5]
	s_mov_b32 s64, 0x55555780
	v_cndmask_b32_e64 v6, 0, 1, s23
	v_ldexp_f64 v[4:5], v[4:5], v6
	v_frexp_exp_i32_f64_e32 v6, v[2:3]
	v_add_f64 v[11:12], v[4:5], 1.0
	v_add_f64 v[15:16], v[4:5], -1.0
	v_subrev_co_ci_u32_e64 v6, null, 0, v6, s23
	v_cmp_class_f64_e64 s23, v[2:3], 0x204
	v_rcp_f64_e32 v[123:124], v[11:12]
	v_add_f64 v[17:18], v[11:12], -1.0
	v_add_f64 v[4:5], v[4:5], -v[17:18]
	v_fma_f64 v[13:14], -v[11:12], v[123:124], 1.0
	v_fma_f64 v[13:14], v[13:14], v[123:124], v[123:124]
	v_fma_f64 v[123:124], -v[11:12], v[13:14], 1.0
	v_fma_f64 v[13:14], v[123:124], v[13:14], v[13:14]
	v_mul_f64 v[123:124], v[15:16], v[13:14]
	v_mul_f64 v[19:20], v[11:12], v[123:124]
	v_fma_f64 v[11:12], v[123:124], v[11:12], -v[19:20]
	v_fma_f64 v[4:5], v[123:124], v[4:5], v[11:12]
	v_add_f64 v[11:12], v[19:20], v[4:5]
	v_add_f64 v[17:18], v[15:16], -v[11:12]
	v_add_f64 v[19:20], v[11:12], -v[19:20]
	v_add_f64 v[15:16], v[15:16], -v[17:18]
	v_add_f64 v[4:5], v[19:20], -v[4:5]
	v_add_f64 v[11:12], v[15:16], -v[11:12]
	v_add_f64 v[4:5], v[4:5], v[11:12]
	v_add_f64 v[4:5], v[17:18], v[4:5]
	v_mul_f64 v[4:5], v[13:14], v[4:5]
	v_add_f64 v[11:12], v[123:124], v[4:5]
	v_mul_f64 v[13:14], v[11:12], v[11:12]
	v_fma_f64 v[15:16], v[13:14], s[70:71], s[66:67]
	s_mov_b32 s66, 0xd7f4df2e
	s_mov_b32 s67, 0x3fc7474d
	v_mul_f64 v[17:18], v[11:12], v[13:14]
	v_fma_f64 v[15:16], v[13:14], v[15:16], s[66:67]
	s_mov_b32 s66, 0x16291751
	s_mov_b32 s67, 0x3fcc71c0
	v_fma_f64 v[15:16], v[13:14], v[15:16], s[66:67]
	s_mov_b32 s66, 0x9b27acf1
	s_mov_b32 s67, 0x3fd24924
	;; [unrolled: 3-line block ×3, first 2 shown]
	v_fma_f64 v[15:16], v[13:14], v[15:16], s[66:67]
	v_cmp_neq_f64_e64 s66, 0, v[2:3]
	v_fma_f64 v[13:14], v[13:14], v[15:16], s[64:65]
	v_ldexp_f64 v[15:16], v[11:12], 1
	v_add_f64 v[11:12], v[11:12], -v[123:124]
	s_mov_b32 s64, 0xfefa39ef
	s_mov_b32 s65, 0x3fe62e42
	v_mul_f64 v[13:14], v[17:18], v[13:14]
	v_cvt_f64_i32_e32 v[17:18], v6
	v_add_f64 v[4:5], v[4:5], -v[11:12]
	v_add_f64 v[19:20], v[15:16], v[13:14]
	v_mul_f64 v[123:124], v[17:18], s[64:65]
	v_ldexp_f64 v[4:5], v[4:5], 1
	v_add_f64 v[11:12], v[19:20], -v[15:16]
	v_fma_f64 v[15:16], v[17:18], s[64:65], -v[123:124]
	s_mov_b32 s64, 0x3b39803f
	s_mov_b32 s65, 0x3c7abc9e
	v_add_f64 v[11:12], v[13:14], -v[11:12]
	v_fma_f64 v[13:14], v[17:18], s[64:65], v[15:16]
	v_cmp_ngt_f64_e64 s64, 0, v[2:3]
	v_cmp_nge_f64_e64 s65, 0, v[2:3]
	v_add_f64 v[4:5], v[4:5], v[11:12]
	v_add_f64 v[11:12], v[123:124], v[13:14]
	;; [unrolled: 1-line block ×3, first 2 shown]
	v_add_f64 v[17:18], v[11:12], -v[123:124]
	v_add_f64 v[123:124], v[11:12], v[15:16]
	v_add_f64 v[13:14], v[13:14], -v[17:18]
	v_add_f64 v[17:18], v[15:16], -v[19:20]
	;; [unrolled: 1-line block ×7, first 2 shown]
	v_add_f64 v[17:18], v[13:14], v[4:5]
	v_add_f64 v[11:12], v[15:16], v[11:12]
	v_add_f64 v[15:16], v[17:18], -v[13:14]
	v_add_f64 v[11:12], v[17:18], v[11:12]
	v_add_f64 v[17:18], v[17:18], -v[15:16]
	v_add_f64 v[4:5], v[4:5], -v[15:16]
	v_add_f64 v[19:20], v[123:124], v[11:12]
	v_add_f64 v[13:14], v[13:14], -v[17:18]
	;; [unrolled: 3-line block ×3, first 2 shown]
	v_add_f64 v[4:5], v[4:5], v[11:12]
	v_add_f64 v[4:5], v[19:20], v[4:5]
	v_cndmask_b32_e64 v3, v5, v3, s23
	v_cndmask_b32_e64 v2, v4, v2, s23
	s_clause 0x1
	buffer_load_dword v4, off, s[96:99], 0 offset:228
	buffer_load_dword v5, off, s[96:99], 0 offset:232
	v_cndmask_b32_e64 v3, 0x7ff80000, v3, s64
	v_cndmask_b32_e64 v2, 0, v2, s65
	;; [unrolled: 1-line block ×3, first 2 shown]
	s_waitcnt vmcnt(0)
	v_add_f64 v[11:12], v[4:5], -v[2:3]
	s_clause 0x1
	buffer_load_dword v4, off, s[96:99], 0 offset:220
	buffer_load_dword v5, off, s[96:99], 0 offset:224
	s_waitcnt vmcnt(1)
	v_add_co_u32 v4, s23, s68, v4
	s_waitcnt vmcnt(0)
	v_add_co_ci_u32_e64 v5, null, s69, v5, s23
	global_store_dwordx2 v[4:5], v[11:12], off
	s_and_b32 exec_lo, exec_lo, vcc_lo
	s_cbranch_execz .LBB23_194
; %bb.131:
	s_clause 0x1
	buffer_load_dword v11, off, s[96:99], 0 offset:252
	buffer_load_dword v12, off, s[96:99], 0 offset:256
	s_waitcnt vmcnt(0)
	v_add_f64 v[11:12], v[11:12], -v[2:3]
	global_store_dwordx2 v[4:5], v[11:12], off offset:256
	s_and_b32 exec_lo, exec_lo, s0
	s_cbranch_execz .LBB23_194
; %bb.132:
	s_clause 0x1
	buffer_load_dword v11, off, s[96:99], 0 offset:260
	buffer_load_dword v12, off, s[96:99], 0 offset:264
	s_waitcnt vmcnt(0)
	v_add_f64 v[11:12], v[11:12], -v[2:3]
	global_store_dwordx2 v[4:5], v[11:12], off offset:512
	s_and_b32 exec_lo, exec_lo, s1
	;; [unrolled: 9-line block ×4, first 2 shown]
	s_cbranch_execz .LBB23_194
; %bb.135:
	v_add_f64 v[11:12], v[21:22], -v[2:3]
	global_store_dwordx2 v[4:5], v[11:12], off offset:1280
	s_and_b32 exec_lo, exec_lo, s4
	s_cbranch_execz .LBB23_194
; %bb.136:
	v_add_f64 v[11:12], v[23:24], -v[2:3]
	global_store_dwordx2 v[4:5], v[11:12], off offset:1536
	s_and_b32 exec_lo, exec_lo, s5
	s_cbranch_execz .LBB23_194
; %bb.137:
	v_add_f64 v[11:12], v[25:26], -v[2:3]
	global_store_dwordx2 v[4:5], v[11:12], off offset:1792
	s_and_b32 exec_lo, exec_lo, s6
	s_cbranch_execz .LBB23_194
; %bb.138:
	v_add_f64 v[13:14], v[27:28], -v[2:3]
	v_add_co_u32 v11, vcc_lo, 0x800, v4
	v_add_co_ci_u32_e64 v12, null, 0, v5, vcc_lo
	global_store_dwordx2 v[11:12], v[13:14], off
	s_and_b32 exec_lo, exec_lo, s7
	s_cbranch_execz .LBB23_194
; %bb.139:
	s_clause 0x1
	buffer_load_dword v13, off, s[96:99], 0 offset:284
	buffer_load_dword v14, off, s[96:99], 0 offset:288
	s_waitcnt vmcnt(0)
	v_add_f64 v[13:14], v[13:14], -v[2:3]
	global_store_dwordx2 v[11:12], v[13:14], off offset:256
	s_and_b32 exec_lo, exec_lo, s8
	s_cbranch_execz .LBB23_194
; %bb.140:
	s_clause 0x1
	buffer_load_dword v13, off, s[96:99], 0 offset:292
	buffer_load_dword v14, off, s[96:99], 0 offset:296
	s_waitcnt vmcnt(0)
	v_add_f64 v[13:14], v[13:14], -v[2:3]
	global_store_dwordx2 v[11:12], v[13:14], off offset:512
	;; [unrolled: 9-line block ×7, first 2 shown]
	s_and_b32 exec_lo, exec_lo, s14
	s_cbranch_execz .LBB23_194
; %bb.146:
	s_clause 0x1
	buffer_load_dword v11, off, s[96:99], 0 offset:8
	buffer_load_dword v12, off, s[96:99], 0 offset:12
	s_waitcnt vmcnt(0)
	v_add_f64 v[13:14], v[11:12], -v[2:3]
	v_add_co_u32 v11, vcc_lo, 0x1000, v4
	v_add_co_ci_u32_e64 v12, null, 0, v5, vcc_lo
	global_store_dwordx2 v[11:12], v[13:14], off
	s_and_b32 exec_lo, exec_lo, s15
	s_cbranch_execz .LBB23_194
; %bb.147:
	s_clause 0x1
	buffer_load_dword v13, off, s[96:99], 0
	buffer_load_dword v14, off, s[96:99], 0 offset:4
	s_waitcnt vmcnt(0)
	v_add_f64 v[13:14], v[13:14], -v[2:3]
	global_store_dwordx2 v[11:12], v[13:14], off offset:256
	s_and_b32 exec_lo, exec_lo, s16
	s_cbranch_execz .LBB23_194
; %bb.148:
	s_clause 0x1
	buffer_load_dword v13, off, s[96:99], 0 offset:340
	buffer_load_dword v14, off, s[96:99], 0 offset:344
	s_waitcnt vmcnt(0)
	v_add_f64 v[13:14], v[13:14], -v[2:3]
	global_store_dwordx2 v[11:12], v[13:14], off offset:512
	s_and_b32 exec_lo, exec_lo, s17
	s_cbranch_execz .LBB23_194
; %bb.149:
	s_clause 0x1
	buffer_load_dword v13, off, s[96:99], 0 offset:348
	;; [unrolled: 9-line block ×7, first 2 shown]
	buffer_load_dword v12, off, s[96:99], 0 offset:392
	s_waitcnt vmcnt(0)
	v_add_f64 v[13:14], v[11:12], -v[2:3]
	v_add_co_u32 v11, vcc_lo, 0x1800, v4
	v_add_co_ci_u32_e64 v12, null, 0, v5, vcc_lo
	global_store_dwordx2 v[11:12], v[13:14], off
	s_and_b32 exec_lo, exec_lo, s24
	s_cbranch_execz .LBB23_194
; %bb.155:
	s_clause 0x1
	buffer_load_dword v13, off, s[96:99], 0 offset:396
	buffer_load_dword v14, off, s[96:99], 0 offset:400
	s_waitcnt vmcnt(0)
	v_add_f64 v[13:14], v[13:14], -v[2:3]
	global_store_dwordx2 v[11:12], v[13:14], off offset:256
	s_and_b32 exec_lo, exec_lo, s25
	s_cbranch_execz .LBB23_194
; %bb.156:
	s_clause 0x1
	buffer_load_dword v13, off, s[96:99], 0 offset:404
	buffer_load_dword v14, off, s[96:99], 0 offset:408
	s_waitcnt vmcnt(0)
	v_add_f64 v[13:14], v[13:14], -v[2:3]
	global_store_dwordx2 v[11:12], v[13:14], off offset:512
	;; [unrolled: 9-line block ×3, first 2 shown]
	s_and_b32 exec_lo, exec_lo, s27
	s_cbranch_execz .LBB23_194
; %bb.158:
	v_add_f64 v[13:14], v[51:52], -v[2:3]
	global_store_dwordx2 v[11:12], v[13:14], off offset:1024
	s_and_b32 exec_lo, exec_lo, s28
	s_cbranch_execz .LBB23_194
; %bb.159:
	v_add_f64 v[13:14], v[49:50], -v[2:3]
	global_store_dwordx2 v[11:12], v[13:14], off offset:1280
	s_and_b32 exec_lo, exec_lo, s29
	s_cbranch_execz .LBB23_194
; %bb.160:
	v_add_f64 v[13:14], v[47:48], -v[2:3]
	global_store_dwordx2 v[11:12], v[13:14], off offset:1536
	s_and_b32 exec_lo, exec_lo, s30
	s_cbranch_execz .LBB23_194
; %bb.161:
	v_add_f64 v[13:14], v[45:46], -v[2:3]
	global_store_dwordx2 v[11:12], v[13:14], off offset:1792
	s_and_b32 exec_lo, exec_lo, s31
	s_cbranch_execz .LBB23_194
; %bb.162:
	v_add_f64 v[13:14], v[43:44], -v[2:3]
	v_add_co_u32 v11, vcc_lo, 0x2000, v4
	v_add_co_ci_u32_e64 v12, null, 0, v5, vcc_lo
	global_store_dwordx2 v[11:12], v[13:14], off
	s_and_b32 exec_lo, exec_lo, s33
	s_cbranch_execz .LBB23_194
; %bb.163:
	v_add_f64 v[13:14], v[41:42], -v[2:3]
	global_store_dwordx2 v[11:12], v[13:14], off offset:256
	s_and_b32 exec_lo, exec_lo, s34
	s_cbranch_execz .LBB23_194
; %bb.164:
	v_add_f64 v[13:14], v[39:40], -v[2:3]
	global_store_dwordx2 v[11:12], v[13:14], off offset:512
	s_and_b32 exec_lo, exec_lo, s35
	s_cbranch_execz .LBB23_194
; %bb.165:
	v_add_f64 v[13:14], v[37:38], -v[2:3]
	global_store_dwordx2 v[11:12], v[13:14], off offset:768
	s_and_b32 exec_lo, exec_lo, s36
	s_cbranch_execz .LBB23_194
; %bb.166:
	v_add_f64 v[13:14], v[35:36], -v[2:3]
	global_store_dwordx2 v[11:12], v[13:14], off offset:1024
	s_and_b32 exec_lo, exec_lo, s37
	s_cbranch_execz .LBB23_194
; %bb.167:
	v_add_f64 v[13:14], v[33:34], -v[2:3]
	global_store_dwordx2 v[11:12], v[13:14], off offset:1280
	s_and_b32 exec_lo, exec_lo, s38
	s_cbranch_execz .LBB23_194
; %bb.168:
	v_add_f64 v[13:14], v[31:32], -v[2:3]
	global_store_dwordx2 v[11:12], v[13:14], off offset:1536
	s_and_b32 exec_lo, exec_lo, s39
	s_cbranch_execz .LBB23_194
; %bb.169:
	v_add_f64 v[13:14], v[29:30], -v[2:3]
	global_store_dwordx2 v[11:12], v[13:14], off offset:1792
	s_and_b32 exec_lo, exec_lo, s40
	s_cbranch_execz .LBB23_194
; %bb.170:
	v_add_f64 v[13:14], v[83:84], -v[2:3]
	v_add_co_u32 v11, vcc_lo, 0x2800, v4
	v_add_co_ci_u32_e64 v12, null, 0, v5, vcc_lo
	global_store_dwordx2 v[11:12], v[13:14], off
	s_and_b32 exec_lo, exec_lo, s41
	s_cbranch_execz .LBB23_194
; %bb.171:
	v_add_f64 v[13:14], v[85:86], -v[2:3]
	global_store_dwordx2 v[11:12], v[13:14], off offset:256
	s_and_b32 exec_lo, exec_lo, s42
	s_cbranch_execz .LBB23_194
; %bb.172:
	v_add_f64 v[13:14], v[87:88], -v[2:3]
	global_store_dwordx2 v[11:12], v[13:14], off offset:512
	s_and_b32 exec_lo, exec_lo, s43
	s_cbranch_execz .LBB23_194
; %bb.173:
	v_add_f64 v[13:14], v[89:90], -v[2:3]
	global_store_dwordx2 v[11:12], v[13:14], off offset:768
	;; [unrolled: 42-line block ×4, first 2 shown]
	s_and_b32 exec_lo, exec_lo, s60
	s_cbranch_execz .LBB23_194
; %bb.190:
	v_add_f64 v[4:5], v[113:114], -v[2:3]
	global_store_dwordx2 v[0:1], v[4:5], off offset:1024
	s_and_b32 exec_lo, exec_lo, s61
	s_cbranch_execz .LBB23_194
; %bb.191:
	v_add_f64 v[4:5], v[109:110], -v[2:3]
	global_store_dwordx2 v[0:1], v[4:5], off offset:1280
	s_and_b32 exec_lo, exec_lo, s62
	s_cbranch_execz .LBB23_194
; %bb.192:
	v_add_f64 v[4:5], v[105:106], -v[2:3]
	global_store_dwordx2 v[0:1], v[4:5], off offset:1536
	s_and_b32 exec_lo, exec_lo, s63
	s_cbranch_execz .LBB23_194
; %bb.193:
	v_add_f64 v[2:3], v[101:102], -v[2:3]
	global_store_dwordx2 v[0:1], v[2:3], off offset:1792
.LBB23_194:
	s_endpgm
	.section	.rodata,"a",@progbits
	.p2align	6, 0x0
	.amdhsa_kernel _ZN12_GLOBAL__N_120softmax_warp_forwardIdddLi11ELb1ELb0ELi32EEEvPT0_PKT_iiiPKbib
		.amdhsa_group_segment_fixed_size 0
		.amdhsa_private_segment_fixed_size 424
		.amdhsa_kernarg_size 304
		.amdhsa_user_sgpr_count 6
		.amdhsa_user_sgpr_private_segment_buffer 1
		.amdhsa_user_sgpr_dispatch_ptr 0
		.amdhsa_user_sgpr_queue_ptr 0
		.amdhsa_user_sgpr_kernarg_segment_ptr 1
		.amdhsa_user_sgpr_dispatch_id 0
		.amdhsa_user_sgpr_flat_scratch_init 0
		.amdhsa_user_sgpr_private_segment_size 0
		.amdhsa_wavefront_size32 1
		.amdhsa_uses_dynamic_stack 0
		.amdhsa_system_sgpr_private_segment_wavefront_offset 1
		.amdhsa_system_sgpr_workgroup_id_x 1
		.amdhsa_system_sgpr_workgroup_id_y 0
		.amdhsa_system_sgpr_workgroup_id_z 0
		.amdhsa_system_sgpr_workgroup_info 0
		.amdhsa_system_vgpr_workitem_id 1
		.amdhsa_next_free_vgpr 128
		.amdhsa_next_free_sgpr 100
		.amdhsa_reserve_vcc 1
		.amdhsa_reserve_flat_scratch 0
		.amdhsa_float_round_mode_32 0
		.amdhsa_float_round_mode_16_64 0
		.amdhsa_float_denorm_mode_32 3
		.amdhsa_float_denorm_mode_16_64 3
		.amdhsa_dx10_clamp 1
		.amdhsa_ieee_mode 1
		.amdhsa_fp16_overflow 0
		.amdhsa_workgroup_processor_mode 1
		.amdhsa_memory_ordered 1
		.amdhsa_forward_progress 1
		.amdhsa_shared_vgpr_count 0
		.amdhsa_exception_fp_ieee_invalid_op 0
		.amdhsa_exception_fp_denorm_src 0
		.amdhsa_exception_fp_ieee_div_zero 0
		.amdhsa_exception_fp_ieee_overflow 0
		.amdhsa_exception_fp_ieee_underflow 0
		.amdhsa_exception_fp_ieee_inexact 0
		.amdhsa_exception_int_div_zero 0
	.end_amdhsa_kernel
	.section	.text._ZN12_GLOBAL__N_120softmax_warp_forwardIdddLi11ELb1ELb0ELi32EEEvPT0_PKT_iiiPKbib,"axG",@progbits,_ZN12_GLOBAL__N_120softmax_warp_forwardIdddLi11ELb1ELb0ELi32EEEvPT0_PKT_iiiPKbib,comdat
.Lfunc_end23:
	.size	_ZN12_GLOBAL__N_120softmax_warp_forwardIdddLi11ELb1ELb0ELi32EEEvPT0_PKT_iiiPKbib, .Lfunc_end23-_ZN12_GLOBAL__N_120softmax_warp_forwardIdddLi11ELb1ELb0ELi32EEEvPT0_PKT_iiiPKbib
                                        ; -- End function
	.set _ZN12_GLOBAL__N_120softmax_warp_forwardIdddLi11ELb1ELb0ELi32EEEvPT0_PKT_iiiPKbib.num_vgpr, 128
	.set _ZN12_GLOBAL__N_120softmax_warp_forwardIdddLi11ELb1ELb0ELi32EEEvPT0_PKT_iiiPKbib.num_agpr, 0
	.set _ZN12_GLOBAL__N_120softmax_warp_forwardIdddLi11ELb1ELb0ELi32EEEvPT0_PKT_iiiPKbib.numbered_sgpr, 100
	.set _ZN12_GLOBAL__N_120softmax_warp_forwardIdddLi11ELb1ELb0ELi32EEEvPT0_PKT_iiiPKbib.num_named_barrier, 0
	.set _ZN12_GLOBAL__N_120softmax_warp_forwardIdddLi11ELb1ELb0ELi32EEEvPT0_PKT_iiiPKbib.private_seg_size, 424
	.set _ZN12_GLOBAL__N_120softmax_warp_forwardIdddLi11ELb1ELb0ELi32EEEvPT0_PKT_iiiPKbib.uses_vcc, 1
	.set _ZN12_GLOBAL__N_120softmax_warp_forwardIdddLi11ELb1ELb0ELi32EEEvPT0_PKT_iiiPKbib.uses_flat_scratch, 0
	.set _ZN12_GLOBAL__N_120softmax_warp_forwardIdddLi11ELb1ELb0ELi32EEEvPT0_PKT_iiiPKbib.has_dyn_sized_stack, 0
	.set _ZN12_GLOBAL__N_120softmax_warp_forwardIdddLi11ELb1ELb0ELi32EEEvPT0_PKT_iiiPKbib.has_recursion, 0
	.set _ZN12_GLOBAL__N_120softmax_warp_forwardIdddLi11ELb1ELb0ELi32EEEvPT0_PKT_iiiPKbib.has_indirect_call, 0
	.section	.AMDGPU.csdata,"",@progbits
; Kernel info:
; codeLenInByte = 24392
; TotalNumSgprs: 102
; NumVgprs: 128
; ScratchSize: 424
; MemoryBound: 0
; FloatMode: 240
; IeeeMode: 1
; LDSByteSize: 0 bytes/workgroup (compile time only)
; SGPRBlocks: 0
; VGPRBlocks: 15
; NumSGPRsForWavesPerEU: 102
; NumVGPRsForWavesPerEU: 128
; Occupancy: 8
; WaveLimiterHint : 0
; COMPUTE_PGM_RSRC2:SCRATCH_EN: 1
; COMPUTE_PGM_RSRC2:USER_SGPR: 6
; COMPUTE_PGM_RSRC2:TRAP_HANDLER: 0
; COMPUTE_PGM_RSRC2:TGID_X_EN: 1
; COMPUTE_PGM_RSRC2:TGID_Y_EN: 0
; COMPUTE_PGM_RSRC2:TGID_Z_EN: 0
; COMPUTE_PGM_RSRC2:TIDIG_COMP_CNT: 1
	.section	.text._ZN2at6native12_GLOBAL__N_122cunn_SoftMaxForwardRegIdddNS1_25LogSoftMaxForwardEpilogueElLi1EEEvPT1_PKT_T3_,"axG",@progbits,_ZN2at6native12_GLOBAL__N_122cunn_SoftMaxForwardRegIdddNS1_25LogSoftMaxForwardEpilogueElLi1EEEvPT1_PKT_T3_,comdat
	.globl	_ZN2at6native12_GLOBAL__N_122cunn_SoftMaxForwardRegIdddNS1_25LogSoftMaxForwardEpilogueElLi1EEEvPT1_PKT_T3_ ; -- Begin function _ZN2at6native12_GLOBAL__N_122cunn_SoftMaxForwardRegIdddNS1_25LogSoftMaxForwardEpilogueElLi1EEEvPT1_PKT_T3_
	.p2align	8
	.type	_ZN2at6native12_GLOBAL__N_122cunn_SoftMaxForwardRegIdddNS1_25LogSoftMaxForwardEpilogueElLi1EEEvPT1_PKT_T3_,@function
_ZN2at6native12_GLOBAL__N_122cunn_SoftMaxForwardRegIdddNS1_25LogSoftMaxForwardEpilogueElLi1EEEvPT1_PKT_T3_: ; @_ZN2at6native12_GLOBAL__N_122cunn_SoftMaxForwardRegIdddNS1_25LogSoftMaxForwardEpilogueElLi1EEEvPT1_PKT_T3_
; %bb.0:
	s_clause 0x1
	s_load_dwordx2 s[0:1], s[4:5], 0x10
	s_load_dwordx4 s[8:11], s[4:5], 0x0
	v_mov_b32_e32 v1, 0
	v_mov_b32_e32 v3, -1
	v_mov_b32_e32 v4, 0xffefffff
	v_lshlrev_b32_e32 v7, 3, v0
	s_waitcnt lgkmcnt(0)
	v_cmp_gt_i64_e32 vcc_lo, s[0:1], v[0:1]
	s_mul_i32 s2, s1, s6
	s_mul_hi_u32 s3, s0, s6
	s_mul_i32 s6, s0, s6
	s_mov_b32 s0, -1
	s_add_i32 s7, s3, s2
	s_mov_b32 s1, 0xffefffff
                                        ; implicit-def: $vgpr1_vgpr2
	s_and_saveexec_b32 s2, vcc_lo
	s_cbranch_execz .LBB24_2
; %bb.1:
	s_lshl_b64 s[12:13], s[6:7], 3
	s_add_u32 s10, s10, s12
	s_addc_u32 s11, s11, s13
	global_load_dwordx2 v[1:2], v7, s[10:11]
	s_waitcnt vmcnt(0)
	v_max_f64 v[3:4], v[1:2], v[1:2]
	v_max_f64 v[3:4], v[3:4], s[0:1]
.LBB24_2:
	s_or_b32 exec_lo, exec_lo, s2
	v_mbcnt_lo_u32_b32 v12, -1, 0
	v_and_b32_e32 v14, 31, v0
	v_lshrrev_b32_e32 v13, 2, v0
	s_barrier
	v_lshl_or_b32 v8, v12, 2, 64
	v_cmp_gt_u32_e64 s1, 24, v12
	buffer_gl0_inv
	ds_bpermute_b32 v5, v8, v3
	ds_bpermute_b32 v6, v8, v4
	v_cndmask_b32_e64 v9, 0, 8, s1
	v_cmp_gt_u32_e64 s1, 28, v12
	v_add_lshl_u32 v9, v9, v12, 2
	v_cndmask_b32_e64 v10, 0, 4, s1
	v_cmp_gt_u32_e64 s1, 30, v12
	v_add_lshl_u32 v10, v10, v12, 2
	v_cndmask_b32_e64 v11, 0, 2, s1
	v_cmp_ne_u32_e64 s1, 31, v12
	v_add_lshl_u32 v11, v11, v12, 2
	v_add_co_ci_u32_e64 v12, null, 0, v12, s1
	s_waitcnt lgkmcnt(0)
	v_cmp_lt_f64_e64 s0, v[3:4], v[5:6]
	v_lshlrev_b32_e32 v12, 2, v12
	v_cndmask_b32_e64 v4, v4, v6, s0
	v_cndmask_b32_e64 v3, v3, v5, s0
	ds_bpermute_b32 v6, v9, v4
	ds_bpermute_b32 v5, v9, v3
	s_waitcnt lgkmcnt(0)
	v_cmp_lt_f64_e64 s0, v[3:4], v[5:6]
	v_cndmask_b32_e64 v4, v4, v6, s0
	v_cndmask_b32_e64 v3, v3, v5, s0
	ds_bpermute_b32 v6, v10, v4
	ds_bpermute_b32 v5, v10, v3
	s_waitcnt lgkmcnt(0)
	v_cmp_lt_f64_e64 s0, v[3:4], v[5:6]
	;; [unrolled: 6-line block ×3, first 2 shown]
	v_cndmask_b32_e64 v4, v4, v6, s0
	v_cndmask_b32_e64 v3, v3, v5, s0
	v_cmp_eq_u32_e64 s0, 0, v14
	ds_bpermute_b32 v15, v12, v4
	ds_bpermute_b32 v5, v12, v3
	s_and_saveexec_b32 s1, s0
	s_xor_b32 s2, exec_lo, s1
	s_cbranch_execz .LBB24_4
; %bb.3:
	s_waitcnt lgkmcnt(1)
	v_mov_b32_e32 v6, v15
	s_waitcnt lgkmcnt(0)
	v_cmp_lt_f64_e64 s1, v[3:4], v[5:6]
	v_add_nc_u32_e32 v6, 0, v13
	v_cndmask_b32_e64 v4, v4, v15, s1
	v_cndmask_b32_e64 v3, v3, v5, s1
	ds_write_b64 v6, v[3:4]
.LBB24_4:
	s_or_b32 exec_lo, exec_lo, s2
	s_waitcnt lgkmcnt(0)
	s_barrier
	buffer_gl0_inv
	s_load_dword s1, s[4:5], 0x24
	v_mov_b32_e32 v3, -1
	v_mov_b32_e32 v4, 0xffefffff
	v_lshl_add_u32 v6, v14, 3, 0
	s_waitcnt lgkmcnt(0)
	s_bfe_u32 s1, s1, 0xb0005
	v_cmp_gt_u32_e64 s1, s1, v0
	s_and_saveexec_b32 s2, s1
	s_cbranch_execnz .LBB24_17
; %bb.5:
	s_or_b32 exec_lo, exec_lo, s2
	v_cmp_gt_u32_e64 s2, 32, v0
	s_and_saveexec_b32 s4, s2
	s_cbranch_execnz .LBB24_18
.LBB24_6:
	s_or_b32 exec_lo, exec_lo, s4
	v_cmp_eq_u32_e64 s3, 0, v0
	s_and_saveexec_b32 s4, s3
	s_cbranch_execz .LBB24_8
.LBB24_7:
	v_mov_b32_e32 v0, 0
	s_waitcnt lgkmcnt(0)
	ds_write_b64 v0, v[3:4]
.LBB24_8:
	s_or_b32 exec_lo, exec_lo, s4
	v_mov_b32_e32 v0, 0
	s_waitcnt lgkmcnt(0)
	s_barrier
	buffer_gl0_inv
	s_mov_b32 s4, 0x652b82fe
	ds_read_b64 v[3:4], v0
	s_mov_b32 s5, 0x3ff71547
	s_mov_b32 s10, 0x6a5dcb37
	;; [unrolled: 1-line block ×3, first 2 shown]
	s_waitcnt lgkmcnt(0)
	s_barrier
	buffer_gl0_inv
	v_add_f64 v[0:1], v[1:2], -v[3:4]
	v_mul_f64 v[2:3], v[0:1], s[4:5]
	s_mov_b32 s4, 0xfefa39ef
	s_mov_b32 s5, 0xbfe62e42
	v_rndne_f64_e32 v[2:3], v[2:3]
	v_fma_f64 v[4:5], v[2:3], s[4:5], v[0:1]
	s_mov_b32 s4, 0x3b39803f
	s_mov_b32 s5, 0xbc7abc9e
	v_cvt_i32_f64_e32 v16, v[2:3]
	v_fma_f64 v[4:5], v[2:3], s[4:5], v[4:5]
	s_mov_b32 s4, 0xfca7ab0c
	s_mov_b32 s5, 0x3e928af3
	v_fma_f64 v[14:15], v[4:5], s[10:11], s[4:5]
	s_mov_b32 s4, 0x623fde64
	s_mov_b32 s5, 0x3ec71dee
	;; [unrolled: 3-line block ×9, first 2 shown]
	v_fma_f64 v[14:15], v[4:5], v[14:15], s[4:5]
	v_cmp_nlt_f64_e64 s5, 0x40900000, v[0:1]
	v_cmp_ngt_f64_e64 s4, 0xc090cc00, v[0:1]
	v_fma_f64 v[14:15], v[4:5], v[14:15], 1.0
	s_and_b32 s4, vcc_lo, s4
	v_fma_f64 v[2:3], v[4:5], v[14:15], 1.0
	v_ldexp_f64 v[2:3], v[2:3], v16
	v_add_f64 v[2:3], v[2:3], 0
	v_cndmask_b32_e64 v3, 0x7ff00000, v3, s5
	v_cndmask_b32_e64 v3, 0, v3, s4
	s_and_b32 s4, s4, s5
	v_cndmask_b32_e64 v2, 0, v2, s4
	ds_bpermute_b32 v5, v8, v3
	ds_bpermute_b32 v4, v8, v2
	s_waitcnt lgkmcnt(0)
	v_add_f64 v[2:3], v[2:3], v[4:5]
	ds_bpermute_b32 v4, v9, v2
	ds_bpermute_b32 v5, v9, v3
	s_waitcnt lgkmcnt(0)
	v_add_f64 v[2:3], v[2:3], v[4:5]
	;; [unrolled: 4-line block ×4, first 2 shown]
	ds_bpermute_b32 v4, v12, v2
	ds_bpermute_b32 v5, v12, v3
	s_and_saveexec_b32 s4, s0
	s_cbranch_execz .LBB24_10
; %bb.9:
	s_waitcnt lgkmcnt(0)
	v_add_f64 v[2:3], v[2:3], v[4:5]
	v_add_nc_u32_e32 v4, 0, v13
	ds_write_b64 v4, v[2:3]
.LBB24_10:
	s_or_b32 exec_lo, exec_lo, s4
	v_mov_b32_e32 v2, 0
	v_mov_b32_e32 v3, 0
	s_waitcnt lgkmcnt(0)
	s_barrier
	buffer_gl0_inv
	s_and_saveexec_b32 s0, s1
	s_cbranch_execnz .LBB24_19
; %bb.11:
	s_or_b32 exec_lo, exec_lo, s0
	s_and_saveexec_b32 s0, s2
	s_cbranch_execnz .LBB24_20
.LBB24_12:
	s_or_b32 exec_lo, exec_lo, s0
	s_and_saveexec_b32 s0, s3
	s_cbranch_execz .LBB24_14
.LBB24_13:
	v_mov_b32_e32 v4, 0
	s_waitcnt lgkmcnt(0)
	ds_write_b64 v4, v[2:3]
.LBB24_14:
	s_or_b32 exec_lo, exec_lo, s0
	s_waitcnt lgkmcnt(0)
	s_barrier
	buffer_gl0_inv
	s_and_saveexec_b32 s0, vcc_lo
	s_cbranch_execz .LBB24_16
; %bb.15:
	v_mov_b32_e32 v2, 0
	s_mov_b32 s1, 0x3fe55555
	s_mov_b32 s0, 0x55555555
	;; [unrolled: 1-line block ×4, first 2 shown]
	ds_read_b64 v[2:3], v2
	s_mov_b32 s3, 0x3fc38538
	s_mov_b32 s5, 0x3fc3ab76
	s_waitcnt lgkmcnt(0)
	v_frexp_mant_f64_e32 v[4:5], v[2:3]
	v_frexp_exp_i32_f64_e32 v6, v[2:3]
	v_cmp_gt_f64_e32 vcc_lo, s[0:1], v[4:5]
	s_mov_b32 s0, 0x55555780
	v_cndmask_b32_e64 v8, 0, 1, vcc_lo
	v_subrev_co_ci_u32_e64 v6, null, 0, v6, vcc_lo
	v_cmp_class_f64_e64 vcc_lo, v[2:3], 0x204
	v_ldexp_f64 v[4:5], v[4:5], v8
	v_add_f64 v[8:9], v[4:5], 1.0
	v_add_f64 v[14:15], v[4:5], -1.0
	v_rcp_f64_e32 v[10:11], v[8:9]
	v_add_f64 v[16:17], v[8:9], -1.0
	v_add_f64 v[4:5], v[4:5], -v[16:17]
	v_fma_f64 v[12:13], -v[8:9], v[10:11], 1.0
	v_fma_f64 v[10:11], v[12:13], v[10:11], v[10:11]
	v_fma_f64 v[12:13], -v[8:9], v[10:11], 1.0
	v_fma_f64 v[10:11], v[12:13], v[10:11], v[10:11]
	v_mul_f64 v[12:13], v[14:15], v[10:11]
	v_mul_f64 v[18:19], v[8:9], v[12:13]
	v_fma_f64 v[8:9], v[12:13], v[8:9], -v[18:19]
	v_fma_f64 v[4:5], v[12:13], v[4:5], v[8:9]
	v_add_f64 v[8:9], v[18:19], v[4:5]
	v_add_f64 v[16:17], v[14:15], -v[8:9]
	v_add_f64 v[18:19], v[8:9], -v[18:19]
	v_add_f64 v[14:15], v[14:15], -v[16:17]
	v_add_f64 v[4:5], v[18:19], -v[4:5]
	v_add_f64 v[8:9], v[14:15], -v[8:9]
	v_add_f64 v[4:5], v[4:5], v[8:9]
	v_add_f64 v[4:5], v[16:17], v[4:5]
	v_mul_f64 v[4:5], v[10:11], v[4:5]
	v_add_f64 v[8:9], v[12:13], v[4:5]
	v_mul_f64 v[10:11], v[8:9], v[8:9]
	v_fma_f64 v[14:15], v[10:11], s[4:5], s[2:3]
	s_mov_b32 s2, 0xd7f4df2e
	s_mov_b32 s3, 0x3fc7474d
	v_mul_f64 v[16:17], v[8:9], v[10:11]
	v_fma_f64 v[14:15], v[10:11], v[14:15], s[2:3]
	s_mov_b32 s2, 0x16291751
	s_mov_b32 s3, 0x3fcc71c0
	v_fma_f64 v[14:15], v[10:11], v[14:15], s[2:3]
	s_mov_b32 s2, 0x9b27acf1
	s_mov_b32 s3, 0x3fd24924
	;; [unrolled: 3-line block ×3, first 2 shown]
	v_fma_f64 v[14:15], v[10:11], v[14:15], s[2:3]
	v_fma_f64 v[10:11], v[10:11], v[14:15], s[0:1]
	v_ldexp_f64 v[14:15], v[8:9], 1
	v_add_f64 v[8:9], v[8:9], -v[12:13]
	s_mov_b32 s0, 0xfefa39ef
	s_mov_b32 s1, 0x3fe62e42
	v_mul_f64 v[10:11], v[16:17], v[10:11]
	v_cvt_f64_i32_e32 v[16:17], v6
	v_add_f64 v[4:5], v[4:5], -v[8:9]
	v_add_f64 v[12:13], v[14:15], v[10:11]
	v_mul_f64 v[18:19], v[16:17], s[0:1]
	v_ldexp_f64 v[4:5], v[4:5], 1
	v_add_f64 v[8:9], v[12:13], -v[14:15]
	v_fma_f64 v[14:15], v[16:17], s[0:1], -v[18:19]
	s_mov_b32 s0, 0x3b39803f
	s_mov_b32 s1, 0x3c7abc9e
	v_add_f64 v[8:9], v[10:11], -v[8:9]
	v_fma_f64 v[10:11], v[16:17], s[0:1], v[14:15]
	s_lshl_b64 s[0:1], s[6:7], 3
	s_add_u32 s0, s8, s0
	s_addc_u32 s1, s9, s1
	v_add_f64 v[4:5], v[4:5], v[8:9]
	v_add_f64 v[8:9], v[18:19], v[10:11]
	;; [unrolled: 1-line block ×3, first 2 shown]
	v_add_f64 v[18:19], v[8:9], -v[18:19]
	v_add_f64 v[16:17], v[8:9], v[14:15]
	v_add_f64 v[12:13], v[14:15], -v[12:13]
	v_add_f64 v[10:11], v[10:11], -v[18:19]
	;; [unrolled: 1-line block ×6, first 2 shown]
	v_add_f64 v[14:15], v[10:11], v[4:5]
	v_add_f64 v[8:9], v[8:9], -v[22:23]
	v_add_f64 v[8:9], v[12:13], v[8:9]
	v_add_f64 v[12:13], v[14:15], -v[10:11]
	v_add_f64 v[8:9], v[14:15], v[8:9]
	v_add_f64 v[14:15], v[14:15], -v[12:13]
	v_add_f64 v[4:5], v[4:5], -v[12:13]
	v_add_f64 v[18:19], v[16:17], v[8:9]
	v_add_f64 v[10:11], v[10:11], -v[14:15]
	v_add_f64 v[12:13], v[18:19], -v[16:17]
	v_add_f64 v[4:5], v[4:5], v[10:11]
	v_add_f64 v[8:9], v[8:9], -v[12:13]
	v_add_f64 v[4:5], v[4:5], v[8:9]
	v_add_f64 v[4:5], v[18:19], v[4:5]
	v_cndmask_b32_e32 v4, v4, v2, vcc_lo
	v_cndmask_b32_e32 v5, v5, v3, vcc_lo
	v_cmp_ngt_f64_e32 vcc_lo, 0, v[2:3]
	v_cndmask_b32_e32 v5, 0x7ff80000, v5, vcc_lo
	v_cmp_nge_f64_e32 vcc_lo, 0, v[2:3]
	v_cndmask_b32_e32 v4, 0, v4, vcc_lo
	v_cmp_neq_f64_e32 vcc_lo, 0, v[2:3]
	v_cndmask_b32_e32 v5, 0xfff00000, v5, vcc_lo
	v_add_f64 v[0:1], v[0:1], -v[4:5]
	global_store_dwordx2 v7, v[0:1], s[0:1]
.LBB24_16:
	s_endpgm
.LBB24_17:
	ds_read_b64 v[3:4], v6
	s_or_b32 exec_lo, exec_lo, s2
	v_cmp_gt_u32_e64 s2, 32, v0
	s_and_saveexec_b32 s4, s2
	s_cbranch_execz .LBB24_6
.LBB24_18:
	s_waitcnt lgkmcnt(0)
	ds_bpermute_b32 v5, v8, v4
	ds_bpermute_b32 v14, v8, v3
	s_waitcnt lgkmcnt(1)
	v_mov_b32_e32 v15, v5
	s_waitcnt lgkmcnt(0)
	v_cmp_lt_f64_e64 s3, v[3:4], v[14:15]
	v_cndmask_b32_e64 v4, v4, v5, s3
	v_cndmask_b32_e64 v3, v3, v14, s3
	ds_bpermute_b32 v5, v9, v4
	ds_bpermute_b32 v14, v9, v3
	s_waitcnt lgkmcnt(1)
	v_mov_b32_e32 v15, v5
	s_waitcnt lgkmcnt(0)
	v_cmp_lt_f64_e64 s3, v[3:4], v[14:15]
	v_cndmask_b32_e64 v4, v4, v5, s3
	v_cndmask_b32_e64 v3, v3, v14, s3
	;; [unrolled: 8-line block ×5, first 2 shown]
	s_or_b32 exec_lo, exec_lo, s4
	v_cmp_eq_u32_e64 s3, 0, v0
	s_and_saveexec_b32 s4, s3
	s_cbranch_execnz .LBB24_7
	s_branch .LBB24_8
.LBB24_19:
	ds_read_b64 v[2:3], v6
	s_or_b32 exec_lo, exec_lo, s0
	s_and_saveexec_b32 s0, s2
	s_cbranch_execz .LBB24_12
.LBB24_20:
	s_waitcnt lgkmcnt(0)
	ds_bpermute_b32 v4, v8, v2
	ds_bpermute_b32 v5, v8, v3
	s_waitcnt lgkmcnt(0)
	v_add_f64 v[2:3], v[2:3], v[4:5]
	ds_bpermute_b32 v4, v9, v2
	ds_bpermute_b32 v5, v9, v3
	s_waitcnt lgkmcnt(0)
	v_add_f64 v[2:3], v[2:3], v[4:5]
	;; [unrolled: 4-line block ×5, first 2 shown]
	s_or_b32 exec_lo, exec_lo, s0
	s_and_saveexec_b32 s0, s3
	s_cbranch_execnz .LBB24_13
	s_branch .LBB24_14
	.section	.rodata,"a",@progbits
	.p2align	6, 0x0
	.amdhsa_kernel _ZN2at6native12_GLOBAL__N_122cunn_SoftMaxForwardRegIdddNS1_25LogSoftMaxForwardEpilogueElLi1EEEvPT1_PKT_T3_
		.amdhsa_group_segment_fixed_size 0
		.amdhsa_private_segment_fixed_size 0
		.amdhsa_kernarg_size 280
		.amdhsa_user_sgpr_count 6
		.amdhsa_user_sgpr_private_segment_buffer 1
		.amdhsa_user_sgpr_dispatch_ptr 0
		.amdhsa_user_sgpr_queue_ptr 0
		.amdhsa_user_sgpr_kernarg_segment_ptr 1
		.amdhsa_user_sgpr_dispatch_id 0
		.amdhsa_user_sgpr_flat_scratch_init 0
		.amdhsa_user_sgpr_private_segment_size 0
		.amdhsa_wavefront_size32 1
		.amdhsa_uses_dynamic_stack 0
		.amdhsa_system_sgpr_private_segment_wavefront_offset 0
		.amdhsa_system_sgpr_workgroup_id_x 1
		.amdhsa_system_sgpr_workgroup_id_y 0
		.amdhsa_system_sgpr_workgroup_id_z 0
		.amdhsa_system_sgpr_workgroup_info 0
		.amdhsa_system_vgpr_workitem_id 0
		.amdhsa_next_free_vgpr 24
		.amdhsa_next_free_sgpr 14
		.amdhsa_reserve_vcc 1
		.amdhsa_reserve_flat_scratch 0
		.amdhsa_float_round_mode_32 0
		.amdhsa_float_round_mode_16_64 0
		.amdhsa_float_denorm_mode_32 3
		.amdhsa_float_denorm_mode_16_64 3
		.amdhsa_dx10_clamp 1
		.amdhsa_ieee_mode 1
		.amdhsa_fp16_overflow 0
		.amdhsa_workgroup_processor_mode 1
		.amdhsa_memory_ordered 1
		.amdhsa_forward_progress 1
		.amdhsa_shared_vgpr_count 0
		.amdhsa_exception_fp_ieee_invalid_op 0
		.amdhsa_exception_fp_denorm_src 0
		.amdhsa_exception_fp_ieee_div_zero 0
		.amdhsa_exception_fp_ieee_overflow 0
		.amdhsa_exception_fp_ieee_underflow 0
		.amdhsa_exception_fp_ieee_inexact 0
		.amdhsa_exception_int_div_zero 0
	.end_amdhsa_kernel
	.section	.text._ZN2at6native12_GLOBAL__N_122cunn_SoftMaxForwardRegIdddNS1_25LogSoftMaxForwardEpilogueElLi1EEEvPT1_PKT_T3_,"axG",@progbits,_ZN2at6native12_GLOBAL__N_122cunn_SoftMaxForwardRegIdddNS1_25LogSoftMaxForwardEpilogueElLi1EEEvPT1_PKT_T3_,comdat
.Lfunc_end24:
	.size	_ZN2at6native12_GLOBAL__N_122cunn_SoftMaxForwardRegIdddNS1_25LogSoftMaxForwardEpilogueElLi1EEEvPT1_PKT_T3_, .Lfunc_end24-_ZN2at6native12_GLOBAL__N_122cunn_SoftMaxForwardRegIdddNS1_25LogSoftMaxForwardEpilogueElLi1EEEvPT1_PKT_T3_
                                        ; -- End function
	.set _ZN2at6native12_GLOBAL__N_122cunn_SoftMaxForwardRegIdddNS1_25LogSoftMaxForwardEpilogueElLi1EEEvPT1_PKT_T3_.num_vgpr, 24
	.set _ZN2at6native12_GLOBAL__N_122cunn_SoftMaxForwardRegIdddNS1_25LogSoftMaxForwardEpilogueElLi1EEEvPT1_PKT_T3_.num_agpr, 0
	.set _ZN2at6native12_GLOBAL__N_122cunn_SoftMaxForwardRegIdddNS1_25LogSoftMaxForwardEpilogueElLi1EEEvPT1_PKT_T3_.numbered_sgpr, 14
	.set _ZN2at6native12_GLOBAL__N_122cunn_SoftMaxForwardRegIdddNS1_25LogSoftMaxForwardEpilogueElLi1EEEvPT1_PKT_T3_.num_named_barrier, 0
	.set _ZN2at6native12_GLOBAL__N_122cunn_SoftMaxForwardRegIdddNS1_25LogSoftMaxForwardEpilogueElLi1EEEvPT1_PKT_T3_.private_seg_size, 0
	.set _ZN2at6native12_GLOBAL__N_122cunn_SoftMaxForwardRegIdddNS1_25LogSoftMaxForwardEpilogueElLi1EEEvPT1_PKT_T3_.uses_vcc, 1
	.set _ZN2at6native12_GLOBAL__N_122cunn_SoftMaxForwardRegIdddNS1_25LogSoftMaxForwardEpilogueElLi1EEEvPT1_PKT_T3_.uses_flat_scratch, 0
	.set _ZN2at6native12_GLOBAL__N_122cunn_SoftMaxForwardRegIdddNS1_25LogSoftMaxForwardEpilogueElLi1EEEvPT1_PKT_T3_.has_dyn_sized_stack, 0
	.set _ZN2at6native12_GLOBAL__N_122cunn_SoftMaxForwardRegIdddNS1_25LogSoftMaxForwardEpilogueElLi1EEEvPT1_PKT_T3_.has_recursion, 0
	.set _ZN2at6native12_GLOBAL__N_122cunn_SoftMaxForwardRegIdddNS1_25LogSoftMaxForwardEpilogueElLi1EEEvPT1_PKT_T3_.has_indirect_call, 0
	.section	.AMDGPU.csdata,"",@progbits
; Kernel info:
; codeLenInByte = 2688
; TotalNumSgprs: 16
; NumVgprs: 24
; ScratchSize: 0
; MemoryBound: 0
; FloatMode: 240
; IeeeMode: 1
; LDSByteSize: 0 bytes/workgroup (compile time only)
; SGPRBlocks: 0
; VGPRBlocks: 2
; NumSGPRsForWavesPerEU: 16
; NumVGPRsForWavesPerEU: 24
; Occupancy: 16
; WaveLimiterHint : 0
; COMPUTE_PGM_RSRC2:SCRATCH_EN: 0
; COMPUTE_PGM_RSRC2:USER_SGPR: 6
; COMPUTE_PGM_RSRC2:TRAP_HANDLER: 0
; COMPUTE_PGM_RSRC2:TGID_X_EN: 1
; COMPUTE_PGM_RSRC2:TGID_Y_EN: 0
; COMPUTE_PGM_RSRC2:TGID_Z_EN: 0
; COMPUTE_PGM_RSRC2:TIDIG_COMP_CNT: 0
	.section	.text._ZN2at6native12_GLOBAL__N_122cunn_SoftMaxForwardRegIdddNS1_25LogSoftMaxForwardEpilogueElLi2EEEvPT1_PKT_T3_,"axG",@progbits,_ZN2at6native12_GLOBAL__N_122cunn_SoftMaxForwardRegIdddNS1_25LogSoftMaxForwardEpilogueElLi2EEEvPT1_PKT_T3_,comdat
	.globl	_ZN2at6native12_GLOBAL__N_122cunn_SoftMaxForwardRegIdddNS1_25LogSoftMaxForwardEpilogueElLi2EEEvPT1_PKT_T3_ ; -- Begin function _ZN2at6native12_GLOBAL__N_122cunn_SoftMaxForwardRegIdddNS1_25LogSoftMaxForwardEpilogueElLi2EEEvPT1_PKT_T3_
	.p2align	8
	.type	_ZN2at6native12_GLOBAL__N_122cunn_SoftMaxForwardRegIdddNS1_25LogSoftMaxForwardEpilogueElLi2EEEvPT1_PKT_T3_,@function
_ZN2at6native12_GLOBAL__N_122cunn_SoftMaxForwardRegIdddNS1_25LogSoftMaxForwardEpilogueElLi2EEEvPT1_PKT_T3_: ; @_ZN2at6native12_GLOBAL__N_122cunn_SoftMaxForwardRegIdddNS1_25LogSoftMaxForwardEpilogueElLi2EEEvPT1_PKT_T3_
; %bb.0:
	s_clause 0x2
	s_load_dwordx2 s[0:1], s[4:5], 0x10
	s_load_dwordx4 s[8:11], s[4:5], 0x0
	s_load_dword s7, s[4:5], 0x24
	v_mov_b32_e32 v1, 0
	v_mov_b32_e32 v6, -1
	v_mov_b32_e32 v7, 0xffefffff
	v_lshlrev_b32_e32 v10, 3, v0
	s_mov_b32 s2, -1
	v_mov_b32_e32 v2, v1
	v_mov_b32_e32 v3, v1
	;; [unrolled: 1-line block ×4, first 2 shown]
	s_mov_b32 s3, 0xffefffff
	s_waitcnt lgkmcnt(0)
	s_mul_i32 s5, s1, s6
	s_mul_hi_u32 s12, s0, s6
	s_mul_i32 s4, s0, s6
	s_add_i32 s5, s12, s5
	v_cmp_gt_i64_e32 vcc_lo, s[0:1], v[0:1]
	s_lshl_b64 s[12:13], s[4:5], 3
	s_add_u32 s4, s10, s12
	s_addc_u32 s5, s11, s13
	s_and_saveexec_b32 s6, vcc_lo
	s_cbranch_execz .LBB25_2
; %bb.1:
	global_load_dwordx2 v[2:3], v10, s[4:5]
	s_waitcnt vmcnt(0)
	v_max_f64 v[4:5], v[2:3], v[2:3]
	v_max_f64 v[6:7], v[4:5], s[2:3]
	v_mov_b32_e32 v4, v1
	v_mov_b32_e32 v5, v1
.LBB25_2:
	s_or_b32 exec_lo, exec_lo, s6
	s_and_b32 s3, 0xffff, s7
	v_mov_b32_e32 v9, v1
	v_add_nc_u32_e32 v8, s3, v0
	v_cmp_gt_i64_e64 s0, s[0:1], v[8:9]
	v_lshlrev_b32_e32 v11, 3, v8
	s_and_saveexec_b32 s1, s0
	s_cbranch_execz .LBB25_4
; %bb.3:
	global_load_dwordx2 v[4:5], v11, s[4:5]
	v_max_f64 v[6:7], v[6:7], v[6:7]
	s_waitcnt vmcnt(0)
	v_max_f64 v[8:9], v[4:5], v[4:5]
	v_max_f64 v[6:7], v[6:7], v[8:9]
.LBB25_4:
	s_or_b32 exec_lo, exec_lo, s1
	v_mbcnt_lo_u32_b32 v1, -1, 0
	v_lshrrev_b32_e32 v17, 2, v0
	s_barrier
	buffer_gl0_inv
	v_lshl_or_b32 v12, v1, 2, 64
	v_cmp_gt_u32_e64 s2, 24, v1
	ds_bpermute_b32 v8, v12, v6
	ds_bpermute_b32 v9, v12, v7
	v_cndmask_b32_e64 v13, 0, 8, s2
	v_cmp_gt_u32_e64 s2, 28, v1
	v_add_lshl_u32 v13, v13, v1, 2
	v_cndmask_b32_e64 v14, 0, 4, s2
	v_cmp_gt_u32_e64 s2, 30, v1
	v_add_lshl_u32 v14, v14, v1, 2
	v_cndmask_b32_e64 v15, 0, 2, s2
	v_cmp_ne_u32_e64 s2, 31, v1
	v_add_lshl_u32 v15, v15, v1, 2
	v_add_co_ci_u32_e64 v1, null, 0, v1, s2
	s_waitcnt lgkmcnt(0)
	v_cmp_lt_f64_e64 s1, v[6:7], v[8:9]
	v_lshlrev_b32_e32 v16, 2, v1
	v_and_b32_e32 v1, 31, v0
	v_cndmask_b32_e64 v7, v7, v9, s1
	v_cndmask_b32_e64 v6, v6, v8, s1
	ds_bpermute_b32 v9, v13, v7
	ds_bpermute_b32 v8, v13, v6
	s_waitcnt lgkmcnt(0)
	v_cmp_lt_f64_e64 s1, v[6:7], v[8:9]
	v_cndmask_b32_e64 v7, v7, v9, s1
	v_cndmask_b32_e64 v6, v6, v8, s1
	ds_bpermute_b32 v9, v14, v7
	ds_bpermute_b32 v8, v14, v6
	s_waitcnt lgkmcnt(0)
	v_cmp_lt_f64_e64 s1, v[6:7], v[8:9]
	;; [unrolled: 6-line block ×3, first 2 shown]
	v_cndmask_b32_e64 v7, v7, v9, s1
	v_cndmask_b32_e64 v6, v6, v8, s1
	v_cmp_eq_u32_e64 s1, 0, v1
	ds_bpermute_b32 v18, v16, v7
	ds_bpermute_b32 v8, v16, v6
	s_and_saveexec_b32 s2, s1
	s_xor_b32 s4, exec_lo, s2
	s_cbranch_execz .LBB25_6
; %bb.5:
	s_waitcnt lgkmcnt(1)
	v_mov_b32_e32 v9, v18
	s_waitcnt lgkmcnt(0)
	v_cmp_lt_f64_e64 s2, v[6:7], v[8:9]
	v_add_nc_u32_e32 v9, 0, v17
	v_cndmask_b32_e64 v7, v7, v18, s2
	v_cndmask_b32_e64 v6, v6, v8, s2
	ds_write_b64 v9, v[6:7]
.LBB25_6:
	s_or_b32 exec_lo, exec_lo, s4
	s_lshr_b32 s2, s3, 5
	v_mov_b32_e32 v6, -1
	v_cmp_gt_u32_e64 s2, s2, v0
	v_mov_b32_e32 v7, 0xffefffff
	s_waitcnt lgkmcnt(1)
	v_lshl_add_u32 v18, v1, 3, 0
	s_waitcnt lgkmcnt(0)
	s_barrier
	buffer_gl0_inv
	s_and_saveexec_b32 s3, s2
	s_cbranch_execnz .LBB25_23
; %bb.7:
	s_or_b32 exec_lo, exec_lo, s3
	v_cmp_gt_u32_e64 s3, 32, v0
	s_and_saveexec_b32 s5, s3
	s_cbranch_execnz .LBB25_24
.LBB25_8:
	s_or_b32 exec_lo, exec_lo, s5
	v_cmp_eq_u32_e64 s4, 0, v0
	s_and_saveexec_b32 s5, s4
	s_cbranch_execz .LBB25_10
.LBB25_9:
	v_mov_b32_e32 v0, 0
	s_waitcnt lgkmcnt(0)
	ds_write_b64 v0, v[6:7]
.LBB25_10:
	s_or_b32 exec_lo, exec_lo, s5
	v_mov_b32_e32 v0, 0
	s_waitcnt lgkmcnt(0)
	s_barrier
	buffer_gl0_inv
	v_mov_b32_e32 v6, 0
	ds_read_b64 v[0:1], v0
	v_mov_b32_e32 v7, 0
	s_and_saveexec_b32 s7, vcc_lo
	s_cbranch_execz .LBB25_12
; %bb.11:
	s_waitcnt lgkmcnt(0)
	v_add_f64 v[6:7], v[2:3], -v[0:1]
	s_mov_b32 s10, 0x652b82fe
	s_mov_b32 s11, 0x3ff71547
	;; [unrolled: 1-line block ×4, first 2 shown]
	v_mul_f64 v[8:9], v[6:7], s[10:11]
	s_mov_b32 s10, 0xfefa39ef
	s_mov_b32 s11, 0xbfe62e42
	v_cmp_nlt_f64_e64 s5, 0x40900000, v[6:7]
	v_cmp_ngt_f64_e64 s6, 0xc090cc00, v[6:7]
	v_rndne_f64_e32 v[8:9], v[8:9]
	v_fma_f64 v[19:20], v[8:9], s[10:11], v[6:7]
	s_mov_b32 s10, 0x3b39803f
	s_mov_b32 s11, 0xbc7abc9e
	v_cvt_i32_f64_e32 v23, v[8:9]
	v_fma_f64 v[19:20], v[8:9], s[10:11], v[19:20]
	s_mov_b32 s10, 0xfca7ab0c
	s_mov_b32 s11, 0x3e928af3
	v_fma_f64 v[21:22], v[19:20], s[14:15], s[10:11]
	s_mov_b32 s10, 0x623fde64
	s_mov_b32 s11, 0x3ec71dee
	;; [unrolled: 3-line block ×9, first 2 shown]
	v_fma_f64 v[21:22], v[19:20], v[21:22], s[10:11]
	v_fma_f64 v[21:22], v[19:20], v[21:22], 1.0
	v_fma_f64 v[8:9], v[19:20], v[21:22], 1.0
	v_ldexp_f64 v[8:9], v[8:9], v23
	v_add_f64 v[8:9], v[8:9], 0
	v_cndmask_b32_e64 v9, 0x7ff00000, v9, s5
	s_and_b32 s5, s6, s5
	v_cndmask_b32_e64 v6, 0, v8, s5
	v_cndmask_b32_e64 v7, 0, v9, s6
.LBB25_12:
	s_or_b32 exec_lo, exec_lo, s7
	s_and_saveexec_b32 s7, s0
	s_cbranch_execz .LBB25_14
; %bb.13:
	s_waitcnt lgkmcnt(0)
	v_add_f64 v[8:9], v[4:5], -v[0:1]
	s_mov_b32 s10, 0x652b82fe
	s_mov_b32 s11, 0x3ff71547
	;; [unrolled: 1-line block ×4, first 2 shown]
	v_mul_f64 v[19:20], v[8:9], s[10:11]
	s_mov_b32 s10, 0xfefa39ef
	s_mov_b32 s11, 0xbfe62e42
	v_cmp_nlt_f64_e64 s5, 0x40900000, v[8:9]
	v_cmp_ngt_f64_e64 s6, 0xc090cc00, v[8:9]
	v_rndne_f64_e32 v[19:20], v[19:20]
	v_fma_f64 v[21:22], v[19:20], s[10:11], v[8:9]
	s_mov_b32 s10, 0x3b39803f
	s_mov_b32 s11, 0xbc7abc9e
	v_cvt_i32_f64_e32 v25, v[19:20]
	v_fma_f64 v[21:22], v[19:20], s[10:11], v[21:22]
	s_mov_b32 s10, 0xfca7ab0c
	s_mov_b32 s11, 0x3e928af3
	v_fma_f64 v[23:24], v[21:22], s[14:15], s[10:11]
	s_mov_b32 s10, 0x623fde64
	s_mov_b32 s11, 0x3ec71dee
	;; [unrolled: 3-line block ×9, first 2 shown]
	v_fma_f64 v[23:24], v[21:22], v[23:24], s[10:11]
	v_fma_f64 v[23:24], v[21:22], v[23:24], 1.0
	v_fma_f64 v[19:20], v[21:22], v[23:24], 1.0
	v_ldexp_f64 v[19:20], v[19:20], v25
	v_cndmask_b32_e64 v20, 0x7ff00000, v20, s5
	s_and_b32 s5, s6, s5
	v_cndmask_b32_e64 v8, 0, v19, s5
	v_cndmask_b32_e64 v9, 0, v20, s6
	v_add_f64 v[6:7], v[6:7], v[8:9]
.LBB25_14:
	s_or_b32 exec_lo, exec_lo, s7
	ds_bpermute_b32 v8, v12, v6
	ds_bpermute_b32 v9, v12, v7
	s_waitcnt lgkmcnt(0)
	s_barrier
	buffer_gl0_inv
	v_add_f64 v[6:7], v[6:7], v[8:9]
	ds_bpermute_b32 v8, v13, v6
	ds_bpermute_b32 v9, v13, v7
	s_waitcnt lgkmcnt(0)
	v_add_f64 v[6:7], v[6:7], v[8:9]
	ds_bpermute_b32 v8, v14, v6
	ds_bpermute_b32 v9, v14, v7
	s_waitcnt lgkmcnt(0)
	;; [unrolled: 4-line block ×3, first 2 shown]
	v_add_f64 v[6:7], v[6:7], v[8:9]
	ds_bpermute_b32 v8, v16, v6
	ds_bpermute_b32 v9, v16, v7
	s_and_saveexec_b32 s5, s1
	s_xor_b32 s1, exec_lo, s5
	s_cbranch_execz .LBB25_16
; %bb.15:
	s_waitcnt lgkmcnt(0)
	v_add_f64 v[6:7], v[6:7], v[8:9]
	v_add_nc_u32_e32 v8, 0, v17
	ds_write_b64 v8, v[6:7]
.LBB25_16:
	s_or_b32 exec_lo, exec_lo, s1
	v_mov_b32_e32 v6, 0
	v_mov_b32_e32 v7, 0
	s_waitcnt lgkmcnt(0)
	s_barrier
	buffer_gl0_inv
	s_and_saveexec_b32 s1, s2
	s_cbranch_execnz .LBB25_25
; %bb.17:
	s_or_b32 exec_lo, exec_lo, s1
	s_and_saveexec_b32 s1, s3
	s_cbranch_execnz .LBB25_26
.LBB25_18:
	s_or_b32 exec_lo, exec_lo, s1
	s_and_saveexec_b32 s1, s4
	s_cbranch_execz .LBB25_20
.LBB25_19:
	v_mov_b32_e32 v8, 0
	s_waitcnt lgkmcnt(0)
	ds_write_b64 v8, v[6:7]
.LBB25_20:
	s_or_b32 exec_lo, exec_lo, s1
	s_waitcnt lgkmcnt(0)
	v_mov_b32_e32 v6, 0
	s_barrier
	buffer_gl0_inv
	s_mov_b32 s3, 0x3fe55555
	ds_read_b64 v[7:8], v6
	s_mov_b32 s2, 0x55555555
	s_mov_b32 s4, 0x6b47b09a
	;; [unrolled: 1-line block ×5, first 2 shown]
	s_waitcnt lgkmcnt(0)
	v_frexp_mant_f64_e32 v[12:13], v[7:8]
	v_cmp_gt_f64_e64 s1, s[2:3], v[12:13]
	s_mov_b32 s2, 0x55555780
	v_cndmask_b32_e64 v6, 0, 1, s1
	v_ldexp_f64 v[12:13], v[12:13], v6
	v_frexp_exp_i32_f64_e32 v6, v[7:8]
	v_add_f64 v[14:15], v[12:13], 1.0
	v_add_f64 v[20:21], v[12:13], -1.0
	v_subrev_co_ci_u32_e64 v6, null, 0, v6, s1
	v_cmp_class_f64_e64 s1, v[7:8], 0x204
	v_rcp_f64_e32 v[16:17], v[14:15]
	v_add_f64 v[22:23], v[14:15], -1.0
	v_add_f64 v[12:13], v[12:13], -v[22:23]
	v_fma_f64 v[18:19], -v[14:15], v[16:17], 1.0
	v_fma_f64 v[16:17], v[18:19], v[16:17], v[16:17]
	v_fma_f64 v[18:19], -v[14:15], v[16:17], 1.0
	v_fma_f64 v[16:17], v[18:19], v[16:17], v[16:17]
	v_mul_f64 v[18:19], v[20:21], v[16:17]
	v_mul_f64 v[24:25], v[14:15], v[18:19]
	v_fma_f64 v[14:15], v[18:19], v[14:15], -v[24:25]
	v_fma_f64 v[12:13], v[18:19], v[12:13], v[14:15]
	v_add_f64 v[14:15], v[24:25], v[12:13]
	v_add_f64 v[22:23], v[20:21], -v[14:15]
	v_add_f64 v[24:25], v[14:15], -v[24:25]
	;; [unrolled: 1-line block ×5, first 2 shown]
	v_add_f64 v[12:13], v[12:13], v[14:15]
	v_add_f64 v[12:13], v[22:23], v[12:13]
	v_mul_f64 v[12:13], v[16:17], v[12:13]
	v_add_f64 v[14:15], v[18:19], v[12:13]
	v_mul_f64 v[16:17], v[14:15], v[14:15]
	v_fma_f64 v[20:21], v[16:17], s[6:7], s[4:5]
	s_mov_b32 s4, 0xd7f4df2e
	s_mov_b32 s5, 0x3fc7474d
	v_mul_f64 v[22:23], v[14:15], v[16:17]
	v_fma_f64 v[20:21], v[16:17], v[20:21], s[4:5]
	s_mov_b32 s4, 0x16291751
	s_mov_b32 s5, 0x3fcc71c0
	v_fma_f64 v[20:21], v[16:17], v[20:21], s[4:5]
	s_mov_b32 s4, 0x9b27acf1
	s_mov_b32 s5, 0x3fd24924
	;; [unrolled: 3-line block ×3, first 2 shown]
	v_fma_f64 v[20:21], v[16:17], v[20:21], s[4:5]
	v_fma_f64 v[16:17], v[16:17], v[20:21], s[2:3]
	v_ldexp_f64 v[20:21], v[14:15], 1
	v_add_f64 v[14:15], v[14:15], -v[18:19]
	s_mov_b32 s2, 0xfefa39ef
	s_mov_b32 s3, 0x3fe62e42
	v_mul_f64 v[16:17], v[22:23], v[16:17]
	v_cvt_f64_i32_e32 v[22:23], v6
	v_add_f64 v[12:13], v[12:13], -v[14:15]
	v_add_f64 v[18:19], v[20:21], v[16:17]
	v_mul_f64 v[24:25], v[22:23], s[2:3]
	v_ldexp_f64 v[12:13], v[12:13], 1
	v_add_f64 v[14:15], v[18:19], -v[20:21]
	v_fma_f64 v[20:21], v[22:23], s[2:3], -v[24:25]
	s_mov_b32 s2, 0x3b39803f
	s_mov_b32 s3, 0x3c7abc9e
	v_add_f64 v[14:15], v[16:17], -v[14:15]
	v_fma_f64 v[16:17], v[22:23], s[2:3], v[20:21]
	s_add_u32 s2, s8, s12
	s_addc_u32 s3, s9, s13
	v_add_f64 v[12:13], v[12:13], v[14:15]
	v_add_f64 v[14:15], v[24:25], v[16:17]
	;; [unrolled: 1-line block ×3, first 2 shown]
	v_add_f64 v[24:25], v[14:15], -v[24:25]
	v_add_f64 v[22:23], v[14:15], v[20:21]
	v_add_f64 v[18:19], v[20:21], -v[18:19]
	v_add_f64 v[16:17], v[16:17], -v[24:25]
	;; [unrolled: 1-line block ×6, first 2 shown]
	v_add_f64 v[20:21], v[16:17], v[12:13]
	v_add_f64 v[14:15], v[14:15], -v[28:29]
	v_add_f64 v[14:15], v[18:19], v[14:15]
	v_add_f64 v[18:19], v[20:21], -v[16:17]
	;; [unrolled: 2-line block ×3, first 2 shown]
	v_add_f64 v[12:13], v[12:13], -v[18:19]
	v_add_f64 v[24:25], v[22:23], v[14:15]
	v_add_f64 v[16:17], v[16:17], -v[20:21]
	v_add_f64 v[18:19], v[24:25], -v[22:23]
	v_add_f64 v[12:13], v[12:13], v[16:17]
	v_add_f64 v[14:15], v[14:15], -v[18:19]
	v_add_f64 v[12:13], v[12:13], v[14:15]
	v_add_f64 v[12:13], v[24:25], v[12:13]
	v_cndmask_b32_e64 v6, v12, v7, s1
	v_cndmask_b32_e64 v9, v13, v8, s1
	v_cmp_ngt_f64_e64 s1, 0, v[7:8]
	v_cndmask_b32_e64 v9, 0x7ff80000, v9, s1
	v_cmp_nge_f64_e64 s1, 0, v[7:8]
	v_cndmask_b32_e64 v6, 0, v6, s1
	v_cmp_neq_f64_e64 s1, 0, v[7:8]
	v_cndmask_b32_e64 v7, 0xfff00000, v9, s1
	s_and_saveexec_b32 s1, vcc_lo
	s_cbranch_execnz .LBB25_27
; %bb.21:
	s_or_b32 exec_lo, exec_lo, s1
	s_and_saveexec_b32 s1, s0
	s_cbranch_execnz .LBB25_28
.LBB25_22:
	s_endpgm
.LBB25_23:
	ds_read_b64 v[6:7], v18
	s_or_b32 exec_lo, exec_lo, s3
	v_cmp_gt_u32_e64 s3, 32, v0
	s_and_saveexec_b32 s5, s3
	s_cbranch_execz .LBB25_8
.LBB25_24:
	s_waitcnt lgkmcnt(0)
	ds_bpermute_b32 v1, v12, v7
	ds_bpermute_b32 v8, v12, v6
	s_waitcnt lgkmcnt(1)
	v_mov_b32_e32 v9, v1
	s_waitcnt lgkmcnt(0)
	v_cmp_lt_f64_e64 s4, v[6:7], v[8:9]
	v_cndmask_b32_e64 v7, v7, v1, s4
	v_cndmask_b32_e64 v6, v6, v8, s4
	ds_bpermute_b32 v1, v13, v7
	ds_bpermute_b32 v8, v13, v6
	s_waitcnt lgkmcnt(1)
	v_mov_b32_e32 v9, v1
	s_waitcnt lgkmcnt(0)
	v_cmp_lt_f64_e64 s4, v[6:7], v[8:9]
	v_cndmask_b32_e64 v7, v7, v1, s4
	v_cndmask_b32_e64 v6, v6, v8, s4
	;; [unrolled: 8-line block ×5, first 2 shown]
	s_or_b32 exec_lo, exec_lo, s5
	v_cmp_eq_u32_e64 s4, 0, v0
	s_and_saveexec_b32 s5, s4
	s_cbranch_execnz .LBB25_9
	s_branch .LBB25_10
.LBB25_25:
	ds_read_b64 v[6:7], v18
	s_or_b32 exec_lo, exec_lo, s1
	s_and_saveexec_b32 s1, s3
	s_cbranch_execz .LBB25_18
.LBB25_26:
	s_waitcnt lgkmcnt(0)
	ds_bpermute_b32 v8, v12, v6
	ds_bpermute_b32 v9, v12, v7
	s_waitcnt lgkmcnt(0)
	v_add_f64 v[6:7], v[6:7], v[8:9]
	ds_bpermute_b32 v8, v13, v6
	ds_bpermute_b32 v9, v13, v7
	s_waitcnt lgkmcnt(0)
	v_add_f64 v[6:7], v[6:7], v[8:9]
	;; [unrolled: 4-line block ×5, first 2 shown]
	s_or_b32 exec_lo, exec_lo, s1
	s_and_saveexec_b32 s1, s4
	s_cbranch_execnz .LBB25_19
	s_branch .LBB25_20
.LBB25_27:
	v_add_f64 v[2:3], v[2:3], -v[0:1]
	v_add_f64 v[2:3], v[2:3], -v[6:7]
	global_store_dwordx2 v10, v[2:3], s[2:3]
	s_or_b32 exec_lo, exec_lo, s1
	s_and_saveexec_b32 s1, s0
	s_cbranch_execz .LBB25_22
.LBB25_28:
	v_add_f64 v[0:1], v[4:5], -v[0:1]
	v_add_f64 v[0:1], v[0:1], -v[6:7]
	global_store_dwordx2 v11, v[0:1], s[2:3]
	s_endpgm
	.section	.rodata,"a",@progbits
	.p2align	6, 0x0
	.amdhsa_kernel _ZN2at6native12_GLOBAL__N_122cunn_SoftMaxForwardRegIdddNS1_25LogSoftMaxForwardEpilogueElLi2EEEvPT1_PKT_T3_
		.amdhsa_group_segment_fixed_size 0
		.amdhsa_private_segment_fixed_size 0
		.amdhsa_kernarg_size 280
		.amdhsa_user_sgpr_count 6
		.amdhsa_user_sgpr_private_segment_buffer 1
		.amdhsa_user_sgpr_dispatch_ptr 0
		.amdhsa_user_sgpr_queue_ptr 0
		.amdhsa_user_sgpr_kernarg_segment_ptr 1
		.amdhsa_user_sgpr_dispatch_id 0
		.amdhsa_user_sgpr_flat_scratch_init 0
		.amdhsa_user_sgpr_private_segment_size 0
		.amdhsa_wavefront_size32 1
		.amdhsa_uses_dynamic_stack 0
		.amdhsa_system_sgpr_private_segment_wavefront_offset 0
		.amdhsa_system_sgpr_workgroup_id_x 1
		.amdhsa_system_sgpr_workgroup_id_y 0
		.amdhsa_system_sgpr_workgroup_id_z 0
		.amdhsa_system_sgpr_workgroup_info 0
		.amdhsa_system_vgpr_workitem_id 0
		.amdhsa_next_free_vgpr 30
		.amdhsa_next_free_sgpr 16
		.amdhsa_reserve_vcc 1
		.amdhsa_reserve_flat_scratch 0
		.amdhsa_float_round_mode_32 0
		.amdhsa_float_round_mode_16_64 0
		.amdhsa_float_denorm_mode_32 3
		.amdhsa_float_denorm_mode_16_64 3
		.amdhsa_dx10_clamp 1
		.amdhsa_ieee_mode 1
		.amdhsa_fp16_overflow 0
		.amdhsa_workgroup_processor_mode 1
		.amdhsa_memory_ordered 1
		.amdhsa_forward_progress 1
		.amdhsa_shared_vgpr_count 0
		.amdhsa_exception_fp_ieee_invalid_op 0
		.amdhsa_exception_fp_denorm_src 0
		.amdhsa_exception_fp_ieee_div_zero 0
		.amdhsa_exception_fp_ieee_overflow 0
		.amdhsa_exception_fp_ieee_underflow 0
		.amdhsa_exception_fp_ieee_inexact 0
		.amdhsa_exception_int_div_zero 0
	.end_amdhsa_kernel
	.section	.text._ZN2at6native12_GLOBAL__N_122cunn_SoftMaxForwardRegIdddNS1_25LogSoftMaxForwardEpilogueElLi2EEEvPT1_PKT_T3_,"axG",@progbits,_ZN2at6native12_GLOBAL__N_122cunn_SoftMaxForwardRegIdddNS1_25LogSoftMaxForwardEpilogueElLi2EEEvPT1_PKT_T3_,comdat
.Lfunc_end25:
	.size	_ZN2at6native12_GLOBAL__N_122cunn_SoftMaxForwardRegIdddNS1_25LogSoftMaxForwardEpilogueElLi2EEEvPT1_PKT_T3_, .Lfunc_end25-_ZN2at6native12_GLOBAL__N_122cunn_SoftMaxForwardRegIdddNS1_25LogSoftMaxForwardEpilogueElLi2EEEvPT1_PKT_T3_
                                        ; -- End function
	.set _ZN2at6native12_GLOBAL__N_122cunn_SoftMaxForwardRegIdddNS1_25LogSoftMaxForwardEpilogueElLi2EEEvPT1_PKT_T3_.num_vgpr, 30
	.set _ZN2at6native12_GLOBAL__N_122cunn_SoftMaxForwardRegIdddNS1_25LogSoftMaxForwardEpilogueElLi2EEEvPT1_PKT_T3_.num_agpr, 0
	.set _ZN2at6native12_GLOBAL__N_122cunn_SoftMaxForwardRegIdddNS1_25LogSoftMaxForwardEpilogueElLi2EEEvPT1_PKT_T3_.numbered_sgpr, 16
	.set _ZN2at6native12_GLOBAL__N_122cunn_SoftMaxForwardRegIdddNS1_25LogSoftMaxForwardEpilogueElLi2EEEvPT1_PKT_T3_.num_named_barrier, 0
	.set _ZN2at6native12_GLOBAL__N_122cunn_SoftMaxForwardRegIdddNS1_25LogSoftMaxForwardEpilogueElLi2EEEvPT1_PKT_T3_.private_seg_size, 0
	.set _ZN2at6native12_GLOBAL__N_122cunn_SoftMaxForwardRegIdddNS1_25LogSoftMaxForwardEpilogueElLi2EEEvPT1_PKT_T3_.uses_vcc, 1
	.set _ZN2at6native12_GLOBAL__N_122cunn_SoftMaxForwardRegIdddNS1_25LogSoftMaxForwardEpilogueElLi2EEEvPT1_PKT_T3_.uses_flat_scratch, 0
	.set _ZN2at6native12_GLOBAL__N_122cunn_SoftMaxForwardRegIdddNS1_25LogSoftMaxForwardEpilogueElLi2EEEvPT1_PKT_T3_.has_dyn_sized_stack, 0
	.set _ZN2at6native12_GLOBAL__N_122cunn_SoftMaxForwardRegIdddNS1_25LogSoftMaxForwardEpilogueElLi2EEEvPT1_PKT_T3_.has_recursion, 0
	.set _ZN2at6native12_GLOBAL__N_122cunn_SoftMaxForwardRegIdddNS1_25LogSoftMaxForwardEpilogueElLi2EEEvPT1_PKT_T3_.has_indirect_call, 0
	.section	.AMDGPU.csdata,"",@progbits
; Kernel info:
; codeLenInByte = 3316
; TotalNumSgprs: 18
; NumVgprs: 30
; ScratchSize: 0
; MemoryBound: 0
; FloatMode: 240
; IeeeMode: 1
; LDSByteSize: 0 bytes/workgroup (compile time only)
; SGPRBlocks: 0
; VGPRBlocks: 3
; NumSGPRsForWavesPerEU: 18
; NumVGPRsForWavesPerEU: 30
; Occupancy: 16
; WaveLimiterHint : 0
; COMPUTE_PGM_RSRC2:SCRATCH_EN: 0
; COMPUTE_PGM_RSRC2:USER_SGPR: 6
; COMPUTE_PGM_RSRC2:TRAP_HANDLER: 0
; COMPUTE_PGM_RSRC2:TGID_X_EN: 1
; COMPUTE_PGM_RSRC2:TGID_Y_EN: 0
; COMPUTE_PGM_RSRC2:TGID_Z_EN: 0
; COMPUTE_PGM_RSRC2:TIDIG_COMP_CNT: 0
	.section	.text._ZN2at6native12_GLOBAL__N_122cunn_SoftMaxForwardRegIdddNS1_25LogSoftMaxForwardEpilogueElLi3EEEvPT1_PKT_T3_,"axG",@progbits,_ZN2at6native12_GLOBAL__N_122cunn_SoftMaxForwardRegIdddNS1_25LogSoftMaxForwardEpilogueElLi3EEEvPT1_PKT_T3_,comdat
	.globl	_ZN2at6native12_GLOBAL__N_122cunn_SoftMaxForwardRegIdddNS1_25LogSoftMaxForwardEpilogueElLi3EEEvPT1_PKT_T3_ ; -- Begin function _ZN2at6native12_GLOBAL__N_122cunn_SoftMaxForwardRegIdddNS1_25LogSoftMaxForwardEpilogueElLi3EEEvPT1_PKT_T3_
	.p2align	8
	.type	_ZN2at6native12_GLOBAL__N_122cunn_SoftMaxForwardRegIdddNS1_25LogSoftMaxForwardEpilogueElLi3EEEvPT1_PKT_T3_,@function
_ZN2at6native12_GLOBAL__N_122cunn_SoftMaxForwardRegIdddNS1_25LogSoftMaxForwardEpilogueElLi3EEEvPT1_PKT_T3_: ; @_ZN2at6native12_GLOBAL__N_122cunn_SoftMaxForwardRegIdddNS1_25LogSoftMaxForwardEpilogueElLi3EEEvPT1_PKT_T3_
; %bb.0:
	s_clause 0x2
	s_load_dwordx2 s[2:3], s[4:5], 0x10
	s_load_dwordx4 s[8:11], s[4:5], 0x0
	s_load_dword s7, s[4:5], 0x24
	v_mov_b32_e32 v8, 0
	v_mov_b32_e32 v13, -1
	v_mov_b32_e32 v14, 0xffefffff
	v_lshlrev_b32_e32 v15, 3, v0
	s_mov_b32 s0, -1
	v_mov_b32_e32 v1, v8
	v_mov_b32_e32 v7, v8
	;; [unrolled: 1-line block ×6, first 2 shown]
	s_mov_b32 s1, 0xffefffff
	s_waitcnt lgkmcnt(0)
	s_mul_i32 s5, s3, s6
	s_mul_hi_u32 s12, s2, s6
	s_mul_i32 s4, s2, s6
	s_add_i32 s5, s12, s5
	v_cmp_gt_i64_e32 vcc_lo, s[2:3], v[0:1]
	v_mov_b32_e32 v1, v7
	s_lshl_b64 s[12:13], s[4:5], 3
	v_mov_b32_e32 v2, v8
	v_mov_b32_e32 v3, v9
	v_mov_b32_e32 v4, v10
	v_mov_b32_e32 v5, v11
	v_mov_b32_e32 v6, v12
	s_add_u32 s4, s10, s12
	s_addc_u32 s5, s11, s13
	s_and_saveexec_b32 s6, vcc_lo
	s_cbranch_execz .LBB26_2
; %bb.1:
	global_load_dwordx2 v[1:2], v15, s[4:5]
	v_mov_b32_e32 v5, v8
	v_mov_b32_e32 v6, v8
	s_waitcnt vmcnt(0)
	v_max_f64 v[3:4], v[1:2], v[1:2]
	v_max_f64 v[13:14], v[3:4], s[0:1]
	v_mov_b32_e32 v3, v8
	v_mov_b32_e32 v4, v8
.LBB26_2:
	s_or_b32 exec_lo, exec_lo, s6
	s_and_b32 s6, 0xffff, s7
	v_add_nc_u32_e32 v7, s6, v0
	v_cmp_gt_i64_e64 s0, s[2:3], v[7:8]
	v_lshlrev_b32_e32 v16, 3, v7
	s_and_saveexec_b32 s1, s0
	s_cbranch_execz .LBB26_4
; %bb.3:
	global_load_dwordx2 v[3:4], v16, s[4:5]
	v_max_f64 v[10:11], v[13:14], v[13:14]
	s_waitcnt vmcnt(0)
	v_max_f64 v[8:9], v[3:4], v[3:4]
	v_max_f64 v[13:14], v[10:11], v[8:9]
.LBB26_4:
	s_or_b32 exec_lo, exec_lo, s1
	v_add_nc_u32_e32 v7, s6, v7
	v_mov_b32_e32 v8, 0
	v_lshlrev_b32_e32 v17, 3, v7
	v_cmp_gt_i64_e64 s1, s[2:3], v[7:8]
	s_and_saveexec_b32 s2, s1
	s_cbranch_execz .LBB26_6
; %bb.5:
	global_load_dwordx2 v[5:6], v17, s[4:5]
	v_max_f64 v[9:10], v[13:14], v[13:14]
	s_waitcnt vmcnt(0)
	v_max_f64 v[7:8], v[5:6], v[5:6]
	v_max_f64 v[13:14], v[9:10], v[7:8]
.LBB26_6:
	s_or_b32 exec_lo, exec_lo, s2
	v_mbcnt_lo_u32_b32 v11, -1, 0
	v_lshrrev_b32_e32 v21, 2, v0
	s_barrier
	buffer_gl0_inv
	v_lshl_or_b32 v18, v11, 2, 64
	v_cmp_gt_u32_e64 s3, 24, v11
	ds_bpermute_b32 v7, v18, v13
	ds_bpermute_b32 v8, v18, v14
	v_cndmask_b32_e64 v9, 0, 8, s3
	v_cmp_gt_u32_e64 s3, 28, v11
	v_add_lshl_u32 v19, v9, v11, 2
	v_cndmask_b32_e64 v12, 0, 4, s3
	v_cmp_gt_u32_e64 s3, 30, v11
	s_waitcnt lgkmcnt(0)
	v_cmp_lt_f64_e64 s2, v[13:14], v[7:8]
	v_cndmask_b32_e64 v8, v14, v8, s2
	v_cndmask_b32_e64 v7, v13, v7, s2
	v_add_lshl_u32 v13, v12, v11, 2
	v_cndmask_b32_e64 v12, 0, 2, s3
	v_cmp_ne_u32_e64 s3, 31, v11
	ds_bpermute_b32 v10, v19, v8
	ds_bpermute_b32 v9, v19, v7
	v_add_lshl_u32 v14, v12, v11, 2
	v_add_co_ci_u32_e64 v11, null, 0, v11, s3
	v_lshlrev_b32_e32 v20, 2, v11
	v_and_b32_e32 v11, 31, v0
	s_waitcnt lgkmcnt(0)
	v_cmp_lt_f64_e64 s2, v[7:8], v[9:10]
	v_cndmask_b32_e64 v8, v8, v10, s2
	v_cndmask_b32_e64 v7, v7, v9, s2
	ds_bpermute_b32 v10, v13, v8
	ds_bpermute_b32 v9, v13, v7
	s_waitcnt lgkmcnt(0)
	v_cmp_lt_f64_e64 s2, v[7:8], v[9:10]
	v_cndmask_b32_e64 v8, v8, v10, s2
	v_cndmask_b32_e64 v7, v7, v9, s2
	ds_bpermute_b32 v10, v14, v8
	ds_bpermute_b32 v9, v14, v7
	s_waitcnt lgkmcnt(0)
	v_cmp_lt_f64_e64 s2, v[7:8], v[9:10]
	v_cndmask_b32_e64 v8, v8, v10, s2
	v_cndmask_b32_e64 v7, v7, v9, s2
	v_cmp_eq_u32_e64 s2, 0, v11
	ds_bpermute_b32 v12, v20, v8
	ds_bpermute_b32 v9, v20, v7
	s_and_saveexec_b32 s3, s2
	s_xor_b32 s4, exec_lo, s3
	s_cbranch_execz .LBB26_8
; %bb.7:
	s_waitcnt lgkmcnt(1)
	v_mov_b32_e32 v10, v12
	s_waitcnt lgkmcnt(0)
	v_cmp_lt_f64_e64 s3, v[7:8], v[9:10]
	v_add_nc_u32_e32 v10, 0, v21
	v_cndmask_b32_e64 v8, v8, v12, s3
	v_cndmask_b32_e64 v7, v7, v9, s3
	ds_write_b64 v10, v[7:8]
.LBB26_8:
	s_or_b32 exec_lo, exec_lo, s4
	s_lshr_b32 s3, s6, 5
	v_mov_b32_e32 v7, -1
	v_cmp_gt_u32_e64 s3, s3, v0
	v_mov_b32_e32 v8, 0xffefffff
	v_lshl_add_u32 v22, v11, 3, 0
	s_waitcnt lgkmcnt(0)
	s_barrier
	buffer_gl0_inv
	s_and_saveexec_b32 s4, s3
	s_cbranch_execnz .LBB26_26
; %bb.9:
	s_or_b32 exec_lo, exec_lo, s4
	v_cmp_gt_u32_e64 s4, 32, v0
	s_and_saveexec_b32 s6, s4
	s_cbranch_execnz .LBB26_27
.LBB26_10:
	s_or_b32 exec_lo, exec_lo, s6
	v_cmp_eq_u32_e64 s5, 0, v0
	s_and_saveexec_b32 s6, s5
	s_cbranch_execz .LBB26_12
.LBB26_11:
	v_mov_b32_e32 v0, 0
	s_waitcnt lgkmcnt(0)
	ds_write_b64 v0, v[7:8]
.LBB26_12:
	s_or_b32 exec_lo, exec_lo, s6
	v_mov_b32_e32 v0, 0
	s_waitcnt lgkmcnt(0)
	s_barrier
	buffer_gl0_inv
	v_mov_b32_e32 v9, 0
	ds_read_b64 v[7:8], v0
	v_mov_b32_e32 v10, 0
	s_and_saveexec_b32 s10, vcc_lo
	s_cbranch_execnz .LBB26_28
; %bb.13:
	s_or_b32 exec_lo, exec_lo, s10
	s_and_saveexec_b32 s10, s0
	s_cbranch_execnz .LBB26_29
.LBB26_14:
	s_or_b32 exec_lo, exec_lo, s10
	s_and_saveexec_b32 s10, s1
	s_cbranch_execz .LBB26_16
.LBB26_15:
	s_waitcnt lgkmcnt(0)
	v_add_f64 v[11:12], v[5:6], -v[7:8]
	s_mov_b32 s6, 0x652b82fe
	s_mov_b32 s7, 0x3ff71547
	;; [unrolled: 1-line block ×4, first 2 shown]
	v_mul_f64 v[23:24], v[11:12], s[6:7]
	s_mov_b32 s6, 0xfefa39ef
	s_mov_b32 s7, 0xbfe62e42
	v_rndne_f64_e32 v[23:24], v[23:24]
	v_fma_f64 v[25:26], v[23:24], s[6:7], v[11:12]
	s_mov_b32 s6, 0x3b39803f
	s_mov_b32 s7, 0xbc7abc9e
	v_cvt_i32_f64_e32 v0, v[23:24]
	v_fma_f64 v[25:26], v[23:24], s[6:7], v[25:26]
	s_mov_b32 s6, 0xfca7ab0c
	s_mov_b32 s7, 0x3e928af3
	v_fma_f64 v[27:28], v[25:26], s[14:15], s[6:7]
	s_mov_b32 s6, 0x623fde64
	s_mov_b32 s7, 0x3ec71dee
	;; [unrolled: 3-line block ×9, first 2 shown]
	v_fma_f64 v[27:28], v[25:26], v[27:28], s[6:7]
	v_cmp_nlt_f64_e64 s6, 0x40900000, v[11:12]
	v_cmp_ngt_f64_e64 s7, 0xc090cc00, v[11:12]
	v_fma_f64 v[27:28], v[25:26], v[27:28], 1.0
	v_fma_f64 v[23:24], v[25:26], v[27:28], 1.0
	v_ldexp_f64 v[23:24], v[23:24], v0
	v_cndmask_b32_e64 v0, 0x7ff00000, v24, s6
	s_and_b32 s6, s7, s6
	v_cndmask_b32_e64 v11, 0, v23, s6
	v_cndmask_b32_e64 v12, 0, v0, s7
	v_add_f64 v[9:10], v[9:10], v[11:12]
.LBB26_16:
	s_or_b32 exec_lo, exec_lo, s10
	ds_bpermute_b32 v11, v18, v9
	ds_bpermute_b32 v12, v18, v10
	s_waitcnt lgkmcnt(0)
	s_barrier
	buffer_gl0_inv
	v_add_f64 v[9:10], v[9:10], v[11:12]
	ds_bpermute_b32 v11, v19, v9
	ds_bpermute_b32 v12, v19, v10
	s_waitcnt lgkmcnt(0)
	v_add_f64 v[9:10], v[9:10], v[11:12]
	ds_bpermute_b32 v11, v13, v9
	ds_bpermute_b32 v12, v13, v10
	s_waitcnt lgkmcnt(0)
	v_add_f64 v[9:10], v[9:10], v[11:12]
	ds_bpermute_b32 v11, v14, v9
	ds_bpermute_b32 v12, v14, v10
	s_waitcnt lgkmcnt(0)
	v_add_f64 v[9:10], v[9:10], v[11:12]
	ds_bpermute_b32 v11, v20, v9
	ds_bpermute_b32 v12, v20, v10
	s_and_saveexec_b32 s6, s2
	s_xor_b32 s2, exec_lo, s6
	s_cbranch_execz .LBB26_18
; %bb.17:
	s_waitcnt lgkmcnt(0)
	v_add_f64 v[9:10], v[9:10], v[11:12]
	v_add_nc_u32_e32 v0, 0, v21
	ds_write_b64 v0, v[9:10]
.LBB26_18:
	s_or_b32 exec_lo, exec_lo, s2
	v_mov_b32_e32 v9, 0
	v_mov_b32_e32 v10, 0
	s_waitcnt lgkmcnt(0)
	s_barrier
	buffer_gl0_inv
	s_and_saveexec_b32 s2, s3
	s_cbranch_execnz .LBB26_30
; %bb.19:
	s_or_b32 exec_lo, exec_lo, s2
	s_and_saveexec_b32 s2, s4
	s_cbranch_execnz .LBB26_31
.LBB26_20:
	s_or_b32 exec_lo, exec_lo, s2
	s_and_saveexec_b32 s2, s5
	s_cbranch_execz .LBB26_22
.LBB26_21:
	v_mov_b32_e32 v0, 0
	s_waitcnt lgkmcnt(0)
	ds_write_b64 v0, v[9:10]
.LBB26_22:
	s_or_b32 exec_lo, exec_lo, s2
	v_mov_b32_e32 v0, 0
	s_waitcnt lgkmcnt(0)
	s_barrier
	buffer_gl0_inv
	s_mov_b32 s5, 0x3fe55555
	ds_read_b64 v[10:11], v0
	s_mov_b32 s4, 0x55555555
	s_mov_b32 s6, 0x6b47b09a
	;; [unrolled: 1-line block ×5, first 2 shown]
	s_waitcnt lgkmcnt(0)
	v_frexp_mant_f64_e32 v[12:13], v[10:11]
	v_cmp_gt_f64_e64 s2, s[4:5], v[12:13]
	s_mov_b32 s4, 0x55555780
	v_cndmask_b32_e64 v0, 0, 1, s2
	v_ldexp_f64 v[12:13], v[12:13], v0
	v_frexp_exp_i32_f64_e32 v0, v[10:11]
	v_add_f64 v[18:19], v[12:13], 1.0
	v_add_f64 v[24:25], v[12:13], -1.0
	v_subrev_co_ci_u32_e64 v0, null, 0, v0, s2
	s_mov_b32 s2, 0xfefa39ef
	s_mov_b32 s3, 0x3fe62e42
	v_rcp_f64_e32 v[20:21], v[18:19]
	v_add_f64 v[26:27], v[18:19], -1.0
	v_add_f64 v[12:13], v[12:13], -v[26:27]
	v_fma_f64 v[22:23], -v[18:19], v[20:21], 1.0
	v_fma_f64 v[20:21], v[22:23], v[20:21], v[20:21]
	v_fma_f64 v[22:23], -v[18:19], v[20:21], 1.0
	v_fma_f64 v[20:21], v[22:23], v[20:21], v[20:21]
	v_mul_f64 v[22:23], v[24:25], v[20:21]
	v_mul_f64 v[28:29], v[18:19], v[22:23]
	v_fma_f64 v[18:19], v[22:23], v[18:19], -v[28:29]
	v_fma_f64 v[12:13], v[22:23], v[12:13], v[18:19]
	v_add_f64 v[18:19], v[28:29], v[12:13]
	v_add_f64 v[26:27], v[24:25], -v[18:19]
	v_add_f64 v[28:29], v[18:19], -v[28:29]
	;; [unrolled: 1-line block ×5, first 2 shown]
	v_add_f64 v[12:13], v[12:13], v[18:19]
	v_add_f64 v[12:13], v[26:27], v[12:13]
	v_mul_f64 v[12:13], v[20:21], v[12:13]
	v_add_f64 v[18:19], v[22:23], v[12:13]
	v_mul_f64 v[20:21], v[18:19], v[18:19]
	v_fma_f64 v[24:25], v[20:21], s[10:11], s[6:7]
	s_mov_b32 s6, 0xd7f4df2e
	s_mov_b32 s7, 0x3fc7474d
	v_mul_f64 v[26:27], v[18:19], v[20:21]
	v_fma_f64 v[24:25], v[20:21], v[24:25], s[6:7]
	s_mov_b32 s6, 0x16291751
	s_mov_b32 s7, 0x3fcc71c0
	v_fma_f64 v[24:25], v[20:21], v[24:25], s[6:7]
	s_mov_b32 s6, 0x9b27acf1
	s_mov_b32 s7, 0x3fd24924
	;; [unrolled: 3-line block ×3, first 2 shown]
	v_fma_f64 v[24:25], v[20:21], v[24:25], s[6:7]
	v_fma_f64 v[20:21], v[20:21], v[24:25], s[4:5]
	v_ldexp_f64 v[24:25], v[18:19], 1
	v_add_f64 v[18:19], v[18:19], -v[22:23]
	v_mul_f64 v[20:21], v[26:27], v[20:21]
	v_cvt_f64_i32_e32 v[26:27], v0
	v_add_f64 v[12:13], v[12:13], -v[18:19]
	v_add_f64 v[22:23], v[24:25], v[20:21]
	v_mul_f64 v[28:29], v[26:27], s[2:3]
	v_ldexp_f64 v[12:13], v[12:13], 1
	v_add_f64 v[18:19], v[22:23], -v[24:25]
	v_fma_f64 v[24:25], v[26:27], s[2:3], -v[28:29]
	s_mov_b32 s2, 0x3b39803f
	s_mov_b32 s3, 0x3c7abc9e
	v_add_f64 v[18:19], v[20:21], -v[18:19]
	v_fma_f64 v[20:21], v[26:27], s[2:3], v[24:25]
	v_cmp_class_f64_e64 s2, v[10:11], 0x204
	v_add_f64 v[12:13], v[12:13], v[18:19]
	v_add_f64 v[18:19], v[28:29], v[20:21]
	v_add_f64 v[24:25], v[22:23], v[12:13]
	v_add_f64 v[28:29], v[18:19], -v[28:29]
	v_add_f64 v[26:27], v[18:19], v[24:25]
	v_add_f64 v[22:23], v[24:25], -v[22:23]
	v_add_f64 v[20:21], v[20:21], -v[28:29]
	;; [unrolled: 1-line block ×6, first 2 shown]
	v_add_f64 v[24:25], v[20:21], v[12:13]
	v_add_f64 v[18:19], v[18:19], -v[32:33]
	v_add_f64 v[18:19], v[22:23], v[18:19]
	v_add_f64 v[22:23], v[24:25], -v[20:21]
	;; [unrolled: 2-line block ×3, first 2 shown]
	v_add_f64 v[12:13], v[12:13], -v[22:23]
	v_add_f64 v[28:29], v[26:27], v[18:19]
	v_add_f64 v[20:21], v[20:21], -v[24:25]
	v_add_f64 v[22:23], v[28:29], -v[26:27]
	v_add_f64 v[12:13], v[12:13], v[20:21]
	v_add_f64 v[18:19], v[18:19], -v[22:23]
	v_add_f64 v[12:13], v[12:13], v[18:19]
	v_add_f64 v[12:13], v[28:29], v[12:13]
	v_cndmask_b32_e64 v0, v12, v10, s2
	v_cndmask_b32_e64 v9, v13, v11, s2
	v_cmp_ngt_f64_e64 s2, 0, v[10:11]
	v_cndmask_b32_e64 v12, 0x7ff80000, v9, s2
	v_cmp_nge_f64_e64 s2, 0, v[10:11]
	v_cndmask_b32_e64 v9, 0, v0, s2
	v_cmp_neq_f64_e64 s2, 0, v[10:11]
	v_cndmask_b32_e64 v10, 0xfff00000, v12, s2
	s_add_u32 s2, s8, s12
	s_addc_u32 s3, s9, s13
	s_and_saveexec_b32 s4, vcc_lo
	s_cbranch_execnz .LBB26_32
; %bb.23:
	s_or_b32 exec_lo, exec_lo, s4
	s_and_saveexec_b32 s4, s0
	s_cbranch_execnz .LBB26_33
.LBB26_24:
	s_or_b32 exec_lo, exec_lo, s4
	s_and_saveexec_b32 s0, s1
	s_cbranch_execnz .LBB26_34
.LBB26_25:
	s_endpgm
.LBB26_26:
	ds_read_b64 v[7:8], v22
	s_or_b32 exec_lo, exec_lo, s4
	v_cmp_gt_u32_e64 s4, 32, v0
	s_and_saveexec_b32 s6, s4
	s_cbranch_execz .LBB26_10
.LBB26_27:
	s_waitcnt lgkmcnt(0)
	ds_bpermute_b32 v11, v18, v8
	ds_bpermute_b32 v9, v18, v7
	s_waitcnt lgkmcnt(1)
	v_mov_b32_e32 v10, v11
	s_waitcnt lgkmcnt(0)
	v_cmp_lt_f64_e64 s5, v[7:8], v[9:10]
	v_cndmask_b32_e64 v8, v8, v11, s5
	v_cndmask_b32_e64 v7, v7, v9, s5
	ds_bpermute_b32 v11, v19, v8
	ds_bpermute_b32 v9, v19, v7
	s_waitcnt lgkmcnt(1)
	v_mov_b32_e32 v10, v11
	s_waitcnt lgkmcnt(0)
	v_cmp_lt_f64_e64 s5, v[7:8], v[9:10]
	v_cndmask_b32_e64 v8, v8, v11, s5
	v_cndmask_b32_e64 v7, v7, v9, s5
	ds_bpermute_b32 v11, v13, v8
	ds_bpermute_b32 v9, v13, v7
	s_waitcnt lgkmcnt(1)
	v_mov_b32_e32 v10, v11
	s_waitcnt lgkmcnt(0)
	v_cmp_lt_f64_e64 s5, v[7:8], v[9:10]
	v_cndmask_b32_e64 v8, v8, v11, s5
	v_cndmask_b32_e64 v7, v7, v9, s5
	ds_bpermute_b32 v11, v14, v8
	ds_bpermute_b32 v9, v14, v7
	s_waitcnt lgkmcnt(1)
	v_mov_b32_e32 v10, v11
	s_waitcnt lgkmcnt(0)
	v_cmp_lt_f64_e64 s5, v[7:8], v[9:10]
	v_cndmask_b32_e64 v8, v8, v11, s5
	v_cndmask_b32_e64 v7, v7, v9, s5
	ds_bpermute_b32 v11, v20, v8
	ds_bpermute_b32 v9, v20, v7
	s_waitcnt lgkmcnt(1)
	v_mov_b32_e32 v10, v11
	s_waitcnt lgkmcnt(0)
	v_cmp_lt_f64_e64 s5, v[7:8], v[9:10]
	v_cndmask_b32_e64 v8, v8, v11, s5
	v_cndmask_b32_e64 v7, v7, v9, s5
	s_or_b32 exec_lo, exec_lo, s6
	v_cmp_eq_u32_e64 s5, 0, v0
	s_and_saveexec_b32 s6, s5
	s_cbranch_execnz .LBB26_11
	s_branch .LBB26_12
.LBB26_28:
	s_waitcnt lgkmcnt(0)
	v_add_f64 v[9:10], v[1:2], -v[7:8]
	s_mov_b32 s6, 0x652b82fe
	s_mov_b32 s7, 0x3ff71547
	;; [unrolled: 1-line block ×4, first 2 shown]
	v_mul_f64 v[11:12], v[9:10], s[6:7]
	s_mov_b32 s6, 0xfefa39ef
	s_mov_b32 s7, 0xbfe62e42
	v_rndne_f64_e32 v[11:12], v[11:12]
	v_fma_f64 v[23:24], v[11:12], s[6:7], v[9:10]
	s_mov_b32 s6, 0x3b39803f
	s_mov_b32 s7, 0xbc7abc9e
	v_cvt_i32_f64_e32 v0, v[11:12]
	v_fma_f64 v[23:24], v[11:12], s[6:7], v[23:24]
	s_mov_b32 s6, 0xfca7ab0c
	s_mov_b32 s7, 0x3e928af3
	v_fma_f64 v[25:26], v[23:24], s[14:15], s[6:7]
	s_mov_b32 s6, 0x623fde64
	s_mov_b32 s7, 0x3ec71dee
	;; [unrolled: 3-line block ×9, first 2 shown]
	v_fma_f64 v[25:26], v[23:24], v[25:26], s[6:7]
	v_cmp_nlt_f64_e64 s6, 0x40900000, v[9:10]
	v_cmp_ngt_f64_e64 s7, 0xc090cc00, v[9:10]
	v_fma_f64 v[25:26], v[23:24], v[25:26], 1.0
	v_fma_f64 v[11:12], v[23:24], v[25:26], 1.0
	v_ldexp_f64 v[11:12], v[11:12], v0
	v_add_f64 v[11:12], v[11:12], 0
	v_cndmask_b32_e64 v0, 0x7ff00000, v12, s6
	s_and_b32 s6, s7, s6
	v_cndmask_b32_e64 v9, 0, v11, s6
	v_cndmask_b32_e64 v10, 0, v0, s7
	s_or_b32 exec_lo, exec_lo, s10
	s_and_saveexec_b32 s10, s0
	s_cbranch_execz .LBB26_14
.LBB26_29:
	s_waitcnt lgkmcnt(0)
	v_add_f64 v[11:12], v[3:4], -v[7:8]
	s_mov_b32 s6, 0x652b82fe
	s_mov_b32 s7, 0x3ff71547
	s_mov_b32 s14, 0x6a5dcb37
	s_mov_b32 s15, 0x3e5ade15
	v_mul_f64 v[23:24], v[11:12], s[6:7]
	s_mov_b32 s6, 0xfefa39ef
	s_mov_b32 s7, 0xbfe62e42
	v_rndne_f64_e32 v[23:24], v[23:24]
	v_fma_f64 v[25:26], v[23:24], s[6:7], v[11:12]
	s_mov_b32 s6, 0x3b39803f
	s_mov_b32 s7, 0xbc7abc9e
	v_cvt_i32_f64_e32 v0, v[23:24]
	v_fma_f64 v[25:26], v[23:24], s[6:7], v[25:26]
	s_mov_b32 s6, 0xfca7ab0c
	s_mov_b32 s7, 0x3e928af3
	v_fma_f64 v[27:28], v[25:26], s[14:15], s[6:7]
	s_mov_b32 s6, 0x623fde64
	s_mov_b32 s7, 0x3ec71dee
	;; [unrolled: 3-line block ×9, first 2 shown]
	v_fma_f64 v[27:28], v[25:26], v[27:28], s[6:7]
	v_cmp_nlt_f64_e64 s6, 0x40900000, v[11:12]
	v_cmp_ngt_f64_e64 s7, 0xc090cc00, v[11:12]
	v_fma_f64 v[27:28], v[25:26], v[27:28], 1.0
	v_fma_f64 v[23:24], v[25:26], v[27:28], 1.0
	v_ldexp_f64 v[23:24], v[23:24], v0
	v_cndmask_b32_e64 v0, 0x7ff00000, v24, s6
	s_and_b32 s6, s7, s6
	v_cndmask_b32_e64 v11, 0, v23, s6
	v_cndmask_b32_e64 v12, 0, v0, s7
	v_add_f64 v[9:10], v[9:10], v[11:12]
	s_or_b32 exec_lo, exec_lo, s10
	s_and_saveexec_b32 s10, s1
	s_cbranch_execnz .LBB26_15
	s_branch .LBB26_16
.LBB26_30:
	ds_read_b64 v[9:10], v22
	s_or_b32 exec_lo, exec_lo, s2
	s_and_saveexec_b32 s2, s4
	s_cbranch_execz .LBB26_20
.LBB26_31:
	s_waitcnt lgkmcnt(0)
	ds_bpermute_b32 v11, v18, v9
	ds_bpermute_b32 v12, v18, v10
	s_waitcnt lgkmcnt(0)
	v_add_f64 v[9:10], v[9:10], v[11:12]
	ds_bpermute_b32 v11, v19, v9
	ds_bpermute_b32 v12, v19, v10
	s_waitcnt lgkmcnt(0)
	v_add_f64 v[9:10], v[9:10], v[11:12]
	;; [unrolled: 4-line block ×5, first 2 shown]
	s_or_b32 exec_lo, exec_lo, s2
	s_and_saveexec_b32 s2, s5
	s_cbranch_execnz .LBB26_21
	s_branch .LBB26_22
.LBB26_32:
	v_add_f64 v[0:1], v[1:2], -v[7:8]
	v_add_f64 v[0:1], v[0:1], -v[9:10]
	global_store_dwordx2 v15, v[0:1], s[2:3]
	s_or_b32 exec_lo, exec_lo, s4
	s_and_saveexec_b32 s4, s0
	s_cbranch_execz .LBB26_24
.LBB26_33:
	v_add_f64 v[0:1], v[3:4], -v[7:8]
	v_add_f64 v[0:1], v[0:1], -v[9:10]
	global_store_dwordx2 v16, v[0:1], s[2:3]
	s_or_b32 exec_lo, exec_lo, s4
	s_and_saveexec_b32 s0, s1
	s_cbranch_execz .LBB26_25
.LBB26_34:
	v_add_f64 v[0:1], v[5:6], -v[7:8]
	v_add_f64 v[0:1], v[0:1], -v[9:10]
	global_store_dwordx2 v17, v[0:1], s[2:3]
	s_endpgm
	.section	.rodata,"a",@progbits
	.p2align	6, 0x0
	.amdhsa_kernel _ZN2at6native12_GLOBAL__N_122cunn_SoftMaxForwardRegIdddNS1_25LogSoftMaxForwardEpilogueElLi3EEEvPT1_PKT_T3_
		.amdhsa_group_segment_fixed_size 0
		.amdhsa_private_segment_fixed_size 0
		.amdhsa_kernarg_size 280
		.amdhsa_user_sgpr_count 6
		.amdhsa_user_sgpr_private_segment_buffer 1
		.amdhsa_user_sgpr_dispatch_ptr 0
		.amdhsa_user_sgpr_queue_ptr 0
		.amdhsa_user_sgpr_kernarg_segment_ptr 1
		.amdhsa_user_sgpr_dispatch_id 0
		.amdhsa_user_sgpr_flat_scratch_init 0
		.amdhsa_user_sgpr_private_segment_size 0
		.amdhsa_wavefront_size32 1
		.amdhsa_uses_dynamic_stack 0
		.amdhsa_system_sgpr_private_segment_wavefront_offset 0
		.amdhsa_system_sgpr_workgroup_id_x 1
		.amdhsa_system_sgpr_workgroup_id_y 0
		.amdhsa_system_sgpr_workgroup_id_z 0
		.amdhsa_system_sgpr_workgroup_info 0
		.amdhsa_system_vgpr_workitem_id 0
		.amdhsa_next_free_vgpr 34
		.amdhsa_next_free_sgpr 16
		.amdhsa_reserve_vcc 1
		.amdhsa_reserve_flat_scratch 0
		.amdhsa_float_round_mode_32 0
		.amdhsa_float_round_mode_16_64 0
		.amdhsa_float_denorm_mode_32 3
		.amdhsa_float_denorm_mode_16_64 3
		.amdhsa_dx10_clamp 1
		.amdhsa_ieee_mode 1
		.amdhsa_fp16_overflow 0
		.amdhsa_workgroup_processor_mode 1
		.amdhsa_memory_ordered 1
		.amdhsa_forward_progress 1
		.amdhsa_shared_vgpr_count 0
		.amdhsa_exception_fp_ieee_invalid_op 0
		.amdhsa_exception_fp_denorm_src 0
		.amdhsa_exception_fp_ieee_div_zero 0
		.amdhsa_exception_fp_ieee_overflow 0
		.amdhsa_exception_fp_ieee_underflow 0
		.amdhsa_exception_fp_ieee_inexact 0
		.amdhsa_exception_int_div_zero 0
	.end_amdhsa_kernel
	.section	.text._ZN2at6native12_GLOBAL__N_122cunn_SoftMaxForwardRegIdddNS1_25LogSoftMaxForwardEpilogueElLi3EEEvPT1_PKT_T3_,"axG",@progbits,_ZN2at6native12_GLOBAL__N_122cunn_SoftMaxForwardRegIdddNS1_25LogSoftMaxForwardEpilogueElLi3EEEvPT1_PKT_T3_,comdat
.Lfunc_end26:
	.size	_ZN2at6native12_GLOBAL__N_122cunn_SoftMaxForwardRegIdddNS1_25LogSoftMaxForwardEpilogueElLi3EEEvPT1_PKT_T3_, .Lfunc_end26-_ZN2at6native12_GLOBAL__N_122cunn_SoftMaxForwardRegIdddNS1_25LogSoftMaxForwardEpilogueElLi3EEEvPT1_PKT_T3_
                                        ; -- End function
	.set _ZN2at6native12_GLOBAL__N_122cunn_SoftMaxForwardRegIdddNS1_25LogSoftMaxForwardEpilogueElLi3EEEvPT1_PKT_T3_.num_vgpr, 34
	.set _ZN2at6native12_GLOBAL__N_122cunn_SoftMaxForwardRegIdddNS1_25LogSoftMaxForwardEpilogueElLi3EEEvPT1_PKT_T3_.num_agpr, 0
	.set _ZN2at6native12_GLOBAL__N_122cunn_SoftMaxForwardRegIdddNS1_25LogSoftMaxForwardEpilogueElLi3EEEvPT1_PKT_T3_.numbered_sgpr, 16
	.set _ZN2at6native12_GLOBAL__N_122cunn_SoftMaxForwardRegIdddNS1_25LogSoftMaxForwardEpilogueElLi3EEEvPT1_PKT_T3_.num_named_barrier, 0
	.set _ZN2at6native12_GLOBAL__N_122cunn_SoftMaxForwardRegIdddNS1_25LogSoftMaxForwardEpilogueElLi3EEEvPT1_PKT_T3_.private_seg_size, 0
	.set _ZN2at6native12_GLOBAL__N_122cunn_SoftMaxForwardRegIdddNS1_25LogSoftMaxForwardEpilogueElLi3EEEvPT1_PKT_T3_.uses_vcc, 1
	.set _ZN2at6native12_GLOBAL__N_122cunn_SoftMaxForwardRegIdddNS1_25LogSoftMaxForwardEpilogueElLi3EEEvPT1_PKT_T3_.uses_flat_scratch, 0
	.set _ZN2at6native12_GLOBAL__N_122cunn_SoftMaxForwardRegIdddNS1_25LogSoftMaxForwardEpilogueElLi3EEEvPT1_PKT_T3_.has_dyn_sized_stack, 0
	.set _ZN2at6native12_GLOBAL__N_122cunn_SoftMaxForwardRegIdddNS1_25LogSoftMaxForwardEpilogueElLi3EEEvPT1_PKT_T3_.has_recursion, 0
	.set _ZN2at6native12_GLOBAL__N_122cunn_SoftMaxForwardRegIdddNS1_25LogSoftMaxForwardEpilogueElLi3EEEvPT1_PKT_T3_.has_indirect_call, 0
	.section	.AMDGPU.csdata,"",@progbits
; Kernel info:
; codeLenInByte = 3912
; TotalNumSgprs: 18
; NumVgprs: 34
; ScratchSize: 0
; MemoryBound: 0
; FloatMode: 240
; IeeeMode: 1
; LDSByteSize: 0 bytes/workgroup (compile time only)
; SGPRBlocks: 0
; VGPRBlocks: 4
; NumSGPRsForWavesPerEU: 18
; NumVGPRsForWavesPerEU: 34
; Occupancy: 16
; WaveLimiterHint : 0
; COMPUTE_PGM_RSRC2:SCRATCH_EN: 0
; COMPUTE_PGM_RSRC2:USER_SGPR: 6
; COMPUTE_PGM_RSRC2:TRAP_HANDLER: 0
; COMPUTE_PGM_RSRC2:TGID_X_EN: 1
; COMPUTE_PGM_RSRC2:TGID_Y_EN: 0
; COMPUTE_PGM_RSRC2:TGID_Z_EN: 0
; COMPUTE_PGM_RSRC2:TIDIG_COMP_CNT: 0
	.section	.text._ZN2at6native12_GLOBAL__N_122cunn_SoftMaxForwardRegIdddNS1_25LogSoftMaxForwardEpilogueElLi4EEEvPT1_PKT_T3_,"axG",@progbits,_ZN2at6native12_GLOBAL__N_122cunn_SoftMaxForwardRegIdddNS1_25LogSoftMaxForwardEpilogueElLi4EEEvPT1_PKT_T3_,comdat
	.globl	_ZN2at6native12_GLOBAL__N_122cunn_SoftMaxForwardRegIdddNS1_25LogSoftMaxForwardEpilogueElLi4EEEvPT1_PKT_T3_ ; -- Begin function _ZN2at6native12_GLOBAL__N_122cunn_SoftMaxForwardRegIdddNS1_25LogSoftMaxForwardEpilogueElLi4EEEvPT1_PKT_T3_
	.p2align	8
	.type	_ZN2at6native12_GLOBAL__N_122cunn_SoftMaxForwardRegIdddNS1_25LogSoftMaxForwardEpilogueElLi4EEEvPT1_PKT_T3_,@function
_ZN2at6native12_GLOBAL__N_122cunn_SoftMaxForwardRegIdddNS1_25LogSoftMaxForwardEpilogueElLi4EEEvPT1_PKT_T3_: ; @_ZN2at6native12_GLOBAL__N_122cunn_SoftMaxForwardRegIdddNS1_25LogSoftMaxForwardEpilogueElLi4EEEvPT1_PKT_T3_
; %bb.0:
	s_clause 0x2
	s_load_dwordx2 s[2:3], s[4:5], 0x10
	s_load_dwordx4 s[12:15], s[4:5], 0x0
	s_load_dword s7, s[4:5], 0x24
	v_mov_b32_e32 v10, 0
	v_mov_b32_e32 v17, -1
	v_mov_b32_e32 v18, 0xffefffff
	v_lshlrev_b32_e32 v19, 3, v0
	s_mov_b32 s0, -1
	v_mov_b32_e32 v1, v10
	v_mov_b32_e32 v9, v10
	v_mov_b32_e32 v11, v10
	v_mov_b32_e32 v12, v10
	v_mov_b32_e32 v13, v10
	v_mov_b32_e32 v14, v10
	v_mov_b32_e32 v15, v10
	v_mov_b32_e32 v16, v10
	s_mov_b32 s1, 0xffefffff
	s_waitcnt lgkmcnt(0)
	s_mul_i32 s5, s3, s6
	s_mul_hi_u32 s8, s2, s6
	s_mul_i32 s4, s2, s6
	s_add_i32 s5, s8, s5
	v_cmp_gt_i64_e32 vcc_lo, s[2:3], v[0:1]
	v_mov_b32_e32 v1, v9
	s_lshl_b64 s[10:11], s[4:5], 3
	v_mov_b32_e32 v2, v10
	v_mov_b32_e32 v3, v11
	;; [unrolled: 1-line block ×7, first 2 shown]
	s_add_u32 s4, s14, s10
	s_addc_u32 s5, s15, s11
	s_and_saveexec_b32 s6, vcc_lo
	s_cbranch_execz .LBB27_2
; %bb.1:
	global_load_dwordx2 v[1:2], v19, s[4:5]
	v_mov_b32_e32 v5, v10
	v_mov_b32_e32 v6, v10
	v_mov_b32_e32 v7, v10
	v_mov_b32_e32 v8, v10
	s_waitcnt vmcnt(0)
	v_max_f64 v[3:4], v[1:2], v[1:2]
	v_max_f64 v[17:18], v[3:4], s[0:1]
	v_mov_b32_e32 v3, v10
	v_mov_b32_e32 v4, v10
.LBB27_2:
	s_or_b32 exec_lo, exec_lo, s6
	s_and_b32 s6, 0xffff, s7
	v_add_nc_u32_e32 v9, s6, v0
	v_cmp_gt_i64_e64 s0, s[2:3], v[9:10]
	v_lshlrev_b32_e32 v15, 3, v9
	s_and_saveexec_b32 s1, s0
	s_cbranch_execz .LBB27_4
; %bb.3:
	global_load_dwordx2 v[3:4], v15, s[4:5]
	v_max_f64 v[12:13], v[17:18], v[17:18]
	s_waitcnt vmcnt(0)
	v_max_f64 v[10:11], v[3:4], v[3:4]
	v_max_f64 v[17:18], v[12:13], v[10:11]
.LBB27_4:
	s_or_b32 exec_lo, exec_lo, s1
	v_add_nc_u32_e32 v9, s6, v9
	v_mov_b32_e32 v10, 0
	v_lshlrev_b32_e32 v16, 3, v9
	v_cmp_gt_i64_e64 s1, s[2:3], v[9:10]
	s_and_saveexec_b32 s7, s1
	s_cbranch_execz .LBB27_6
; %bb.5:
	global_load_dwordx2 v[5:6], v16, s[4:5]
	v_max_f64 v[13:14], v[17:18], v[17:18]
	s_waitcnt vmcnt(0)
	v_max_f64 v[11:12], v[5:6], v[5:6]
	v_max_f64 v[17:18], v[13:14], v[11:12]
.LBB27_6:
	s_or_b32 exec_lo, exec_lo, s7
	v_add_nc_u32_e32 v9, s6, v9
	v_cmp_gt_i64_e64 s2, s[2:3], v[9:10]
	v_lshlrev_b32_e32 v20, 3, v9
	s_and_saveexec_b32 s3, s2
	s_cbranch_execz .LBB27_8
; %bb.7:
	global_load_dwordx2 v[7:8], v20, s[4:5]
	v_max_f64 v[11:12], v[17:18], v[17:18]
	s_waitcnt vmcnt(0)
	v_max_f64 v[9:10], v[7:8], v[7:8]
	v_max_f64 v[17:18], v[11:12], v[9:10]
.LBB27_8:
	s_or_b32 exec_lo, exec_lo, s3
	v_mbcnt_lo_u32_b32 v13, -1, 0
	v_lshrrev_b32_e32 v24, 2, v0
	s_barrier
	buffer_gl0_inv
	v_lshl_or_b32 v21, v13, 2, 64
	v_cmp_gt_u32_e64 s4, 24, v13
	ds_bpermute_b32 v9, v21, v17
	ds_bpermute_b32 v10, v21, v18
	v_cndmask_b32_e64 v11, 0, 8, s4
	v_cmp_gt_u32_e64 s4, 28, v13
	v_add_lshl_u32 v22, v11, v13, 2
	v_cndmask_b32_e64 v14, 0, 4, s4
	v_cmp_gt_u32_e64 s4, 30, v13
	s_waitcnt lgkmcnt(0)
	v_cmp_lt_f64_e64 s3, v[17:18], v[9:10]
	v_cndmask_b32_e64 v10, v18, v10, s3
	v_cndmask_b32_e64 v9, v17, v9, s3
	v_add_lshl_u32 v17, v14, v13, 2
	v_cndmask_b32_e64 v14, 0, 2, s4
	v_cmp_ne_u32_e64 s4, 31, v13
	ds_bpermute_b32 v12, v22, v10
	ds_bpermute_b32 v11, v22, v9
	v_add_lshl_u32 v18, v14, v13, 2
	v_add_co_ci_u32_e64 v13, null, 0, v13, s4
	v_lshlrev_b32_e32 v23, 2, v13
	v_and_b32_e32 v13, 31, v0
	s_waitcnt lgkmcnt(0)
	v_cmp_lt_f64_e64 s3, v[9:10], v[11:12]
	v_cndmask_b32_e64 v10, v10, v12, s3
	v_cndmask_b32_e64 v9, v9, v11, s3
	ds_bpermute_b32 v12, v17, v10
	ds_bpermute_b32 v11, v17, v9
	s_waitcnt lgkmcnt(0)
	v_cmp_lt_f64_e64 s3, v[9:10], v[11:12]
	v_cndmask_b32_e64 v10, v10, v12, s3
	v_cndmask_b32_e64 v9, v9, v11, s3
	ds_bpermute_b32 v12, v18, v10
	ds_bpermute_b32 v11, v18, v9
	s_waitcnt lgkmcnt(0)
	v_cmp_lt_f64_e64 s3, v[9:10], v[11:12]
	v_cndmask_b32_e64 v10, v10, v12, s3
	v_cndmask_b32_e64 v9, v9, v11, s3
	v_cmp_eq_u32_e64 s3, 0, v13
	ds_bpermute_b32 v14, v23, v10
	ds_bpermute_b32 v11, v23, v9
	s_and_saveexec_b32 s4, s3
	s_xor_b32 s5, exec_lo, s4
	s_cbranch_execz .LBB27_10
; %bb.9:
	s_waitcnt lgkmcnt(1)
	v_mov_b32_e32 v12, v14
	s_waitcnt lgkmcnt(0)
	v_cmp_lt_f64_e64 s4, v[9:10], v[11:12]
	v_add_nc_u32_e32 v12, 0, v24
	v_cndmask_b32_e64 v10, v10, v14, s4
	v_cndmask_b32_e64 v9, v9, v11, s4
	ds_write_b64 v12, v[9:10]
.LBB27_10:
	s_or_b32 exec_lo, exec_lo, s5
	s_lshr_b32 s4, s6, 5
	v_mov_b32_e32 v9, -1
	v_cmp_gt_u32_e64 s4, s4, v0
	v_mov_b32_e32 v10, 0xffefffff
	v_lshl_add_u32 v25, v13, 3, 0
	s_waitcnt lgkmcnt(0)
	s_barrier
	buffer_gl0_inv
	s_and_saveexec_b32 s5, s4
	s_cbranch_execnz .LBB27_30
; %bb.11:
	s_or_b32 exec_lo, exec_lo, s5
	v_cmp_gt_u32_e64 s5, 32, v0
	s_and_saveexec_b32 s7, s5
	s_cbranch_execnz .LBB27_31
.LBB27_12:
	s_or_b32 exec_lo, exec_lo, s7
	v_cmp_eq_u32_e64 s6, 0, v0
	s_and_saveexec_b32 s7, s6
	s_cbranch_execz .LBB27_14
.LBB27_13:
	v_mov_b32_e32 v0, 0
	s_waitcnt lgkmcnt(0)
	ds_write_b64 v0, v[9:10]
.LBB27_14:
	s_or_b32 exec_lo, exec_lo, s7
	v_mov_b32_e32 v0, 0
	s_waitcnt lgkmcnt(0)
	s_barrier
	buffer_gl0_inv
	v_mov_b32_e32 v11, 0
	ds_read_b64 v[9:10], v0
	v_mov_b32_e32 v12, 0
	s_and_saveexec_b32 s9, vcc_lo
	s_cbranch_execnz .LBB27_32
; %bb.15:
	s_or_b32 exec_lo, exec_lo, s9
	s_and_saveexec_b32 s9, s0
	s_cbranch_execnz .LBB27_33
.LBB27_16:
	s_or_b32 exec_lo, exec_lo, s9
	s_and_saveexec_b32 s9, s1
	s_cbranch_execnz .LBB27_34
.LBB27_17:
	s_or_b32 exec_lo, exec_lo, s9
	s_and_saveexec_b32 s9, s2
	s_cbranch_execz .LBB27_19
.LBB27_18:
	s_waitcnt lgkmcnt(0)
	v_add_f64 v[13:14], v[7:8], -v[9:10]
	s_mov_b32 s14, 0x652b82fe
	s_mov_b32 s15, 0x3ff71547
	;; [unrolled: 1-line block ×4, first 2 shown]
	v_mul_f64 v[26:27], v[13:14], s[14:15]
	s_mov_b32 s14, 0xfefa39ef
	s_mov_b32 s15, 0xbfe62e42
	v_cmp_nlt_f64_e64 s7, 0x40900000, v[13:14]
	v_cmp_ngt_f64_e64 s8, 0xc090cc00, v[13:14]
	v_rndne_f64_e32 v[26:27], v[26:27]
	v_fma_f64 v[28:29], v[26:27], s[14:15], v[13:14]
	s_mov_b32 s14, 0x3b39803f
	s_mov_b32 s15, 0xbc7abc9e
	v_cvt_i32_f64_e32 v0, v[26:27]
	v_fma_f64 v[28:29], v[26:27], s[14:15], v[28:29]
	s_mov_b32 s14, 0xfca7ab0c
	s_mov_b32 s15, 0x3e928af3
	v_fma_f64 v[30:31], v[28:29], s[16:17], s[14:15]
	s_mov_b32 s14, 0x623fde64
	s_mov_b32 s15, 0x3ec71dee
	;; [unrolled: 3-line block ×9, first 2 shown]
	v_fma_f64 v[30:31], v[28:29], v[30:31], s[14:15]
	v_fma_f64 v[30:31], v[28:29], v[30:31], 1.0
	v_fma_f64 v[26:27], v[28:29], v[30:31], 1.0
	v_ldexp_f64 v[26:27], v[26:27], v0
	v_cndmask_b32_e64 v0, 0x7ff00000, v27, s7
	s_and_b32 s7, s8, s7
	v_cndmask_b32_e64 v13, 0, v26, s7
	v_cndmask_b32_e64 v14, 0, v0, s8
	v_add_f64 v[11:12], v[11:12], v[13:14]
.LBB27_19:
	s_or_b32 exec_lo, exec_lo, s9
	ds_bpermute_b32 v13, v21, v11
	ds_bpermute_b32 v14, v21, v12
	s_waitcnt lgkmcnt(0)
	s_barrier
	buffer_gl0_inv
	v_add_f64 v[11:12], v[11:12], v[13:14]
	ds_bpermute_b32 v13, v22, v11
	ds_bpermute_b32 v14, v22, v12
	s_waitcnt lgkmcnt(0)
	v_add_f64 v[11:12], v[11:12], v[13:14]
	ds_bpermute_b32 v13, v17, v11
	ds_bpermute_b32 v14, v17, v12
	s_waitcnt lgkmcnt(0)
	;; [unrolled: 4-line block ×3, first 2 shown]
	v_add_f64 v[11:12], v[11:12], v[13:14]
	ds_bpermute_b32 v13, v23, v11
	ds_bpermute_b32 v14, v23, v12
	s_and_saveexec_b32 s7, s3
	s_xor_b32 s3, exec_lo, s7
	s_cbranch_execz .LBB27_21
; %bb.20:
	s_waitcnt lgkmcnt(0)
	v_add_f64 v[11:12], v[11:12], v[13:14]
	v_add_nc_u32_e32 v0, 0, v24
	ds_write_b64 v0, v[11:12]
.LBB27_21:
	s_or_b32 exec_lo, exec_lo, s3
	v_mov_b32_e32 v11, 0
	v_mov_b32_e32 v12, 0
	s_waitcnt lgkmcnt(0)
	s_barrier
	buffer_gl0_inv
	s_and_saveexec_b32 s3, s4
	s_cbranch_execnz .LBB27_35
; %bb.22:
	s_or_b32 exec_lo, exec_lo, s3
	s_and_saveexec_b32 s3, s5
	s_cbranch_execnz .LBB27_36
.LBB27_23:
	s_or_b32 exec_lo, exec_lo, s3
	s_and_saveexec_b32 s3, s6
	s_cbranch_execz .LBB27_25
.LBB27_24:
	v_mov_b32_e32 v0, 0
	s_waitcnt lgkmcnt(0)
	ds_write_b64 v0, v[11:12]
.LBB27_25:
	s_or_b32 exec_lo, exec_lo, s3
	v_mov_b32_e32 v0, 0
	s_waitcnt lgkmcnt(0)
	s_barrier
	buffer_gl0_inv
	s_mov_b32 s5, 0x3fe55555
	ds_read_b64 v[12:13], v0
	s_mov_b32 s4, 0x55555555
	s_mov_b32 s6, 0x6b47b09a
	;; [unrolled: 1-line block ×5, first 2 shown]
	s_waitcnt lgkmcnt(0)
	v_frexp_mant_f64_e32 v[17:18], v[12:13]
	v_cmp_gt_f64_e64 s3, s[4:5], v[17:18]
	s_mov_b32 s4, 0x55555780
	v_cndmask_b32_e64 v0, 0, 1, s3
	v_ldexp_f64 v[17:18], v[17:18], v0
	v_frexp_exp_i32_f64_e32 v0, v[12:13]
	v_add_f64 v[21:22], v[17:18], 1.0
	v_add_f64 v[27:28], v[17:18], -1.0
	v_subrev_co_ci_u32_e64 v0, null, 0, v0, s3
	v_cmp_class_f64_e64 s3, v[12:13], 0x204
	v_rcp_f64_e32 v[23:24], v[21:22]
	v_add_f64 v[29:30], v[21:22], -1.0
	v_add_f64 v[17:18], v[17:18], -v[29:30]
	v_fma_f64 v[25:26], -v[21:22], v[23:24], 1.0
	v_fma_f64 v[23:24], v[25:26], v[23:24], v[23:24]
	v_fma_f64 v[25:26], -v[21:22], v[23:24], 1.0
	v_fma_f64 v[23:24], v[25:26], v[23:24], v[23:24]
	v_mul_f64 v[25:26], v[27:28], v[23:24]
	v_mul_f64 v[31:32], v[21:22], v[25:26]
	v_fma_f64 v[21:22], v[25:26], v[21:22], -v[31:32]
	v_fma_f64 v[17:18], v[25:26], v[17:18], v[21:22]
	v_add_f64 v[21:22], v[31:32], v[17:18]
	v_add_f64 v[29:30], v[27:28], -v[21:22]
	v_add_f64 v[31:32], v[21:22], -v[31:32]
	;; [unrolled: 1-line block ×5, first 2 shown]
	v_add_f64 v[17:18], v[17:18], v[21:22]
	v_add_f64 v[17:18], v[29:30], v[17:18]
	v_mul_f64 v[17:18], v[23:24], v[17:18]
	v_add_f64 v[21:22], v[25:26], v[17:18]
	v_mul_f64 v[23:24], v[21:22], v[21:22]
	v_fma_f64 v[27:28], v[23:24], s[8:9], s[6:7]
	s_mov_b32 s6, 0xd7f4df2e
	s_mov_b32 s7, 0x3fc7474d
	v_mul_f64 v[29:30], v[21:22], v[23:24]
	v_fma_f64 v[27:28], v[23:24], v[27:28], s[6:7]
	s_mov_b32 s6, 0x16291751
	s_mov_b32 s7, 0x3fcc71c0
	v_fma_f64 v[27:28], v[23:24], v[27:28], s[6:7]
	s_mov_b32 s6, 0x9b27acf1
	s_mov_b32 s7, 0x3fd24924
	;; [unrolled: 3-line block ×3, first 2 shown]
	v_fma_f64 v[27:28], v[23:24], v[27:28], s[6:7]
	v_fma_f64 v[23:24], v[23:24], v[27:28], s[4:5]
	v_ldexp_f64 v[27:28], v[21:22], 1
	v_add_f64 v[21:22], v[21:22], -v[25:26]
	s_mov_b32 s4, 0xfefa39ef
	s_mov_b32 s5, 0x3fe62e42
	v_mul_f64 v[23:24], v[29:30], v[23:24]
	v_cvt_f64_i32_e32 v[29:30], v0
	v_add_f64 v[17:18], v[17:18], -v[21:22]
	v_add_f64 v[25:26], v[27:28], v[23:24]
	v_mul_f64 v[31:32], v[29:30], s[4:5]
	v_ldexp_f64 v[17:18], v[17:18], 1
	v_add_f64 v[21:22], v[25:26], -v[27:28]
	v_fma_f64 v[27:28], v[29:30], s[4:5], -v[31:32]
	s_mov_b32 s4, 0x3b39803f
	s_mov_b32 s5, 0x3c7abc9e
	v_add_f64 v[21:22], v[23:24], -v[21:22]
	v_fma_f64 v[23:24], v[29:30], s[4:5], v[27:28]
	s_add_u32 s4, s12, s10
	s_addc_u32 s5, s13, s11
	v_add_f64 v[17:18], v[17:18], v[21:22]
	v_add_f64 v[21:22], v[31:32], v[23:24]
	;; [unrolled: 1-line block ×3, first 2 shown]
	v_add_f64 v[31:32], v[21:22], -v[31:32]
	v_add_f64 v[29:30], v[21:22], v[27:28]
	v_add_f64 v[25:26], v[27:28], -v[25:26]
	v_add_f64 v[23:24], v[23:24], -v[31:32]
	;; [unrolled: 1-line block ×6, first 2 shown]
	v_add_f64 v[27:28], v[23:24], v[17:18]
	v_add_f64 v[21:22], v[21:22], -v[35:36]
	v_add_f64 v[21:22], v[25:26], v[21:22]
	v_add_f64 v[25:26], v[27:28], -v[23:24]
	;; [unrolled: 2-line block ×3, first 2 shown]
	v_add_f64 v[17:18], v[17:18], -v[25:26]
	v_add_f64 v[31:32], v[29:30], v[21:22]
	v_add_f64 v[23:24], v[23:24], -v[27:28]
	v_add_f64 v[25:26], v[31:32], -v[29:30]
	v_add_f64 v[17:18], v[17:18], v[23:24]
	v_add_f64 v[21:22], v[21:22], -v[25:26]
	v_add_f64 v[17:18], v[17:18], v[21:22]
	v_add_f64 v[17:18], v[31:32], v[17:18]
	v_cndmask_b32_e64 v0, v17, v12, s3
	v_cndmask_b32_e64 v11, v18, v13, s3
	v_cmp_ngt_f64_e64 s3, 0, v[12:13]
	v_cndmask_b32_e64 v14, 0x7ff80000, v11, s3
	v_cmp_nge_f64_e64 s3, 0, v[12:13]
	v_cndmask_b32_e64 v11, 0, v0, s3
	v_cmp_neq_f64_e64 s3, 0, v[12:13]
	v_cndmask_b32_e64 v12, 0xfff00000, v14, s3
	s_and_saveexec_b32 s3, vcc_lo
	s_cbranch_execnz .LBB27_37
; %bb.26:
	s_or_b32 exec_lo, exec_lo, s3
	s_and_saveexec_b32 s3, s0
	s_cbranch_execnz .LBB27_38
.LBB27_27:
	s_or_b32 exec_lo, exec_lo, s3
	s_and_saveexec_b32 s0, s1
	s_cbranch_execnz .LBB27_39
.LBB27_28:
	s_or_b32 exec_lo, exec_lo, s0
	s_and_saveexec_b32 s0, s2
	s_cbranch_execnz .LBB27_40
.LBB27_29:
	s_endpgm
.LBB27_30:
	ds_read_b64 v[9:10], v25
	s_or_b32 exec_lo, exec_lo, s5
	v_cmp_gt_u32_e64 s5, 32, v0
	s_and_saveexec_b32 s7, s5
	s_cbranch_execz .LBB27_12
.LBB27_31:
	s_waitcnt lgkmcnt(0)
	ds_bpermute_b32 v13, v21, v10
	ds_bpermute_b32 v11, v21, v9
	s_waitcnt lgkmcnt(1)
	v_mov_b32_e32 v12, v13
	s_waitcnt lgkmcnt(0)
	v_cmp_lt_f64_e64 s6, v[9:10], v[11:12]
	v_cndmask_b32_e64 v10, v10, v13, s6
	v_cndmask_b32_e64 v9, v9, v11, s6
	ds_bpermute_b32 v13, v22, v10
	ds_bpermute_b32 v11, v22, v9
	s_waitcnt lgkmcnt(1)
	v_mov_b32_e32 v12, v13
	s_waitcnt lgkmcnt(0)
	v_cmp_lt_f64_e64 s6, v[9:10], v[11:12]
	v_cndmask_b32_e64 v10, v10, v13, s6
	v_cndmask_b32_e64 v9, v9, v11, s6
	;; [unrolled: 8-line block ×5, first 2 shown]
	s_or_b32 exec_lo, exec_lo, s7
	v_cmp_eq_u32_e64 s6, 0, v0
	s_and_saveexec_b32 s7, s6
	s_cbranch_execnz .LBB27_13
	s_branch .LBB27_14
.LBB27_32:
	s_waitcnt lgkmcnt(0)
	v_add_f64 v[11:12], v[1:2], -v[9:10]
	s_mov_b32 s14, 0x652b82fe
	s_mov_b32 s15, 0x3ff71547
	;; [unrolled: 1-line block ×4, first 2 shown]
	v_mul_f64 v[13:14], v[11:12], s[14:15]
	s_mov_b32 s14, 0xfefa39ef
	s_mov_b32 s15, 0xbfe62e42
	v_cmp_nlt_f64_e64 s7, 0x40900000, v[11:12]
	v_cmp_ngt_f64_e64 s8, 0xc090cc00, v[11:12]
	v_rndne_f64_e32 v[13:14], v[13:14]
	v_fma_f64 v[26:27], v[13:14], s[14:15], v[11:12]
	s_mov_b32 s14, 0x3b39803f
	s_mov_b32 s15, 0xbc7abc9e
	v_cvt_i32_f64_e32 v0, v[13:14]
	v_fma_f64 v[26:27], v[13:14], s[14:15], v[26:27]
	s_mov_b32 s14, 0xfca7ab0c
	s_mov_b32 s15, 0x3e928af3
	v_fma_f64 v[28:29], v[26:27], s[16:17], s[14:15]
	s_mov_b32 s14, 0x623fde64
	s_mov_b32 s15, 0x3ec71dee
	;; [unrolled: 3-line block ×9, first 2 shown]
	v_fma_f64 v[28:29], v[26:27], v[28:29], s[14:15]
	v_fma_f64 v[28:29], v[26:27], v[28:29], 1.0
	v_fma_f64 v[13:14], v[26:27], v[28:29], 1.0
	v_ldexp_f64 v[13:14], v[13:14], v0
	v_add_f64 v[13:14], v[13:14], 0
	v_cndmask_b32_e64 v0, 0x7ff00000, v14, s7
	s_and_b32 s7, s8, s7
	v_cndmask_b32_e64 v11, 0, v13, s7
	v_cndmask_b32_e64 v12, 0, v0, s8
	s_or_b32 exec_lo, exec_lo, s9
	s_and_saveexec_b32 s9, s0
	s_cbranch_execz .LBB27_16
.LBB27_33:
	s_waitcnt lgkmcnt(0)
	v_add_f64 v[13:14], v[3:4], -v[9:10]
	s_mov_b32 s14, 0x652b82fe
	s_mov_b32 s15, 0x3ff71547
	s_mov_b32 s16, 0x6a5dcb37
	s_mov_b32 s17, 0x3e5ade15
	v_mul_f64 v[26:27], v[13:14], s[14:15]
	s_mov_b32 s14, 0xfefa39ef
	s_mov_b32 s15, 0xbfe62e42
	v_cmp_nlt_f64_e64 s7, 0x40900000, v[13:14]
	v_cmp_ngt_f64_e64 s8, 0xc090cc00, v[13:14]
	v_rndne_f64_e32 v[26:27], v[26:27]
	v_fma_f64 v[28:29], v[26:27], s[14:15], v[13:14]
	s_mov_b32 s14, 0x3b39803f
	s_mov_b32 s15, 0xbc7abc9e
	v_cvt_i32_f64_e32 v0, v[26:27]
	v_fma_f64 v[28:29], v[26:27], s[14:15], v[28:29]
	s_mov_b32 s14, 0xfca7ab0c
	s_mov_b32 s15, 0x3e928af3
	v_fma_f64 v[30:31], v[28:29], s[16:17], s[14:15]
	s_mov_b32 s14, 0x623fde64
	s_mov_b32 s15, 0x3ec71dee
	;; [unrolled: 3-line block ×9, first 2 shown]
	v_fma_f64 v[30:31], v[28:29], v[30:31], s[14:15]
	v_fma_f64 v[30:31], v[28:29], v[30:31], 1.0
	v_fma_f64 v[26:27], v[28:29], v[30:31], 1.0
	v_ldexp_f64 v[26:27], v[26:27], v0
	v_cndmask_b32_e64 v0, 0x7ff00000, v27, s7
	s_and_b32 s7, s8, s7
	v_cndmask_b32_e64 v13, 0, v26, s7
	v_cndmask_b32_e64 v14, 0, v0, s8
	v_add_f64 v[11:12], v[11:12], v[13:14]
	s_or_b32 exec_lo, exec_lo, s9
	s_and_saveexec_b32 s9, s1
	s_cbranch_execz .LBB27_17
.LBB27_34:
	s_waitcnt lgkmcnt(0)
	v_add_f64 v[13:14], v[5:6], -v[9:10]
	s_mov_b32 s14, 0x652b82fe
	s_mov_b32 s15, 0x3ff71547
	s_mov_b32 s16, 0x6a5dcb37
	s_mov_b32 s17, 0x3e5ade15
	v_mul_f64 v[26:27], v[13:14], s[14:15]
	s_mov_b32 s14, 0xfefa39ef
	s_mov_b32 s15, 0xbfe62e42
	v_cmp_nlt_f64_e64 s7, 0x40900000, v[13:14]
	v_cmp_ngt_f64_e64 s8, 0xc090cc00, v[13:14]
	v_rndne_f64_e32 v[26:27], v[26:27]
	v_fma_f64 v[28:29], v[26:27], s[14:15], v[13:14]
	s_mov_b32 s14, 0x3b39803f
	s_mov_b32 s15, 0xbc7abc9e
	v_cvt_i32_f64_e32 v0, v[26:27]
	v_fma_f64 v[28:29], v[26:27], s[14:15], v[28:29]
	s_mov_b32 s14, 0xfca7ab0c
	s_mov_b32 s15, 0x3e928af3
	v_fma_f64 v[30:31], v[28:29], s[16:17], s[14:15]
	s_mov_b32 s14, 0x623fde64
	s_mov_b32 s15, 0x3ec71dee
	;; [unrolled: 3-line block ×9, first 2 shown]
	v_fma_f64 v[30:31], v[28:29], v[30:31], s[14:15]
	v_fma_f64 v[30:31], v[28:29], v[30:31], 1.0
	v_fma_f64 v[26:27], v[28:29], v[30:31], 1.0
	v_ldexp_f64 v[26:27], v[26:27], v0
	v_cndmask_b32_e64 v0, 0x7ff00000, v27, s7
	s_and_b32 s7, s8, s7
	v_cndmask_b32_e64 v13, 0, v26, s7
	v_cndmask_b32_e64 v14, 0, v0, s8
	v_add_f64 v[11:12], v[11:12], v[13:14]
	s_or_b32 exec_lo, exec_lo, s9
	s_and_saveexec_b32 s9, s2
	s_cbranch_execnz .LBB27_18
	s_branch .LBB27_19
.LBB27_35:
	ds_read_b64 v[11:12], v25
	s_or_b32 exec_lo, exec_lo, s3
	s_and_saveexec_b32 s3, s5
	s_cbranch_execz .LBB27_23
.LBB27_36:
	s_waitcnt lgkmcnt(0)
	ds_bpermute_b32 v13, v21, v11
	ds_bpermute_b32 v14, v21, v12
	s_waitcnt lgkmcnt(0)
	v_add_f64 v[11:12], v[11:12], v[13:14]
	ds_bpermute_b32 v13, v22, v11
	ds_bpermute_b32 v14, v22, v12
	s_waitcnt lgkmcnt(0)
	v_add_f64 v[11:12], v[11:12], v[13:14]
	;; [unrolled: 4-line block ×5, first 2 shown]
	s_or_b32 exec_lo, exec_lo, s3
	s_and_saveexec_b32 s3, s6
	s_cbranch_execnz .LBB27_24
	s_branch .LBB27_25
.LBB27_37:
	v_add_f64 v[0:1], v[1:2], -v[9:10]
	v_add_f64 v[0:1], v[0:1], -v[11:12]
	global_store_dwordx2 v19, v[0:1], s[4:5]
	s_or_b32 exec_lo, exec_lo, s3
	s_and_saveexec_b32 s3, s0
	s_cbranch_execz .LBB27_27
.LBB27_38:
	v_add_f64 v[0:1], v[3:4], -v[9:10]
	v_add_f64 v[0:1], v[0:1], -v[11:12]
	global_store_dwordx2 v15, v[0:1], s[4:5]
	s_or_b32 exec_lo, exec_lo, s3
	s_and_saveexec_b32 s0, s1
	s_cbranch_execz .LBB27_28
.LBB27_39:
	v_add_f64 v[0:1], v[5:6], -v[9:10]
	v_add_f64 v[0:1], v[0:1], -v[11:12]
	global_store_dwordx2 v16, v[0:1], s[4:5]
	s_or_b32 exec_lo, exec_lo, s0
	s_and_saveexec_b32 s0, s2
	s_cbranch_execz .LBB27_29
.LBB27_40:
	v_add_f64 v[0:1], v[7:8], -v[9:10]
	v_add_f64 v[0:1], v[0:1], -v[11:12]
	global_store_dwordx2 v20, v[0:1], s[4:5]
	s_endpgm
	.section	.rodata,"a",@progbits
	.p2align	6, 0x0
	.amdhsa_kernel _ZN2at6native12_GLOBAL__N_122cunn_SoftMaxForwardRegIdddNS1_25LogSoftMaxForwardEpilogueElLi4EEEvPT1_PKT_T3_
		.amdhsa_group_segment_fixed_size 0
		.amdhsa_private_segment_fixed_size 0
		.amdhsa_kernarg_size 280
		.amdhsa_user_sgpr_count 6
		.amdhsa_user_sgpr_private_segment_buffer 1
		.amdhsa_user_sgpr_dispatch_ptr 0
		.amdhsa_user_sgpr_queue_ptr 0
		.amdhsa_user_sgpr_kernarg_segment_ptr 1
		.amdhsa_user_sgpr_dispatch_id 0
		.amdhsa_user_sgpr_flat_scratch_init 0
		.amdhsa_user_sgpr_private_segment_size 0
		.amdhsa_wavefront_size32 1
		.amdhsa_uses_dynamic_stack 0
		.amdhsa_system_sgpr_private_segment_wavefront_offset 0
		.amdhsa_system_sgpr_workgroup_id_x 1
		.amdhsa_system_sgpr_workgroup_id_y 0
		.amdhsa_system_sgpr_workgroup_id_z 0
		.amdhsa_system_sgpr_workgroup_info 0
		.amdhsa_system_vgpr_workitem_id 0
		.amdhsa_next_free_vgpr 37
		.amdhsa_next_free_sgpr 18
		.amdhsa_reserve_vcc 1
		.amdhsa_reserve_flat_scratch 0
		.amdhsa_float_round_mode_32 0
		.amdhsa_float_round_mode_16_64 0
		.amdhsa_float_denorm_mode_32 3
		.amdhsa_float_denorm_mode_16_64 3
		.amdhsa_dx10_clamp 1
		.amdhsa_ieee_mode 1
		.amdhsa_fp16_overflow 0
		.amdhsa_workgroup_processor_mode 1
		.amdhsa_memory_ordered 1
		.amdhsa_forward_progress 1
		.amdhsa_shared_vgpr_count 0
		.amdhsa_exception_fp_ieee_invalid_op 0
		.amdhsa_exception_fp_denorm_src 0
		.amdhsa_exception_fp_ieee_div_zero 0
		.amdhsa_exception_fp_ieee_overflow 0
		.amdhsa_exception_fp_ieee_underflow 0
		.amdhsa_exception_fp_ieee_inexact 0
		.amdhsa_exception_int_div_zero 0
	.end_amdhsa_kernel
	.section	.text._ZN2at6native12_GLOBAL__N_122cunn_SoftMaxForwardRegIdddNS1_25LogSoftMaxForwardEpilogueElLi4EEEvPT1_PKT_T3_,"axG",@progbits,_ZN2at6native12_GLOBAL__N_122cunn_SoftMaxForwardRegIdddNS1_25LogSoftMaxForwardEpilogueElLi4EEEvPT1_PKT_T3_,comdat
.Lfunc_end27:
	.size	_ZN2at6native12_GLOBAL__N_122cunn_SoftMaxForwardRegIdddNS1_25LogSoftMaxForwardEpilogueElLi4EEEvPT1_PKT_T3_, .Lfunc_end27-_ZN2at6native12_GLOBAL__N_122cunn_SoftMaxForwardRegIdddNS1_25LogSoftMaxForwardEpilogueElLi4EEEvPT1_PKT_T3_
                                        ; -- End function
	.set _ZN2at6native12_GLOBAL__N_122cunn_SoftMaxForwardRegIdddNS1_25LogSoftMaxForwardEpilogueElLi4EEEvPT1_PKT_T3_.num_vgpr, 37
	.set _ZN2at6native12_GLOBAL__N_122cunn_SoftMaxForwardRegIdddNS1_25LogSoftMaxForwardEpilogueElLi4EEEvPT1_PKT_T3_.num_agpr, 0
	.set _ZN2at6native12_GLOBAL__N_122cunn_SoftMaxForwardRegIdddNS1_25LogSoftMaxForwardEpilogueElLi4EEEvPT1_PKT_T3_.numbered_sgpr, 18
	.set _ZN2at6native12_GLOBAL__N_122cunn_SoftMaxForwardRegIdddNS1_25LogSoftMaxForwardEpilogueElLi4EEEvPT1_PKT_T3_.num_named_barrier, 0
	.set _ZN2at6native12_GLOBAL__N_122cunn_SoftMaxForwardRegIdddNS1_25LogSoftMaxForwardEpilogueElLi4EEEvPT1_PKT_T3_.private_seg_size, 0
	.set _ZN2at6native12_GLOBAL__N_122cunn_SoftMaxForwardRegIdddNS1_25LogSoftMaxForwardEpilogueElLi4EEEvPT1_PKT_T3_.uses_vcc, 1
	.set _ZN2at6native12_GLOBAL__N_122cunn_SoftMaxForwardRegIdddNS1_25LogSoftMaxForwardEpilogueElLi4EEEvPT1_PKT_T3_.uses_flat_scratch, 0
	.set _ZN2at6native12_GLOBAL__N_122cunn_SoftMaxForwardRegIdddNS1_25LogSoftMaxForwardEpilogueElLi4EEEvPT1_PKT_T3_.has_dyn_sized_stack, 0
	.set _ZN2at6native12_GLOBAL__N_122cunn_SoftMaxForwardRegIdddNS1_25LogSoftMaxForwardEpilogueElLi4EEEvPT1_PKT_T3_.has_recursion, 0
	.set _ZN2at6native12_GLOBAL__N_122cunn_SoftMaxForwardRegIdddNS1_25LogSoftMaxForwardEpilogueElLi4EEEvPT1_PKT_T3_.has_indirect_call, 0
	.section	.AMDGPU.csdata,"",@progbits
; Kernel info:
; codeLenInByte = 4480
; TotalNumSgprs: 20
; NumVgprs: 37
; ScratchSize: 0
; MemoryBound: 0
; FloatMode: 240
; IeeeMode: 1
; LDSByteSize: 0 bytes/workgroup (compile time only)
; SGPRBlocks: 0
; VGPRBlocks: 4
; NumSGPRsForWavesPerEU: 20
; NumVGPRsForWavesPerEU: 37
; Occupancy: 16
; WaveLimiterHint : 0
; COMPUTE_PGM_RSRC2:SCRATCH_EN: 0
; COMPUTE_PGM_RSRC2:USER_SGPR: 6
; COMPUTE_PGM_RSRC2:TRAP_HANDLER: 0
; COMPUTE_PGM_RSRC2:TGID_X_EN: 1
; COMPUTE_PGM_RSRC2:TGID_Y_EN: 0
; COMPUTE_PGM_RSRC2:TGID_Z_EN: 0
; COMPUTE_PGM_RSRC2:TIDIG_COMP_CNT: 0
	.section	.text._ZN2at6native12_GLOBAL__N_122cunn_SoftMaxForwardRegIdddNS1_25LogSoftMaxForwardEpilogueElLi5EEEvPT1_PKT_T3_,"axG",@progbits,_ZN2at6native12_GLOBAL__N_122cunn_SoftMaxForwardRegIdddNS1_25LogSoftMaxForwardEpilogueElLi5EEEvPT1_PKT_T3_,comdat
	.globl	_ZN2at6native12_GLOBAL__N_122cunn_SoftMaxForwardRegIdddNS1_25LogSoftMaxForwardEpilogueElLi5EEEvPT1_PKT_T3_ ; -- Begin function _ZN2at6native12_GLOBAL__N_122cunn_SoftMaxForwardRegIdddNS1_25LogSoftMaxForwardEpilogueElLi5EEEvPT1_PKT_T3_
	.p2align	8
	.type	_ZN2at6native12_GLOBAL__N_122cunn_SoftMaxForwardRegIdddNS1_25LogSoftMaxForwardEpilogueElLi5EEEvPT1_PKT_T3_,@function
_ZN2at6native12_GLOBAL__N_122cunn_SoftMaxForwardRegIdddNS1_25LogSoftMaxForwardEpilogueElLi5EEEvPT1_PKT_T3_: ; @_ZN2at6native12_GLOBAL__N_122cunn_SoftMaxForwardRegIdddNS1_25LogSoftMaxForwardEpilogueElLi5EEEvPT1_PKT_T3_
; %bb.0:
	s_clause 0x2
	s_load_dwordx2 s[8:9], s[4:5], 0x10
	s_load_dwordx4 s[12:15], s[4:5], 0x0
	s_load_dword s2, s[4:5], 0x24
	v_mov_b32_e32 v18, 0
	v_mov_b32_e32 v27, -1
	v_mov_b32_e32 v28, 0xffefffff
	s_mov_b32 s0, -1
	s_mov_b32 s1, 0xffefffff
	v_mov_b32_e32 v17, v18
	v_mov_b32_e32 v1, v18
	;; [unrolled: 1-line block ×13, first 2 shown]
	s_waitcnt lgkmcnt(0)
	s_mul_i32 s3, s9, s6
	s_mul_hi_u32 s5, s8, s6
	s_mul_i32 s4, s8, s6
	s_add_i32 s5, s5, s3
	v_cmp_gt_i64_e32 vcc_lo, s[8:9], v[0:1]
	v_mov_b32_e32 v4, v19
	v_mov_b32_e32 v5, v20
	;; [unrolled: 1-line block ×8, first 2 shown]
	s_lshl_b64 s[10:11], s[4:5], 3
	v_lshlrev_b32_e32 v16, 3, v0
	s_add_u32 s4, s14, s10
	s_addc_u32 s5, s15, s11
	v_mov_b32_e32 v12, v27
	v_mov_b32_e32 v13, v28
	;; [unrolled: 1-line block ×5, first 2 shown]
	s_and_saveexec_b32 s3, vcc_lo
	s_cbranch_execz .LBB28_2
; %bb.1:
	global_load_dwordx2 v[2:3], v16, s[4:5]
	v_mov_b32_e32 v6, v18
	v_mov_b32_e32 v7, v18
	;; [unrolled: 1-line block ×6, first 2 shown]
	s_waitcnt vmcnt(0)
	v_max_f64 v[4:5], v[2:3], v[2:3]
	v_max_f64 v[27:28], v[4:5], s[0:1]
	v_mov_b32_e32 v4, v18
	v_mov_b32_e32 v5, v18
.LBB28_2:
	s_or_b32 exec_lo, exec_lo, s3
	s_and_b32 s6, 0xffff, s2
	v_add_nc_u32_e32 v17, s6, v0
	v_cmp_gt_i64_e64 s0, s[8:9], v[17:18]
	v_lshlrev_b32_e32 v18, 3, v17
	s_and_saveexec_b32 s1, s0
	s_cbranch_execz .LBB28_4
; %bb.3:
	global_load_dwordx2 v[4:5], v18, s[4:5]
	v_max_f64 v[14:15], v[27:28], v[27:28]
	s_waitcnt vmcnt(0)
	v_max_f64 v[12:13], v[4:5], v[4:5]
	v_max_f64 v[27:28], v[14:15], v[12:13]
.LBB28_4:
	s_or_b32 exec_lo, exec_lo, s1
	v_add_nc_u32_e32 v12, s6, v17
	v_mov_b32_e32 v13, 0
	v_lshlrev_b32_e32 v17, 3, v12
	v_cmp_gt_i64_e64 s1, s[8:9], v[12:13]
	s_and_saveexec_b32 s2, s1
	s_cbranch_execz .LBB28_6
; %bb.5:
	global_load_dwordx2 v[6:7], v17, s[4:5]
	v_max_f64 v[19:20], v[27:28], v[27:28]
	s_waitcnt vmcnt(0)
	v_max_f64 v[14:15], v[6:7], v[6:7]
	v_max_f64 v[27:28], v[19:20], v[14:15]
.LBB28_6:
	s_or_b32 exec_lo, exec_lo, s2
	v_add_nc_u32_e32 v12, s6, v12
	v_cmp_gt_i64_e64 s2, s[8:9], v[12:13]
	v_lshlrev_b32_e32 v19, 3, v12
	s_and_saveexec_b32 s3, s2
	s_cbranch_execz .LBB28_8
; %bb.7:
	global_load_dwordx2 v[8:9], v19, s[4:5]
	v_max_f64 v[20:21], v[27:28], v[27:28]
	s_waitcnt vmcnt(0)
	v_max_f64 v[13:14], v[8:9], v[8:9]
	v_max_f64 v[27:28], v[20:21], v[13:14]
.LBB28_8:
	s_or_b32 exec_lo, exec_lo, s3
	v_add_nc_u32_e32 v12, s6, v12
	v_mov_b32_e32 v13, 0
	v_lshlrev_b32_e32 v20, 3, v12
	v_cmp_gt_i64_e64 s3, s[8:9], v[12:13]
	s_and_saveexec_b32 s7, s3
	s_cbranch_execz .LBB28_10
; %bb.9:
	global_load_dwordx2 v[10:11], v20, s[4:5]
	v_max_f64 v[14:15], v[27:28], v[27:28]
	s_waitcnt vmcnt(0)
	v_max_f64 v[12:13], v[10:11], v[10:11]
	v_max_f64 v[27:28], v[14:15], v[12:13]
.LBB28_10:
	s_or_b32 exec_lo, exec_lo, s7
	v_mbcnt_lo_u32_b32 v1, -1, 0
	v_lshrrev_b32_e32 v26, 2, v0
	s_barrier
	buffer_gl0_inv
	v_lshl_or_b32 v21, v1, 2, 64
	v_cmp_gt_u32_e64 s5, 24, v1
	ds_bpermute_b32 v12, v21, v27
	ds_bpermute_b32 v13, v21, v28
	v_cndmask_b32_e64 v14, 0, 8, s5
	v_cmp_gt_u32_e64 s5, 28, v1
	v_add_lshl_u32 v22, v14, v1, 2
	v_cndmask_b32_e64 v23, 0, 4, s5
	v_cmp_gt_u32_e64 s5, 30, v1
	v_add_lshl_u32 v23, v23, v1, 2
	v_cndmask_b32_e64 v24, 0, 2, s5
	v_cmp_ne_u32_e64 s5, 31, v1
	v_add_lshl_u32 v24, v24, v1, 2
	v_add_co_ci_u32_e64 v1, null, 0, v1, s5
	s_waitcnt lgkmcnt(0)
	v_cmp_lt_f64_e64 s4, v[27:28], v[12:13]
	v_lshlrev_b32_e32 v25, 2, v1
	v_and_b32_e32 v1, 31, v0
	v_cndmask_b32_e64 v13, v28, v13, s4
	v_cndmask_b32_e64 v12, v27, v12, s4
	ds_bpermute_b32 v15, v22, v13
	ds_bpermute_b32 v14, v22, v12
	s_waitcnt lgkmcnt(0)
	v_cmp_lt_f64_e64 s4, v[12:13], v[14:15]
	v_cndmask_b32_e64 v13, v13, v15, s4
	v_cndmask_b32_e64 v12, v12, v14, s4
	ds_bpermute_b32 v15, v23, v13
	ds_bpermute_b32 v14, v23, v12
	s_waitcnt lgkmcnt(0)
	v_cmp_lt_f64_e64 s4, v[12:13], v[14:15]
	v_cndmask_b32_e64 v13, v13, v15, s4
	v_cndmask_b32_e64 v12, v12, v14, s4
	ds_bpermute_b32 v15, v24, v13
	ds_bpermute_b32 v14, v24, v12
	s_waitcnt lgkmcnt(0)
	v_cmp_lt_f64_e64 s4, v[12:13], v[14:15]
	v_cndmask_b32_e64 v13, v13, v15, s4
	v_cndmask_b32_e64 v12, v12, v14, s4
	v_cmp_eq_u32_e64 s4, 0, v1
	ds_bpermute_b32 v27, v25, v13
	ds_bpermute_b32 v14, v25, v12
	s_and_saveexec_b32 s5, s4
	s_xor_b32 s7, exec_lo, s5
	s_cbranch_execz .LBB28_12
; %bb.11:
	s_waitcnt lgkmcnt(1)
	v_mov_b32_e32 v15, v27
	s_waitcnt lgkmcnt(0)
	v_cmp_lt_f64_e64 s5, v[12:13], v[14:15]
	v_add_nc_u32_e32 v15, 0, v26
	v_cndmask_b32_e64 v13, v13, v27, s5
	v_cndmask_b32_e64 v12, v12, v14, s5
	ds_write_b64 v15, v[12:13]
.LBB28_12:
	s_or_b32 exec_lo, exec_lo, s7
	s_lshr_b32 s5, s6, 5
	v_mov_b32_e32 v12, -1
	v_cmp_gt_u32_e64 s5, s5, v0
	v_mov_b32_e32 v13, 0xffefffff
	s_waitcnt lgkmcnt(1)
	v_lshl_add_u32 v27, v1, 3, 0
	s_waitcnt lgkmcnt(0)
	s_barrier
	buffer_gl0_inv
	s_and_saveexec_b32 s6, s5
	s_cbranch_execnz .LBB28_34
; %bb.13:
	s_or_b32 exec_lo, exec_lo, s6
	v_cmp_gt_u32_e64 s6, 32, v0
	s_and_saveexec_b32 s8, s6
	s_cbranch_execnz .LBB28_35
.LBB28_14:
	s_or_b32 exec_lo, exec_lo, s8
	v_cmp_eq_u32_e64 s7, 0, v0
	s_and_saveexec_b32 s8, s7
	s_cbranch_execz .LBB28_16
.LBB28_15:
	v_mov_b32_e32 v0, 0
	s_waitcnt lgkmcnt(0)
	ds_write_b64 v0, v[12:13]
.LBB28_16:
	s_or_b32 exec_lo, exec_lo, s8
	v_mov_b32_e32 v0, 0
	s_waitcnt lgkmcnt(0)
	s_barrier
	buffer_gl0_inv
	v_mov_b32_e32 v12, 0
	ds_read_b64 v[0:1], v0
	v_mov_b32_e32 v13, 0
	s_and_saveexec_b32 s14, vcc_lo
	s_cbranch_execnz .LBB28_36
; %bb.17:
	s_or_b32 exec_lo, exec_lo, s14
	s_and_saveexec_b32 s14, s0
	s_cbranch_execnz .LBB28_37
.LBB28_18:
	s_or_b32 exec_lo, exec_lo, s14
	s_and_saveexec_b32 s14, s1
	s_cbranch_execnz .LBB28_38
.LBB28_19:
	s_or_b32 exec_lo, exec_lo, s14
	s_and_saveexec_b32 s14, s2
	s_cbranch_execnz .LBB28_39
.LBB28_20:
	s_or_b32 exec_lo, exec_lo, s14
	s_and_saveexec_b32 s14, s3
	s_cbranch_execz .LBB28_22
.LBB28_21:
	s_waitcnt lgkmcnt(0)
	v_add_f64 v[14:15], v[10:11], -v[0:1]
	s_mov_b32 s8, 0x652b82fe
	s_mov_b32 s9, 0x3ff71547
	;; [unrolled: 1-line block ×4, first 2 shown]
	v_mul_f64 v[28:29], v[14:15], s[8:9]
	s_mov_b32 s8, 0xfefa39ef
	s_mov_b32 s9, 0xbfe62e42
	v_rndne_f64_e32 v[28:29], v[28:29]
	v_fma_f64 v[30:31], v[28:29], s[8:9], v[14:15]
	s_mov_b32 s8, 0x3b39803f
	s_mov_b32 s9, 0xbc7abc9e
	v_cvt_i32_f64_e32 v34, v[28:29]
	v_fma_f64 v[30:31], v[28:29], s[8:9], v[30:31]
	s_mov_b32 s8, 0xfca7ab0c
	s_mov_b32 s9, 0x3e928af3
	v_fma_f64 v[32:33], v[30:31], s[16:17], s[8:9]
	s_mov_b32 s8, 0x623fde64
	s_mov_b32 s9, 0x3ec71dee
	;; [unrolled: 3-line block ×9, first 2 shown]
	v_fma_f64 v[32:33], v[30:31], v[32:33], s[8:9]
	v_cmp_nlt_f64_e64 s8, 0x40900000, v[14:15]
	v_cmp_ngt_f64_e64 s9, 0xc090cc00, v[14:15]
	v_fma_f64 v[32:33], v[30:31], v[32:33], 1.0
	v_fma_f64 v[28:29], v[30:31], v[32:33], 1.0
	v_ldexp_f64 v[28:29], v[28:29], v34
	v_cndmask_b32_e64 v29, 0x7ff00000, v29, s8
	s_and_b32 s8, s9, s8
	v_cndmask_b32_e64 v14, 0, v28, s8
	v_cndmask_b32_e64 v15, 0, v29, s9
	v_add_f64 v[12:13], v[12:13], v[14:15]
.LBB28_22:
	s_or_b32 exec_lo, exec_lo, s14
	ds_bpermute_b32 v14, v21, v12
	ds_bpermute_b32 v15, v21, v13
	s_waitcnt lgkmcnt(0)
	s_barrier
	buffer_gl0_inv
	v_add_f64 v[12:13], v[12:13], v[14:15]
	ds_bpermute_b32 v14, v22, v12
	ds_bpermute_b32 v15, v22, v13
	s_waitcnt lgkmcnt(0)
	v_add_f64 v[12:13], v[12:13], v[14:15]
	ds_bpermute_b32 v14, v23, v12
	ds_bpermute_b32 v15, v23, v13
	s_waitcnt lgkmcnt(0)
	;; [unrolled: 4-line block ×3, first 2 shown]
	v_add_f64 v[12:13], v[12:13], v[14:15]
	ds_bpermute_b32 v14, v25, v12
	ds_bpermute_b32 v15, v25, v13
	s_and_saveexec_b32 s8, s4
	s_xor_b32 s4, exec_lo, s8
	s_cbranch_execz .LBB28_24
; %bb.23:
	s_waitcnt lgkmcnt(0)
	v_add_f64 v[12:13], v[12:13], v[14:15]
	v_add_nc_u32_e32 v14, 0, v26
	ds_write_b64 v14, v[12:13]
.LBB28_24:
	s_or_b32 exec_lo, exec_lo, s4
	v_mov_b32_e32 v12, 0
	v_mov_b32_e32 v13, 0
	s_waitcnt lgkmcnt(0)
	s_barrier
	buffer_gl0_inv
	s_and_saveexec_b32 s4, s5
	s_cbranch_execnz .LBB28_40
; %bb.25:
	s_or_b32 exec_lo, exec_lo, s4
	s_and_saveexec_b32 s4, s6
	s_cbranch_execnz .LBB28_41
.LBB28_26:
	s_or_b32 exec_lo, exec_lo, s4
	s_and_saveexec_b32 s4, s7
	s_cbranch_execz .LBB28_28
.LBB28_27:
	v_mov_b32_e32 v14, 0
	s_waitcnt lgkmcnt(0)
	ds_write_b64 v14, v[12:13]
.LBB28_28:
	s_or_b32 exec_lo, exec_lo, s4
	s_waitcnt lgkmcnt(0)
	v_mov_b32_e32 v12, 0
	s_barrier
	buffer_gl0_inv
	s_mov_b32 s7, 0x3fe55555
	ds_read_b64 v[13:14], v12
	s_mov_b32 s6, 0x55555555
	s_mov_b32 s8, 0x6b47b09a
	;; [unrolled: 1-line block ×5, first 2 shown]
	s_waitcnt lgkmcnt(0)
	v_frexp_mant_f64_e32 v[21:22], v[13:14]
	v_cmp_gt_f64_e64 s4, s[6:7], v[21:22]
	s_mov_b32 s6, 0x55555780
	v_cndmask_b32_e64 v12, 0, 1, s4
	v_ldexp_f64 v[21:22], v[21:22], v12
	v_frexp_exp_i32_f64_e32 v12, v[13:14]
	v_add_f64 v[23:24], v[21:22], 1.0
	v_add_f64 v[29:30], v[21:22], -1.0
	v_subrev_co_ci_u32_e64 v12, null, 0, v12, s4
	s_mov_b32 s4, 0xfefa39ef
	s_mov_b32 s5, 0x3fe62e42
	v_rcp_f64_e32 v[25:26], v[23:24]
	v_add_f64 v[31:32], v[23:24], -1.0
	v_add_f64 v[21:22], v[21:22], -v[31:32]
	v_fma_f64 v[27:28], -v[23:24], v[25:26], 1.0
	v_fma_f64 v[25:26], v[27:28], v[25:26], v[25:26]
	v_fma_f64 v[27:28], -v[23:24], v[25:26], 1.0
	v_fma_f64 v[25:26], v[27:28], v[25:26], v[25:26]
	v_mul_f64 v[27:28], v[29:30], v[25:26]
	v_mul_f64 v[33:34], v[23:24], v[27:28]
	v_fma_f64 v[23:24], v[27:28], v[23:24], -v[33:34]
	v_fma_f64 v[21:22], v[27:28], v[21:22], v[23:24]
	v_add_f64 v[23:24], v[33:34], v[21:22]
	v_add_f64 v[31:32], v[29:30], -v[23:24]
	v_add_f64 v[33:34], v[23:24], -v[33:34]
	;; [unrolled: 1-line block ×5, first 2 shown]
	v_add_f64 v[21:22], v[21:22], v[23:24]
	v_add_f64 v[21:22], v[31:32], v[21:22]
	v_mul_f64 v[21:22], v[25:26], v[21:22]
	v_add_f64 v[23:24], v[27:28], v[21:22]
	v_mul_f64 v[25:26], v[23:24], v[23:24]
	v_fma_f64 v[29:30], v[25:26], s[14:15], s[8:9]
	s_mov_b32 s8, 0xd7f4df2e
	s_mov_b32 s9, 0x3fc7474d
	v_mul_f64 v[31:32], v[23:24], v[25:26]
	v_fma_f64 v[29:30], v[25:26], v[29:30], s[8:9]
	s_mov_b32 s8, 0x16291751
	s_mov_b32 s9, 0x3fcc71c0
	v_fma_f64 v[29:30], v[25:26], v[29:30], s[8:9]
	s_mov_b32 s8, 0x9b27acf1
	s_mov_b32 s9, 0x3fd24924
	;; [unrolled: 3-line block ×3, first 2 shown]
	v_fma_f64 v[29:30], v[25:26], v[29:30], s[8:9]
	v_fma_f64 v[25:26], v[25:26], v[29:30], s[6:7]
	v_ldexp_f64 v[29:30], v[23:24], 1
	v_add_f64 v[23:24], v[23:24], -v[27:28]
	v_mul_f64 v[25:26], v[31:32], v[25:26]
	v_cvt_f64_i32_e32 v[31:32], v12
	v_add_f64 v[21:22], v[21:22], -v[23:24]
	v_add_f64 v[27:28], v[29:30], v[25:26]
	v_mul_f64 v[33:34], v[31:32], s[4:5]
	v_ldexp_f64 v[21:22], v[21:22], 1
	v_add_f64 v[23:24], v[27:28], -v[29:30]
	v_fma_f64 v[29:30], v[31:32], s[4:5], -v[33:34]
	s_mov_b32 s4, 0x3b39803f
	s_mov_b32 s5, 0x3c7abc9e
	v_add_f64 v[23:24], v[25:26], -v[23:24]
	v_fma_f64 v[25:26], v[31:32], s[4:5], v[29:30]
	v_cmp_class_f64_e64 s4, v[13:14], 0x204
	v_add_f64 v[21:22], v[21:22], v[23:24]
	v_add_f64 v[23:24], v[33:34], v[25:26]
	;; [unrolled: 1-line block ×3, first 2 shown]
	v_add_f64 v[33:34], v[23:24], -v[33:34]
	v_add_f64 v[31:32], v[23:24], v[29:30]
	v_add_f64 v[27:28], v[29:30], -v[27:28]
	v_add_f64 v[25:26], v[25:26], -v[33:34]
	v_add_f64 v[35:36], v[31:32], -v[23:24]
	v_add_f64 v[21:22], v[21:22], -v[27:28]
	v_add_f64 v[37:38], v[31:32], -v[35:36]
	v_add_f64 v[27:28], v[29:30], -v[35:36]
	v_add_f64 v[29:30], v[25:26], v[21:22]
	v_add_f64 v[23:24], v[23:24], -v[37:38]
	v_add_f64 v[23:24], v[27:28], v[23:24]
	v_add_f64 v[27:28], v[29:30], -v[25:26]
	;; [unrolled: 2-line block ×3, first 2 shown]
	v_add_f64 v[21:22], v[21:22], -v[27:28]
	v_add_f64 v[33:34], v[31:32], v[23:24]
	v_add_f64 v[25:26], v[25:26], -v[29:30]
	v_add_f64 v[27:28], v[33:34], -v[31:32]
	v_add_f64 v[21:22], v[21:22], v[25:26]
	v_add_f64 v[23:24], v[23:24], -v[27:28]
	v_add_f64 v[21:22], v[21:22], v[23:24]
	v_add_f64 v[21:22], v[33:34], v[21:22]
	v_cndmask_b32_e64 v12, v21, v13, s4
	v_cndmask_b32_e64 v15, v22, v14, s4
	v_cmp_ngt_f64_e64 s4, 0, v[13:14]
	v_cndmask_b32_e64 v15, 0x7ff80000, v15, s4
	v_cmp_nge_f64_e64 s4, 0, v[13:14]
	v_cndmask_b32_e64 v12, 0, v12, s4
	v_cmp_neq_f64_e64 s4, 0, v[13:14]
	v_cndmask_b32_e64 v13, 0xfff00000, v15, s4
	s_add_u32 s4, s12, s10
	s_addc_u32 s5, s13, s11
	s_and_saveexec_b32 s6, vcc_lo
	s_cbranch_execnz .LBB28_42
; %bb.29:
	s_or_b32 exec_lo, exec_lo, s6
	s_and_saveexec_b32 s6, s0
	s_cbranch_execnz .LBB28_43
.LBB28_30:
	s_or_b32 exec_lo, exec_lo, s6
	s_and_saveexec_b32 s0, s1
	s_cbranch_execnz .LBB28_44
.LBB28_31:
	s_or_b32 exec_lo, exec_lo, s0
	s_and_saveexec_b32 s0, s2
	s_cbranch_execnz .LBB28_45
.LBB28_32:
	s_or_b32 exec_lo, exec_lo, s0
	s_and_saveexec_b32 s0, s3
	s_cbranch_execnz .LBB28_46
.LBB28_33:
	s_endpgm
.LBB28_34:
	ds_read_b64 v[12:13], v27
	s_or_b32 exec_lo, exec_lo, s6
	v_cmp_gt_u32_e64 s6, 32, v0
	s_and_saveexec_b32 s8, s6
	s_cbranch_execz .LBB28_14
.LBB28_35:
	s_waitcnt lgkmcnt(0)
	ds_bpermute_b32 v1, v21, v13
	ds_bpermute_b32 v14, v21, v12
	s_waitcnt lgkmcnt(1)
	v_mov_b32_e32 v15, v1
	s_waitcnt lgkmcnt(0)
	v_cmp_lt_f64_e64 s7, v[12:13], v[14:15]
	v_cndmask_b32_e64 v13, v13, v1, s7
	v_cndmask_b32_e64 v12, v12, v14, s7
	ds_bpermute_b32 v1, v22, v13
	ds_bpermute_b32 v14, v22, v12
	s_waitcnt lgkmcnt(1)
	v_mov_b32_e32 v15, v1
	s_waitcnt lgkmcnt(0)
	v_cmp_lt_f64_e64 s7, v[12:13], v[14:15]
	v_cndmask_b32_e64 v13, v13, v1, s7
	v_cndmask_b32_e64 v12, v12, v14, s7
	ds_bpermute_b32 v1, v23, v13
	ds_bpermute_b32 v14, v23, v12
	s_waitcnt lgkmcnt(1)
	v_mov_b32_e32 v15, v1
	s_waitcnt lgkmcnt(0)
	v_cmp_lt_f64_e64 s7, v[12:13], v[14:15]
	v_cndmask_b32_e64 v13, v13, v1, s7
	v_cndmask_b32_e64 v12, v12, v14, s7
	ds_bpermute_b32 v1, v24, v13
	ds_bpermute_b32 v14, v24, v12
	s_waitcnt lgkmcnt(1)
	v_mov_b32_e32 v15, v1
	s_waitcnt lgkmcnt(0)
	v_cmp_lt_f64_e64 s7, v[12:13], v[14:15]
	v_cndmask_b32_e64 v13, v13, v1, s7
	v_cndmask_b32_e64 v12, v12, v14, s7
	ds_bpermute_b32 v1, v25, v13
	ds_bpermute_b32 v14, v25, v12
	s_waitcnt lgkmcnt(1)
	v_mov_b32_e32 v15, v1
	s_waitcnt lgkmcnt(0)
	v_cmp_lt_f64_e64 s7, v[12:13], v[14:15]
	v_cndmask_b32_e64 v13, v13, v1, s7
	v_cndmask_b32_e64 v12, v12, v14, s7
	s_or_b32 exec_lo, exec_lo, s8
	v_cmp_eq_u32_e64 s7, 0, v0
	s_and_saveexec_b32 s8, s7
	s_cbranch_execnz .LBB28_15
	s_branch .LBB28_16
.LBB28_36:
	s_waitcnt lgkmcnt(0)
	v_add_f64 v[12:13], v[2:3], -v[0:1]
	s_mov_b32 s8, 0x652b82fe
	s_mov_b32 s9, 0x3ff71547
	;; [unrolled: 1-line block ×4, first 2 shown]
	v_mul_f64 v[14:15], v[12:13], s[8:9]
	s_mov_b32 s8, 0xfefa39ef
	s_mov_b32 s9, 0xbfe62e42
	v_rndne_f64_e32 v[14:15], v[14:15]
	v_fma_f64 v[28:29], v[14:15], s[8:9], v[12:13]
	s_mov_b32 s8, 0x3b39803f
	s_mov_b32 s9, 0xbc7abc9e
	v_cvt_i32_f64_e32 v32, v[14:15]
	v_fma_f64 v[28:29], v[14:15], s[8:9], v[28:29]
	s_mov_b32 s8, 0xfca7ab0c
	s_mov_b32 s9, 0x3e928af3
	v_fma_f64 v[30:31], v[28:29], s[16:17], s[8:9]
	s_mov_b32 s8, 0x623fde64
	s_mov_b32 s9, 0x3ec71dee
	;; [unrolled: 3-line block ×9, first 2 shown]
	v_fma_f64 v[30:31], v[28:29], v[30:31], s[8:9]
	v_cmp_nlt_f64_e64 s8, 0x40900000, v[12:13]
	v_cmp_ngt_f64_e64 s9, 0xc090cc00, v[12:13]
	v_fma_f64 v[30:31], v[28:29], v[30:31], 1.0
	v_fma_f64 v[14:15], v[28:29], v[30:31], 1.0
	v_ldexp_f64 v[14:15], v[14:15], v32
	v_add_f64 v[14:15], v[14:15], 0
	v_cndmask_b32_e64 v15, 0x7ff00000, v15, s8
	s_and_b32 s8, s9, s8
	v_cndmask_b32_e64 v12, 0, v14, s8
	v_cndmask_b32_e64 v13, 0, v15, s9
	s_or_b32 exec_lo, exec_lo, s14
	s_and_saveexec_b32 s14, s0
	s_cbranch_execz .LBB28_18
.LBB28_37:
	s_waitcnt lgkmcnt(0)
	v_add_f64 v[14:15], v[4:5], -v[0:1]
	s_mov_b32 s8, 0x652b82fe
	s_mov_b32 s9, 0x3ff71547
	;; [unrolled: 1-line block ×4, first 2 shown]
	v_mul_f64 v[28:29], v[14:15], s[8:9]
	s_mov_b32 s8, 0xfefa39ef
	s_mov_b32 s9, 0xbfe62e42
	v_rndne_f64_e32 v[28:29], v[28:29]
	v_fma_f64 v[30:31], v[28:29], s[8:9], v[14:15]
	s_mov_b32 s8, 0x3b39803f
	s_mov_b32 s9, 0xbc7abc9e
	v_cvt_i32_f64_e32 v34, v[28:29]
	v_fma_f64 v[30:31], v[28:29], s[8:9], v[30:31]
	s_mov_b32 s8, 0xfca7ab0c
	s_mov_b32 s9, 0x3e928af3
	v_fma_f64 v[32:33], v[30:31], s[16:17], s[8:9]
	s_mov_b32 s8, 0x623fde64
	s_mov_b32 s9, 0x3ec71dee
	;; [unrolled: 3-line block ×9, first 2 shown]
	v_fma_f64 v[32:33], v[30:31], v[32:33], s[8:9]
	v_cmp_nlt_f64_e64 s8, 0x40900000, v[14:15]
	v_cmp_ngt_f64_e64 s9, 0xc090cc00, v[14:15]
	v_fma_f64 v[32:33], v[30:31], v[32:33], 1.0
	v_fma_f64 v[28:29], v[30:31], v[32:33], 1.0
	v_ldexp_f64 v[28:29], v[28:29], v34
	v_cndmask_b32_e64 v29, 0x7ff00000, v29, s8
	s_and_b32 s8, s9, s8
	v_cndmask_b32_e64 v14, 0, v28, s8
	v_cndmask_b32_e64 v15, 0, v29, s9
	v_add_f64 v[12:13], v[12:13], v[14:15]
	s_or_b32 exec_lo, exec_lo, s14
	s_and_saveexec_b32 s14, s1
	s_cbranch_execz .LBB28_19
.LBB28_38:
	s_waitcnt lgkmcnt(0)
	v_add_f64 v[14:15], v[6:7], -v[0:1]
	s_mov_b32 s8, 0x652b82fe
	s_mov_b32 s9, 0x3ff71547
	;; [unrolled: 1-line block ×4, first 2 shown]
	v_mul_f64 v[28:29], v[14:15], s[8:9]
	s_mov_b32 s8, 0xfefa39ef
	s_mov_b32 s9, 0xbfe62e42
	v_rndne_f64_e32 v[28:29], v[28:29]
	v_fma_f64 v[30:31], v[28:29], s[8:9], v[14:15]
	s_mov_b32 s8, 0x3b39803f
	s_mov_b32 s9, 0xbc7abc9e
	v_cvt_i32_f64_e32 v34, v[28:29]
	v_fma_f64 v[30:31], v[28:29], s[8:9], v[30:31]
	s_mov_b32 s8, 0xfca7ab0c
	s_mov_b32 s9, 0x3e928af3
	v_fma_f64 v[32:33], v[30:31], s[16:17], s[8:9]
	s_mov_b32 s8, 0x623fde64
	s_mov_b32 s9, 0x3ec71dee
	;; [unrolled: 3-line block ×9, first 2 shown]
	v_fma_f64 v[32:33], v[30:31], v[32:33], s[8:9]
	v_cmp_nlt_f64_e64 s8, 0x40900000, v[14:15]
	v_cmp_ngt_f64_e64 s9, 0xc090cc00, v[14:15]
	v_fma_f64 v[32:33], v[30:31], v[32:33], 1.0
	v_fma_f64 v[28:29], v[30:31], v[32:33], 1.0
	v_ldexp_f64 v[28:29], v[28:29], v34
	v_cndmask_b32_e64 v29, 0x7ff00000, v29, s8
	s_and_b32 s8, s9, s8
	v_cndmask_b32_e64 v14, 0, v28, s8
	v_cndmask_b32_e64 v15, 0, v29, s9
	v_add_f64 v[12:13], v[12:13], v[14:15]
	s_or_b32 exec_lo, exec_lo, s14
	s_and_saveexec_b32 s14, s2
	s_cbranch_execz .LBB28_20
.LBB28_39:
	s_waitcnt lgkmcnt(0)
	v_add_f64 v[14:15], v[8:9], -v[0:1]
	s_mov_b32 s8, 0x652b82fe
	s_mov_b32 s9, 0x3ff71547
	;; [unrolled: 1-line block ×4, first 2 shown]
	v_mul_f64 v[28:29], v[14:15], s[8:9]
	s_mov_b32 s8, 0xfefa39ef
	s_mov_b32 s9, 0xbfe62e42
	v_rndne_f64_e32 v[28:29], v[28:29]
	v_fma_f64 v[30:31], v[28:29], s[8:9], v[14:15]
	s_mov_b32 s8, 0x3b39803f
	s_mov_b32 s9, 0xbc7abc9e
	v_cvt_i32_f64_e32 v34, v[28:29]
	v_fma_f64 v[30:31], v[28:29], s[8:9], v[30:31]
	s_mov_b32 s8, 0xfca7ab0c
	s_mov_b32 s9, 0x3e928af3
	v_fma_f64 v[32:33], v[30:31], s[16:17], s[8:9]
	s_mov_b32 s8, 0x623fde64
	s_mov_b32 s9, 0x3ec71dee
	;; [unrolled: 3-line block ×9, first 2 shown]
	v_fma_f64 v[32:33], v[30:31], v[32:33], s[8:9]
	v_cmp_nlt_f64_e64 s8, 0x40900000, v[14:15]
	v_cmp_ngt_f64_e64 s9, 0xc090cc00, v[14:15]
	v_fma_f64 v[32:33], v[30:31], v[32:33], 1.0
	v_fma_f64 v[28:29], v[30:31], v[32:33], 1.0
	v_ldexp_f64 v[28:29], v[28:29], v34
	v_cndmask_b32_e64 v29, 0x7ff00000, v29, s8
	s_and_b32 s8, s9, s8
	v_cndmask_b32_e64 v14, 0, v28, s8
	v_cndmask_b32_e64 v15, 0, v29, s9
	v_add_f64 v[12:13], v[12:13], v[14:15]
	s_or_b32 exec_lo, exec_lo, s14
	s_and_saveexec_b32 s14, s3
	s_cbranch_execnz .LBB28_21
	s_branch .LBB28_22
.LBB28_40:
	ds_read_b64 v[12:13], v27
	s_or_b32 exec_lo, exec_lo, s4
	s_and_saveexec_b32 s4, s6
	s_cbranch_execz .LBB28_26
.LBB28_41:
	s_waitcnt lgkmcnt(0)
	ds_bpermute_b32 v14, v21, v12
	ds_bpermute_b32 v15, v21, v13
	s_waitcnt lgkmcnt(0)
	v_add_f64 v[12:13], v[12:13], v[14:15]
	ds_bpermute_b32 v14, v22, v12
	ds_bpermute_b32 v15, v22, v13
	s_waitcnt lgkmcnt(0)
	v_add_f64 v[12:13], v[12:13], v[14:15]
	ds_bpermute_b32 v14, v23, v12
	ds_bpermute_b32 v15, v23, v13
	s_waitcnt lgkmcnt(0)
	v_add_f64 v[12:13], v[12:13], v[14:15]
	ds_bpermute_b32 v14, v24, v12
	ds_bpermute_b32 v15, v24, v13
	s_waitcnt lgkmcnt(0)
	v_add_f64 v[12:13], v[12:13], v[14:15]
	ds_bpermute_b32 v14, v25, v12
	ds_bpermute_b32 v15, v25, v13
	s_waitcnt lgkmcnt(0)
	v_add_f64 v[12:13], v[12:13], v[14:15]
	s_or_b32 exec_lo, exec_lo, s4
	s_and_saveexec_b32 s4, s7
	s_cbranch_execnz .LBB28_27
	s_branch .LBB28_28
.LBB28_42:
	v_add_f64 v[2:3], v[2:3], -v[0:1]
	v_add_f64 v[2:3], v[2:3], -v[12:13]
	global_store_dwordx2 v16, v[2:3], s[4:5]
	s_or_b32 exec_lo, exec_lo, s6
	s_and_saveexec_b32 s6, s0
	s_cbranch_execz .LBB28_30
.LBB28_43:
	v_add_f64 v[2:3], v[4:5], -v[0:1]
	v_add_f64 v[2:3], v[2:3], -v[12:13]
	global_store_dwordx2 v18, v[2:3], s[4:5]
	s_or_b32 exec_lo, exec_lo, s6
	s_and_saveexec_b32 s0, s1
	s_cbranch_execz .LBB28_31
.LBB28_44:
	v_add_f64 v[2:3], v[6:7], -v[0:1]
	v_add_f64 v[2:3], v[2:3], -v[12:13]
	global_store_dwordx2 v17, v[2:3], s[4:5]
	s_or_b32 exec_lo, exec_lo, s0
	s_and_saveexec_b32 s0, s2
	s_cbranch_execz .LBB28_32
.LBB28_45:
	v_add_f64 v[2:3], v[8:9], -v[0:1]
	v_add_f64 v[2:3], v[2:3], -v[12:13]
	global_store_dwordx2 v19, v[2:3], s[4:5]
	s_or_b32 exec_lo, exec_lo, s0
	s_and_saveexec_b32 s0, s3
	s_cbranch_execz .LBB28_33
.LBB28_46:
	v_add_f64 v[0:1], v[10:11], -v[0:1]
	v_add_f64 v[0:1], v[0:1], -v[12:13]
	global_store_dwordx2 v20, v[0:1], s[4:5]
	s_endpgm
	.section	.rodata,"a",@progbits
	.p2align	6, 0x0
	.amdhsa_kernel _ZN2at6native12_GLOBAL__N_122cunn_SoftMaxForwardRegIdddNS1_25LogSoftMaxForwardEpilogueElLi5EEEvPT1_PKT_T3_
		.amdhsa_group_segment_fixed_size 0
		.amdhsa_private_segment_fixed_size 0
		.amdhsa_kernarg_size 280
		.amdhsa_user_sgpr_count 6
		.amdhsa_user_sgpr_private_segment_buffer 1
		.amdhsa_user_sgpr_dispatch_ptr 0
		.amdhsa_user_sgpr_queue_ptr 0
		.amdhsa_user_sgpr_kernarg_segment_ptr 1
		.amdhsa_user_sgpr_dispatch_id 0
		.amdhsa_user_sgpr_flat_scratch_init 0
		.amdhsa_user_sgpr_private_segment_size 0
		.amdhsa_wavefront_size32 1
		.amdhsa_uses_dynamic_stack 0
		.amdhsa_system_sgpr_private_segment_wavefront_offset 0
		.amdhsa_system_sgpr_workgroup_id_x 1
		.amdhsa_system_sgpr_workgroup_id_y 0
		.amdhsa_system_sgpr_workgroup_id_z 0
		.amdhsa_system_sgpr_workgroup_info 0
		.amdhsa_system_vgpr_workitem_id 0
		.amdhsa_next_free_vgpr 39
		.amdhsa_next_free_sgpr 18
		.amdhsa_reserve_vcc 1
		.amdhsa_reserve_flat_scratch 0
		.amdhsa_float_round_mode_32 0
		.amdhsa_float_round_mode_16_64 0
		.amdhsa_float_denorm_mode_32 3
		.amdhsa_float_denorm_mode_16_64 3
		.amdhsa_dx10_clamp 1
		.amdhsa_ieee_mode 1
		.amdhsa_fp16_overflow 0
		.amdhsa_workgroup_processor_mode 1
		.amdhsa_memory_ordered 1
		.amdhsa_forward_progress 1
		.amdhsa_shared_vgpr_count 0
		.amdhsa_exception_fp_ieee_invalid_op 0
		.amdhsa_exception_fp_denorm_src 0
		.amdhsa_exception_fp_ieee_div_zero 0
		.amdhsa_exception_fp_ieee_overflow 0
		.amdhsa_exception_fp_ieee_underflow 0
		.amdhsa_exception_fp_ieee_inexact 0
		.amdhsa_exception_int_div_zero 0
	.end_amdhsa_kernel
	.section	.text._ZN2at6native12_GLOBAL__N_122cunn_SoftMaxForwardRegIdddNS1_25LogSoftMaxForwardEpilogueElLi5EEEvPT1_PKT_T3_,"axG",@progbits,_ZN2at6native12_GLOBAL__N_122cunn_SoftMaxForwardRegIdddNS1_25LogSoftMaxForwardEpilogueElLi5EEEvPT1_PKT_T3_,comdat
.Lfunc_end28:
	.size	_ZN2at6native12_GLOBAL__N_122cunn_SoftMaxForwardRegIdddNS1_25LogSoftMaxForwardEpilogueElLi5EEEvPT1_PKT_T3_, .Lfunc_end28-_ZN2at6native12_GLOBAL__N_122cunn_SoftMaxForwardRegIdddNS1_25LogSoftMaxForwardEpilogueElLi5EEEvPT1_PKT_T3_
                                        ; -- End function
	.set _ZN2at6native12_GLOBAL__N_122cunn_SoftMaxForwardRegIdddNS1_25LogSoftMaxForwardEpilogueElLi5EEEvPT1_PKT_T3_.num_vgpr, 39
	.set _ZN2at6native12_GLOBAL__N_122cunn_SoftMaxForwardRegIdddNS1_25LogSoftMaxForwardEpilogueElLi5EEEvPT1_PKT_T3_.num_agpr, 0
	.set _ZN2at6native12_GLOBAL__N_122cunn_SoftMaxForwardRegIdddNS1_25LogSoftMaxForwardEpilogueElLi5EEEvPT1_PKT_T3_.numbered_sgpr, 18
	.set _ZN2at6native12_GLOBAL__N_122cunn_SoftMaxForwardRegIdddNS1_25LogSoftMaxForwardEpilogueElLi5EEEvPT1_PKT_T3_.num_named_barrier, 0
	.set _ZN2at6native12_GLOBAL__N_122cunn_SoftMaxForwardRegIdddNS1_25LogSoftMaxForwardEpilogueElLi5EEEvPT1_PKT_T3_.private_seg_size, 0
	.set _ZN2at6native12_GLOBAL__N_122cunn_SoftMaxForwardRegIdddNS1_25LogSoftMaxForwardEpilogueElLi5EEEvPT1_PKT_T3_.uses_vcc, 1
	.set _ZN2at6native12_GLOBAL__N_122cunn_SoftMaxForwardRegIdddNS1_25LogSoftMaxForwardEpilogueElLi5EEEvPT1_PKT_T3_.uses_flat_scratch, 0
	.set _ZN2at6native12_GLOBAL__N_122cunn_SoftMaxForwardRegIdddNS1_25LogSoftMaxForwardEpilogueElLi5EEEvPT1_PKT_T3_.has_dyn_sized_stack, 0
	.set _ZN2at6native12_GLOBAL__N_122cunn_SoftMaxForwardRegIdddNS1_25LogSoftMaxForwardEpilogueElLi5EEEvPT1_PKT_T3_.has_recursion, 0
	.set _ZN2at6native12_GLOBAL__N_122cunn_SoftMaxForwardRegIdddNS1_25LogSoftMaxForwardEpilogueElLi5EEEvPT1_PKT_T3_.has_indirect_call, 0
	.section	.AMDGPU.csdata,"",@progbits
; Kernel info:
; codeLenInByte = 5080
; TotalNumSgprs: 20
; NumVgprs: 39
; ScratchSize: 0
; MemoryBound: 0
; FloatMode: 240
; IeeeMode: 1
; LDSByteSize: 0 bytes/workgroup (compile time only)
; SGPRBlocks: 0
; VGPRBlocks: 4
; NumSGPRsForWavesPerEU: 20
; NumVGPRsForWavesPerEU: 39
; Occupancy: 16
; WaveLimiterHint : 0
; COMPUTE_PGM_RSRC2:SCRATCH_EN: 0
; COMPUTE_PGM_RSRC2:USER_SGPR: 6
; COMPUTE_PGM_RSRC2:TRAP_HANDLER: 0
; COMPUTE_PGM_RSRC2:TGID_X_EN: 1
; COMPUTE_PGM_RSRC2:TGID_Y_EN: 0
; COMPUTE_PGM_RSRC2:TGID_Z_EN: 0
; COMPUTE_PGM_RSRC2:TIDIG_COMP_CNT: 0
	.section	.text._ZN2at6native12_GLOBAL__N_122cunn_SoftMaxForwardRegIdddNS1_25LogSoftMaxForwardEpilogueElLi6EEEvPT1_PKT_T3_,"axG",@progbits,_ZN2at6native12_GLOBAL__N_122cunn_SoftMaxForwardRegIdddNS1_25LogSoftMaxForwardEpilogueElLi6EEEvPT1_PKT_T3_,comdat
	.globl	_ZN2at6native12_GLOBAL__N_122cunn_SoftMaxForwardRegIdddNS1_25LogSoftMaxForwardEpilogueElLi6EEEvPT1_PKT_T3_ ; -- Begin function _ZN2at6native12_GLOBAL__N_122cunn_SoftMaxForwardRegIdddNS1_25LogSoftMaxForwardEpilogueElLi6EEEvPT1_PKT_T3_
	.p2align	8
	.type	_ZN2at6native12_GLOBAL__N_122cunn_SoftMaxForwardRegIdddNS1_25LogSoftMaxForwardEpilogueElLi6EEEvPT1_PKT_T3_,@function
_ZN2at6native12_GLOBAL__N_122cunn_SoftMaxForwardRegIdddNS1_25LogSoftMaxForwardEpilogueElLi6EEEvPT1_PKT_T3_: ; @_ZN2at6native12_GLOBAL__N_122cunn_SoftMaxForwardRegIdddNS1_25LogSoftMaxForwardEpilogueElLi6EEEvPT1_PKT_T3_
; %bb.0:
	s_clause 0x2
	s_load_dwordx2 s[8:9], s[4:5], 0x10
	s_load_dwordx4 s[12:15], s[4:5], 0x0
	s_load_dword s2, s[4:5], 0x24
	v_mov_b32_e32 v18, 0
	v_mov_b32_e32 v29, -1
	v_mov_b32_e32 v30, 0xffefffff
	v_mov_b32_e32 v1, v18
	;; [unrolled: 1-line block ×13, first 2 shown]
	s_waitcnt lgkmcnt(0)
	s_mul_i32 s1, s9, s6
	s_mul_hi_u32 s3, s8, s6
	s_mul_i32 s0, s8, s6
	s_add_i32 s1, s3, s1
	v_mov_b32_e32 v2, v17
	v_cmp_gt_i64_e32 vcc_lo, s[8:9], v[0:1]
	v_mov_b32_e32 v3, v18
	v_mov_b32_e32 v4, v19
	;; [unrolled: 1-line block ×15, first 2 shown]
	s_lshl_b64 s[16:17], s[0:1], 3
	v_lshlrev_b32_e32 v19, 3, v0
	s_add_u32 s6, s14, s16
	s_mov_b32 s0, -1
	s_addc_u32 s7, s15, s17
	s_mov_b32 s1, 0xffefffff
	s_and_saveexec_b32 s3, vcc_lo
	s_cbranch_execz .LBB29_2
; %bb.1:
	global_load_dwordx2 v[2:3], v19, s[6:7]
	v_mov_b32_e32 v6, v18
	v_mov_b32_e32 v7, v18
	;; [unrolled: 1-line block ×8, first 2 shown]
	s_waitcnt vmcnt(0)
	v_max_f64 v[4:5], v[2:3], v[2:3]
	v_max_f64 v[29:30], v[4:5], s[0:1]
	v_mov_b32_e32 v4, v18
	v_mov_b32_e32 v5, v18
.LBB29_2:
	s_or_b32 exec_lo, exec_lo, s3
	s_and_b32 s10, 0xffff, s2
	v_add_nc_u32_e32 v17, s10, v0
	v_cmp_gt_i64_e64 s0, s[8:9], v[17:18]
	v_lshlrev_b32_e32 v18, 3, v17
	s_and_saveexec_b32 s1, s0
	s_cbranch_execz .LBB29_4
; %bb.3:
	global_load_dwordx2 v[4:5], v18, s[6:7]
	v_max_f64 v[20:21], v[29:30], v[29:30]
	s_waitcnt vmcnt(0)
	v_max_f64 v[14:15], v[4:5], v[4:5]
	v_max_f64 v[29:30], v[20:21], v[14:15]
.LBB29_4:
	s_or_b32 exec_lo, exec_lo, s1
	v_add_nc_u32_e32 v14, s10, v17
	v_mov_b32_e32 v15, 0
	v_lshlrev_b32_e32 v20, 3, v14
	v_cmp_gt_i64_e64 s1, s[8:9], v[14:15]
	s_and_saveexec_b32 s2, s1
	s_cbranch_execz .LBB29_6
; %bb.5:
	global_load_dwordx2 v[6:7], v20, s[6:7]
	v_max_f64 v[21:22], v[29:30], v[29:30]
	s_waitcnt vmcnt(0)
	v_max_f64 v[16:17], v[6:7], v[6:7]
	v_max_f64 v[29:30], v[21:22], v[16:17]
.LBB29_6:
	s_or_b32 exec_lo, exec_lo, s2
	v_add_nc_u32_e32 v14, s10, v14
	v_cmp_gt_i64_e64 s2, s[8:9], v[14:15]
	v_lshlrev_b32_e32 v21, 3, v14
	s_and_saveexec_b32 s3, s2
	s_cbranch_execz .LBB29_8
; %bb.7:
	global_load_dwordx2 v[8:9], v21, s[6:7]
	v_max_f64 v[22:23], v[29:30], v[29:30]
	s_waitcnt vmcnt(0)
	v_max_f64 v[15:16], v[8:9], v[8:9]
	v_max_f64 v[29:30], v[22:23], v[15:16]
.LBB29_8:
	s_or_b32 exec_lo, exec_lo, s3
	v_add_nc_u32_e32 v14, s10, v14
	v_mov_b32_e32 v15, 0
	v_lshlrev_b32_e32 v22, 3, v14
	v_cmp_gt_i64_e64 s3, s[8:9], v[14:15]
	s_and_saveexec_b32 s4, s3
	s_cbranch_execz .LBB29_10
; %bb.9:
	global_load_dwordx2 v[10:11], v22, s[6:7]
	v_max_f64 v[23:24], v[29:30], v[29:30]
	s_waitcnt vmcnt(0)
	v_max_f64 v[16:17], v[10:11], v[10:11]
	v_max_f64 v[29:30], v[23:24], v[16:17]
.LBB29_10:
	s_or_b32 exec_lo, exec_lo, s4
	v_add_nc_u32_e32 v14, s10, v14
	v_cmp_gt_i64_e64 s4, s[8:9], v[14:15]
	v_lshlrev_b32_e32 v23, 3, v14
	s_and_saveexec_b32 s5, s4
	s_cbranch_execz .LBB29_12
; %bb.11:
	global_load_dwordx2 v[12:13], v23, s[6:7]
	v_max_f64 v[16:17], v[29:30], v[29:30]
	s_waitcnt vmcnt(0)
	v_max_f64 v[14:15], v[12:13], v[12:13]
	v_max_f64 v[29:30], v[16:17], v[14:15]
.LBB29_12:
	s_or_b32 exec_lo, exec_lo, s5
	v_mbcnt_lo_u32_b32 v1, -1, 0
	s_barrier
	buffer_gl0_inv
	v_lshl_or_b32 v24, v1, 2, 64
	v_cmp_gt_u32_e64 s6, 24, v1
	ds_bpermute_b32 v14, v24, v29
	ds_bpermute_b32 v15, v24, v30
	v_cndmask_b32_e64 v16, 0, 8, s6
	v_cmp_gt_u32_e64 s6, 28, v1
	v_add_lshl_u32 v25, v16, v1, 2
	v_cndmask_b32_e64 v26, 0, 4, s6
	v_cmp_gt_u32_e64 s6, 30, v1
	v_add_lshl_u32 v26, v26, v1, 2
	v_cndmask_b32_e64 v27, 0, 2, s6
	v_cmp_ne_u32_e64 s6, 31, v1
	v_add_lshl_u32 v27, v27, v1, 2
	v_add_co_ci_u32_e64 v1, null, 0, v1, s6
	s_waitcnt lgkmcnt(0)
	v_cmp_lt_f64_e64 s5, v[29:30], v[14:15]
	v_lshlrev_b32_e32 v28, 2, v1
	v_and_b32_e32 v1, 31, v0
	v_cndmask_b32_e64 v15, v30, v15, s5
	v_cndmask_b32_e64 v14, v29, v14, s5
	v_lshrrev_b32_e32 v29, 2, v0
	ds_bpermute_b32 v17, v25, v15
	ds_bpermute_b32 v16, v25, v14
	s_waitcnt lgkmcnt(0)
	v_cmp_lt_f64_e64 s5, v[14:15], v[16:17]
	v_cndmask_b32_e64 v15, v15, v17, s5
	v_cndmask_b32_e64 v14, v14, v16, s5
	ds_bpermute_b32 v17, v26, v15
	ds_bpermute_b32 v16, v26, v14
	s_waitcnt lgkmcnt(0)
	v_cmp_lt_f64_e64 s5, v[14:15], v[16:17]
	v_cndmask_b32_e64 v15, v15, v17, s5
	v_cndmask_b32_e64 v14, v14, v16, s5
	;; [unrolled: 6-line block ×3, first 2 shown]
	v_cmp_eq_u32_e64 s5, 0, v1
	ds_bpermute_b32 v30, v28, v15
	ds_bpermute_b32 v16, v28, v14
	s_and_saveexec_b32 s6, s5
	s_xor_b32 s7, exec_lo, s6
	s_cbranch_execz .LBB29_14
; %bb.13:
	s_waitcnt lgkmcnt(1)
	v_mov_b32_e32 v17, v30
	s_waitcnt lgkmcnt(0)
	v_cmp_lt_f64_e64 s6, v[14:15], v[16:17]
	v_add_nc_u32_e32 v17, 0, v29
	v_cndmask_b32_e64 v15, v15, v30, s6
	v_cndmask_b32_e64 v14, v14, v16, s6
	ds_write_b64 v17, v[14:15]
.LBB29_14:
	s_or_b32 exec_lo, exec_lo, s7
	s_lshr_b32 s6, s10, 5
	v_mov_b32_e32 v14, -1
	v_cmp_gt_u32_e64 s6, s6, v0
	v_mov_b32_e32 v15, 0xffefffff
	s_waitcnt lgkmcnt(1)
	v_lshl_add_u32 v30, v1, 3, 0
	s_waitcnt lgkmcnt(0)
	s_barrier
	buffer_gl0_inv
	s_and_saveexec_b32 s7, s6
	s_cbranch_execnz .LBB29_38
; %bb.15:
	s_or_b32 exec_lo, exec_lo, s7
	v_cmp_gt_u32_e64 s7, 32, v0
	s_and_saveexec_b32 s9, s7
	s_cbranch_execnz .LBB29_39
.LBB29_16:
	s_or_b32 exec_lo, exec_lo, s9
	v_cmp_eq_u32_e64 s8, 0, v0
	s_and_saveexec_b32 s9, s8
	s_cbranch_execz .LBB29_18
.LBB29_17:
	v_mov_b32_e32 v0, 0
	s_waitcnt lgkmcnt(0)
	ds_write_b64 v0, v[14:15]
.LBB29_18:
	s_or_b32 exec_lo, exec_lo, s9
	v_mov_b32_e32 v0, 0
	s_waitcnt lgkmcnt(0)
	s_barrier
	buffer_gl0_inv
	v_mov_b32_e32 v14, 0
	ds_read_b64 v[0:1], v0
	v_mov_b32_e32 v15, 0
	s_and_saveexec_b32 s11, vcc_lo
	s_cbranch_execnz .LBB29_40
; %bb.19:
	s_or_b32 exec_lo, exec_lo, s11
	s_and_saveexec_b32 s11, s0
	s_cbranch_execnz .LBB29_41
.LBB29_20:
	s_or_b32 exec_lo, exec_lo, s11
	s_and_saveexec_b32 s11, s1
	s_cbranch_execnz .LBB29_42
.LBB29_21:
	s_or_b32 exec_lo, exec_lo, s11
	s_and_saveexec_b32 s11, s2
	s_cbranch_execnz .LBB29_43
.LBB29_22:
	s_or_b32 exec_lo, exec_lo, s11
	s_and_saveexec_b32 s11, s3
	s_cbranch_execnz .LBB29_44
.LBB29_23:
	s_or_b32 exec_lo, exec_lo, s11
	s_and_saveexec_b32 s11, s4
	s_cbranch_execz .LBB29_25
.LBB29_24:
	s_waitcnt lgkmcnt(0)
	v_add_f64 v[16:17], v[12:13], -v[0:1]
	s_mov_b32 s14, 0x652b82fe
	s_mov_b32 s15, 0x3ff71547
	;; [unrolled: 1-line block ×4, first 2 shown]
	v_mul_f64 v[31:32], v[16:17], s[14:15]
	s_mov_b32 s14, 0xfefa39ef
	s_mov_b32 s15, 0xbfe62e42
	v_cmp_nlt_f64_e64 s9, 0x40900000, v[16:17]
	v_cmp_ngt_f64_e64 s10, 0xc090cc00, v[16:17]
	v_rndne_f64_e32 v[31:32], v[31:32]
	v_fma_f64 v[33:34], v[31:32], s[14:15], v[16:17]
	s_mov_b32 s14, 0x3b39803f
	s_mov_b32 s15, 0xbc7abc9e
	v_cvt_i32_f64_e32 v37, v[31:32]
	v_fma_f64 v[33:34], v[31:32], s[14:15], v[33:34]
	s_mov_b32 s14, 0xfca7ab0c
	s_mov_b32 s15, 0x3e928af3
	v_fma_f64 v[35:36], v[33:34], s[18:19], s[14:15]
	s_mov_b32 s14, 0x623fde64
	s_mov_b32 s15, 0x3ec71dee
	;; [unrolled: 3-line block ×9, first 2 shown]
	v_fma_f64 v[35:36], v[33:34], v[35:36], s[14:15]
	v_fma_f64 v[35:36], v[33:34], v[35:36], 1.0
	v_fma_f64 v[31:32], v[33:34], v[35:36], 1.0
	v_ldexp_f64 v[31:32], v[31:32], v37
	v_cndmask_b32_e64 v32, 0x7ff00000, v32, s9
	s_and_b32 s9, s10, s9
	v_cndmask_b32_e64 v16, 0, v31, s9
	v_cndmask_b32_e64 v17, 0, v32, s10
	v_add_f64 v[14:15], v[14:15], v[16:17]
.LBB29_25:
	s_or_b32 exec_lo, exec_lo, s11
	ds_bpermute_b32 v16, v24, v14
	ds_bpermute_b32 v17, v24, v15
	s_waitcnt lgkmcnt(0)
	s_barrier
	buffer_gl0_inv
	v_add_f64 v[14:15], v[14:15], v[16:17]
	ds_bpermute_b32 v16, v25, v14
	ds_bpermute_b32 v17, v25, v15
	s_waitcnt lgkmcnt(0)
	v_add_f64 v[14:15], v[14:15], v[16:17]
	ds_bpermute_b32 v16, v26, v14
	ds_bpermute_b32 v17, v26, v15
	s_waitcnt lgkmcnt(0)
	;; [unrolled: 4-line block ×3, first 2 shown]
	v_add_f64 v[14:15], v[14:15], v[16:17]
	ds_bpermute_b32 v16, v28, v14
	ds_bpermute_b32 v17, v28, v15
	s_and_saveexec_b32 s9, s5
	s_xor_b32 s5, exec_lo, s9
	s_cbranch_execz .LBB29_27
; %bb.26:
	s_waitcnt lgkmcnt(0)
	v_add_f64 v[14:15], v[14:15], v[16:17]
	v_add_nc_u32_e32 v16, 0, v29
	ds_write_b64 v16, v[14:15]
.LBB29_27:
	s_or_b32 exec_lo, exec_lo, s5
	v_mov_b32_e32 v14, 0
	v_mov_b32_e32 v15, 0
	s_waitcnt lgkmcnt(0)
	s_barrier
	buffer_gl0_inv
	s_and_saveexec_b32 s5, s6
	s_cbranch_execnz .LBB29_45
; %bb.28:
	s_or_b32 exec_lo, exec_lo, s5
	s_and_saveexec_b32 s5, s7
	s_cbranch_execnz .LBB29_46
.LBB29_29:
	s_or_b32 exec_lo, exec_lo, s5
	s_and_saveexec_b32 s5, s8
	s_cbranch_execz .LBB29_31
.LBB29_30:
	v_mov_b32_e32 v16, 0
	s_waitcnt lgkmcnt(0)
	ds_write_b64 v16, v[14:15]
.LBB29_31:
	s_or_b32 exec_lo, exec_lo, s5
	s_waitcnt lgkmcnt(0)
	v_mov_b32_e32 v14, 0
	s_barrier
	buffer_gl0_inv
	s_mov_b32 s7, 0x3fe55555
	ds_read_b64 v[15:16], v14
	s_mov_b32 s6, 0x55555555
	s_mov_b32 s8, 0x6b47b09a
	;; [unrolled: 1-line block ×5, first 2 shown]
	s_waitcnt lgkmcnt(0)
	v_frexp_mant_f64_e32 v[24:25], v[15:16]
	v_cmp_gt_f64_e64 s5, s[6:7], v[24:25]
	s_mov_b32 s6, 0x55555780
	v_cndmask_b32_e64 v14, 0, 1, s5
	v_ldexp_f64 v[24:25], v[24:25], v14
	v_frexp_exp_i32_f64_e32 v14, v[15:16]
	v_add_f64 v[26:27], v[24:25], 1.0
	v_add_f64 v[32:33], v[24:25], -1.0
	v_subrev_co_ci_u32_e64 v14, null, 0, v14, s5
	v_cmp_class_f64_e64 s5, v[15:16], 0x204
	v_rcp_f64_e32 v[28:29], v[26:27]
	v_add_f64 v[34:35], v[26:27], -1.0
	v_add_f64 v[24:25], v[24:25], -v[34:35]
	v_fma_f64 v[30:31], -v[26:27], v[28:29], 1.0
	v_fma_f64 v[28:29], v[30:31], v[28:29], v[28:29]
	v_fma_f64 v[30:31], -v[26:27], v[28:29], 1.0
	v_fma_f64 v[28:29], v[30:31], v[28:29], v[28:29]
	v_mul_f64 v[30:31], v[32:33], v[28:29]
	v_mul_f64 v[36:37], v[26:27], v[30:31]
	v_fma_f64 v[26:27], v[30:31], v[26:27], -v[36:37]
	v_fma_f64 v[24:25], v[30:31], v[24:25], v[26:27]
	v_add_f64 v[26:27], v[36:37], v[24:25]
	v_add_f64 v[34:35], v[32:33], -v[26:27]
	v_add_f64 v[36:37], v[26:27], -v[36:37]
	;; [unrolled: 1-line block ×5, first 2 shown]
	v_add_f64 v[24:25], v[24:25], v[26:27]
	v_add_f64 v[24:25], v[34:35], v[24:25]
	v_mul_f64 v[24:25], v[28:29], v[24:25]
	v_add_f64 v[26:27], v[30:31], v[24:25]
	v_mul_f64 v[28:29], v[26:27], v[26:27]
	v_fma_f64 v[32:33], v[28:29], s[10:11], s[8:9]
	s_mov_b32 s8, 0xd7f4df2e
	s_mov_b32 s9, 0x3fc7474d
	v_mul_f64 v[34:35], v[26:27], v[28:29]
	v_fma_f64 v[32:33], v[28:29], v[32:33], s[8:9]
	s_mov_b32 s8, 0x16291751
	s_mov_b32 s9, 0x3fcc71c0
	v_fma_f64 v[32:33], v[28:29], v[32:33], s[8:9]
	s_mov_b32 s8, 0x9b27acf1
	s_mov_b32 s9, 0x3fd24924
	;; [unrolled: 3-line block ×3, first 2 shown]
	v_fma_f64 v[32:33], v[28:29], v[32:33], s[8:9]
	v_fma_f64 v[28:29], v[28:29], v[32:33], s[6:7]
	v_ldexp_f64 v[32:33], v[26:27], 1
	v_add_f64 v[26:27], v[26:27], -v[30:31]
	s_mov_b32 s6, 0xfefa39ef
	s_mov_b32 s7, 0x3fe62e42
	v_mul_f64 v[28:29], v[34:35], v[28:29]
	v_cvt_f64_i32_e32 v[34:35], v14
	v_add_f64 v[24:25], v[24:25], -v[26:27]
	v_add_f64 v[30:31], v[32:33], v[28:29]
	v_mul_f64 v[36:37], v[34:35], s[6:7]
	v_ldexp_f64 v[24:25], v[24:25], 1
	v_add_f64 v[26:27], v[30:31], -v[32:33]
	v_fma_f64 v[32:33], v[34:35], s[6:7], -v[36:37]
	s_mov_b32 s6, 0x3b39803f
	s_mov_b32 s7, 0x3c7abc9e
	v_add_f64 v[26:27], v[28:29], -v[26:27]
	v_fma_f64 v[28:29], v[34:35], s[6:7], v[32:33]
	s_add_u32 s6, s12, s16
	s_addc_u32 s7, s13, s17
	v_add_f64 v[24:25], v[24:25], v[26:27]
	v_add_f64 v[26:27], v[36:37], v[28:29]
	;; [unrolled: 1-line block ×3, first 2 shown]
	v_add_f64 v[36:37], v[26:27], -v[36:37]
	v_add_f64 v[34:35], v[26:27], v[32:33]
	v_add_f64 v[30:31], v[32:33], -v[30:31]
	v_add_f64 v[28:29], v[28:29], -v[36:37]
	;; [unrolled: 1-line block ×6, first 2 shown]
	v_add_f64 v[32:33], v[28:29], v[24:25]
	v_add_f64 v[26:27], v[26:27], -v[40:41]
	v_add_f64 v[26:27], v[30:31], v[26:27]
	v_add_f64 v[30:31], v[32:33], -v[28:29]
	;; [unrolled: 2-line block ×3, first 2 shown]
	v_add_f64 v[24:25], v[24:25], -v[30:31]
	v_add_f64 v[36:37], v[34:35], v[26:27]
	v_add_f64 v[28:29], v[28:29], -v[32:33]
	v_add_f64 v[30:31], v[36:37], -v[34:35]
	v_add_f64 v[24:25], v[24:25], v[28:29]
	v_add_f64 v[26:27], v[26:27], -v[30:31]
	v_add_f64 v[24:25], v[24:25], v[26:27]
	v_add_f64 v[24:25], v[36:37], v[24:25]
	v_cndmask_b32_e64 v14, v24, v15, s5
	v_cndmask_b32_e64 v17, v25, v16, s5
	v_cmp_ngt_f64_e64 s5, 0, v[15:16]
	v_cndmask_b32_e64 v17, 0x7ff80000, v17, s5
	v_cmp_nge_f64_e64 s5, 0, v[15:16]
	v_cndmask_b32_e64 v14, 0, v14, s5
	v_cmp_neq_f64_e64 s5, 0, v[15:16]
	v_cndmask_b32_e64 v15, 0xfff00000, v17, s5
	s_and_saveexec_b32 s5, vcc_lo
	s_cbranch_execnz .LBB29_47
; %bb.32:
	s_or_b32 exec_lo, exec_lo, s5
	s_and_saveexec_b32 s5, s0
	s_cbranch_execnz .LBB29_48
.LBB29_33:
	s_or_b32 exec_lo, exec_lo, s5
	s_and_saveexec_b32 s0, s1
	s_cbranch_execnz .LBB29_49
.LBB29_34:
	s_or_b32 exec_lo, exec_lo, s0
	s_and_saveexec_b32 s0, s2
	s_cbranch_execnz .LBB29_50
.LBB29_35:
	s_or_b32 exec_lo, exec_lo, s0
	s_and_saveexec_b32 s0, s3
	s_cbranch_execnz .LBB29_51
.LBB29_36:
	s_or_b32 exec_lo, exec_lo, s0
	s_and_saveexec_b32 s0, s4
	s_cbranch_execnz .LBB29_52
.LBB29_37:
	s_endpgm
.LBB29_38:
	ds_read_b64 v[14:15], v30
	s_or_b32 exec_lo, exec_lo, s7
	v_cmp_gt_u32_e64 s7, 32, v0
	s_and_saveexec_b32 s9, s7
	s_cbranch_execz .LBB29_16
.LBB29_39:
	s_waitcnt lgkmcnt(0)
	ds_bpermute_b32 v1, v24, v15
	ds_bpermute_b32 v16, v24, v14
	s_waitcnt lgkmcnt(1)
	v_mov_b32_e32 v17, v1
	s_waitcnt lgkmcnt(0)
	v_cmp_lt_f64_e64 s8, v[14:15], v[16:17]
	v_cndmask_b32_e64 v15, v15, v1, s8
	v_cndmask_b32_e64 v14, v14, v16, s8
	ds_bpermute_b32 v1, v25, v15
	ds_bpermute_b32 v16, v25, v14
	s_waitcnt lgkmcnt(1)
	v_mov_b32_e32 v17, v1
	s_waitcnt lgkmcnt(0)
	v_cmp_lt_f64_e64 s8, v[14:15], v[16:17]
	v_cndmask_b32_e64 v15, v15, v1, s8
	v_cndmask_b32_e64 v14, v14, v16, s8
	;; [unrolled: 8-line block ×5, first 2 shown]
	s_or_b32 exec_lo, exec_lo, s9
	v_cmp_eq_u32_e64 s8, 0, v0
	s_and_saveexec_b32 s9, s8
	s_cbranch_execnz .LBB29_17
	s_branch .LBB29_18
.LBB29_40:
	s_waitcnt lgkmcnt(0)
	v_add_f64 v[14:15], v[2:3], -v[0:1]
	s_mov_b32 s14, 0x652b82fe
	s_mov_b32 s15, 0x3ff71547
	;; [unrolled: 1-line block ×4, first 2 shown]
	v_mul_f64 v[16:17], v[14:15], s[14:15]
	s_mov_b32 s14, 0xfefa39ef
	s_mov_b32 s15, 0xbfe62e42
	v_cmp_nlt_f64_e64 s9, 0x40900000, v[14:15]
	v_cmp_ngt_f64_e64 s10, 0xc090cc00, v[14:15]
	v_rndne_f64_e32 v[16:17], v[16:17]
	v_fma_f64 v[31:32], v[16:17], s[14:15], v[14:15]
	s_mov_b32 s14, 0x3b39803f
	s_mov_b32 s15, 0xbc7abc9e
	v_cvt_i32_f64_e32 v35, v[16:17]
	v_fma_f64 v[31:32], v[16:17], s[14:15], v[31:32]
	s_mov_b32 s14, 0xfca7ab0c
	s_mov_b32 s15, 0x3e928af3
	v_fma_f64 v[33:34], v[31:32], s[18:19], s[14:15]
	s_mov_b32 s14, 0x623fde64
	s_mov_b32 s15, 0x3ec71dee
	;; [unrolled: 3-line block ×9, first 2 shown]
	v_fma_f64 v[33:34], v[31:32], v[33:34], s[14:15]
	v_fma_f64 v[33:34], v[31:32], v[33:34], 1.0
	v_fma_f64 v[16:17], v[31:32], v[33:34], 1.0
	v_ldexp_f64 v[16:17], v[16:17], v35
	v_add_f64 v[16:17], v[16:17], 0
	v_cndmask_b32_e64 v17, 0x7ff00000, v17, s9
	s_and_b32 s9, s10, s9
	v_cndmask_b32_e64 v14, 0, v16, s9
	v_cndmask_b32_e64 v15, 0, v17, s10
	s_or_b32 exec_lo, exec_lo, s11
	s_and_saveexec_b32 s11, s0
	s_cbranch_execz .LBB29_20
.LBB29_41:
	s_waitcnt lgkmcnt(0)
	v_add_f64 v[16:17], v[4:5], -v[0:1]
	s_mov_b32 s14, 0x652b82fe
	s_mov_b32 s15, 0x3ff71547
	;; [unrolled: 1-line block ×4, first 2 shown]
	v_mul_f64 v[31:32], v[16:17], s[14:15]
	s_mov_b32 s14, 0xfefa39ef
	s_mov_b32 s15, 0xbfe62e42
	v_cmp_nlt_f64_e64 s9, 0x40900000, v[16:17]
	v_cmp_ngt_f64_e64 s10, 0xc090cc00, v[16:17]
	v_rndne_f64_e32 v[31:32], v[31:32]
	v_fma_f64 v[33:34], v[31:32], s[14:15], v[16:17]
	s_mov_b32 s14, 0x3b39803f
	s_mov_b32 s15, 0xbc7abc9e
	v_cvt_i32_f64_e32 v37, v[31:32]
	v_fma_f64 v[33:34], v[31:32], s[14:15], v[33:34]
	s_mov_b32 s14, 0xfca7ab0c
	s_mov_b32 s15, 0x3e928af3
	v_fma_f64 v[35:36], v[33:34], s[18:19], s[14:15]
	s_mov_b32 s14, 0x623fde64
	s_mov_b32 s15, 0x3ec71dee
	;; [unrolled: 3-line block ×9, first 2 shown]
	v_fma_f64 v[35:36], v[33:34], v[35:36], s[14:15]
	v_fma_f64 v[35:36], v[33:34], v[35:36], 1.0
	v_fma_f64 v[31:32], v[33:34], v[35:36], 1.0
	v_ldexp_f64 v[31:32], v[31:32], v37
	v_cndmask_b32_e64 v32, 0x7ff00000, v32, s9
	s_and_b32 s9, s10, s9
	v_cndmask_b32_e64 v16, 0, v31, s9
	v_cndmask_b32_e64 v17, 0, v32, s10
	v_add_f64 v[14:15], v[14:15], v[16:17]
	s_or_b32 exec_lo, exec_lo, s11
	s_and_saveexec_b32 s11, s1
	s_cbranch_execz .LBB29_21
.LBB29_42:
	s_waitcnt lgkmcnt(0)
	v_add_f64 v[16:17], v[6:7], -v[0:1]
	s_mov_b32 s14, 0x652b82fe
	s_mov_b32 s15, 0x3ff71547
	;; [unrolled: 1-line block ×4, first 2 shown]
	v_mul_f64 v[31:32], v[16:17], s[14:15]
	s_mov_b32 s14, 0xfefa39ef
	s_mov_b32 s15, 0xbfe62e42
	v_cmp_nlt_f64_e64 s9, 0x40900000, v[16:17]
	v_cmp_ngt_f64_e64 s10, 0xc090cc00, v[16:17]
	v_rndne_f64_e32 v[31:32], v[31:32]
	v_fma_f64 v[33:34], v[31:32], s[14:15], v[16:17]
	s_mov_b32 s14, 0x3b39803f
	s_mov_b32 s15, 0xbc7abc9e
	v_cvt_i32_f64_e32 v37, v[31:32]
	v_fma_f64 v[33:34], v[31:32], s[14:15], v[33:34]
	s_mov_b32 s14, 0xfca7ab0c
	s_mov_b32 s15, 0x3e928af3
	v_fma_f64 v[35:36], v[33:34], s[18:19], s[14:15]
	s_mov_b32 s14, 0x623fde64
	s_mov_b32 s15, 0x3ec71dee
	;; [unrolled: 3-line block ×9, first 2 shown]
	v_fma_f64 v[35:36], v[33:34], v[35:36], s[14:15]
	v_fma_f64 v[35:36], v[33:34], v[35:36], 1.0
	v_fma_f64 v[31:32], v[33:34], v[35:36], 1.0
	v_ldexp_f64 v[31:32], v[31:32], v37
	v_cndmask_b32_e64 v32, 0x7ff00000, v32, s9
	s_and_b32 s9, s10, s9
	v_cndmask_b32_e64 v16, 0, v31, s9
	v_cndmask_b32_e64 v17, 0, v32, s10
	v_add_f64 v[14:15], v[14:15], v[16:17]
	s_or_b32 exec_lo, exec_lo, s11
	s_and_saveexec_b32 s11, s2
	s_cbranch_execz .LBB29_22
.LBB29_43:
	s_waitcnt lgkmcnt(0)
	v_add_f64 v[16:17], v[8:9], -v[0:1]
	s_mov_b32 s14, 0x652b82fe
	s_mov_b32 s15, 0x3ff71547
	;; [unrolled: 1-line block ×4, first 2 shown]
	v_mul_f64 v[31:32], v[16:17], s[14:15]
	s_mov_b32 s14, 0xfefa39ef
	s_mov_b32 s15, 0xbfe62e42
	v_cmp_nlt_f64_e64 s9, 0x40900000, v[16:17]
	v_cmp_ngt_f64_e64 s10, 0xc090cc00, v[16:17]
	v_rndne_f64_e32 v[31:32], v[31:32]
	v_fma_f64 v[33:34], v[31:32], s[14:15], v[16:17]
	s_mov_b32 s14, 0x3b39803f
	s_mov_b32 s15, 0xbc7abc9e
	v_cvt_i32_f64_e32 v37, v[31:32]
	v_fma_f64 v[33:34], v[31:32], s[14:15], v[33:34]
	s_mov_b32 s14, 0xfca7ab0c
	s_mov_b32 s15, 0x3e928af3
	v_fma_f64 v[35:36], v[33:34], s[18:19], s[14:15]
	s_mov_b32 s14, 0x623fde64
	s_mov_b32 s15, 0x3ec71dee
	;; [unrolled: 3-line block ×9, first 2 shown]
	v_fma_f64 v[35:36], v[33:34], v[35:36], s[14:15]
	v_fma_f64 v[35:36], v[33:34], v[35:36], 1.0
	v_fma_f64 v[31:32], v[33:34], v[35:36], 1.0
	v_ldexp_f64 v[31:32], v[31:32], v37
	v_cndmask_b32_e64 v32, 0x7ff00000, v32, s9
	s_and_b32 s9, s10, s9
	v_cndmask_b32_e64 v16, 0, v31, s9
	v_cndmask_b32_e64 v17, 0, v32, s10
	v_add_f64 v[14:15], v[14:15], v[16:17]
	s_or_b32 exec_lo, exec_lo, s11
	s_and_saveexec_b32 s11, s3
	s_cbranch_execz .LBB29_23
.LBB29_44:
	s_waitcnt lgkmcnt(0)
	v_add_f64 v[16:17], v[10:11], -v[0:1]
	s_mov_b32 s14, 0x652b82fe
	s_mov_b32 s15, 0x3ff71547
	;; [unrolled: 1-line block ×4, first 2 shown]
	v_mul_f64 v[31:32], v[16:17], s[14:15]
	s_mov_b32 s14, 0xfefa39ef
	s_mov_b32 s15, 0xbfe62e42
	v_cmp_nlt_f64_e64 s9, 0x40900000, v[16:17]
	v_cmp_ngt_f64_e64 s10, 0xc090cc00, v[16:17]
	v_rndne_f64_e32 v[31:32], v[31:32]
	v_fma_f64 v[33:34], v[31:32], s[14:15], v[16:17]
	s_mov_b32 s14, 0x3b39803f
	s_mov_b32 s15, 0xbc7abc9e
	v_cvt_i32_f64_e32 v37, v[31:32]
	v_fma_f64 v[33:34], v[31:32], s[14:15], v[33:34]
	s_mov_b32 s14, 0xfca7ab0c
	s_mov_b32 s15, 0x3e928af3
	v_fma_f64 v[35:36], v[33:34], s[18:19], s[14:15]
	s_mov_b32 s14, 0x623fde64
	s_mov_b32 s15, 0x3ec71dee
	;; [unrolled: 3-line block ×9, first 2 shown]
	v_fma_f64 v[35:36], v[33:34], v[35:36], s[14:15]
	v_fma_f64 v[35:36], v[33:34], v[35:36], 1.0
	v_fma_f64 v[31:32], v[33:34], v[35:36], 1.0
	v_ldexp_f64 v[31:32], v[31:32], v37
	v_cndmask_b32_e64 v32, 0x7ff00000, v32, s9
	s_and_b32 s9, s10, s9
	v_cndmask_b32_e64 v16, 0, v31, s9
	v_cndmask_b32_e64 v17, 0, v32, s10
	v_add_f64 v[14:15], v[14:15], v[16:17]
	s_or_b32 exec_lo, exec_lo, s11
	s_and_saveexec_b32 s11, s4
	s_cbranch_execnz .LBB29_24
	s_branch .LBB29_25
.LBB29_45:
	ds_read_b64 v[14:15], v30
	s_or_b32 exec_lo, exec_lo, s5
	s_and_saveexec_b32 s5, s7
	s_cbranch_execz .LBB29_29
.LBB29_46:
	s_waitcnt lgkmcnt(0)
	ds_bpermute_b32 v16, v24, v14
	ds_bpermute_b32 v17, v24, v15
	s_waitcnt lgkmcnt(0)
	v_add_f64 v[14:15], v[14:15], v[16:17]
	ds_bpermute_b32 v16, v25, v14
	ds_bpermute_b32 v17, v25, v15
	s_waitcnt lgkmcnt(0)
	v_add_f64 v[14:15], v[14:15], v[16:17]
	;; [unrolled: 4-line block ×5, first 2 shown]
	s_or_b32 exec_lo, exec_lo, s5
	s_and_saveexec_b32 s5, s8
	s_cbranch_execnz .LBB29_30
	s_branch .LBB29_31
.LBB29_47:
	v_add_f64 v[2:3], v[2:3], -v[0:1]
	v_add_f64 v[2:3], v[2:3], -v[14:15]
	global_store_dwordx2 v19, v[2:3], s[6:7]
	s_or_b32 exec_lo, exec_lo, s5
	s_and_saveexec_b32 s5, s0
	s_cbranch_execz .LBB29_33
.LBB29_48:
	v_add_f64 v[2:3], v[4:5], -v[0:1]
	v_add_f64 v[2:3], v[2:3], -v[14:15]
	global_store_dwordx2 v18, v[2:3], s[6:7]
	s_or_b32 exec_lo, exec_lo, s5
	s_and_saveexec_b32 s0, s1
	s_cbranch_execz .LBB29_34
.LBB29_49:
	v_add_f64 v[2:3], v[6:7], -v[0:1]
	v_add_f64 v[2:3], v[2:3], -v[14:15]
	global_store_dwordx2 v20, v[2:3], s[6:7]
	s_or_b32 exec_lo, exec_lo, s0
	s_and_saveexec_b32 s0, s2
	s_cbranch_execz .LBB29_35
.LBB29_50:
	v_add_f64 v[2:3], v[8:9], -v[0:1]
	v_add_f64 v[2:3], v[2:3], -v[14:15]
	global_store_dwordx2 v21, v[2:3], s[6:7]
	s_or_b32 exec_lo, exec_lo, s0
	s_and_saveexec_b32 s0, s3
	s_cbranch_execz .LBB29_36
.LBB29_51:
	v_add_f64 v[2:3], v[10:11], -v[0:1]
	v_add_f64 v[2:3], v[2:3], -v[14:15]
	global_store_dwordx2 v22, v[2:3], s[6:7]
	s_or_b32 exec_lo, exec_lo, s0
	s_and_saveexec_b32 s0, s4
	s_cbranch_execz .LBB29_37
.LBB29_52:
	v_add_f64 v[0:1], v[12:13], -v[0:1]
	v_add_f64 v[0:1], v[0:1], -v[14:15]
	global_store_dwordx2 v23, v[0:1], s[6:7]
	s_endpgm
	.section	.rodata,"a",@progbits
	.p2align	6, 0x0
	.amdhsa_kernel _ZN2at6native12_GLOBAL__N_122cunn_SoftMaxForwardRegIdddNS1_25LogSoftMaxForwardEpilogueElLi6EEEvPT1_PKT_T3_
		.amdhsa_group_segment_fixed_size 0
		.amdhsa_private_segment_fixed_size 0
		.amdhsa_kernarg_size 280
		.amdhsa_user_sgpr_count 6
		.amdhsa_user_sgpr_private_segment_buffer 1
		.amdhsa_user_sgpr_dispatch_ptr 0
		.amdhsa_user_sgpr_queue_ptr 0
		.amdhsa_user_sgpr_kernarg_segment_ptr 1
		.amdhsa_user_sgpr_dispatch_id 0
		.amdhsa_user_sgpr_flat_scratch_init 0
		.amdhsa_user_sgpr_private_segment_size 0
		.amdhsa_wavefront_size32 1
		.amdhsa_uses_dynamic_stack 0
		.amdhsa_system_sgpr_private_segment_wavefront_offset 0
		.amdhsa_system_sgpr_workgroup_id_x 1
		.amdhsa_system_sgpr_workgroup_id_y 0
		.amdhsa_system_sgpr_workgroup_id_z 0
		.amdhsa_system_sgpr_workgroup_info 0
		.amdhsa_system_vgpr_workitem_id 0
		.amdhsa_next_free_vgpr 42
		.amdhsa_next_free_sgpr 20
		.amdhsa_reserve_vcc 1
		.amdhsa_reserve_flat_scratch 0
		.amdhsa_float_round_mode_32 0
		.amdhsa_float_round_mode_16_64 0
		.amdhsa_float_denorm_mode_32 3
		.amdhsa_float_denorm_mode_16_64 3
		.amdhsa_dx10_clamp 1
		.amdhsa_ieee_mode 1
		.amdhsa_fp16_overflow 0
		.amdhsa_workgroup_processor_mode 1
		.amdhsa_memory_ordered 1
		.amdhsa_forward_progress 1
		.amdhsa_shared_vgpr_count 0
		.amdhsa_exception_fp_ieee_invalid_op 0
		.amdhsa_exception_fp_denorm_src 0
		.amdhsa_exception_fp_ieee_div_zero 0
		.amdhsa_exception_fp_ieee_overflow 0
		.amdhsa_exception_fp_ieee_underflow 0
		.amdhsa_exception_fp_ieee_inexact 0
		.amdhsa_exception_int_div_zero 0
	.end_amdhsa_kernel
	.section	.text._ZN2at6native12_GLOBAL__N_122cunn_SoftMaxForwardRegIdddNS1_25LogSoftMaxForwardEpilogueElLi6EEEvPT1_PKT_T3_,"axG",@progbits,_ZN2at6native12_GLOBAL__N_122cunn_SoftMaxForwardRegIdddNS1_25LogSoftMaxForwardEpilogueElLi6EEEvPT1_PKT_T3_,comdat
.Lfunc_end29:
	.size	_ZN2at6native12_GLOBAL__N_122cunn_SoftMaxForwardRegIdddNS1_25LogSoftMaxForwardEpilogueElLi6EEEvPT1_PKT_T3_, .Lfunc_end29-_ZN2at6native12_GLOBAL__N_122cunn_SoftMaxForwardRegIdddNS1_25LogSoftMaxForwardEpilogueElLi6EEEvPT1_PKT_T3_
                                        ; -- End function
	.set _ZN2at6native12_GLOBAL__N_122cunn_SoftMaxForwardRegIdddNS1_25LogSoftMaxForwardEpilogueElLi6EEEvPT1_PKT_T3_.num_vgpr, 42
	.set _ZN2at6native12_GLOBAL__N_122cunn_SoftMaxForwardRegIdddNS1_25LogSoftMaxForwardEpilogueElLi6EEEvPT1_PKT_T3_.num_agpr, 0
	.set _ZN2at6native12_GLOBAL__N_122cunn_SoftMaxForwardRegIdddNS1_25LogSoftMaxForwardEpilogueElLi6EEEvPT1_PKT_T3_.numbered_sgpr, 20
	.set _ZN2at6native12_GLOBAL__N_122cunn_SoftMaxForwardRegIdddNS1_25LogSoftMaxForwardEpilogueElLi6EEEvPT1_PKT_T3_.num_named_barrier, 0
	.set _ZN2at6native12_GLOBAL__N_122cunn_SoftMaxForwardRegIdddNS1_25LogSoftMaxForwardEpilogueElLi6EEEvPT1_PKT_T3_.private_seg_size, 0
	.set _ZN2at6native12_GLOBAL__N_122cunn_SoftMaxForwardRegIdddNS1_25LogSoftMaxForwardEpilogueElLi6EEEvPT1_PKT_T3_.uses_vcc, 1
	.set _ZN2at6native12_GLOBAL__N_122cunn_SoftMaxForwardRegIdddNS1_25LogSoftMaxForwardEpilogueElLi6EEEvPT1_PKT_T3_.uses_flat_scratch, 0
	.set _ZN2at6native12_GLOBAL__N_122cunn_SoftMaxForwardRegIdddNS1_25LogSoftMaxForwardEpilogueElLi6EEEvPT1_PKT_T3_.has_dyn_sized_stack, 0
	.set _ZN2at6native12_GLOBAL__N_122cunn_SoftMaxForwardRegIdddNS1_25LogSoftMaxForwardEpilogueElLi6EEEvPT1_PKT_T3_.has_recursion, 0
	.set _ZN2at6native12_GLOBAL__N_122cunn_SoftMaxForwardRegIdddNS1_25LogSoftMaxForwardEpilogueElLi6EEEvPT1_PKT_T3_.has_indirect_call, 0
	.section	.AMDGPU.csdata,"",@progbits
; Kernel info:
; codeLenInByte = 5640
; TotalNumSgprs: 22
; NumVgprs: 42
; ScratchSize: 0
; MemoryBound: 0
; FloatMode: 240
; IeeeMode: 1
; LDSByteSize: 0 bytes/workgroup (compile time only)
; SGPRBlocks: 0
; VGPRBlocks: 5
; NumSGPRsForWavesPerEU: 22
; NumVGPRsForWavesPerEU: 42
; Occupancy: 16
; WaveLimiterHint : 0
; COMPUTE_PGM_RSRC2:SCRATCH_EN: 0
; COMPUTE_PGM_RSRC2:USER_SGPR: 6
; COMPUTE_PGM_RSRC2:TRAP_HANDLER: 0
; COMPUTE_PGM_RSRC2:TGID_X_EN: 1
; COMPUTE_PGM_RSRC2:TGID_Y_EN: 0
; COMPUTE_PGM_RSRC2:TGID_Z_EN: 0
; COMPUTE_PGM_RSRC2:TIDIG_COMP_CNT: 0
	.section	.text._ZN2at6native12_GLOBAL__N_122cunn_SoftMaxForwardRegIdddNS1_25LogSoftMaxForwardEpilogueElLi7EEEvPT1_PKT_T3_,"axG",@progbits,_ZN2at6native12_GLOBAL__N_122cunn_SoftMaxForwardRegIdddNS1_25LogSoftMaxForwardEpilogueElLi7EEEvPT1_PKT_T3_,comdat
	.globl	_ZN2at6native12_GLOBAL__N_122cunn_SoftMaxForwardRegIdddNS1_25LogSoftMaxForwardEpilogueElLi7EEEvPT1_PKT_T3_ ; -- Begin function _ZN2at6native12_GLOBAL__N_122cunn_SoftMaxForwardRegIdddNS1_25LogSoftMaxForwardEpilogueElLi7EEEvPT1_PKT_T3_
	.p2align	8
	.type	_ZN2at6native12_GLOBAL__N_122cunn_SoftMaxForwardRegIdddNS1_25LogSoftMaxForwardEpilogueElLi7EEEvPT1_PKT_T3_,@function
_ZN2at6native12_GLOBAL__N_122cunn_SoftMaxForwardRegIdddNS1_25LogSoftMaxForwardEpilogueElLi7EEEvPT1_PKT_T3_: ; @_ZN2at6native12_GLOBAL__N_122cunn_SoftMaxForwardRegIdddNS1_25LogSoftMaxForwardEpilogueElLi7EEEvPT1_PKT_T3_
; %bb.0:
	s_clause 0x2
	s_load_dwordx2 s[8:9], s[4:5], 0x10
	s_load_dwordx4 s[12:15], s[4:5], 0x0
	s_load_dword s2, s[4:5], 0x24
	v_mov_b32_e32 v17, 0
	v_mov_b32_e32 v30, -1
	v_mov_b32_e32 v31, 0xffefffff
	v_mov_b32_e32 v1, v17
	;; [unrolled: 1-line block ×15, first 2 shown]
	s_waitcnt lgkmcnt(0)
	s_mul_i32 s1, s9, s6
	s_mul_hi_u32 s3, s8, s6
	s_mul_i32 s0, s8, s6
	s_add_i32 s1, s3, s1
	v_cmp_gt_i64_e32 vcc_lo, s[8:9], v[0:1]
	v_mov_b32_e32 v1, v16
	s_lshl_b64 s[16:17], s[0:1], 3
	v_mov_b32_e32 v2, v17
	v_mov_b32_e32 v3, v18
	;; [unrolled: 1-line block ×15, first 2 shown]
	v_lshlrev_b32_e32 v21, 3, v0
	s_add_u32 s6, s14, s16
	s_mov_b32 s0, -1
	s_addc_u32 s7, s15, s17
	s_mov_b32 s1, 0xffefffff
	s_and_saveexec_b32 s3, vcc_lo
	s_cbranch_execz .LBB30_2
; %bb.1:
	global_load_dwordx2 v[1:2], v21, s[6:7]
	v_mov_b32_e32 v5, v17
	v_mov_b32_e32 v6, v17
	;; [unrolled: 1-line block ×10, first 2 shown]
	s_waitcnt vmcnt(0)
	v_max_f64 v[3:4], v[1:2], v[1:2]
	v_max_f64 v[30:31], v[3:4], s[0:1]
	v_mov_b32_e32 v3, v17
	v_mov_b32_e32 v4, v17
.LBB30_2:
	s_or_b32 exec_lo, exec_lo, s3
	s_and_b32 s10, 0xffff, s2
	v_add_nc_u32_e32 v16, s10, v0
	v_cmp_gt_i64_e64 s0, s[8:9], v[16:17]
	v_lshlrev_b32_e32 v22, 3, v16
	s_and_saveexec_b32 s1, s0
	s_cbranch_execz .LBB30_4
; %bb.3:
	global_load_dwordx2 v[3:4], v22, s[6:7]
	v_max_f64 v[19:20], v[30:31], v[30:31]
	s_waitcnt vmcnt(0)
	v_max_f64 v[17:18], v[3:4], v[3:4]
	v_max_f64 v[30:31], v[19:20], v[17:18]
.LBB30_4:
	s_or_b32 exec_lo, exec_lo, s1
	v_add_nc_u32_e32 v15, s10, v16
	v_mov_b32_e32 v16, 0
	v_lshlrev_b32_e32 v23, 3, v15
	v_cmp_gt_i64_e64 s1, s[8:9], v[15:16]
	s_and_saveexec_b32 s2, s1
	s_cbranch_execz .LBB30_6
; %bb.5:
	global_load_dwordx2 v[5:6], v23, s[6:7]
	v_max_f64 v[19:20], v[30:31], v[30:31]
	s_waitcnt vmcnt(0)
	v_max_f64 v[17:18], v[5:6], v[5:6]
	v_max_f64 v[30:31], v[19:20], v[17:18]
.LBB30_6:
	s_or_b32 exec_lo, exec_lo, s2
	v_add_nc_u32_e32 v15, s10, v15
	v_cmp_gt_i64_e64 s2, s[8:9], v[15:16]
	v_lshlrev_b32_e32 v24, 3, v15
	s_and_saveexec_b32 s3, s2
	s_cbranch_execz .LBB30_8
; %bb.7:
	global_load_dwordx2 v[7:8], v24, s[6:7]
	v_max_f64 v[18:19], v[30:31], v[30:31]
	s_waitcnt vmcnt(0)
	v_max_f64 v[16:17], v[7:8], v[7:8]
	v_max_f64 v[30:31], v[18:19], v[16:17]
.LBB30_8:
	s_or_b32 exec_lo, exec_lo, s3
	v_add_nc_u32_e32 v15, s10, v15
	v_mov_b32_e32 v16, 0
	v_lshlrev_b32_e32 v25, 3, v15
	v_cmp_gt_i64_e64 s3, s[8:9], v[15:16]
	s_and_saveexec_b32 s4, s3
	s_cbranch_execz .LBB30_10
; %bb.9:
	global_load_dwordx2 v[9:10], v25, s[6:7]
	v_max_f64 v[19:20], v[30:31], v[30:31]
	s_waitcnt vmcnt(0)
	v_max_f64 v[17:18], v[9:10], v[9:10]
	v_max_f64 v[30:31], v[19:20], v[17:18]
.LBB30_10:
	s_or_b32 exec_lo, exec_lo, s4
	v_add_nc_u32_e32 v15, s10, v15
	v_cmp_gt_i64_e64 s4, s[8:9], v[15:16]
	v_lshlrev_b32_e32 v26, 3, v15
	s_and_saveexec_b32 s5, s4
	s_cbranch_execz .LBB30_12
; %bb.11:
	global_load_dwordx2 v[11:12], v26, s[6:7]
	v_max_f64 v[18:19], v[30:31], v[30:31]
	s_waitcnt vmcnt(0)
	v_max_f64 v[16:17], v[11:12], v[11:12]
	v_max_f64 v[30:31], v[18:19], v[16:17]
.LBB30_12:
	s_or_b32 exec_lo, exec_lo, s5
	v_add_nc_u32_e32 v15, s10, v15
	v_mov_b32_e32 v16, 0
	v_lshlrev_b32_e32 v27, 3, v15
	v_cmp_gt_i64_e64 s5, s[8:9], v[15:16]
	s_and_saveexec_b32 s8, s5
	s_cbranch_execz .LBB30_14
; %bb.13:
	global_load_dwordx2 v[13:14], v27, s[6:7]
	v_max_f64 v[17:18], v[30:31], v[30:31]
	s_waitcnt vmcnt(0)
	v_max_f64 v[15:16], v[13:14], v[13:14]
	v_max_f64 v[30:31], v[17:18], v[15:16]
.LBB30_14:
	s_or_b32 exec_lo, exec_lo, s8
	v_mbcnt_lo_u32_b32 v19, -1, 0
	v_lshrrev_b32_e32 v33, 2, v0
	s_barrier
	buffer_gl0_inv
	v_lshl_or_b32 v28, v19, 2, 64
	v_cmp_gt_u32_e64 s7, 24, v19
	ds_bpermute_b32 v15, v28, v30
	ds_bpermute_b32 v16, v28, v31
	v_cndmask_b32_e64 v17, 0, 8, s7
	v_cmp_gt_u32_e64 s7, 28, v19
	v_add_lshl_u32 v29, v17, v19, 2
	v_cndmask_b32_e64 v20, 0, 4, s7
	v_cmp_gt_u32_e64 s7, 30, v19
	s_waitcnt lgkmcnt(0)
	v_cmp_lt_f64_e64 s6, v[30:31], v[15:16]
	v_cndmask_b32_e64 v16, v31, v16, s6
	v_cndmask_b32_e64 v15, v30, v15, s6
	v_add_lshl_u32 v30, v20, v19, 2
	v_cndmask_b32_e64 v20, 0, 2, s7
	v_cmp_ne_u32_e64 s7, 31, v19
	ds_bpermute_b32 v18, v29, v16
	ds_bpermute_b32 v17, v29, v15
	v_add_lshl_u32 v31, v20, v19, 2
	v_add_co_ci_u32_e64 v19, null, 0, v19, s7
	v_lshlrev_b32_e32 v32, 2, v19
	v_and_b32_e32 v19, 31, v0
	s_waitcnt lgkmcnt(0)
	v_cmp_lt_f64_e64 s6, v[15:16], v[17:18]
	v_cndmask_b32_e64 v16, v16, v18, s6
	v_cndmask_b32_e64 v15, v15, v17, s6
	ds_bpermute_b32 v18, v30, v16
	ds_bpermute_b32 v17, v30, v15
	s_waitcnt lgkmcnt(0)
	v_cmp_lt_f64_e64 s6, v[15:16], v[17:18]
	v_cndmask_b32_e64 v16, v16, v18, s6
	v_cndmask_b32_e64 v15, v15, v17, s6
	ds_bpermute_b32 v18, v31, v16
	ds_bpermute_b32 v17, v31, v15
	s_waitcnt lgkmcnt(0)
	v_cmp_lt_f64_e64 s6, v[15:16], v[17:18]
	v_cndmask_b32_e64 v16, v16, v18, s6
	v_cndmask_b32_e64 v15, v15, v17, s6
	v_cmp_eq_u32_e64 s6, 0, v19
	ds_bpermute_b32 v20, v32, v16
	ds_bpermute_b32 v17, v32, v15
	s_and_saveexec_b32 s7, s6
	s_xor_b32 s8, exec_lo, s7
	s_cbranch_execz .LBB30_16
; %bb.15:
	s_waitcnt lgkmcnt(1)
	v_mov_b32_e32 v18, v20
	s_waitcnt lgkmcnt(0)
	v_cmp_lt_f64_e64 s7, v[15:16], v[17:18]
	v_add_nc_u32_e32 v18, 0, v33
	v_cndmask_b32_e64 v16, v16, v20, s7
	v_cndmask_b32_e64 v15, v15, v17, s7
	ds_write_b64 v18, v[15:16]
.LBB30_16:
	s_or_b32 exec_lo, exec_lo, s8
	s_lshr_b32 s7, s10, 5
	v_mov_b32_e32 v15, -1
	v_cmp_gt_u32_e64 s7, s7, v0
	v_mov_b32_e32 v16, 0xffefffff
	v_lshl_add_u32 v34, v19, 3, 0
	s_waitcnt lgkmcnt(0)
	s_barrier
	buffer_gl0_inv
	s_and_saveexec_b32 s8, s7
	s_cbranch_execnz .LBB30_42
; %bb.17:
	s_or_b32 exec_lo, exec_lo, s8
	v_cmp_gt_u32_e64 s8, 32, v0
	s_and_saveexec_b32 s10, s8
	s_cbranch_execnz .LBB30_43
.LBB30_18:
	s_or_b32 exec_lo, exec_lo, s10
	v_cmp_eq_u32_e64 s9, 0, v0
	s_and_saveexec_b32 s10, s9
	s_cbranch_execz .LBB30_20
.LBB30_19:
	v_mov_b32_e32 v0, 0
	s_waitcnt lgkmcnt(0)
	ds_write_b64 v0, v[15:16]
.LBB30_20:
	s_or_b32 exec_lo, exec_lo, s10
	v_mov_b32_e32 v0, 0
	s_waitcnt lgkmcnt(0)
	s_barrier
	buffer_gl0_inv
	v_mov_b32_e32 v17, 0
	ds_read_b64 v[15:16], v0
	v_mov_b32_e32 v18, 0
	s_and_saveexec_b32 s14, vcc_lo
	s_cbranch_execnz .LBB30_44
; %bb.21:
	s_or_b32 exec_lo, exec_lo, s14
	s_and_saveexec_b32 s14, s0
	s_cbranch_execnz .LBB30_45
.LBB30_22:
	s_or_b32 exec_lo, exec_lo, s14
	s_and_saveexec_b32 s14, s1
	s_cbranch_execnz .LBB30_46
.LBB30_23:
	s_or_b32 exec_lo, exec_lo, s14
	s_and_saveexec_b32 s14, s2
	s_cbranch_execnz .LBB30_47
.LBB30_24:
	s_or_b32 exec_lo, exec_lo, s14
	s_and_saveexec_b32 s14, s3
	s_cbranch_execnz .LBB30_48
.LBB30_25:
	s_or_b32 exec_lo, exec_lo, s14
	s_and_saveexec_b32 s14, s4
	s_cbranch_execnz .LBB30_49
.LBB30_26:
	s_or_b32 exec_lo, exec_lo, s14
	s_and_saveexec_b32 s14, s5
	s_cbranch_execz .LBB30_28
.LBB30_27:
	s_waitcnt lgkmcnt(0)
	v_add_f64 v[19:20], v[13:14], -v[15:16]
	s_mov_b32 s10, 0x652b82fe
	s_mov_b32 s11, 0x3ff71547
	;; [unrolled: 1-line block ×4, first 2 shown]
	v_mul_f64 v[35:36], v[19:20], s[10:11]
	s_mov_b32 s10, 0xfefa39ef
	s_mov_b32 s11, 0xbfe62e42
	v_rndne_f64_e32 v[35:36], v[35:36]
	v_fma_f64 v[37:38], v[35:36], s[10:11], v[19:20]
	s_mov_b32 s10, 0x3b39803f
	s_mov_b32 s11, 0xbc7abc9e
	v_cvt_i32_f64_e32 v0, v[35:36]
	v_fma_f64 v[37:38], v[35:36], s[10:11], v[37:38]
	s_mov_b32 s10, 0xfca7ab0c
	s_mov_b32 s11, 0x3e928af3
	v_fma_f64 v[39:40], v[37:38], s[18:19], s[10:11]
	s_mov_b32 s10, 0x623fde64
	s_mov_b32 s11, 0x3ec71dee
	;; [unrolled: 3-line block ×9, first 2 shown]
	v_fma_f64 v[39:40], v[37:38], v[39:40], s[10:11]
	v_cmp_nlt_f64_e64 s10, 0x40900000, v[19:20]
	v_cmp_ngt_f64_e64 s11, 0xc090cc00, v[19:20]
	v_fma_f64 v[39:40], v[37:38], v[39:40], 1.0
	v_fma_f64 v[35:36], v[37:38], v[39:40], 1.0
	v_ldexp_f64 v[35:36], v[35:36], v0
	v_cndmask_b32_e64 v0, 0x7ff00000, v36, s10
	s_and_b32 s10, s11, s10
	v_cndmask_b32_e64 v19, 0, v35, s10
	v_cndmask_b32_e64 v20, 0, v0, s11
	v_add_f64 v[17:18], v[17:18], v[19:20]
.LBB30_28:
	s_or_b32 exec_lo, exec_lo, s14
	ds_bpermute_b32 v19, v28, v17
	ds_bpermute_b32 v20, v28, v18
	s_waitcnt lgkmcnt(0)
	s_barrier
	buffer_gl0_inv
	v_add_f64 v[17:18], v[17:18], v[19:20]
	ds_bpermute_b32 v19, v29, v17
	ds_bpermute_b32 v20, v29, v18
	s_waitcnt lgkmcnt(0)
	v_add_f64 v[17:18], v[17:18], v[19:20]
	ds_bpermute_b32 v19, v30, v17
	ds_bpermute_b32 v20, v30, v18
	s_waitcnt lgkmcnt(0)
	;; [unrolled: 4-line block ×3, first 2 shown]
	v_add_f64 v[17:18], v[17:18], v[19:20]
	ds_bpermute_b32 v19, v32, v17
	ds_bpermute_b32 v20, v32, v18
	s_and_saveexec_b32 s10, s6
	s_xor_b32 s6, exec_lo, s10
	s_cbranch_execz .LBB30_30
; %bb.29:
	s_waitcnt lgkmcnt(0)
	v_add_f64 v[17:18], v[17:18], v[19:20]
	v_add_nc_u32_e32 v0, 0, v33
	ds_write_b64 v0, v[17:18]
.LBB30_30:
	s_or_b32 exec_lo, exec_lo, s6
	v_mov_b32_e32 v17, 0
	v_mov_b32_e32 v18, 0
	s_waitcnt lgkmcnt(0)
	s_barrier
	buffer_gl0_inv
	s_and_saveexec_b32 s6, s7
	s_cbranch_execnz .LBB30_50
; %bb.31:
	s_or_b32 exec_lo, exec_lo, s6
	s_and_saveexec_b32 s6, s8
	s_cbranch_execnz .LBB30_51
.LBB30_32:
	s_or_b32 exec_lo, exec_lo, s6
	s_and_saveexec_b32 s6, s9
	s_cbranch_execz .LBB30_34
.LBB30_33:
	v_mov_b32_e32 v0, 0
	s_waitcnt lgkmcnt(0)
	ds_write_b64 v0, v[17:18]
.LBB30_34:
	s_or_b32 exec_lo, exec_lo, s6
	v_mov_b32_e32 v0, 0
	s_waitcnt lgkmcnt(0)
	s_barrier
	buffer_gl0_inv
	s_mov_b32 s9, 0x3fe55555
	ds_read_b64 v[18:19], v0
	s_mov_b32 s8, 0x55555555
	s_mov_b32 s10, 0x6b47b09a
	;; [unrolled: 1-line block ×5, first 2 shown]
	s_waitcnt lgkmcnt(0)
	v_frexp_mant_f64_e32 v[28:29], v[18:19]
	v_cmp_gt_f64_e64 s6, s[8:9], v[28:29]
	s_mov_b32 s8, 0x55555780
	v_cndmask_b32_e64 v0, 0, 1, s6
	v_ldexp_f64 v[28:29], v[28:29], v0
	v_frexp_exp_i32_f64_e32 v0, v[18:19]
	v_add_f64 v[30:31], v[28:29], 1.0
	v_add_f64 v[36:37], v[28:29], -1.0
	v_subrev_co_ci_u32_e64 v0, null, 0, v0, s6
	s_mov_b32 s6, 0xfefa39ef
	s_mov_b32 s7, 0x3fe62e42
	v_rcp_f64_e32 v[32:33], v[30:31]
	v_add_f64 v[38:39], v[30:31], -1.0
	v_add_f64 v[28:29], v[28:29], -v[38:39]
	v_fma_f64 v[34:35], -v[30:31], v[32:33], 1.0
	v_fma_f64 v[32:33], v[34:35], v[32:33], v[32:33]
	v_fma_f64 v[34:35], -v[30:31], v[32:33], 1.0
	v_fma_f64 v[32:33], v[34:35], v[32:33], v[32:33]
	v_mul_f64 v[34:35], v[36:37], v[32:33]
	v_mul_f64 v[40:41], v[30:31], v[34:35]
	v_fma_f64 v[30:31], v[34:35], v[30:31], -v[40:41]
	v_fma_f64 v[28:29], v[34:35], v[28:29], v[30:31]
	v_add_f64 v[30:31], v[40:41], v[28:29]
	v_add_f64 v[38:39], v[36:37], -v[30:31]
	v_add_f64 v[40:41], v[30:31], -v[40:41]
	;; [unrolled: 1-line block ×5, first 2 shown]
	v_add_f64 v[28:29], v[28:29], v[30:31]
	v_add_f64 v[28:29], v[38:39], v[28:29]
	v_mul_f64 v[28:29], v[32:33], v[28:29]
	v_add_f64 v[30:31], v[34:35], v[28:29]
	v_mul_f64 v[32:33], v[30:31], v[30:31]
	v_fma_f64 v[36:37], v[32:33], s[14:15], s[10:11]
	s_mov_b32 s10, 0xd7f4df2e
	s_mov_b32 s11, 0x3fc7474d
	v_mul_f64 v[38:39], v[30:31], v[32:33]
	v_fma_f64 v[36:37], v[32:33], v[36:37], s[10:11]
	s_mov_b32 s10, 0x16291751
	s_mov_b32 s11, 0x3fcc71c0
	v_fma_f64 v[36:37], v[32:33], v[36:37], s[10:11]
	s_mov_b32 s10, 0x9b27acf1
	s_mov_b32 s11, 0x3fd24924
	;; [unrolled: 3-line block ×3, first 2 shown]
	v_fma_f64 v[36:37], v[32:33], v[36:37], s[10:11]
	v_fma_f64 v[32:33], v[32:33], v[36:37], s[8:9]
	v_ldexp_f64 v[36:37], v[30:31], 1
	v_add_f64 v[30:31], v[30:31], -v[34:35]
	v_mul_f64 v[32:33], v[38:39], v[32:33]
	v_cvt_f64_i32_e32 v[38:39], v0
	v_add_f64 v[28:29], v[28:29], -v[30:31]
	v_add_f64 v[34:35], v[36:37], v[32:33]
	v_mul_f64 v[40:41], v[38:39], s[6:7]
	v_ldexp_f64 v[28:29], v[28:29], 1
	v_add_f64 v[30:31], v[34:35], -v[36:37]
	v_fma_f64 v[36:37], v[38:39], s[6:7], -v[40:41]
	s_mov_b32 s6, 0x3b39803f
	s_mov_b32 s7, 0x3c7abc9e
	v_add_f64 v[30:31], v[32:33], -v[30:31]
	v_fma_f64 v[32:33], v[38:39], s[6:7], v[36:37]
	v_cmp_class_f64_e64 s6, v[18:19], 0x204
	v_add_f64 v[28:29], v[28:29], v[30:31]
	v_add_f64 v[30:31], v[40:41], v[32:33]
	;; [unrolled: 1-line block ×3, first 2 shown]
	v_add_f64 v[40:41], v[30:31], -v[40:41]
	v_add_f64 v[38:39], v[30:31], v[36:37]
	v_add_f64 v[34:35], v[36:37], -v[34:35]
	v_add_f64 v[32:33], v[32:33], -v[40:41]
	;; [unrolled: 1-line block ×6, first 2 shown]
	v_add_f64 v[36:37], v[32:33], v[28:29]
	v_add_f64 v[30:31], v[30:31], -v[44:45]
	v_add_f64 v[30:31], v[34:35], v[30:31]
	v_add_f64 v[34:35], v[36:37], -v[32:33]
	;; [unrolled: 2-line block ×3, first 2 shown]
	v_add_f64 v[28:29], v[28:29], -v[34:35]
	v_add_f64 v[40:41], v[38:39], v[30:31]
	v_add_f64 v[32:33], v[32:33], -v[36:37]
	v_add_f64 v[34:35], v[40:41], -v[38:39]
	v_add_f64 v[28:29], v[28:29], v[32:33]
	v_add_f64 v[30:31], v[30:31], -v[34:35]
	v_add_f64 v[28:29], v[28:29], v[30:31]
	v_add_f64 v[28:29], v[40:41], v[28:29]
	v_cndmask_b32_e64 v0, v28, v18, s6
	v_cndmask_b32_e64 v17, v29, v19, s6
	v_cmp_ngt_f64_e64 s6, 0, v[18:19]
	v_cndmask_b32_e64 v20, 0x7ff80000, v17, s6
	v_cmp_nge_f64_e64 s6, 0, v[18:19]
	v_cndmask_b32_e64 v17, 0, v0, s6
	v_cmp_neq_f64_e64 s6, 0, v[18:19]
	v_cndmask_b32_e64 v18, 0xfff00000, v20, s6
	s_add_u32 s6, s12, s16
	s_addc_u32 s7, s13, s17
	s_and_saveexec_b32 s8, vcc_lo
	s_cbranch_execnz .LBB30_52
; %bb.35:
	s_or_b32 exec_lo, exec_lo, s8
	s_and_saveexec_b32 s8, s0
	s_cbranch_execnz .LBB30_53
.LBB30_36:
	s_or_b32 exec_lo, exec_lo, s8
	s_and_saveexec_b32 s0, s1
	s_cbranch_execnz .LBB30_54
.LBB30_37:
	s_or_b32 exec_lo, exec_lo, s0
	s_and_saveexec_b32 s0, s2
	s_cbranch_execnz .LBB30_55
.LBB30_38:
	s_or_b32 exec_lo, exec_lo, s0
	s_and_saveexec_b32 s0, s3
	s_cbranch_execnz .LBB30_56
.LBB30_39:
	s_or_b32 exec_lo, exec_lo, s0
	s_and_saveexec_b32 s0, s4
	s_cbranch_execnz .LBB30_57
.LBB30_40:
	s_or_b32 exec_lo, exec_lo, s0
	s_and_saveexec_b32 s0, s5
	s_cbranch_execnz .LBB30_58
.LBB30_41:
	s_endpgm
.LBB30_42:
	ds_read_b64 v[15:16], v34
	s_or_b32 exec_lo, exec_lo, s8
	v_cmp_gt_u32_e64 s8, 32, v0
	s_and_saveexec_b32 s10, s8
	s_cbranch_execz .LBB30_18
.LBB30_43:
	s_waitcnt lgkmcnt(0)
	ds_bpermute_b32 v19, v28, v16
	ds_bpermute_b32 v17, v28, v15
	s_waitcnt lgkmcnt(1)
	v_mov_b32_e32 v18, v19
	s_waitcnt lgkmcnt(0)
	v_cmp_lt_f64_e64 s9, v[15:16], v[17:18]
	v_cndmask_b32_e64 v16, v16, v19, s9
	v_cndmask_b32_e64 v15, v15, v17, s9
	ds_bpermute_b32 v19, v29, v16
	ds_bpermute_b32 v17, v29, v15
	s_waitcnt lgkmcnt(1)
	v_mov_b32_e32 v18, v19
	s_waitcnt lgkmcnt(0)
	v_cmp_lt_f64_e64 s9, v[15:16], v[17:18]
	v_cndmask_b32_e64 v16, v16, v19, s9
	v_cndmask_b32_e64 v15, v15, v17, s9
	;; [unrolled: 8-line block ×5, first 2 shown]
	s_or_b32 exec_lo, exec_lo, s10
	v_cmp_eq_u32_e64 s9, 0, v0
	s_and_saveexec_b32 s10, s9
	s_cbranch_execnz .LBB30_19
	s_branch .LBB30_20
.LBB30_44:
	s_waitcnt lgkmcnt(0)
	v_add_f64 v[17:18], v[1:2], -v[15:16]
	s_mov_b32 s10, 0x652b82fe
	s_mov_b32 s11, 0x3ff71547
	;; [unrolled: 1-line block ×4, first 2 shown]
	v_mul_f64 v[19:20], v[17:18], s[10:11]
	s_mov_b32 s10, 0xfefa39ef
	s_mov_b32 s11, 0xbfe62e42
	v_rndne_f64_e32 v[19:20], v[19:20]
	v_fma_f64 v[35:36], v[19:20], s[10:11], v[17:18]
	s_mov_b32 s10, 0x3b39803f
	s_mov_b32 s11, 0xbc7abc9e
	v_cvt_i32_f64_e32 v0, v[19:20]
	v_fma_f64 v[35:36], v[19:20], s[10:11], v[35:36]
	s_mov_b32 s10, 0xfca7ab0c
	s_mov_b32 s11, 0x3e928af3
	v_fma_f64 v[37:38], v[35:36], s[18:19], s[10:11]
	s_mov_b32 s10, 0x623fde64
	s_mov_b32 s11, 0x3ec71dee
	;; [unrolled: 3-line block ×9, first 2 shown]
	v_fma_f64 v[37:38], v[35:36], v[37:38], s[10:11]
	v_cmp_nlt_f64_e64 s10, 0x40900000, v[17:18]
	v_cmp_ngt_f64_e64 s11, 0xc090cc00, v[17:18]
	v_fma_f64 v[37:38], v[35:36], v[37:38], 1.0
	v_fma_f64 v[19:20], v[35:36], v[37:38], 1.0
	v_ldexp_f64 v[19:20], v[19:20], v0
	v_add_f64 v[19:20], v[19:20], 0
	v_cndmask_b32_e64 v0, 0x7ff00000, v20, s10
	s_and_b32 s10, s11, s10
	v_cndmask_b32_e64 v17, 0, v19, s10
	v_cndmask_b32_e64 v18, 0, v0, s11
	s_or_b32 exec_lo, exec_lo, s14
	s_and_saveexec_b32 s14, s0
	s_cbranch_execz .LBB30_22
.LBB30_45:
	s_waitcnt lgkmcnt(0)
	v_add_f64 v[19:20], v[3:4], -v[15:16]
	s_mov_b32 s10, 0x652b82fe
	s_mov_b32 s11, 0x3ff71547
	;; [unrolled: 1-line block ×4, first 2 shown]
	v_mul_f64 v[35:36], v[19:20], s[10:11]
	s_mov_b32 s10, 0xfefa39ef
	s_mov_b32 s11, 0xbfe62e42
	v_rndne_f64_e32 v[35:36], v[35:36]
	v_fma_f64 v[37:38], v[35:36], s[10:11], v[19:20]
	s_mov_b32 s10, 0x3b39803f
	s_mov_b32 s11, 0xbc7abc9e
	v_cvt_i32_f64_e32 v0, v[35:36]
	v_fma_f64 v[37:38], v[35:36], s[10:11], v[37:38]
	s_mov_b32 s10, 0xfca7ab0c
	s_mov_b32 s11, 0x3e928af3
	v_fma_f64 v[39:40], v[37:38], s[18:19], s[10:11]
	s_mov_b32 s10, 0x623fde64
	s_mov_b32 s11, 0x3ec71dee
	;; [unrolled: 3-line block ×9, first 2 shown]
	v_fma_f64 v[39:40], v[37:38], v[39:40], s[10:11]
	v_cmp_nlt_f64_e64 s10, 0x40900000, v[19:20]
	v_cmp_ngt_f64_e64 s11, 0xc090cc00, v[19:20]
	v_fma_f64 v[39:40], v[37:38], v[39:40], 1.0
	v_fma_f64 v[35:36], v[37:38], v[39:40], 1.0
	v_ldexp_f64 v[35:36], v[35:36], v0
	v_cndmask_b32_e64 v0, 0x7ff00000, v36, s10
	s_and_b32 s10, s11, s10
	v_cndmask_b32_e64 v19, 0, v35, s10
	v_cndmask_b32_e64 v20, 0, v0, s11
	v_add_f64 v[17:18], v[17:18], v[19:20]
	s_or_b32 exec_lo, exec_lo, s14
	s_and_saveexec_b32 s14, s1
	s_cbranch_execz .LBB30_23
.LBB30_46:
	s_waitcnt lgkmcnt(0)
	v_add_f64 v[19:20], v[5:6], -v[15:16]
	s_mov_b32 s10, 0x652b82fe
	s_mov_b32 s11, 0x3ff71547
	;; [unrolled: 1-line block ×4, first 2 shown]
	v_mul_f64 v[35:36], v[19:20], s[10:11]
	s_mov_b32 s10, 0xfefa39ef
	s_mov_b32 s11, 0xbfe62e42
	v_rndne_f64_e32 v[35:36], v[35:36]
	v_fma_f64 v[37:38], v[35:36], s[10:11], v[19:20]
	s_mov_b32 s10, 0x3b39803f
	s_mov_b32 s11, 0xbc7abc9e
	v_cvt_i32_f64_e32 v0, v[35:36]
	v_fma_f64 v[37:38], v[35:36], s[10:11], v[37:38]
	s_mov_b32 s10, 0xfca7ab0c
	s_mov_b32 s11, 0x3e928af3
	v_fma_f64 v[39:40], v[37:38], s[18:19], s[10:11]
	s_mov_b32 s10, 0x623fde64
	s_mov_b32 s11, 0x3ec71dee
	;; [unrolled: 3-line block ×9, first 2 shown]
	v_fma_f64 v[39:40], v[37:38], v[39:40], s[10:11]
	v_cmp_nlt_f64_e64 s10, 0x40900000, v[19:20]
	v_cmp_ngt_f64_e64 s11, 0xc090cc00, v[19:20]
	v_fma_f64 v[39:40], v[37:38], v[39:40], 1.0
	v_fma_f64 v[35:36], v[37:38], v[39:40], 1.0
	v_ldexp_f64 v[35:36], v[35:36], v0
	v_cndmask_b32_e64 v0, 0x7ff00000, v36, s10
	s_and_b32 s10, s11, s10
	v_cndmask_b32_e64 v19, 0, v35, s10
	v_cndmask_b32_e64 v20, 0, v0, s11
	v_add_f64 v[17:18], v[17:18], v[19:20]
	s_or_b32 exec_lo, exec_lo, s14
	s_and_saveexec_b32 s14, s2
	s_cbranch_execz .LBB30_24
.LBB30_47:
	s_waitcnt lgkmcnt(0)
	v_add_f64 v[19:20], v[7:8], -v[15:16]
	s_mov_b32 s10, 0x652b82fe
	s_mov_b32 s11, 0x3ff71547
	;; [unrolled: 1-line block ×4, first 2 shown]
	v_mul_f64 v[35:36], v[19:20], s[10:11]
	s_mov_b32 s10, 0xfefa39ef
	s_mov_b32 s11, 0xbfe62e42
	v_rndne_f64_e32 v[35:36], v[35:36]
	v_fma_f64 v[37:38], v[35:36], s[10:11], v[19:20]
	s_mov_b32 s10, 0x3b39803f
	s_mov_b32 s11, 0xbc7abc9e
	v_cvt_i32_f64_e32 v0, v[35:36]
	v_fma_f64 v[37:38], v[35:36], s[10:11], v[37:38]
	s_mov_b32 s10, 0xfca7ab0c
	s_mov_b32 s11, 0x3e928af3
	v_fma_f64 v[39:40], v[37:38], s[18:19], s[10:11]
	s_mov_b32 s10, 0x623fde64
	s_mov_b32 s11, 0x3ec71dee
	v_fma_f64 v[39:40], v[37:38], v[39:40], s[10:11]
	s_mov_b32 s10, 0x7c89e6b0
	s_mov_b32 s11, 0x3efa0199
	v_fma_f64 v[39:40], v[37:38], v[39:40], s[10:11]
	s_mov_b32 s10, 0x14761f6e
	s_mov_b32 s11, 0x3f2a01a0
	v_fma_f64 v[39:40], v[37:38], v[39:40], s[10:11]
	s_mov_b32 s10, 0x1852b7b0
	s_mov_b32 s11, 0x3f56c16c
	v_fma_f64 v[39:40], v[37:38], v[39:40], s[10:11]
	s_mov_b32 s10, 0x11122322
	s_mov_b32 s11, 0x3f811111
	v_fma_f64 v[39:40], v[37:38], v[39:40], s[10:11]
	s_mov_b32 s10, 0x555502a1
	s_mov_b32 s11, 0x3fa55555
	v_fma_f64 v[39:40], v[37:38], v[39:40], s[10:11]
	s_mov_b32 s10, 0x55555511
	s_mov_b32 s11, 0x3fc55555
	v_fma_f64 v[39:40], v[37:38], v[39:40], s[10:11]
	s_mov_b32 s10, 11
	s_mov_b32 s11, 0x3fe00000
	v_fma_f64 v[39:40], v[37:38], v[39:40], s[10:11]
	v_cmp_nlt_f64_e64 s10, 0x40900000, v[19:20]
	v_cmp_ngt_f64_e64 s11, 0xc090cc00, v[19:20]
	v_fma_f64 v[39:40], v[37:38], v[39:40], 1.0
	v_fma_f64 v[35:36], v[37:38], v[39:40], 1.0
	v_ldexp_f64 v[35:36], v[35:36], v0
	v_cndmask_b32_e64 v0, 0x7ff00000, v36, s10
	s_and_b32 s10, s11, s10
	v_cndmask_b32_e64 v19, 0, v35, s10
	v_cndmask_b32_e64 v20, 0, v0, s11
	v_add_f64 v[17:18], v[17:18], v[19:20]
	s_or_b32 exec_lo, exec_lo, s14
	s_and_saveexec_b32 s14, s3
	s_cbranch_execz .LBB30_25
.LBB30_48:
	s_waitcnt lgkmcnt(0)
	v_add_f64 v[19:20], v[9:10], -v[15:16]
	s_mov_b32 s10, 0x652b82fe
	s_mov_b32 s11, 0x3ff71547
	;; [unrolled: 1-line block ×4, first 2 shown]
	v_mul_f64 v[35:36], v[19:20], s[10:11]
	s_mov_b32 s10, 0xfefa39ef
	s_mov_b32 s11, 0xbfe62e42
	v_rndne_f64_e32 v[35:36], v[35:36]
	v_fma_f64 v[37:38], v[35:36], s[10:11], v[19:20]
	s_mov_b32 s10, 0x3b39803f
	s_mov_b32 s11, 0xbc7abc9e
	v_cvt_i32_f64_e32 v0, v[35:36]
	v_fma_f64 v[37:38], v[35:36], s[10:11], v[37:38]
	s_mov_b32 s10, 0xfca7ab0c
	s_mov_b32 s11, 0x3e928af3
	v_fma_f64 v[39:40], v[37:38], s[18:19], s[10:11]
	s_mov_b32 s10, 0x623fde64
	s_mov_b32 s11, 0x3ec71dee
	;; [unrolled: 3-line block ×9, first 2 shown]
	v_fma_f64 v[39:40], v[37:38], v[39:40], s[10:11]
	v_cmp_nlt_f64_e64 s10, 0x40900000, v[19:20]
	v_cmp_ngt_f64_e64 s11, 0xc090cc00, v[19:20]
	v_fma_f64 v[39:40], v[37:38], v[39:40], 1.0
	v_fma_f64 v[35:36], v[37:38], v[39:40], 1.0
	v_ldexp_f64 v[35:36], v[35:36], v0
	v_cndmask_b32_e64 v0, 0x7ff00000, v36, s10
	s_and_b32 s10, s11, s10
	v_cndmask_b32_e64 v19, 0, v35, s10
	v_cndmask_b32_e64 v20, 0, v0, s11
	v_add_f64 v[17:18], v[17:18], v[19:20]
	s_or_b32 exec_lo, exec_lo, s14
	s_and_saveexec_b32 s14, s4
	s_cbranch_execz .LBB30_26
.LBB30_49:
	s_waitcnt lgkmcnt(0)
	v_add_f64 v[19:20], v[11:12], -v[15:16]
	s_mov_b32 s10, 0x652b82fe
	s_mov_b32 s11, 0x3ff71547
	;; [unrolled: 1-line block ×4, first 2 shown]
	v_mul_f64 v[35:36], v[19:20], s[10:11]
	s_mov_b32 s10, 0xfefa39ef
	s_mov_b32 s11, 0xbfe62e42
	v_rndne_f64_e32 v[35:36], v[35:36]
	v_fma_f64 v[37:38], v[35:36], s[10:11], v[19:20]
	s_mov_b32 s10, 0x3b39803f
	s_mov_b32 s11, 0xbc7abc9e
	v_cvt_i32_f64_e32 v0, v[35:36]
	v_fma_f64 v[37:38], v[35:36], s[10:11], v[37:38]
	s_mov_b32 s10, 0xfca7ab0c
	s_mov_b32 s11, 0x3e928af3
	v_fma_f64 v[39:40], v[37:38], s[18:19], s[10:11]
	s_mov_b32 s10, 0x623fde64
	s_mov_b32 s11, 0x3ec71dee
	;; [unrolled: 3-line block ×9, first 2 shown]
	v_fma_f64 v[39:40], v[37:38], v[39:40], s[10:11]
	v_cmp_nlt_f64_e64 s10, 0x40900000, v[19:20]
	v_cmp_ngt_f64_e64 s11, 0xc090cc00, v[19:20]
	v_fma_f64 v[39:40], v[37:38], v[39:40], 1.0
	v_fma_f64 v[35:36], v[37:38], v[39:40], 1.0
	v_ldexp_f64 v[35:36], v[35:36], v0
	v_cndmask_b32_e64 v0, 0x7ff00000, v36, s10
	s_and_b32 s10, s11, s10
	v_cndmask_b32_e64 v19, 0, v35, s10
	v_cndmask_b32_e64 v20, 0, v0, s11
	v_add_f64 v[17:18], v[17:18], v[19:20]
	s_or_b32 exec_lo, exec_lo, s14
	s_and_saveexec_b32 s14, s5
	s_cbranch_execnz .LBB30_27
	s_branch .LBB30_28
.LBB30_50:
	ds_read_b64 v[17:18], v34
	s_or_b32 exec_lo, exec_lo, s6
	s_and_saveexec_b32 s6, s8
	s_cbranch_execz .LBB30_32
.LBB30_51:
	s_waitcnt lgkmcnt(0)
	ds_bpermute_b32 v19, v28, v17
	ds_bpermute_b32 v20, v28, v18
	s_waitcnt lgkmcnt(0)
	v_add_f64 v[17:18], v[17:18], v[19:20]
	ds_bpermute_b32 v19, v29, v17
	ds_bpermute_b32 v20, v29, v18
	s_waitcnt lgkmcnt(0)
	v_add_f64 v[17:18], v[17:18], v[19:20]
	;; [unrolled: 4-line block ×5, first 2 shown]
	s_or_b32 exec_lo, exec_lo, s6
	s_and_saveexec_b32 s6, s9
	s_cbranch_execnz .LBB30_33
	s_branch .LBB30_34
.LBB30_52:
	v_add_f64 v[0:1], v[1:2], -v[15:16]
	v_add_f64 v[0:1], v[0:1], -v[17:18]
	global_store_dwordx2 v21, v[0:1], s[6:7]
	s_or_b32 exec_lo, exec_lo, s8
	s_and_saveexec_b32 s8, s0
	s_cbranch_execz .LBB30_36
.LBB30_53:
	v_add_f64 v[0:1], v[3:4], -v[15:16]
	v_add_f64 v[0:1], v[0:1], -v[17:18]
	global_store_dwordx2 v22, v[0:1], s[6:7]
	s_or_b32 exec_lo, exec_lo, s8
	s_and_saveexec_b32 s0, s1
	s_cbranch_execz .LBB30_37
.LBB30_54:
	v_add_f64 v[0:1], v[5:6], -v[15:16]
	v_add_f64 v[0:1], v[0:1], -v[17:18]
	global_store_dwordx2 v23, v[0:1], s[6:7]
	s_or_b32 exec_lo, exec_lo, s0
	s_and_saveexec_b32 s0, s2
	s_cbranch_execz .LBB30_38
.LBB30_55:
	v_add_f64 v[0:1], v[7:8], -v[15:16]
	v_add_f64 v[0:1], v[0:1], -v[17:18]
	global_store_dwordx2 v24, v[0:1], s[6:7]
	s_or_b32 exec_lo, exec_lo, s0
	s_and_saveexec_b32 s0, s3
	s_cbranch_execz .LBB30_39
.LBB30_56:
	v_add_f64 v[0:1], v[9:10], -v[15:16]
	v_add_f64 v[0:1], v[0:1], -v[17:18]
	global_store_dwordx2 v25, v[0:1], s[6:7]
	s_or_b32 exec_lo, exec_lo, s0
	s_and_saveexec_b32 s0, s4
	s_cbranch_execz .LBB30_40
.LBB30_57:
	v_add_f64 v[0:1], v[11:12], -v[15:16]
	v_add_f64 v[0:1], v[0:1], -v[17:18]
	global_store_dwordx2 v26, v[0:1], s[6:7]
	s_or_b32 exec_lo, exec_lo, s0
	s_and_saveexec_b32 s0, s5
	s_cbranch_execz .LBB30_41
.LBB30_58:
	v_add_f64 v[0:1], v[13:14], -v[15:16]
	v_add_f64 v[0:1], v[0:1], -v[17:18]
	global_store_dwordx2 v27, v[0:1], s[6:7]
	s_endpgm
	.section	.rodata,"a",@progbits
	.p2align	6, 0x0
	.amdhsa_kernel _ZN2at6native12_GLOBAL__N_122cunn_SoftMaxForwardRegIdddNS1_25LogSoftMaxForwardEpilogueElLi7EEEvPT1_PKT_T3_
		.amdhsa_group_segment_fixed_size 0
		.amdhsa_private_segment_fixed_size 0
		.amdhsa_kernarg_size 280
		.amdhsa_user_sgpr_count 6
		.amdhsa_user_sgpr_private_segment_buffer 1
		.amdhsa_user_sgpr_dispatch_ptr 0
		.amdhsa_user_sgpr_queue_ptr 0
		.amdhsa_user_sgpr_kernarg_segment_ptr 1
		.amdhsa_user_sgpr_dispatch_id 0
		.amdhsa_user_sgpr_flat_scratch_init 0
		.amdhsa_user_sgpr_private_segment_size 0
		.amdhsa_wavefront_size32 1
		.amdhsa_uses_dynamic_stack 0
		.amdhsa_system_sgpr_private_segment_wavefront_offset 0
		.amdhsa_system_sgpr_workgroup_id_x 1
		.amdhsa_system_sgpr_workgroup_id_y 0
		.amdhsa_system_sgpr_workgroup_id_z 0
		.amdhsa_system_sgpr_workgroup_info 0
		.amdhsa_system_vgpr_workitem_id 0
		.amdhsa_next_free_vgpr 46
		.amdhsa_next_free_sgpr 20
		.amdhsa_reserve_vcc 1
		.amdhsa_reserve_flat_scratch 0
		.amdhsa_float_round_mode_32 0
		.amdhsa_float_round_mode_16_64 0
		.amdhsa_float_denorm_mode_32 3
		.amdhsa_float_denorm_mode_16_64 3
		.amdhsa_dx10_clamp 1
		.amdhsa_ieee_mode 1
		.amdhsa_fp16_overflow 0
		.amdhsa_workgroup_processor_mode 1
		.amdhsa_memory_ordered 1
		.amdhsa_forward_progress 1
		.amdhsa_shared_vgpr_count 0
		.amdhsa_exception_fp_ieee_invalid_op 0
		.amdhsa_exception_fp_denorm_src 0
		.amdhsa_exception_fp_ieee_div_zero 0
		.amdhsa_exception_fp_ieee_overflow 0
		.amdhsa_exception_fp_ieee_underflow 0
		.amdhsa_exception_fp_ieee_inexact 0
		.amdhsa_exception_int_div_zero 0
	.end_amdhsa_kernel
	.section	.text._ZN2at6native12_GLOBAL__N_122cunn_SoftMaxForwardRegIdddNS1_25LogSoftMaxForwardEpilogueElLi7EEEvPT1_PKT_T3_,"axG",@progbits,_ZN2at6native12_GLOBAL__N_122cunn_SoftMaxForwardRegIdddNS1_25LogSoftMaxForwardEpilogueElLi7EEEvPT1_PKT_T3_,comdat
.Lfunc_end30:
	.size	_ZN2at6native12_GLOBAL__N_122cunn_SoftMaxForwardRegIdddNS1_25LogSoftMaxForwardEpilogueElLi7EEEvPT1_PKT_T3_, .Lfunc_end30-_ZN2at6native12_GLOBAL__N_122cunn_SoftMaxForwardRegIdddNS1_25LogSoftMaxForwardEpilogueElLi7EEEvPT1_PKT_T3_
                                        ; -- End function
	.set _ZN2at6native12_GLOBAL__N_122cunn_SoftMaxForwardRegIdddNS1_25LogSoftMaxForwardEpilogueElLi7EEEvPT1_PKT_T3_.num_vgpr, 46
	.set _ZN2at6native12_GLOBAL__N_122cunn_SoftMaxForwardRegIdddNS1_25LogSoftMaxForwardEpilogueElLi7EEEvPT1_PKT_T3_.num_agpr, 0
	.set _ZN2at6native12_GLOBAL__N_122cunn_SoftMaxForwardRegIdddNS1_25LogSoftMaxForwardEpilogueElLi7EEEvPT1_PKT_T3_.numbered_sgpr, 20
	.set _ZN2at6native12_GLOBAL__N_122cunn_SoftMaxForwardRegIdddNS1_25LogSoftMaxForwardEpilogueElLi7EEEvPT1_PKT_T3_.num_named_barrier, 0
	.set _ZN2at6native12_GLOBAL__N_122cunn_SoftMaxForwardRegIdddNS1_25LogSoftMaxForwardEpilogueElLi7EEEvPT1_PKT_T3_.private_seg_size, 0
	.set _ZN2at6native12_GLOBAL__N_122cunn_SoftMaxForwardRegIdddNS1_25LogSoftMaxForwardEpilogueElLi7EEEvPT1_PKT_T3_.uses_vcc, 1
	.set _ZN2at6native12_GLOBAL__N_122cunn_SoftMaxForwardRegIdddNS1_25LogSoftMaxForwardEpilogueElLi7EEEvPT1_PKT_T3_.uses_flat_scratch, 0
	.set _ZN2at6native12_GLOBAL__N_122cunn_SoftMaxForwardRegIdddNS1_25LogSoftMaxForwardEpilogueElLi7EEEvPT1_PKT_T3_.has_dyn_sized_stack, 0
	.set _ZN2at6native12_GLOBAL__N_122cunn_SoftMaxForwardRegIdddNS1_25LogSoftMaxForwardEpilogueElLi7EEEvPT1_PKT_T3_.has_recursion, 0
	.set _ZN2at6native12_GLOBAL__N_122cunn_SoftMaxForwardRegIdddNS1_25LogSoftMaxForwardEpilogueElLi7EEEvPT1_PKT_T3_.has_indirect_call, 0
	.section	.AMDGPU.csdata,"",@progbits
; Kernel info:
; codeLenInByte = 6200
; TotalNumSgprs: 22
; NumVgprs: 46
; ScratchSize: 0
; MemoryBound: 0
; FloatMode: 240
; IeeeMode: 1
; LDSByteSize: 0 bytes/workgroup (compile time only)
; SGPRBlocks: 0
; VGPRBlocks: 5
; NumSGPRsForWavesPerEU: 22
; NumVGPRsForWavesPerEU: 46
; Occupancy: 16
; WaveLimiterHint : 0
; COMPUTE_PGM_RSRC2:SCRATCH_EN: 0
; COMPUTE_PGM_RSRC2:USER_SGPR: 6
; COMPUTE_PGM_RSRC2:TRAP_HANDLER: 0
; COMPUTE_PGM_RSRC2:TGID_X_EN: 1
; COMPUTE_PGM_RSRC2:TGID_Y_EN: 0
; COMPUTE_PGM_RSRC2:TGID_Z_EN: 0
; COMPUTE_PGM_RSRC2:TIDIG_COMP_CNT: 0
	.section	.text._ZN2at6native12_GLOBAL__N_122cunn_SoftMaxForwardRegIdddNS1_25LogSoftMaxForwardEpilogueElLi8EEEvPT1_PKT_T3_,"axG",@progbits,_ZN2at6native12_GLOBAL__N_122cunn_SoftMaxForwardRegIdddNS1_25LogSoftMaxForwardEpilogueElLi8EEEvPT1_PKT_T3_,comdat
	.globl	_ZN2at6native12_GLOBAL__N_122cunn_SoftMaxForwardRegIdddNS1_25LogSoftMaxForwardEpilogueElLi8EEEvPT1_PKT_T3_ ; -- Begin function _ZN2at6native12_GLOBAL__N_122cunn_SoftMaxForwardRegIdddNS1_25LogSoftMaxForwardEpilogueElLi8EEEvPT1_PKT_T3_
	.p2align	8
	.type	_ZN2at6native12_GLOBAL__N_122cunn_SoftMaxForwardRegIdddNS1_25LogSoftMaxForwardEpilogueElLi8EEEvPT1_PKT_T3_,@function
_ZN2at6native12_GLOBAL__N_122cunn_SoftMaxForwardRegIdddNS1_25LogSoftMaxForwardEpilogueElLi8EEEvPT1_PKT_T3_: ; @_ZN2at6native12_GLOBAL__N_122cunn_SoftMaxForwardRegIdddNS1_25LogSoftMaxForwardEpilogueElLi8EEEvPT1_PKT_T3_
; %bb.0:
	s_clause 0x2
	s_load_dwordx2 s[8:9], s[4:5], 0x10
	s_load_dwordx4 s[16:19], s[4:5], 0x0
	s_load_dword s2, s[4:5], 0x24
	v_mov_b32_e32 v18, 0
	v_mov_b32_e32 v33, -1
	v_mov_b32_e32 v34, 0xffefffff
	v_mov_b32_e32 v1, v18
	;; [unrolled: 1-line block ×17, first 2 shown]
	s_waitcnt lgkmcnt(0)
	s_mul_i32 s1, s9, s6
	s_mul_hi_u32 s3, s8, s6
	s_mul_i32 s0, s8, s6
	s_add_i32 s1, s3, s1
	v_cmp_gt_i64_e32 vcc_lo, s[8:9], v[0:1]
	v_mov_b32_e32 v1, v17
	s_lshl_b64 s[14:15], s[0:1], 3
	v_mov_b32_e32 v2, v18
	v_mov_b32_e32 v3, v19
	;; [unrolled: 1-line block ×15, first 2 shown]
	v_lshlrev_b32_e32 v23, 3, v0
	s_add_u32 s10, s18, s14
	s_mov_b32 s0, -1
	s_addc_u32 s11, s19, s15
	s_mov_b32 s1, 0xffefffff
	s_and_saveexec_b32 s3, vcc_lo
	s_cbranch_execz .LBB31_2
; %bb.1:
	global_load_dwordx2 v[1:2], v23, s[10:11]
	v_mov_b32_e32 v5, v18
	v_mov_b32_e32 v6, v18
	;; [unrolled: 1-line block ×12, first 2 shown]
	s_waitcnt vmcnt(0)
	v_max_f64 v[3:4], v[1:2], v[1:2]
	v_max_f64 v[33:34], v[3:4], s[0:1]
	v_mov_b32_e32 v3, v18
	v_mov_b32_e32 v4, v18
.LBB31_2:
	s_or_b32 exec_lo, exec_lo, s3
	s_and_b32 s12, 0xffff, s2
	v_add_nc_u32_e32 v17, s12, v0
	v_cmp_gt_i64_e64 s0, s[8:9], v[17:18]
	v_lshlrev_b32_e32 v24, 3, v17
	s_and_saveexec_b32 s1, s0
	s_cbranch_execz .LBB31_4
; %bb.3:
	global_load_dwordx2 v[3:4], v24, s[10:11]
	v_max_f64 v[20:21], v[33:34], v[33:34]
	s_waitcnt vmcnt(0)
	v_max_f64 v[18:19], v[3:4], v[3:4]
	v_max_f64 v[33:34], v[20:21], v[18:19]
.LBB31_4:
	s_or_b32 exec_lo, exec_lo, s1
	v_add_nc_u32_e32 v17, s12, v17
	v_mov_b32_e32 v18, 0
	v_lshlrev_b32_e32 v25, 3, v17
	v_cmp_gt_i64_e64 s1, s[8:9], v[17:18]
	s_and_saveexec_b32 s2, s1
	s_cbranch_execz .LBB31_6
; %bb.5:
	global_load_dwordx2 v[5:6], v25, s[10:11]
	v_max_f64 v[21:22], v[33:34], v[33:34]
	s_waitcnt vmcnt(0)
	v_max_f64 v[19:20], v[5:6], v[5:6]
	v_max_f64 v[33:34], v[21:22], v[19:20]
.LBB31_6:
	s_or_b32 exec_lo, exec_lo, s2
	v_add_nc_u32_e32 v17, s12, v17
	v_cmp_gt_i64_e64 s2, s[8:9], v[17:18]
	v_lshlrev_b32_e32 v26, 3, v17
	s_and_saveexec_b32 s3, s2
	s_cbranch_execz .LBB31_8
; %bb.7:
	global_load_dwordx2 v[7:8], v26, s[10:11]
	v_max_f64 v[20:21], v[33:34], v[33:34]
	s_waitcnt vmcnt(0)
	v_max_f64 v[18:19], v[7:8], v[7:8]
	v_max_f64 v[33:34], v[20:21], v[18:19]
.LBB31_8:
	s_or_b32 exec_lo, exec_lo, s3
	v_add_nc_u32_e32 v17, s12, v17
	v_mov_b32_e32 v18, 0
	v_lshlrev_b32_e32 v27, 3, v17
	v_cmp_gt_i64_e64 s3, s[8:9], v[17:18]
	s_and_saveexec_b32 s4, s3
	s_cbranch_execz .LBB31_10
; %bb.9:
	global_load_dwordx2 v[9:10], v27, s[10:11]
	v_max_f64 v[21:22], v[33:34], v[33:34]
	s_waitcnt vmcnt(0)
	v_max_f64 v[19:20], v[9:10], v[9:10]
	v_max_f64 v[33:34], v[21:22], v[19:20]
.LBB31_10:
	s_or_b32 exec_lo, exec_lo, s4
	;; [unrolled: 27-line block ×3, first 2 shown]
	v_add_nc_u32_e32 v17, s12, v17
	v_cmp_gt_i64_e64 s6, s[8:9], v[17:18]
	v_lshlrev_b32_e32 v30, 3, v17
	s_and_saveexec_b32 s7, s6
	s_cbranch_execz .LBB31_16
; %bb.15:
	global_load_dwordx2 v[15:16], v30, s[10:11]
	v_max_f64 v[19:20], v[33:34], v[33:34]
	s_waitcnt vmcnt(0)
	v_max_f64 v[17:18], v[15:16], v[15:16]
	v_max_f64 v[33:34], v[19:20], v[17:18]
.LBB31_16:
	s_or_b32 exec_lo, exec_lo, s7
	v_mbcnt_lo_u32_b32 v21, -1, 0
	v_lshrrev_b32_e32 v36, 2, v0
	s_barrier
	buffer_gl0_inv
	v_lshl_or_b32 v31, v21, 2, 64
	v_cmp_gt_u32_e64 s8, 24, v21
	ds_bpermute_b32 v17, v31, v33
	ds_bpermute_b32 v18, v31, v34
	v_cndmask_b32_e64 v19, 0, 8, s8
	v_cmp_gt_u32_e64 s8, 28, v21
	v_add_lshl_u32 v32, v19, v21, 2
	v_cndmask_b32_e64 v22, 0, 4, s8
	v_cmp_gt_u32_e64 s8, 30, v21
	s_waitcnt lgkmcnt(0)
	v_cmp_lt_f64_e64 s7, v[33:34], v[17:18]
	v_cndmask_b32_e64 v18, v34, v18, s7
	v_cndmask_b32_e64 v17, v33, v17, s7
	v_add_lshl_u32 v33, v22, v21, 2
	v_cndmask_b32_e64 v22, 0, 2, s8
	v_cmp_ne_u32_e64 s8, 31, v21
	ds_bpermute_b32 v20, v32, v18
	ds_bpermute_b32 v19, v32, v17
	v_add_lshl_u32 v34, v22, v21, 2
	v_add_co_ci_u32_e64 v21, null, 0, v21, s8
	v_lshlrev_b32_e32 v35, 2, v21
	v_and_b32_e32 v21, 31, v0
	s_waitcnt lgkmcnt(0)
	v_cmp_lt_f64_e64 s7, v[17:18], v[19:20]
	v_cndmask_b32_e64 v18, v18, v20, s7
	v_cndmask_b32_e64 v17, v17, v19, s7
	ds_bpermute_b32 v20, v33, v18
	ds_bpermute_b32 v19, v33, v17
	s_waitcnt lgkmcnt(0)
	v_cmp_lt_f64_e64 s7, v[17:18], v[19:20]
	v_cndmask_b32_e64 v18, v18, v20, s7
	v_cndmask_b32_e64 v17, v17, v19, s7
	ds_bpermute_b32 v20, v34, v18
	ds_bpermute_b32 v19, v34, v17
	s_waitcnt lgkmcnt(0)
	v_cmp_lt_f64_e64 s7, v[17:18], v[19:20]
	v_cndmask_b32_e64 v18, v18, v20, s7
	v_cndmask_b32_e64 v17, v17, v19, s7
	v_cmp_eq_u32_e64 s7, 0, v21
	ds_bpermute_b32 v22, v35, v18
	ds_bpermute_b32 v19, v35, v17
	s_and_saveexec_b32 s8, s7
	s_xor_b32 s9, exec_lo, s8
	s_cbranch_execz .LBB31_18
; %bb.17:
	s_waitcnt lgkmcnt(1)
	v_mov_b32_e32 v20, v22
	s_waitcnt lgkmcnt(0)
	v_cmp_lt_f64_e64 s8, v[17:18], v[19:20]
	v_add_nc_u32_e32 v20, 0, v36
	v_cndmask_b32_e64 v18, v18, v22, s8
	v_cndmask_b32_e64 v17, v17, v19, s8
	ds_write_b64 v20, v[17:18]
.LBB31_18:
	s_or_b32 exec_lo, exec_lo, s9
	s_lshr_b32 s8, s12, 5
	v_mov_b32_e32 v17, -1
	v_cmp_gt_u32_e64 s8, s8, v0
	v_mov_b32_e32 v18, 0xffefffff
	v_lshl_add_u32 v37, v21, 3, 0
	s_waitcnt lgkmcnt(0)
	s_barrier
	buffer_gl0_inv
	s_and_saveexec_b32 s9, s8
	s_cbranch_execnz .LBB31_46
; %bb.19:
	s_or_b32 exec_lo, exec_lo, s9
	v_cmp_gt_u32_e64 s9, 32, v0
	s_and_saveexec_b32 s11, s9
	s_cbranch_execnz .LBB31_47
.LBB31_20:
	s_or_b32 exec_lo, exec_lo, s11
	v_cmp_eq_u32_e64 s10, 0, v0
	s_and_saveexec_b32 s11, s10
	s_cbranch_execz .LBB31_22
.LBB31_21:
	v_mov_b32_e32 v0, 0
	s_waitcnt lgkmcnt(0)
	ds_write_b64 v0, v[17:18]
.LBB31_22:
	s_or_b32 exec_lo, exec_lo, s11
	v_mov_b32_e32 v0, 0
	s_waitcnt lgkmcnt(0)
	s_barrier
	buffer_gl0_inv
	v_mov_b32_e32 v19, 0
	ds_read_b64 v[17:18], v0
	v_mov_b32_e32 v20, 0
	s_and_saveexec_b32 s13, vcc_lo
	s_cbranch_execnz .LBB31_48
; %bb.23:
	s_or_b32 exec_lo, exec_lo, s13
	s_and_saveexec_b32 s13, s0
	s_cbranch_execnz .LBB31_49
.LBB31_24:
	s_or_b32 exec_lo, exec_lo, s13
	s_and_saveexec_b32 s13, s1
	s_cbranch_execnz .LBB31_50
.LBB31_25:
	s_or_b32 exec_lo, exec_lo, s13
	s_and_saveexec_b32 s13, s2
	s_cbranch_execnz .LBB31_51
.LBB31_26:
	s_or_b32 exec_lo, exec_lo, s13
	s_and_saveexec_b32 s13, s3
	s_cbranch_execnz .LBB31_52
.LBB31_27:
	s_or_b32 exec_lo, exec_lo, s13
	s_and_saveexec_b32 s13, s4
	s_cbranch_execnz .LBB31_53
.LBB31_28:
	s_or_b32 exec_lo, exec_lo, s13
	s_and_saveexec_b32 s13, s5
	s_cbranch_execnz .LBB31_54
.LBB31_29:
	s_or_b32 exec_lo, exec_lo, s13
	s_and_saveexec_b32 s13, s6
	s_cbranch_execz .LBB31_31
.LBB31_30:
	s_waitcnt lgkmcnt(0)
	v_add_f64 v[21:22], v[15:16], -v[17:18]
	s_mov_b32 s18, 0x652b82fe
	s_mov_b32 s19, 0x3ff71547
	;; [unrolled: 1-line block ×4, first 2 shown]
	v_mul_f64 v[38:39], v[21:22], s[18:19]
	s_mov_b32 s18, 0xfefa39ef
	s_mov_b32 s19, 0xbfe62e42
	v_cmp_nlt_f64_e64 s11, 0x40900000, v[21:22]
	v_cmp_ngt_f64_e64 s12, 0xc090cc00, v[21:22]
	v_rndne_f64_e32 v[38:39], v[38:39]
	v_fma_f64 v[40:41], v[38:39], s[18:19], v[21:22]
	s_mov_b32 s18, 0x3b39803f
	s_mov_b32 s19, 0xbc7abc9e
	v_cvt_i32_f64_e32 v0, v[38:39]
	v_fma_f64 v[40:41], v[38:39], s[18:19], v[40:41]
	s_mov_b32 s18, 0xfca7ab0c
	s_mov_b32 s19, 0x3e928af3
	v_fma_f64 v[42:43], v[40:41], s[20:21], s[18:19]
	s_mov_b32 s18, 0x623fde64
	s_mov_b32 s19, 0x3ec71dee
	;; [unrolled: 3-line block ×9, first 2 shown]
	v_fma_f64 v[42:43], v[40:41], v[42:43], s[18:19]
	v_fma_f64 v[42:43], v[40:41], v[42:43], 1.0
	v_fma_f64 v[38:39], v[40:41], v[42:43], 1.0
	v_ldexp_f64 v[38:39], v[38:39], v0
	v_cndmask_b32_e64 v0, 0x7ff00000, v39, s11
	s_and_b32 s11, s12, s11
	v_cndmask_b32_e64 v21, 0, v38, s11
	v_cndmask_b32_e64 v22, 0, v0, s12
	v_add_f64 v[19:20], v[19:20], v[21:22]
.LBB31_31:
	s_or_b32 exec_lo, exec_lo, s13
	ds_bpermute_b32 v21, v31, v19
	ds_bpermute_b32 v22, v31, v20
	s_waitcnt lgkmcnt(0)
	s_barrier
	buffer_gl0_inv
	v_add_f64 v[19:20], v[19:20], v[21:22]
	ds_bpermute_b32 v21, v32, v19
	ds_bpermute_b32 v22, v32, v20
	s_waitcnt lgkmcnt(0)
	v_add_f64 v[19:20], v[19:20], v[21:22]
	ds_bpermute_b32 v21, v33, v19
	ds_bpermute_b32 v22, v33, v20
	s_waitcnt lgkmcnt(0)
	v_add_f64 v[19:20], v[19:20], v[21:22]
	ds_bpermute_b32 v21, v34, v19
	ds_bpermute_b32 v22, v34, v20
	s_waitcnt lgkmcnt(0)
	v_add_f64 v[19:20], v[19:20], v[21:22]
	ds_bpermute_b32 v21, v35, v19
	ds_bpermute_b32 v22, v35, v20
	s_and_saveexec_b32 s11, s7
	s_xor_b32 s7, exec_lo, s11
	s_cbranch_execz .LBB31_33
; %bb.32:
	s_waitcnt lgkmcnt(0)
	v_add_f64 v[19:20], v[19:20], v[21:22]
	v_add_nc_u32_e32 v0, 0, v36
	ds_write_b64 v0, v[19:20]
.LBB31_33:
	s_or_b32 exec_lo, exec_lo, s7
	v_mov_b32_e32 v19, 0
	v_mov_b32_e32 v20, 0
	s_waitcnt lgkmcnt(0)
	s_barrier
	buffer_gl0_inv
	s_and_saveexec_b32 s7, s8
	s_cbranch_execnz .LBB31_55
; %bb.34:
	s_or_b32 exec_lo, exec_lo, s7
	s_and_saveexec_b32 s7, s9
	s_cbranch_execnz .LBB31_56
.LBB31_35:
	s_or_b32 exec_lo, exec_lo, s7
	s_and_saveexec_b32 s7, s10
	s_cbranch_execz .LBB31_37
.LBB31_36:
	v_mov_b32_e32 v0, 0
	s_waitcnt lgkmcnt(0)
	ds_write_b64 v0, v[19:20]
.LBB31_37:
	s_or_b32 exec_lo, exec_lo, s7
	v_mov_b32_e32 v0, 0
	s_waitcnt lgkmcnt(0)
	s_barrier
	buffer_gl0_inv
	s_mov_b32 s9, 0x3fe55555
	ds_read_b64 v[20:21], v0
	s_mov_b32 s8, 0x55555555
	s_mov_b32 s10, 0x6b47b09a
	;; [unrolled: 1-line block ×5, first 2 shown]
	s_waitcnt lgkmcnt(0)
	v_frexp_mant_f64_e32 v[31:32], v[20:21]
	v_cmp_gt_f64_e64 s7, s[8:9], v[31:32]
	s_mov_b32 s8, 0x55555780
	v_cndmask_b32_e64 v0, 0, 1, s7
	v_ldexp_f64 v[31:32], v[31:32], v0
	v_frexp_exp_i32_f64_e32 v0, v[20:21]
	v_add_f64 v[33:34], v[31:32], 1.0
	v_add_f64 v[39:40], v[31:32], -1.0
	v_subrev_co_ci_u32_e64 v0, null, 0, v0, s7
	v_cmp_class_f64_e64 s7, v[20:21], 0x204
	v_rcp_f64_e32 v[35:36], v[33:34]
	v_add_f64 v[41:42], v[33:34], -1.0
	v_add_f64 v[31:32], v[31:32], -v[41:42]
	v_fma_f64 v[37:38], -v[33:34], v[35:36], 1.0
	v_fma_f64 v[35:36], v[37:38], v[35:36], v[35:36]
	v_fma_f64 v[37:38], -v[33:34], v[35:36], 1.0
	v_fma_f64 v[35:36], v[37:38], v[35:36], v[35:36]
	v_mul_f64 v[37:38], v[39:40], v[35:36]
	v_mul_f64 v[43:44], v[33:34], v[37:38]
	v_fma_f64 v[33:34], v[37:38], v[33:34], -v[43:44]
	v_fma_f64 v[31:32], v[37:38], v[31:32], v[33:34]
	v_add_f64 v[33:34], v[43:44], v[31:32]
	v_add_f64 v[41:42], v[39:40], -v[33:34]
	v_add_f64 v[43:44], v[33:34], -v[43:44]
	;; [unrolled: 1-line block ×5, first 2 shown]
	v_add_f64 v[31:32], v[31:32], v[33:34]
	v_add_f64 v[31:32], v[41:42], v[31:32]
	v_mul_f64 v[31:32], v[35:36], v[31:32]
	v_add_f64 v[33:34], v[37:38], v[31:32]
	v_mul_f64 v[35:36], v[33:34], v[33:34]
	v_fma_f64 v[39:40], v[35:36], s[12:13], s[10:11]
	s_mov_b32 s10, 0xd7f4df2e
	s_mov_b32 s11, 0x3fc7474d
	v_mul_f64 v[41:42], v[33:34], v[35:36]
	v_fma_f64 v[39:40], v[35:36], v[39:40], s[10:11]
	s_mov_b32 s10, 0x16291751
	s_mov_b32 s11, 0x3fcc71c0
	v_fma_f64 v[39:40], v[35:36], v[39:40], s[10:11]
	s_mov_b32 s10, 0x9b27acf1
	s_mov_b32 s11, 0x3fd24924
	;; [unrolled: 3-line block ×3, first 2 shown]
	v_fma_f64 v[39:40], v[35:36], v[39:40], s[10:11]
	v_fma_f64 v[35:36], v[35:36], v[39:40], s[8:9]
	v_ldexp_f64 v[39:40], v[33:34], 1
	v_add_f64 v[33:34], v[33:34], -v[37:38]
	s_mov_b32 s8, 0xfefa39ef
	s_mov_b32 s9, 0x3fe62e42
	v_mul_f64 v[35:36], v[41:42], v[35:36]
	v_cvt_f64_i32_e32 v[41:42], v0
	v_add_f64 v[31:32], v[31:32], -v[33:34]
	v_add_f64 v[37:38], v[39:40], v[35:36]
	v_mul_f64 v[43:44], v[41:42], s[8:9]
	v_ldexp_f64 v[31:32], v[31:32], 1
	v_add_f64 v[33:34], v[37:38], -v[39:40]
	v_fma_f64 v[39:40], v[41:42], s[8:9], -v[43:44]
	s_mov_b32 s8, 0x3b39803f
	s_mov_b32 s9, 0x3c7abc9e
	v_add_f64 v[33:34], v[35:36], -v[33:34]
	v_fma_f64 v[35:36], v[41:42], s[8:9], v[39:40]
	s_add_u32 s8, s16, s14
	s_addc_u32 s9, s17, s15
	v_add_f64 v[31:32], v[31:32], v[33:34]
	v_add_f64 v[33:34], v[43:44], v[35:36]
	;; [unrolled: 1-line block ×3, first 2 shown]
	v_add_f64 v[43:44], v[33:34], -v[43:44]
	v_add_f64 v[41:42], v[33:34], v[39:40]
	v_add_f64 v[37:38], v[39:40], -v[37:38]
	v_add_f64 v[35:36], v[35:36], -v[43:44]
	;; [unrolled: 1-line block ×6, first 2 shown]
	v_add_f64 v[39:40], v[35:36], v[31:32]
	v_add_f64 v[33:34], v[33:34], -v[47:48]
	v_add_f64 v[33:34], v[37:38], v[33:34]
	v_add_f64 v[37:38], v[39:40], -v[35:36]
	;; [unrolled: 2-line block ×3, first 2 shown]
	v_add_f64 v[31:32], v[31:32], -v[37:38]
	v_add_f64 v[43:44], v[41:42], v[33:34]
	v_add_f64 v[35:36], v[35:36], -v[39:40]
	v_add_f64 v[37:38], v[43:44], -v[41:42]
	v_add_f64 v[31:32], v[31:32], v[35:36]
	v_add_f64 v[33:34], v[33:34], -v[37:38]
	v_add_f64 v[31:32], v[31:32], v[33:34]
	v_add_f64 v[31:32], v[43:44], v[31:32]
	v_cndmask_b32_e64 v0, v31, v20, s7
	v_cndmask_b32_e64 v19, v32, v21, s7
	v_cmp_ngt_f64_e64 s7, 0, v[20:21]
	v_cndmask_b32_e64 v22, 0x7ff80000, v19, s7
	v_cmp_nge_f64_e64 s7, 0, v[20:21]
	v_cndmask_b32_e64 v19, 0, v0, s7
	v_cmp_neq_f64_e64 s7, 0, v[20:21]
	v_cndmask_b32_e64 v20, 0xfff00000, v22, s7
	s_and_saveexec_b32 s7, vcc_lo
	s_cbranch_execnz .LBB31_57
; %bb.38:
	s_or_b32 exec_lo, exec_lo, s7
	s_and_saveexec_b32 s7, s0
	s_cbranch_execnz .LBB31_58
.LBB31_39:
	s_or_b32 exec_lo, exec_lo, s7
	s_and_saveexec_b32 s0, s1
	s_cbranch_execnz .LBB31_59
.LBB31_40:
	s_or_b32 exec_lo, exec_lo, s0
	s_and_saveexec_b32 s0, s2
	s_cbranch_execnz .LBB31_60
.LBB31_41:
	s_or_b32 exec_lo, exec_lo, s0
	s_and_saveexec_b32 s0, s3
	s_cbranch_execnz .LBB31_61
.LBB31_42:
	s_or_b32 exec_lo, exec_lo, s0
	s_and_saveexec_b32 s0, s4
	s_cbranch_execnz .LBB31_62
.LBB31_43:
	s_or_b32 exec_lo, exec_lo, s0
	s_and_saveexec_b32 s0, s5
	s_cbranch_execnz .LBB31_63
.LBB31_44:
	s_or_b32 exec_lo, exec_lo, s0
	s_and_saveexec_b32 s0, s6
	s_cbranch_execnz .LBB31_64
.LBB31_45:
	s_endpgm
.LBB31_46:
	ds_read_b64 v[17:18], v37
	s_or_b32 exec_lo, exec_lo, s9
	v_cmp_gt_u32_e64 s9, 32, v0
	s_and_saveexec_b32 s11, s9
	s_cbranch_execz .LBB31_20
.LBB31_47:
	s_waitcnt lgkmcnt(0)
	ds_bpermute_b32 v21, v31, v18
	ds_bpermute_b32 v19, v31, v17
	s_waitcnt lgkmcnt(1)
	v_mov_b32_e32 v20, v21
	s_waitcnt lgkmcnt(0)
	v_cmp_lt_f64_e64 s10, v[17:18], v[19:20]
	v_cndmask_b32_e64 v18, v18, v21, s10
	v_cndmask_b32_e64 v17, v17, v19, s10
	ds_bpermute_b32 v21, v32, v18
	ds_bpermute_b32 v19, v32, v17
	s_waitcnt lgkmcnt(1)
	v_mov_b32_e32 v20, v21
	s_waitcnt lgkmcnt(0)
	v_cmp_lt_f64_e64 s10, v[17:18], v[19:20]
	v_cndmask_b32_e64 v18, v18, v21, s10
	v_cndmask_b32_e64 v17, v17, v19, s10
	;; [unrolled: 8-line block ×5, first 2 shown]
	s_or_b32 exec_lo, exec_lo, s11
	v_cmp_eq_u32_e64 s10, 0, v0
	s_and_saveexec_b32 s11, s10
	s_cbranch_execnz .LBB31_21
	s_branch .LBB31_22
.LBB31_48:
	s_waitcnt lgkmcnt(0)
	v_add_f64 v[19:20], v[1:2], -v[17:18]
	s_mov_b32 s18, 0x652b82fe
	s_mov_b32 s19, 0x3ff71547
	;; [unrolled: 1-line block ×4, first 2 shown]
	v_mul_f64 v[21:22], v[19:20], s[18:19]
	s_mov_b32 s18, 0xfefa39ef
	s_mov_b32 s19, 0xbfe62e42
	v_cmp_nlt_f64_e64 s11, 0x40900000, v[19:20]
	v_cmp_ngt_f64_e64 s12, 0xc090cc00, v[19:20]
	v_rndne_f64_e32 v[21:22], v[21:22]
	v_fma_f64 v[38:39], v[21:22], s[18:19], v[19:20]
	s_mov_b32 s18, 0x3b39803f
	s_mov_b32 s19, 0xbc7abc9e
	v_cvt_i32_f64_e32 v0, v[21:22]
	v_fma_f64 v[38:39], v[21:22], s[18:19], v[38:39]
	s_mov_b32 s18, 0xfca7ab0c
	s_mov_b32 s19, 0x3e928af3
	v_fma_f64 v[40:41], v[38:39], s[20:21], s[18:19]
	s_mov_b32 s18, 0x623fde64
	s_mov_b32 s19, 0x3ec71dee
	;; [unrolled: 3-line block ×9, first 2 shown]
	v_fma_f64 v[40:41], v[38:39], v[40:41], s[18:19]
	v_fma_f64 v[40:41], v[38:39], v[40:41], 1.0
	v_fma_f64 v[21:22], v[38:39], v[40:41], 1.0
	v_ldexp_f64 v[21:22], v[21:22], v0
	v_add_f64 v[21:22], v[21:22], 0
	v_cndmask_b32_e64 v0, 0x7ff00000, v22, s11
	s_and_b32 s11, s12, s11
	v_cndmask_b32_e64 v19, 0, v21, s11
	v_cndmask_b32_e64 v20, 0, v0, s12
	s_or_b32 exec_lo, exec_lo, s13
	s_and_saveexec_b32 s13, s0
	s_cbranch_execz .LBB31_24
.LBB31_49:
	s_waitcnt lgkmcnt(0)
	v_add_f64 v[21:22], v[3:4], -v[17:18]
	s_mov_b32 s18, 0x652b82fe
	s_mov_b32 s19, 0x3ff71547
	;; [unrolled: 1-line block ×4, first 2 shown]
	v_mul_f64 v[38:39], v[21:22], s[18:19]
	s_mov_b32 s18, 0xfefa39ef
	s_mov_b32 s19, 0xbfe62e42
	v_cmp_nlt_f64_e64 s11, 0x40900000, v[21:22]
	v_cmp_ngt_f64_e64 s12, 0xc090cc00, v[21:22]
	v_rndne_f64_e32 v[38:39], v[38:39]
	v_fma_f64 v[40:41], v[38:39], s[18:19], v[21:22]
	s_mov_b32 s18, 0x3b39803f
	s_mov_b32 s19, 0xbc7abc9e
	v_cvt_i32_f64_e32 v0, v[38:39]
	v_fma_f64 v[40:41], v[38:39], s[18:19], v[40:41]
	s_mov_b32 s18, 0xfca7ab0c
	s_mov_b32 s19, 0x3e928af3
	v_fma_f64 v[42:43], v[40:41], s[20:21], s[18:19]
	s_mov_b32 s18, 0x623fde64
	s_mov_b32 s19, 0x3ec71dee
	v_fma_f64 v[42:43], v[40:41], v[42:43], s[18:19]
	s_mov_b32 s18, 0x7c89e6b0
	s_mov_b32 s19, 0x3efa0199
	v_fma_f64 v[42:43], v[40:41], v[42:43], s[18:19]
	s_mov_b32 s18, 0x14761f6e
	s_mov_b32 s19, 0x3f2a01a0
	v_fma_f64 v[42:43], v[40:41], v[42:43], s[18:19]
	s_mov_b32 s18, 0x1852b7b0
	s_mov_b32 s19, 0x3f56c16c
	v_fma_f64 v[42:43], v[40:41], v[42:43], s[18:19]
	s_mov_b32 s18, 0x11122322
	s_mov_b32 s19, 0x3f811111
	v_fma_f64 v[42:43], v[40:41], v[42:43], s[18:19]
	s_mov_b32 s18, 0x555502a1
	s_mov_b32 s19, 0x3fa55555
	v_fma_f64 v[42:43], v[40:41], v[42:43], s[18:19]
	s_mov_b32 s18, 0x55555511
	s_mov_b32 s19, 0x3fc55555
	v_fma_f64 v[42:43], v[40:41], v[42:43], s[18:19]
	s_mov_b32 s18, 11
	s_mov_b32 s19, 0x3fe00000
	v_fma_f64 v[42:43], v[40:41], v[42:43], s[18:19]
	v_fma_f64 v[42:43], v[40:41], v[42:43], 1.0
	v_fma_f64 v[38:39], v[40:41], v[42:43], 1.0
	v_ldexp_f64 v[38:39], v[38:39], v0
	v_cndmask_b32_e64 v0, 0x7ff00000, v39, s11
	s_and_b32 s11, s12, s11
	v_cndmask_b32_e64 v21, 0, v38, s11
	v_cndmask_b32_e64 v22, 0, v0, s12
	v_add_f64 v[19:20], v[19:20], v[21:22]
	s_or_b32 exec_lo, exec_lo, s13
	s_and_saveexec_b32 s13, s1
	s_cbranch_execz .LBB31_25
.LBB31_50:
	s_waitcnt lgkmcnt(0)
	v_add_f64 v[21:22], v[5:6], -v[17:18]
	s_mov_b32 s18, 0x652b82fe
	s_mov_b32 s19, 0x3ff71547
	;; [unrolled: 1-line block ×4, first 2 shown]
	v_mul_f64 v[38:39], v[21:22], s[18:19]
	s_mov_b32 s18, 0xfefa39ef
	s_mov_b32 s19, 0xbfe62e42
	v_cmp_nlt_f64_e64 s11, 0x40900000, v[21:22]
	v_cmp_ngt_f64_e64 s12, 0xc090cc00, v[21:22]
	v_rndne_f64_e32 v[38:39], v[38:39]
	v_fma_f64 v[40:41], v[38:39], s[18:19], v[21:22]
	s_mov_b32 s18, 0x3b39803f
	s_mov_b32 s19, 0xbc7abc9e
	v_cvt_i32_f64_e32 v0, v[38:39]
	v_fma_f64 v[40:41], v[38:39], s[18:19], v[40:41]
	s_mov_b32 s18, 0xfca7ab0c
	s_mov_b32 s19, 0x3e928af3
	v_fma_f64 v[42:43], v[40:41], s[20:21], s[18:19]
	s_mov_b32 s18, 0x623fde64
	s_mov_b32 s19, 0x3ec71dee
	v_fma_f64 v[42:43], v[40:41], v[42:43], s[18:19]
	s_mov_b32 s18, 0x7c89e6b0
	s_mov_b32 s19, 0x3efa0199
	v_fma_f64 v[42:43], v[40:41], v[42:43], s[18:19]
	s_mov_b32 s18, 0x14761f6e
	s_mov_b32 s19, 0x3f2a01a0
	v_fma_f64 v[42:43], v[40:41], v[42:43], s[18:19]
	s_mov_b32 s18, 0x1852b7b0
	s_mov_b32 s19, 0x3f56c16c
	v_fma_f64 v[42:43], v[40:41], v[42:43], s[18:19]
	s_mov_b32 s18, 0x11122322
	s_mov_b32 s19, 0x3f811111
	v_fma_f64 v[42:43], v[40:41], v[42:43], s[18:19]
	s_mov_b32 s18, 0x555502a1
	s_mov_b32 s19, 0x3fa55555
	v_fma_f64 v[42:43], v[40:41], v[42:43], s[18:19]
	s_mov_b32 s18, 0x55555511
	s_mov_b32 s19, 0x3fc55555
	v_fma_f64 v[42:43], v[40:41], v[42:43], s[18:19]
	s_mov_b32 s18, 11
	s_mov_b32 s19, 0x3fe00000
	v_fma_f64 v[42:43], v[40:41], v[42:43], s[18:19]
	v_fma_f64 v[42:43], v[40:41], v[42:43], 1.0
	v_fma_f64 v[38:39], v[40:41], v[42:43], 1.0
	v_ldexp_f64 v[38:39], v[38:39], v0
	v_cndmask_b32_e64 v0, 0x7ff00000, v39, s11
	s_and_b32 s11, s12, s11
	v_cndmask_b32_e64 v21, 0, v38, s11
	v_cndmask_b32_e64 v22, 0, v0, s12
	v_add_f64 v[19:20], v[19:20], v[21:22]
	s_or_b32 exec_lo, exec_lo, s13
	s_and_saveexec_b32 s13, s2
	s_cbranch_execz .LBB31_26
.LBB31_51:
	s_waitcnt lgkmcnt(0)
	v_add_f64 v[21:22], v[7:8], -v[17:18]
	s_mov_b32 s18, 0x652b82fe
	s_mov_b32 s19, 0x3ff71547
	;; [unrolled: 1-line block ×4, first 2 shown]
	v_mul_f64 v[38:39], v[21:22], s[18:19]
	s_mov_b32 s18, 0xfefa39ef
	s_mov_b32 s19, 0xbfe62e42
	v_cmp_nlt_f64_e64 s11, 0x40900000, v[21:22]
	v_cmp_ngt_f64_e64 s12, 0xc090cc00, v[21:22]
	v_rndne_f64_e32 v[38:39], v[38:39]
	v_fma_f64 v[40:41], v[38:39], s[18:19], v[21:22]
	s_mov_b32 s18, 0x3b39803f
	s_mov_b32 s19, 0xbc7abc9e
	v_cvt_i32_f64_e32 v0, v[38:39]
	v_fma_f64 v[40:41], v[38:39], s[18:19], v[40:41]
	s_mov_b32 s18, 0xfca7ab0c
	s_mov_b32 s19, 0x3e928af3
	v_fma_f64 v[42:43], v[40:41], s[20:21], s[18:19]
	s_mov_b32 s18, 0x623fde64
	s_mov_b32 s19, 0x3ec71dee
	;; [unrolled: 3-line block ×9, first 2 shown]
	v_fma_f64 v[42:43], v[40:41], v[42:43], s[18:19]
	v_fma_f64 v[42:43], v[40:41], v[42:43], 1.0
	v_fma_f64 v[38:39], v[40:41], v[42:43], 1.0
	v_ldexp_f64 v[38:39], v[38:39], v0
	v_cndmask_b32_e64 v0, 0x7ff00000, v39, s11
	s_and_b32 s11, s12, s11
	v_cndmask_b32_e64 v21, 0, v38, s11
	v_cndmask_b32_e64 v22, 0, v0, s12
	v_add_f64 v[19:20], v[19:20], v[21:22]
	s_or_b32 exec_lo, exec_lo, s13
	s_and_saveexec_b32 s13, s3
	s_cbranch_execz .LBB31_27
.LBB31_52:
	s_waitcnt lgkmcnt(0)
	v_add_f64 v[21:22], v[9:10], -v[17:18]
	s_mov_b32 s18, 0x652b82fe
	s_mov_b32 s19, 0x3ff71547
	;; [unrolled: 1-line block ×4, first 2 shown]
	v_mul_f64 v[38:39], v[21:22], s[18:19]
	s_mov_b32 s18, 0xfefa39ef
	s_mov_b32 s19, 0xbfe62e42
	v_cmp_nlt_f64_e64 s11, 0x40900000, v[21:22]
	v_cmp_ngt_f64_e64 s12, 0xc090cc00, v[21:22]
	v_rndne_f64_e32 v[38:39], v[38:39]
	v_fma_f64 v[40:41], v[38:39], s[18:19], v[21:22]
	s_mov_b32 s18, 0x3b39803f
	s_mov_b32 s19, 0xbc7abc9e
	v_cvt_i32_f64_e32 v0, v[38:39]
	v_fma_f64 v[40:41], v[38:39], s[18:19], v[40:41]
	s_mov_b32 s18, 0xfca7ab0c
	s_mov_b32 s19, 0x3e928af3
	v_fma_f64 v[42:43], v[40:41], s[20:21], s[18:19]
	s_mov_b32 s18, 0x623fde64
	s_mov_b32 s19, 0x3ec71dee
	v_fma_f64 v[42:43], v[40:41], v[42:43], s[18:19]
	s_mov_b32 s18, 0x7c89e6b0
	s_mov_b32 s19, 0x3efa0199
	v_fma_f64 v[42:43], v[40:41], v[42:43], s[18:19]
	s_mov_b32 s18, 0x14761f6e
	s_mov_b32 s19, 0x3f2a01a0
	v_fma_f64 v[42:43], v[40:41], v[42:43], s[18:19]
	s_mov_b32 s18, 0x1852b7b0
	s_mov_b32 s19, 0x3f56c16c
	v_fma_f64 v[42:43], v[40:41], v[42:43], s[18:19]
	s_mov_b32 s18, 0x11122322
	s_mov_b32 s19, 0x3f811111
	v_fma_f64 v[42:43], v[40:41], v[42:43], s[18:19]
	s_mov_b32 s18, 0x555502a1
	s_mov_b32 s19, 0x3fa55555
	v_fma_f64 v[42:43], v[40:41], v[42:43], s[18:19]
	s_mov_b32 s18, 0x55555511
	s_mov_b32 s19, 0x3fc55555
	v_fma_f64 v[42:43], v[40:41], v[42:43], s[18:19]
	s_mov_b32 s18, 11
	s_mov_b32 s19, 0x3fe00000
	v_fma_f64 v[42:43], v[40:41], v[42:43], s[18:19]
	v_fma_f64 v[42:43], v[40:41], v[42:43], 1.0
	v_fma_f64 v[38:39], v[40:41], v[42:43], 1.0
	v_ldexp_f64 v[38:39], v[38:39], v0
	v_cndmask_b32_e64 v0, 0x7ff00000, v39, s11
	s_and_b32 s11, s12, s11
	v_cndmask_b32_e64 v21, 0, v38, s11
	v_cndmask_b32_e64 v22, 0, v0, s12
	v_add_f64 v[19:20], v[19:20], v[21:22]
	s_or_b32 exec_lo, exec_lo, s13
	s_and_saveexec_b32 s13, s4
	s_cbranch_execz .LBB31_28
.LBB31_53:
	s_waitcnt lgkmcnt(0)
	v_add_f64 v[21:22], v[11:12], -v[17:18]
	s_mov_b32 s18, 0x652b82fe
	s_mov_b32 s19, 0x3ff71547
	;; [unrolled: 1-line block ×4, first 2 shown]
	v_mul_f64 v[38:39], v[21:22], s[18:19]
	s_mov_b32 s18, 0xfefa39ef
	s_mov_b32 s19, 0xbfe62e42
	v_cmp_nlt_f64_e64 s11, 0x40900000, v[21:22]
	v_cmp_ngt_f64_e64 s12, 0xc090cc00, v[21:22]
	v_rndne_f64_e32 v[38:39], v[38:39]
	v_fma_f64 v[40:41], v[38:39], s[18:19], v[21:22]
	s_mov_b32 s18, 0x3b39803f
	s_mov_b32 s19, 0xbc7abc9e
	v_cvt_i32_f64_e32 v0, v[38:39]
	v_fma_f64 v[40:41], v[38:39], s[18:19], v[40:41]
	s_mov_b32 s18, 0xfca7ab0c
	s_mov_b32 s19, 0x3e928af3
	v_fma_f64 v[42:43], v[40:41], s[20:21], s[18:19]
	s_mov_b32 s18, 0x623fde64
	s_mov_b32 s19, 0x3ec71dee
	;; [unrolled: 3-line block ×9, first 2 shown]
	v_fma_f64 v[42:43], v[40:41], v[42:43], s[18:19]
	v_fma_f64 v[42:43], v[40:41], v[42:43], 1.0
	v_fma_f64 v[38:39], v[40:41], v[42:43], 1.0
	v_ldexp_f64 v[38:39], v[38:39], v0
	v_cndmask_b32_e64 v0, 0x7ff00000, v39, s11
	s_and_b32 s11, s12, s11
	v_cndmask_b32_e64 v21, 0, v38, s11
	v_cndmask_b32_e64 v22, 0, v0, s12
	v_add_f64 v[19:20], v[19:20], v[21:22]
	s_or_b32 exec_lo, exec_lo, s13
	s_and_saveexec_b32 s13, s5
	s_cbranch_execz .LBB31_29
.LBB31_54:
	s_waitcnt lgkmcnt(0)
	v_add_f64 v[21:22], v[13:14], -v[17:18]
	s_mov_b32 s18, 0x652b82fe
	s_mov_b32 s19, 0x3ff71547
	;; [unrolled: 1-line block ×4, first 2 shown]
	v_mul_f64 v[38:39], v[21:22], s[18:19]
	s_mov_b32 s18, 0xfefa39ef
	s_mov_b32 s19, 0xbfe62e42
	v_cmp_nlt_f64_e64 s11, 0x40900000, v[21:22]
	v_cmp_ngt_f64_e64 s12, 0xc090cc00, v[21:22]
	v_rndne_f64_e32 v[38:39], v[38:39]
	v_fma_f64 v[40:41], v[38:39], s[18:19], v[21:22]
	s_mov_b32 s18, 0x3b39803f
	s_mov_b32 s19, 0xbc7abc9e
	v_cvt_i32_f64_e32 v0, v[38:39]
	v_fma_f64 v[40:41], v[38:39], s[18:19], v[40:41]
	s_mov_b32 s18, 0xfca7ab0c
	s_mov_b32 s19, 0x3e928af3
	v_fma_f64 v[42:43], v[40:41], s[20:21], s[18:19]
	s_mov_b32 s18, 0x623fde64
	s_mov_b32 s19, 0x3ec71dee
	;; [unrolled: 3-line block ×9, first 2 shown]
	v_fma_f64 v[42:43], v[40:41], v[42:43], s[18:19]
	v_fma_f64 v[42:43], v[40:41], v[42:43], 1.0
	v_fma_f64 v[38:39], v[40:41], v[42:43], 1.0
	v_ldexp_f64 v[38:39], v[38:39], v0
	v_cndmask_b32_e64 v0, 0x7ff00000, v39, s11
	s_and_b32 s11, s12, s11
	v_cndmask_b32_e64 v21, 0, v38, s11
	v_cndmask_b32_e64 v22, 0, v0, s12
	v_add_f64 v[19:20], v[19:20], v[21:22]
	s_or_b32 exec_lo, exec_lo, s13
	s_and_saveexec_b32 s13, s6
	s_cbranch_execnz .LBB31_30
	s_branch .LBB31_31
.LBB31_55:
	ds_read_b64 v[19:20], v37
	s_or_b32 exec_lo, exec_lo, s7
	s_and_saveexec_b32 s7, s9
	s_cbranch_execz .LBB31_35
.LBB31_56:
	s_waitcnt lgkmcnt(0)
	ds_bpermute_b32 v21, v31, v19
	ds_bpermute_b32 v22, v31, v20
	s_waitcnt lgkmcnt(0)
	v_add_f64 v[19:20], v[19:20], v[21:22]
	ds_bpermute_b32 v21, v32, v19
	ds_bpermute_b32 v22, v32, v20
	s_waitcnt lgkmcnt(0)
	v_add_f64 v[19:20], v[19:20], v[21:22]
	;; [unrolled: 4-line block ×5, first 2 shown]
	s_or_b32 exec_lo, exec_lo, s7
	s_and_saveexec_b32 s7, s10
	s_cbranch_execnz .LBB31_36
	s_branch .LBB31_37
.LBB31_57:
	v_add_f64 v[0:1], v[1:2], -v[17:18]
	v_add_f64 v[0:1], v[0:1], -v[19:20]
	global_store_dwordx2 v23, v[0:1], s[8:9]
	s_or_b32 exec_lo, exec_lo, s7
	s_and_saveexec_b32 s7, s0
	s_cbranch_execz .LBB31_39
.LBB31_58:
	v_add_f64 v[0:1], v[3:4], -v[17:18]
	v_add_f64 v[0:1], v[0:1], -v[19:20]
	global_store_dwordx2 v24, v[0:1], s[8:9]
	s_or_b32 exec_lo, exec_lo, s7
	s_and_saveexec_b32 s0, s1
	s_cbranch_execz .LBB31_40
.LBB31_59:
	v_add_f64 v[0:1], v[5:6], -v[17:18]
	v_add_f64 v[0:1], v[0:1], -v[19:20]
	global_store_dwordx2 v25, v[0:1], s[8:9]
	s_or_b32 exec_lo, exec_lo, s0
	s_and_saveexec_b32 s0, s2
	s_cbranch_execz .LBB31_41
.LBB31_60:
	v_add_f64 v[0:1], v[7:8], -v[17:18]
	v_add_f64 v[0:1], v[0:1], -v[19:20]
	global_store_dwordx2 v26, v[0:1], s[8:9]
	s_or_b32 exec_lo, exec_lo, s0
	s_and_saveexec_b32 s0, s3
	s_cbranch_execz .LBB31_42
.LBB31_61:
	v_add_f64 v[0:1], v[9:10], -v[17:18]
	v_add_f64 v[0:1], v[0:1], -v[19:20]
	global_store_dwordx2 v27, v[0:1], s[8:9]
	s_or_b32 exec_lo, exec_lo, s0
	s_and_saveexec_b32 s0, s4
	s_cbranch_execz .LBB31_43
.LBB31_62:
	v_add_f64 v[0:1], v[11:12], -v[17:18]
	v_add_f64 v[0:1], v[0:1], -v[19:20]
	global_store_dwordx2 v28, v[0:1], s[8:9]
	s_or_b32 exec_lo, exec_lo, s0
	s_and_saveexec_b32 s0, s5
	s_cbranch_execz .LBB31_44
.LBB31_63:
	v_add_f64 v[0:1], v[13:14], -v[17:18]
	v_add_f64 v[0:1], v[0:1], -v[19:20]
	global_store_dwordx2 v29, v[0:1], s[8:9]
	s_or_b32 exec_lo, exec_lo, s0
	s_and_saveexec_b32 s0, s6
	s_cbranch_execz .LBB31_45
.LBB31_64:
	v_add_f64 v[0:1], v[15:16], -v[17:18]
	v_add_f64 v[0:1], v[0:1], -v[19:20]
	global_store_dwordx2 v30, v[0:1], s[8:9]
	s_endpgm
	.section	.rodata,"a",@progbits
	.p2align	6, 0x0
	.amdhsa_kernel _ZN2at6native12_GLOBAL__N_122cunn_SoftMaxForwardRegIdddNS1_25LogSoftMaxForwardEpilogueElLi8EEEvPT1_PKT_T3_
		.amdhsa_group_segment_fixed_size 0
		.amdhsa_private_segment_fixed_size 0
		.amdhsa_kernarg_size 280
		.amdhsa_user_sgpr_count 6
		.amdhsa_user_sgpr_private_segment_buffer 1
		.amdhsa_user_sgpr_dispatch_ptr 0
		.amdhsa_user_sgpr_queue_ptr 0
		.amdhsa_user_sgpr_kernarg_segment_ptr 1
		.amdhsa_user_sgpr_dispatch_id 0
		.amdhsa_user_sgpr_flat_scratch_init 0
		.amdhsa_user_sgpr_private_segment_size 0
		.amdhsa_wavefront_size32 1
		.amdhsa_uses_dynamic_stack 0
		.amdhsa_system_sgpr_private_segment_wavefront_offset 0
		.amdhsa_system_sgpr_workgroup_id_x 1
		.amdhsa_system_sgpr_workgroup_id_y 0
		.amdhsa_system_sgpr_workgroup_id_z 0
		.amdhsa_system_sgpr_workgroup_info 0
		.amdhsa_system_vgpr_workitem_id 0
		.amdhsa_next_free_vgpr 49
		.amdhsa_next_free_sgpr 22
		.amdhsa_reserve_vcc 1
		.amdhsa_reserve_flat_scratch 0
		.amdhsa_float_round_mode_32 0
		.amdhsa_float_round_mode_16_64 0
		.amdhsa_float_denorm_mode_32 3
		.amdhsa_float_denorm_mode_16_64 3
		.amdhsa_dx10_clamp 1
		.amdhsa_ieee_mode 1
		.amdhsa_fp16_overflow 0
		.amdhsa_workgroup_processor_mode 1
		.amdhsa_memory_ordered 1
		.amdhsa_forward_progress 1
		.amdhsa_shared_vgpr_count 0
		.amdhsa_exception_fp_ieee_invalid_op 0
		.amdhsa_exception_fp_denorm_src 0
		.amdhsa_exception_fp_ieee_div_zero 0
		.amdhsa_exception_fp_ieee_overflow 0
		.amdhsa_exception_fp_ieee_underflow 0
		.amdhsa_exception_fp_ieee_inexact 0
		.amdhsa_exception_int_div_zero 0
	.end_amdhsa_kernel
	.section	.text._ZN2at6native12_GLOBAL__N_122cunn_SoftMaxForwardRegIdddNS1_25LogSoftMaxForwardEpilogueElLi8EEEvPT1_PKT_T3_,"axG",@progbits,_ZN2at6native12_GLOBAL__N_122cunn_SoftMaxForwardRegIdddNS1_25LogSoftMaxForwardEpilogueElLi8EEEvPT1_PKT_T3_,comdat
.Lfunc_end31:
	.size	_ZN2at6native12_GLOBAL__N_122cunn_SoftMaxForwardRegIdddNS1_25LogSoftMaxForwardEpilogueElLi8EEEvPT1_PKT_T3_, .Lfunc_end31-_ZN2at6native12_GLOBAL__N_122cunn_SoftMaxForwardRegIdddNS1_25LogSoftMaxForwardEpilogueElLi8EEEvPT1_PKT_T3_
                                        ; -- End function
	.set _ZN2at6native12_GLOBAL__N_122cunn_SoftMaxForwardRegIdddNS1_25LogSoftMaxForwardEpilogueElLi8EEEvPT1_PKT_T3_.num_vgpr, 49
	.set _ZN2at6native12_GLOBAL__N_122cunn_SoftMaxForwardRegIdddNS1_25LogSoftMaxForwardEpilogueElLi8EEEvPT1_PKT_T3_.num_agpr, 0
	.set _ZN2at6native12_GLOBAL__N_122cunn_SoftMaxForwardRegIdddNS1_25LogSoftMaxForwardEpilogueElLi8EEEvPT1_PKT_T3_.numbered_sgpr, 22
	.set _ZN2at6native12_GLOBAL__N_122cunn_SoftMaxForwardRegIdddNS1_25LogSoftMaxForwardEpilogueElLi8EEEvPT1_PKT_T3_.num_named_barrier, 0
	.set _ZN2at6native12_GLOBAL__N_122cunn_SoftMaxForwardRegIdddNS1_25LogSoftMaxForwardEpilogueElLi8EEEvPT1_PKT_T3_.private_seg_size, 0
	.set _ZN2at6native12_GLOBAL__N_122cunn_SoftMaxForwardRegIdddNS1_25LogSoftMaxForwardEpilogueElLi8EEEvPT1_PKT_T3_.uses_vcc, 1
	.set _ZN2at6native12_GLOBAL__N_122cunn_SoftMaxForwardRegIdddNS1_25LogSoftMaxForwardEpilogueElLi8EEEvPT1_PKT_T3_.uses_flat_scratch, 0
	.set _ZN2at6native12_GLOBAL__N_122cunn_SoftMaxForwardRegIdddNS1_25LogSoftMaxForwardEpilogueElLi8EEEvPT1_PKT_T3_.has_dyn_sized_stack, 0
	.set _ZN2at6native12_GLOBAL__N_122cunn_SoftMaxForwardRegIdddNS1_25LogSoftMaxForwardEpilogueElLi8EEEvPT1_PKT_T3_.has_recursion, 0
	.set _ZN2at6native12_GLOBAL__N_122cunn_SoftMaxForwardRegIdddNS1_25LogSoftMaxForwardEpilogueElLi8EEEvPT1_PKT_T3_.has_indirect_call, 0
	.section	.AMDGPU.csdata,"",@progbits
; Kernel info:
; codeLenInByte = 6760
; TotalNumSgprs: 24
; NumVgprs: 49
; ScratchSize: 0
; MemoryBound: 0
; FloatMode: 240
; IeeeMode: 1
; LDSByteSize: 0 bytes/workgroup (compile time only)
; SGPRBlocks: 0
; VGPRBlocks: 6
; NumSGPRsForWavesPerEU: 24
; NumVGPRsForWavesPerEU: 49
; Occupancy: 16
; WaveLimiterHint : 0
; COMPUTE_PGM_RSRC2:SCRATCH_EN: 0
; COMPUTE_PGM_RSRC2:USER_SGPR: 6
; COMPUTE_PGM_RSRC2:TRAP_HANDLER: 0
; COMPUTE_PGM_RSRC2:TGID_X_EN: 1
; COMPUTE_PGM_RSRC2:TGID_Y_EN: 0
; COMPUTE_PGM_RSRC2:TGID_Z_EN: 0
; COMPUTE_PGM_RSRC2:TIDIG_COMP_CNT: 0
	.section	.text._ZN2at6native12_GLOBAL__N_122cunn_SoftMaxForwardRegIdddNS1_25LogSoftMaxForwardEpilogueElLi9EEEvPT1_PKT_T3_,"axG",@progbits,_ZN2at6native12_GLOBAL__N_122cunn_SoftMaxForwardRegIdddNS1_25LogSoftMaxForwardEpilogueElLi9EEEvPT1_PKT_T3_,comdat
	.globl	_ZN2at6native12_GLOBAL__N_122cunn_SoftMaxForwardRegIdddNS1_25LogSoftMaxForwardEpilogueElLi9EEEvPT1_PKT_T3_ ; -- Begin function _ZN2at6native12_GLOBAL__N_122cunn_SoftMaxForwardRegIdddNS1_25LogSoftMaxForwardEpilogueElLi9EEEvPT1_PKT_T3_
	.p2align	8
	.type	_ZN2at6native12_GLOBAL__N_122cunn_SoftMaxForwardRegIdddNS1_25LogSoftMaxForwardEpilogueElLi9EEEvPT1_PKT_T3_,@function
_ZN2at6native12_GLOBAL__N_122cunn_SoftMaxForwardRegIdddNS1_25LogSoftMaxForwardEpilogueElLi9EEEvPT1_PKT_T3_: ; @_ZN2at6native12_GLOBAL__N_122cunn_SoftMaxForwardRegIdddNS1_25LogSoftMaxForwardEpilogueElLi9EEEvPT1_PKT_T3_
; %bb.0:
	s_clause 0x2
	s_load_dwordx2 s[8:9], s[4:5], 0x10
	s_load_dwordx4 s[16:19], s[4:5], 0x0
	s_load_dword s2, s[4:5], 0x24
	v_mov_b32_e32 v33, 0
	v_mov_b32_e32 v50, -1
	v_mov_b32_e32 v51, 0xffefffff
	v_lshlrev_b32_e32 v52, 3, v0
	v_mov_b32_e32 v1, v33
	v_mov_b32_e32 v32, v33
	;; [unrolled: 1-line block ×18, first 2 shown]
	s_waitcnt lgkmcnt(0)
	s_mul_i32 s1, s9, s6
	s_mul_hi_u32 s3, s8, s6
	s_mul_i32 s0, s8, s6
	s_add_i32 s1, s3, s1
	v_cmp_gt_i64_e32 vcc_lo, s[8:9], v[0:1]
	v_mov_b32_e32 v1, v32
	s_lshl_b64 s[14:15], s[0:1], 3
	v_mov_b32_e32 v2, v33
	v_mov_b32_e32 v3, v34
	;; [unrolled: 1-line block ×17, first 2 shown]
	s_add_u32 s10, s18, s14
	s_mov_b32 s0, -1
	s_addc_u32 s11, s19, s15
	s_mov_b32 s1, 0xffefffff
	v_mov_b32_e32 v19, v50
	v_mov_b32_e32 v20, v51
	;; [unrolled: 1-line block ×14, first 2 shown]
	s_and_saveexec_b32 s3, vcc_lo
	s_cbranch_execz .LBB32_2
; %bb.1:
	global_load_dwordx2 v[1:2], v52, s[10:11]
	v_mov_b32_e32 v5, v33
	v_mov_b32_e32 v6, v33
	;; [unrolled: 1-line block ×14, first 2 shown]
	s_waitcnt vmcnt(0)
	v_max_f64 v[3:4], v[1:2], v[1:2]
	v_max_f64 v[50:51], v[3:4], s[0:1]
	v_mov_b32_e32 v3, v33
	v_mov_b32_e32 v4, v33
.LBB32_2:
	s_or_b32 exec_lo, exec_lo, s3
	s_and_b32 s12, 0xffff, s2
	v_add_nc_u32_e32 v32, s12, v0
	v_cmp_gt_i64_e64 s0, s[8:9], v[32:33]
	v_lshlrev_b32_e32 v25, 3, v32
	s_and_saveexec_b32 s1, s0
	s_cbranch_execz .LBB32_4
; %bb.3:
	global_load_dwordx2 v[3:4], v25, s[10:11]
	v_max_f64 v[21:22], v[50:51], v[50:51]
	s_waitcnt vmcnt(0)
	v_max_f64 v[19:20], v[3:4], v[3:4]
	v_max_f64 v[50:51], v[21:22], v[19:20]
.LBB32_4:
	s_or_b32 exec_lo, exec_lo, s1
	v_add_nc_u32_e32 v19, s12, v32
	v_mov_b32_e32 v20, 0
	v_lshlrev_b32_e32 v26, 3, v19
	v_cmp_gt_i64_e64 s1, s[8:9], v[19:20]
	s_and_saveexec_b32 s2, s1
	s_cbranch_execz .LBB32_6
; %bb.5:
	global_load_dwordx2 v[5:6], v26, s[10:11]
	v_max_f64 v[23:24], v[50:51], v[50:51]
	s_waitcnt vmcnt(0)
	v_max_f64 v[21:22], v[5:6], v[5:6]
	v_max_f64 v[50:51], v[23:24], v[21:22]
.LBB32_6:
	s_or_b32 exec_lo, exec_lo, s2
	v_add_nc_u32_e32 v19, s12, v19
	v_cmp_gt_i64_e64 s2, s[8:9], v[19:20]
	v_lshlrev_b32_e32 v27, 3, v19
	s_and_saveexec_b32 s3, s2
	s_cbranch_execz .LBB32_8
; %bb.7:
	global_load_dwordx2 v[7:8], v27, s[10:11]
	v_max_f64 v[22:23], v[50:51], v[50:51]
	s_waitcnt vmcnt(0)
	v_max_f64 v[20:21], v[7:8], v[7:8]
	v_max_f64 v[50:51], v[22:23], v[20:21]
.LBB32_8:
	s_or_b32 exec_lo, exec_lo, s3
	v_add_nc_u32_e32 v19, s12, v19
	v_mov_b32_e32 v20, 0
	v_lshlrev_b32_e32 v28, 3, v19
	v_cmp_gt_i64_e64 s3, s[8:9], v[19:20]
	s_and_saveexec_b32 s4, s3
	s_cbranch_execz .LBB32_10
; %bb.9:
	global_load_dwordx2 v[9:10], v28, s[10:11]
	v_max_f64 v[23:24], v[50:51], v[50:51]
	s_waitcnt vmcnt(0)
	v_max_f64 v[21:22], v[9:10], v[9:10]
	v_max_f64 v[50:51], v[23:24], v[21:22]
.LBB32_10:
	s_or_b32 exec_lo, exec_lo, s4
	v_add_nc_u32_e32 v19, s12, v19
	v_cmp_gt_i64_e64 s4, s[8:9], v[19:20]
	v_lshlrev_b32_e32 v29, 3, v19
	s_and_saveexec_b32 s5, s4
	s_cbranch_execz .LBB32_12
; %bb.11:
	global_load_dwordx2 v[11:12], v29, s[10:11]
	v_max_f64 v[22:23], v[50:51], v[50:51]
	s_waitcnt vmcnt(0)
	v_max_f64 v[20:21], v[11:12], v[11:12]
	v_max_f64 v[50:51], v[22:23], v[20:21]
.LBB32_12:
	s_or_b32 exec_lo, exec_lo, s5
	v_add_nc_u32_e32 v19, s12, v19
	v_mov_b32_e32 v20, 0
	v_lshlrev_b32_e32 v30, 3, v19
	v_cmp_gt_i64_e64 s5, s[8:9], v[19:20]
	s_and_saveexec_b32 s6, s5
	s_cbranch_execz .LBB32_14
; %bb.13:
	global_load_dwordx2 v[13:14], v30, s[10:11]
	v_max_f64 v[23:24], v[50:51], v[50:51]
	s_waitcnt vmcnt(0)
	v_max_f64 v[21:22], v[13:14], v[13:14]
	v_max_f64 v[50:51], v[23:24], v[21:22]
.LBB32_14:
	s_or_b32 exec_lo, exec_lo, s6
	v_add_nc_u32_e32 v19, s12, v19
	v_cmp_gt_i64_e64 s6, s[8:9], v[19:20]
	v_lshlrev_b32_e32 v31, 3, v19
	s_and_saveexec_b32 s7, s6
	s_cbranch_execz .LBB32_16
; %bb.15:
	global_load_dwordx2 v[15:16], v31, s[10:11]
	v_max_f64 v[22:23], v[50:51], v[50:51]
	s_waitcnt vmcnt(0)
	v_max_f64 v[20:21], v[15:16], v[15:16]
	v_max_f64 v[50:51], v[22:23], v[20:21]
.LBB32_16:
	s_or_b32 exec_lo, exec_lo, s7
	v_add_nc_u32_e32 v19, s12, v19
	v_mov_b32_e32 v20, 0
	v_lshlrev_b32_e32 v32, 3, v19
	v_cmp_gt_i64_e64 s7, s[8:9], v[19:20]
	s_and_saveexec_b32 s8, s7
	s_cbranch_execz .LBB32_18
; %bb.17:
	global_load_dwordx2 v[17:18], v32, s[10:11]
	v_max_f64 v[21:22], v[50:51], v[50:51]
	s_waitcnt vmcnt(0)
	v_max_f64 v[19:20], v[17:18], v[17:18]
	v_max_f64 v[50:51], v[21:22], v[19:20]
.LBB32_18:
	s_or_b32 exec_lo, exec_lo, s8
	v_mbcnt_lo_u32_b32 v23, -1, 0
	v_lshrrev_b32_e32 v38, 2, v0
	s_barrier
	buffer_gl0_inv
	v_lshl_or_b32 v33, v23, 2, 64
	v_cmp_gt_u32_e64 s9, 24, v23
	ds_bpermute_b32 v19, v33, v50
	ds_bpermute_b32 v20, v33, v51
	v_cndmask_b32_e64 v21, 0, 8, s9
	v_cmp_gt_u32_e64 s9, 28, v23
	v_add_lshl_u32 v34, v21, v23, 2
	v_cndmask_b32_e64 v24, 0, 4, s9
	v_cmp_gt_u32_e64 s9, 30, v23
	v_add_lshl_u32 v35, v24, v23, 2
	v_cndmask_b32_e64 v24, 0, 2, s9
	v_cmp_ne_u32_e64 s9, 31, v23
	v_add_lshl_u32 v36, v24, v23, 2
	v_add_co_ci_u32_e64 v23, null, 0, v23, s9
	s_waitcnt lgkmcnt(0)
	v_cmp_lt_f64_e64 s8, v[50:51], v[19:20]
	v_lshlrev_b32_e32 v37, 2, v23
	v_and_b32_e32 v23, 31, v0
	v_cndmask_b32_e64 v20, v51, v20, s8
	v_cndmask_b32_e64 v19, v50, v19, s8
	ds_bpermute_b32 v22, v34, v20
	ds_bpermute_b32 v21, v34, v19
	s_waitcnt lgkmcnt(0)
	v_cmp_lt_f64_e64 s8, v[19:20], v[21:22]
	v_cndmask_b32_e64 v20, v20, v22, s8
	v_cndmask_b32_e64 v19, v19, v21, s8
	ds_bpermute_b32 v22, v35, v20
	ds_bpermute_b32 v21, v35, v19
	s_waitcnt lgkmcnt(0)
	v_cmp_lt_f64_e64 s8, v[19:20], v[21:22]
	;; [unrolled: 6-line block ×3, first 2 shown]
	v_cndmask_b32_e64 v20, v20, v22, s8
	v_cndmask_b32_e64 v19, v19, v21, s8
	v_cmp_eq_u32_e64 s8, 0, v23
	ds_bpermute_b32 v24, v37, v20
	ds_bpermute_b32 v21, v37, v19
	s_and_saveexec_b32 s9, s8
	s_xor_b32 s10, exec_lo, s9
	s_cbranch_execz .LBB32_20
; %bb.19:
	s_waitcnt lgkmcnt(1)
	v_mov_b32_e32 v22, v24
	s_waitcnt lgkmcnt(0)
	v_cmp_lt_f64_e64 s9, v[19:20], v[21:22]
	v_add_nc_u32_e32 v22, 0, v38
	v_cndmask_b32_e64 v20, v20, v24, s9
	v_cndmask_b32_e64 v19, v19, v21, s9
	ds_write_b64 v22, v[19:20]
.LBB32_20:
	s_or_b32 exec_lo, exec_lo, s10
	s_lshr_b32 s9, s12, 5
	v_mov_b32_e32 v19, -1
	v_cmp_gt_u32_e64 s9, s9, v0
	v_mov_b32_e32 v20, 0xffefffff
	v_lshl_add_u32 v39, v23, 3, 0
	s_waitcnt lgkmcnt(0)
	s_barrier
	buffer_gl0_inv
	s_and_saveexec_b32 s10, s9
	s_cbranch_execnz .LBB32_50
; %bb.21:
	s_or_b32 exec_lo, exec_lo, s10
	v_cmp_gt_u32_e64 s10, 32, v0
	s_and_saveexec_b32 s12, s10
	s_cbranch_execnz .LBB32_51
.LBB32_22:
	s_or_b32 exec_lo, exec_lo, s12
	v_cmp_eq_u32_e64 s11, 0, v0
	s_and_saveexec_b32 s12, s11
	s_cbranch_execz .LBB32_24
.LBB32_23:
	v_mov_b32_e32 v0, 0
	s_waitcnt lgkmcnt(0)
	ds_write_b64 v0, v[19:20]
.LBB32_24:
	s_or_b32 exec_lo, exec_lo, s12
	v_mov_b32_e32 v0, 0
	s_waitcnt lgkmcnt(0)
	s_barrier
	buffer_gl0_inv
	v_mov_b32_e32 v21, 0
	ds_read_b64 v[19:20], v0
	v_mov_b32_e32 v22, 0
	s_and_saveexec_b32 s18, vcc_lo
	s_cbranch_execnz .LBB32_52
; %bb.25:
	s_or_b32 exec_lo, exec_lo, s18
	s_and_saveexec_b32 s18, s0
	s_cbranch_execnz .LBB32_53
.LBB32_26:
	s_or_b32 exec_lo, exec_lo, s18
	s_and_saveexec_b32 s18, s1
	s_cbranch_execnz .LBB32_54
.LBB32_27:
	s_or_b32 exec_lo, exec_lo, s18
	s_and_saveexec_b32 s18, s2
	s_cbranch_execnz .LBB32_55
.LBB32_28:
	s_or_b32 exec_lo, exec_lo, s18
	s_and_saveexec_b32 s18, s3
	s_cbranch_execnz .LBB32_56
.LBB32_29:
	s_or_b32 exec_lo, exec_lo, s18
	s_and_saveexec_b32 s18, s4
	s_cbranch_execnz .LBB32_57
.LBB32_30:
	s_or_b32 exec_lo, exec_lo, s18
	s_and_saveexec_b32 s18, s5
	s_cbranch_execnz .LBB32_58
.LBB32_31:
	s_or_b32 exec_lo, exec_lo, s18
	s_and_saveexec_b32 s18, s6
	s_cbranch_execnz .LBB32_59
.LBB32_32:
	s_or_b32 exec_lo, exec_lo, s18
	s_and_saveexec_b32 s18, s7
	s_cbranch_execz .LBB32_34
.LBB32_33:
	s_waitcnt lgkmcnt(0)
	v_add_f64 v[23:24], v[17:18], -v[19:20]
	s_mov_b32 s12, 0x652b82fe
	s_mov_b32 s13, 0x3ff71547
	;; [unrolled: 1-line block ×4, first 2 shown]
	v_mul_f64 v[40:41], v[23:24], s[12:13]
	s_mov_b32 s12, 0xfefa39ef
	s_mov_b32 s13, 0xbfe62e42
	v_rndne_f64_e32 v[40:41], v[40:41]
	v_fma_f64 v[42:43], v[40:41], s[12:13], v[23:24]
	s_mov_b32 s12, 0x3b39803f
	s_mov_b32 s13, 0xbc7abc9e
	v_cvt_i32_f64_e32 v0, v[40:41]
	v_fma_f64 v[42:43], v[40:41], s[12:13], v[42:43]
	s_mov_b32 s12, 0xfca7ab0c
	s_mov_b32 s13, 0x3e928af3
	v_fma_f64 v[44:45], v[42:43], s[20:21], s[12:13]
	s_mov_b32 s12, 0x623fde64
	s_mov_b32 s13, 0x3ec71dee
	;; [unrolled: 3-line block ×9, first 2 shown]
	v_fma_f64 v[44:45], v[42:43], v[44:45], s[12:13]
	v_cmp_nlt_f64_e64 s12, 0x40900000, v[23:24]
	v_cmp_ngt_f64_e64 s13, 0xc090cc00, v[23:24]
	v_fma_f64 v[44:45], v[42:43], v[44:45], 1.0
	v_fma_f64 v[40:41], v[42:43], v[44:45], 1.0
	v_ldexp_f64 v[40:41], v[40:41], v0
	v_cndmask_b32_e64 v0, 0x7ff00000, v41, s12
	s_and_b32 s12, s13, s12
	v_cndmask_b32_e64 v23, 0, v40, s12
	v_cndmask_b32_e64 v24, 0, v0, s13
	v_add_f64 v[21:22], v[21:22], v[23:24]
.LBB32_34:
	s_or_b32 exec_lo, exec_lo, s18
	ds_bpermute_b32 v23, v33, v21
	ds_bpermute_b32 v24, v33, v22
	s_waitcnt lgkmcnt(0)
	s_barrier
	buffer_gl0_inv
	v_add_f64 v[21:22], v[21:22], v[23:24]
	ds_bpermute_b32 v23, v34, v21
	ds_bpermute_b32 v24, v34, v22
	s_waitcnt lgkmcnt(0)
	v_add_f64 v[21:22], v[21:22], v[23:24]
	ds_bpermute_b32 v23, v35, v21
	ds_bpermute_b32 v24, v35, v22
	s_waitcnt lgkmcnt(0)
	;; [unrolled: 4-line block ×3, first 2 shown]
	v_add_f64 v[21:22], v[21:22], v[23:24]
	ds_bpermute_b32 v23, v37, v21
	ds_bpermute_b32 v24, v37, v22
	s_and_saveexec_b32 s12, s8
	s_xor_b32 s8, exec_lo, s12
	s_cbranch_execz .LBB32_36
; %bb.35:
	s_waitcnt lgkmcnt(0)
	v_add_f64 v[21:22], v[21:22], v[23:24]
	v_add_nc_u32_e32 v0, 0, v38
	ds_write_b64 v0, v[21:22]
.LBB32_36:
	s_or_b32 exec_lo, exec_lo, s8
	v_mov_b32_e32 v21, 0
	v_mov_b32_e32 v22, 0
	s_waitcnt lgkmcnt(0)
	s_barrier
	buffer_gl0_inv
	s_and_saveexec_b32 s8, s9
	s_cbranch_execnz .LBB32_60
; %bb.37:
	s_or_b32 exec_lo, exec_lo, s8
	s_and_saveexec_b32 s8, s10
	s_cbranch_execnz .LBB32_61
.LBB32_38:
	s_or_b32 exec_lo, exec_lo, s8
	s_and_saveexec_b32 s8, s11
	s_cbranch_execz .LBB32_40
.LBB32_39:
	v_mov_b32_e32 v0, 0
	s_waitcnt lgkmcnt(0)
	ds_write_b64 v0, v[21:22]
.LBB32_40:
	s_or_b32 exec_lo, exec_lo, s8
	v_mov_b32_e32 v0, 0
	s_waitcnt lgkmcnt(0)
	s_barrier
	buffer_gl0_inv
	s_mov_b32 s11, 0x3fe55555
	ds_read_b64 v[22:23], v0
	s_mov_b32 s10, 0x55555555
	s_mov_b32 s12, 0x6b47b09a
	;; [unrolled: 1-line block ×5, first 2 shown]
	s_waitcnt lgkmcnt(0)
	v_frexp_mant_f64_e32 v[33:34], v[22:23]
	v_cmp_gt_f64_e64 s8, s[10:11], v[33:34]
	s_mov_b32 s10, 0x55555780
	v_cndmask_b32_e64 v0, 0, 1, s8
	v_ldexp_f64 v[33:34], v[33:34], v0
	v_frexp_exp_i32_f64_e32 v0, v[22:23]
	v_add_f64 v[35:36], v[33:34], 1.0
	v_add_f64 v[41:42], v[33:34], -1.0
	v_subrev_co_ci_u32_e64 v0, null, 0, v0, s8
	s_mov_b32 s8, 0xfefa39ef
	s_mov_b32 s9, 0x3fe62e42
	v_rcp_f64_e32 v[37:38], v[35:36]
	v_add_f64 v[43:44], v[35:36], -1.0
	v_add_f64 v[33:34], v[33:34], -v[43:44]
	v_fma_f64 v[39:40], -v[35:36], v[37:38], 1.0
	v_fma_f64 v[37:38], v[39:40], v[37:38], v[37:38]
	v_fma_f64 v[39:40], -v[35:36], v[37:38], 1.0
	v_fma_f64 v[37:38], v[39:40], v[37:38], v[37:38]
	v_mul_f64 v[39:40], v[41:42], v[37:38]
	v_mul_f64 v[45:46], v[35:36], v[39:40]
	v_fma_f64 v[35:36], v[39:40], v[35:36], -v[45:46]
	v_fma_f64 v[33:34], v[39:40], v[33:34], v[35:36]
	v_add_f64 v[35:36], v[45:46], v[33:34]
	v_add_f64 v[43:44], v[41:42], -v[35:36]
	v_add_f64 v[45:46], v[35:36], -v[45:46]
	;; [unrolled: 1-line block ×5, first 2 shown]
	v_add_f64 v[33:34], v[33:34], v[35:36]
	v_add_f64 v[33:34], v[43:44], v[33:34]
	v_mul_f64 v[33:34], v[37:38], v[33:34]
	v_add_f64 v[35:36], v[39:40], v[33:34]
	v_mul_f64 v[37:38], v[35:36], v[35:36]
	v_fma_f64 v[41:42], v[37:38], s[18:19], s[12:13]
	s_mov_b32 s12, 0xd7f4df2e
	s_mov_b32 s13, 0x3fc7474d
	v_mul_f64 v[43:44], v[35:36], v[37:38]
	v_fma_f64 v[41:42], v[37:38], v[41:42], s[12:13]
	s_mov_b32 s12, 0x16291751
	s_mov_b32 s13, 0x3fcc71c0
	v_fma_f64 v[41:42], v[37:38], v[41:42], s[12:13]
	s_mov_b32 s12, 0x9b27acf1
	s_mov_b32 s13, 0x3fd24924
	;; [unrolled: 3-line block ×3, first 2 shown]
	v_fma_f64 v[41:42], v[37:38], v[41:42], s[12:13]
	v_fma_f64 v[37:38], v[37:38], v[41:42], s[10:11]
	v_ldexp_f64 v[41:42], v[35:36], 1
	v_add_f64 v[35:36], v[35:36], -v[39:40]
	v_mul_f64 v[37:38], v[43:44], v[37:38]
	v_cvt_f64_i32_e32 v[43:44], v0
	v_add_f64 v[33:34], v[33:34], -v[35:36]
	v_add_f64 v[39:40], v[41:42], v[37:38]
	v_mul_f64 v[45:46], v[43:44], s[8:9]
	v_ldexp_f64 v[33:34], v[33:34], 1
	v_add_f64 v[35:36], v[39:40], -v[41:42]
	v_fma_f64 v[41:42], v[43:44], s[8:9], -v[45:46]
	s_mov_b32 s8, 0x3b39803f
	s_mov_b32 s9, 0x3c7abc9e
	v_add_f64 v[35:36], v[37:38], -v[35:36]
	v_fma_f64 v[37:38], v[43:44], s[8:9], v[41:42]
	v_cmp_class_f64_e64 s8, v[22:23], 0x204
	v_add_f64 v[33:34], v[33:34], v[35:36]
	v_add_f64 v[35:36], v[45:46], v[37:38]
	v_add_f64 v[41:42], v[39:40], v[33:34]
	v_add_f64 v[45:46], v[35:36], -v[45:46]
	v_add_f64 v[43:44], v[35:36], v[41:42]
	v_add_f64 v[39:40], v[41:42], -v[39:40]
	v_add_f64 v[37:38], v[37:38], -v[45:46]
	;; [unrolled: 1-line block ×6, first 2 shown]
	v_add_f64 v[41:42], v[37:38], v[33:34]
	v_add_f64 v[35:36], v[35:36], -v[49:50]
	v_add_f64 v[35:36], v[39:40], v[35:36]
	v_add_f64 v[39:40], v[41:42], -v[37:38]
	;; [unrolled: 2-line block ×3, first 2 shown]
	v_add_f64 v[33:34], v[33:34], -v[39:40]
	v_add_f64 v[45:46], v[43:44], v[35:36]
	v_add_f64 v[37:38], v[37:38], -v[41:42]
	v_add_f64 v[39:40], v[45:46], -v[43:44]
	v_add_f64 v[33:34], v[33:34], v[37:38]
	v_add_f64 v[35:36], v[35:36], -v[39:40]
	v_add_f64 v[33:34], v[33:34], v[35:36]
	v_add_f64 v[33:34], v[45:46], v[33:34]
	v_cndmask_b32_e64 v0, v33, v22, s8
	v_cndmask_b32_e64 v21, v34, v23, s8
	v_cmp_ngt_f64_e64 s8, 0, v[22:23]
	v_cndmask_b32_e64 v24, 0x7ff80000, v21, s8
	v_cmp_nge_f64_e64 s8, 0, v[22:23]
	v_cndmask_b32_e64 v21, 0, v0, s8
	v_cmp_neq_f64_e64 s8, 0, v[22:23]
	v_cndmask_b32_e64 v22, 0xfff00000, v24, s8
	s_add_u32 s8, s16, s14
	s_addc_u32 s9, s17, s15
	s_and_saveexec_b32 s10, vcc_lo
	s_cbranch_execnz .LBB32_62
; %bb.41:
	s_or_b32 exec_lo, exec_lo, s10
	s_and_saveexec_b32 s10, s0
	s_cbranch_execnz .LBB32_63
.LBB32_42:
	s_or_b32 exec_lo, exec_lo, s10
	s_and_saveexec_b32 s0, s1
	s_cbranch_execnz .LBB32_64
.LBB32_43:
	s_or_b32 exec_lo, exec_lo, s0
	s_and_saveexec_b32 s0, s2
	s_cbranch_execnz .LBB32_65
.LBB32_44:
	s_or_b32 exec_lo, exec_lo, s0
	s_and_saveexec_b32 s0, s3
	s_cbranch_execnz .LBB32_66
.LBB32_45:
	s_or_b32 exec_lo, exec_lo, s0
	s_and_saveexec_b32 s0, s4
	s_cbranch_execnz .LBB32_67
.LBB32_46:
	s_or_b32 exec_lo, exec_lo, s0
	s_and_saveexec_b32 s0, s5
	s_cbranch_execnz .LBB32_68
.LBB32_47:
	s_or_b32 exec_lo, exec_lo, s0
	s_and_saveexec_b32 s0, s6
	s_cbranch_execnz .LBB32_69
.LBB32_48:
	s_or_b32 exec_lo, exec_lo, s0
	s_and_saveexec_b32 s0, s7
	s_cbranch_execnz .LBB32_70
.LBB32_49:
	s_endpgm
.LBB32_50:
	ds_read_b64 v[19:20], v39
	s_or_b32 exec_lo, exec_lo, s10
	v_cmp_gt_u32_e64 s10, 32, v0
	s_and_saveexec_b32 s12, s10
	s_cbranch_execz .LBB32_22
.LBB32_51:
	s_waitcnt lgkmcnt(0)
	ds_bpermute_b32 v23, v33, v20
	ds_bpermute_b32 v21, v33, v19
	s_waitcnt lgkmcnt(1)
	v_mov_b32_e32 v22, v23
	s_waitcnt lgkmcnt(0)
	v_cmp_lt_f64_e64 s11, v[19:20], v[21:22]
	v_cndmask_b32_e64 v20, v20, v23, s11
	v_cndmask_b32_e64 v19, v19, v21, s11
	ds_bpermute_b32 v23, v34, v20
	ds_bpermute_b32 v21, v34, v19
	s_waitcnt lgkmcnt(1)
	v_mov_b32_e32 v22, v23
	s_waitcnt lgkmcnt(0)
	v_cmp_lt_f64_e64 s11, v[19:20], v[21:22]
	v_cndmask_b32_e64 v20, v20, v23, s11
	v_cndmask_b32_e64 v19, v19, v21, s11
	;; [unrolled: 8-line block ×5, first 2 shown]
	s_or_b32 exec_lo, exec_lo, s12
	v_cmp_eq_u32_e64 s11, 0, v0
	s_and_saveexec_b32 s12, s11
	s_cbranch_execnz .LBB32_23
	s_branch .LBB32_24
.LBB32_52:
	s_waitcnt lgkmcnt(0)
	v_add_f64 v[21:22], v[1:2], -v[19:20]
	s_mov_b32 s12, 0x652b82fe
	s_mov_b32 s13, 0x3ff71547
	;; [unrolled: 1-line block ×4, first 2 shown]
	v_mul_f64 v[23:24], v[21:22], s[12:13]
	s_mov_b32 s12, 0xfefa39ef
	s_mov_b32 s13, 0xbfe62e42
	v_rndne_f64_e32 v[23:24], v[23:24]
	v_fma_f64 v[40:41], v[23:24], s[12:13], v[21:22]
	s_mov_b32 s12, 0x3b39803f
	s_mov_b32 s13, 0xbc7abc9e
	v_cvt_i32_f64_e32 v0, v[23:24]
	v_fma_f64 v[40:41], v[23:24], s[12:13], v[40:41]
	s_mov_b32 s12, 0xfca7ab0c
	s_mov_b32 s13, 0x3e928af3
	v_fma_f64 v[42:43], v[40:41], s[20:21], s[12:13]
	s_mov_b32 s12, 0x623fde64
	s_mov_b32 s13, 0x3ec71dee
	;; [unrolled: 3-line block ×9, first 2 shown]
	v_fma_f64 v[42:43], v[40:41], v[42:43], s[12:13]
	v_cmp_nlt_f64_e64 s12, 0x40900000, v[21:22]
	v_cmp_ngt_f64_e64 s13, 0xc090cc00, v[21:22]
	v_fma_f64 v[42:43], v[40:41], v[42:43], 1.0
	v_fma_f64 v[23:24], v[40:41], v[42:43], 1.0
	v_ldexp_f64 v[23:24], v[23:24], v0
	v_add_f64 v[23:24], v[23:24], 0
	v_cndmask_b32_e64 v0, 0x7ff00000, v24, s12
	s_and_b32 s12, s13, s12
	v_cndmask_b32_e64 v21, 0, v23, s12
	v_cndmask_b32_e64 v22, 0, v0, s13
	s_or_b32 exec_lo, exec_lo, s18
	s_and_saveexec_b32 s18, s0
	s_cbranch_execz .LBB32_26
.LBB32_53:
	s_waitcnt lgkmcnt(0)
	v_add_f64 v[23:24], v[3:4], -v[19:20]
	s_mov_b32 s12, 0x652b82fe
	s_mov_b32 s13, 0x3ff71547
	;; [unrolled: 1-line block ×4, first 2 shown]
	v_mul_f64 v[40:41], v[23:24], s[12:13]
	s_mov_b32 s12, 0xfefa39ef
	s_mov_b32 s13, 0xbfe62e42
	v_rndne_f64_e32 v[40:41], v[40:41]
	v_fma_f64 v[42:43], v[40:41], s[12:13], v[23:24]
	s_mov_b32 s12, 0x3b39803f
	s_mov_b32 s13, 0xbc7abc9e
	v_cvt_i32_f64_e32 v0, v[40:41]
	v_fma_f64 v[42:43], v[40:41], s[12:13], v[42:43]
	s_mov_b32 s12, 0xfca7ab0c
	s_mov_b32 s13, 0x3e928af3
	v_fma_f64 v[44:45], v[42:43], s[20:21], s[12:13]
	s_mov_b32 s12, 0x623fde64
	s_mov_b32 s13, 0x3ec71dee
	;; [unrolled: 3-line block ×9, first 2 shown]
	v_fma_f64 v[44:45], v[42:43], v[44:45], s[12:13]
	v_cmp_nlt_f64_e64 s12, 0x40900000, v[23:24]
	v_cmp_ngt_f64_e64 s13, 0xc090cc00, v[23:24]
	v_fma_f64 v[44:45], v[42:43], v[44:45], 1.0
	v_fma_f64 v[40:41], v[42:43], v[44:45], 1.0
	v_ldexp_f64 v[40:41], v[40:41], v0
	v_cndmask_b32_e64 v0, 0x7ff00000, v41, s12
	s_and_b32 s12, s13, s12
	v_cndmask_b32_e64 v23, 0, v40, s12
	v_cndmask_b32_e64 v24, 0, v0, s13
	v_add_f64 v[21:22], v[21:22], v[23:24]
	s_or_b32 exec_lo, exec_lo, s18
	s_and_saveexec_b32 s18, s1
	s_cbranch_execz .LBB32_27
.LBB32_54:
	s_waitcnt lgkmcnt(0)
	v_add_f64 v[23:24], v[5:6], -v[19:20]
	s_mov_b32 s12, 0x652b82fe
	s_mov_b32 s13, 0x3ff71547
	;; [unrolled: 1-line block ×4, first 2 shown]
	v_mul_f64 v[40:41], v[23:24], s[12:13]
	s_mov_b32 s12, 0xfefa39ef
	s_mov_b32 s13, 0xbfe62e42
	v_rndne_f64_e32 v[40:41], v[40:41]
	v_fma_f64 v[42:43], v[40:41], s[12:13], v[23:24]
	s_mov_b32 s12, 0x3b39803f
	s_mov_b32 s13, 0xbc7abc9e
	v_cvt_i32_f64_e32 v0, v[40:41]
	v_fma_f64 v[42:43], v[40:41], s[12:13], v[42:43]
	s_mov_b32 s12, 0xfca7ab0c
	s_mov_b32 s13, 0x3e928af3
	v_fma_f64 v[44:45], v[42:43], s[20:21], s[12:13]
	s_mov_b32 s12, 0x623fde64
	s_mov_b32 s13, 0x3ec71dee
	;; [unrolled: 3-line block ×9, first 2 shown]
	v_fma_f64 v[44:45], v[42:43], v[44:45], s[12:13]
	v_cmp_nlt_f64_e64 s12, 0x40900000, v[23:24]
	v_cmp_ngt_f64_e64 s13, 0xc090cc00, v[23:24]
	v_fma_f64 v[44:45], v[42:43], v[44:45], 1.0
	v_fma_f64 v[40:41], v[42:43], v[44:45], 1.0
	v_ldexp_f64 v[40:41], v[40:41], v0
	v_cndmask_b32_e64 v0, 0x7ff00000, v41, s12
	s_and_b32 s12, s13, s12
	v_cndmask_b32_e64 v23, 0, v40, s12
	v_cndmask_b32_e64 v24, 0, v0, s13
	v_add_f64 v[21:22], v[21:22], v[23:24]
	s_or_b32 exec_lo, exec_lo, s18
	s_and_saveexec_b32 s18, s2
	s_cbranch_execz .LBB32_28
.LBB32_55:
	s_waitcnt lgkmcnt(0)
	v_add_f64 v[23:24], v[7:8], -v[19:20]
	s_mov_b32 s12, 0x652b82fe
	s_mov_b32 s13, 0x3ff71547
	;; [unrolled: 1-line block ×4, first 2 shown]
	v_mul_f64 v[40:41], v[23:24], s[12:13]
	s_mov_b32 s12, 0xfefa39ef
	s_mov_b32 s13, 0xbfe62e42
	v_rndne_f64_e32 v[40:41], v[40:41]
	v_fma_f64 v[42:43], v[40:41], s[12:13], v[23:24]
	s_mov_b32 s12, 0x3b39803f
	s_mov_b32 s13, 0xbc7abc9e
	v_cvt_i32_f64_e32 v0, v[40:41]
	v_fma_f64 v[42:43], v[40:41], s[12:13], v[42:43]
	s_mov_b32 s12, 0xfca7ab0c
	s_mov_b32 s13, 0x3e928af3
	v_fma_f64 v[44:45], v[42:43], s[20:21], s[12:13]
	s_mov_b32 s12, 0x623fde64
	s_mov_b32 s13, 0x3ec71dee
	;; [unrolled: 3-line block ×9, first 2 shown]
	v_fma_f64 v[44:45], v[42:43], v[44:45], s[12:13]
	v_cmp_nlt_f64_e64 s12, 0x40900000, v[23:24]
	v_cmp_ngt_f64_e64 s13, 0xc090cc00, v[23:24]
	v_fma_f64 v[44:45], v[42:43], v[44:45], 1.0
	v_fma_f64 v[40:41], v[42:43], v[44:45], 1.0
	v_ldexp_f64 v[40:41], v[40:41], v0
	v_cndmask_b32_e64 v0, 0x7ff00000, v41, s12
	s_and_b32 s12, s13, s12
	v_cndmask_b32_e64 v23, 0, v40, s12
	v_cndmask_b32_e64 v24, 0, v0, s13
	v_add_f64 v[21:22], v[21:22], v[23:24]
	s_or_b32 exec_lo, exec_lo, s18
	s_and_saveexec_b32 s18, s3
	s_cbranch_execz .LBB32_29
.LBB32_56:
	s_waitcnt lgkmcnt(0)
	v_add_f64 v[23:24], v[9:10], -v[19:20]
	s_mov_b32 s12, 0x652b82fe
	s_mov_b32 s13, 0x3ff71547
	s_mov_b32 s20, 0x6a5dcb37
	s_mov_b32 s21, 0x3e5ade15
	v_mul_f64 v[40:41], v[23:24], s[12:13]
	s_mov_b32 s12, 0xfefa39ef
	s_mov_b32 s13, 0xbfe62e42
	v_rndne_f64_e32 v[40:41], v[40:41]
	v_fma_f64 v[42:43], v[40:41], s[12:13], v[23:24]
	s_mov_b32 s12, 0x3b39803f
	s_mov_b32 s13, 0xbc7abc9e
	v_cvt_i32_f64_e32 v0, v[40:41]
	v_fma_f64 v[42:43], v[40:41], s[12:13], v[42:43]
	s_mov_b32 s12, 0xfca7ab0c
	s_mov_b32 s13, 0x3e928af3
	v_fma_f64 v[44:45], v[42:43], s[20:21], s[12:13]
	s_mov_b32 s12, 0x623fde64
	s_mov_b32 s13, 0x3ec71dee
	;; [unrolled: 3-line block ×9, first 2 shown]
	v_fma_f64 v[44:45], v[42:43], v[44:45], s[12:13]
	v_cmp_nlt_f64_e64 s12, 0x40900000, v[23:24]
	v_cmp_ngt_f64_e64 s13, 0xc090cc00, v[23:24]
	v_fma_f64 v[44:45], v[42:43], v[44:45], 1.0
	v_fma_f64 v[40:41], v[42:43], v[44:45], 1.0
	v_ldexp_f64 v[40:41], v[40:41], v0
	v_cndmask_b32_e64 v0, 0x7ff00000, v41, s12
	s_and_b32 s12, s13, s12
	v_cndmask_b32_e64 v23, 0, v40, s12
	v_cndmask_b32_e64 v24, 0, v0, s13
	v_add_f64 v[21:22], v[21:22], v[23:24]
	s_or_b32 exec_lo, exec_lo, s18
	s_and_saveexec_b32 s18, s4
	s_cbranch_execz .LBB32_30
.LBB32_57:
	s_waitcnt lgkmcnt(0)
	v_add_f64 v[23:24], v[11:12], -v[19:20]
	s_mov_b32 s12, 0x652b82fe
	s_mov_b32 s13, 0x3ff71547
	;; [unrolled: 1-line block ×4, first 2 shown]
	v_mul_f64 v[40:41], v[23:24], s[12:13]
	s_mov_b32 s12, 0xfefa39ef
	s_mov_b32 s13, 0xbfe62e42
	v_rndne_f64_e32 v[40:41], v[40:41]
	v_fma_f64 v[42:43], v[40:41], s[12:13], v[23:24]
	s_mov_b32 s12, 0x3b39803f
	s_mov_b32 s13, 0xbc7abc9e
	v_cvt_i32_f64_e32 v0, v[40:41]
	v_fma_f64 v[42:43], v[40:41], s[12:13], v[42:43]
	s_mov_b32 s12, 0xfca7ab0c
	s_mov_b32 s13, 0x3e928af3
	v_fma_f64 v[44:45], v[42:43], s[20:21], s[12:13]
	s_mov_b32 s12, 0x623fde64
	s_mov_b32 s13, 0x3ec71dee
	;; [unrolled: 3-line block ×9, first 2 shown]
	v_fma_f64 v[44:45], v[42:43], v[44:45], s[12:13]
	v_cmp_nlt_f64_e64 s12, 0x40900000, v[23:24]
	v_cmp_ngt_f64_e64 s13, 0xc090cc00, v[23:24]
	v_fma_f64 v[44:45], v[42:43], v[44:45], 1.0
	v_fma_f64 v[40:41], v[42:43], v[44:45], 1.0
	v_ldexp_f64 v[40:41], v[40:41], v0
	v_cndmask_b32_e64 v0, 0x7ff00000, v41, s12
	s_and_b32 s12, s13, s12
	v_cndmask_b32_e64 v23, 0, v40, s12
	v_cndmask_b32_e64 v24, 0, v0, s13
	v_add_f64 v[21:22], v[21:22], v[23:24]
	s_or_b32 exec_lo, exec_lo, s18
	s_and_saveexec_b32 s18, s5
	s_cbranch_execz .LBB32_31
.LBB32_58:
	s_waitcnt lgkmcnt(0)
	v_add_f64 v[23:24], v[13:14], -v[19:20]
	s_mov_b32 s12, 0x652b82fe
	s_mov_b32 s13, 0x3ff71547
	;; [unrolled: 1-line block ×4, first 2 shown]
	v_mul_f64 v[40:41], v[23:24], s[12:13]
	s_mov_b32 s12, 0xfefa39ef
	s_mov_b32 s13, 0xbfe62e42
	v_rndne_f64_e32 v[40:41], v[40:41]
	v_fma_f64 v[42:43], v[40:41], s[12:13], v[23:24]
	s_mov_b32 s12, 0x3b39803f
	s_mov_b32 s13, 0xbc7abc9e
	v_cvt_i32_f64_e32 v0, v[40:41]
	v_fma_f64 v[42:43], v[40:41], s[12:13], v[42:43]
	s_mov_b32 s12, 0xfca7ab0c
	s_mov_b32 s13, 0x3e928af3
	v_fma_f64 v[44:45], v[42:43], s[20:21], s[12:13]
	s_mov_b32 s12, 0x623fde64
	s_mov_b32 s13, 0x3ec71dee
	;; [unrolled: 3-line block ×9, first 2 shown]
	v_fma_f64 v[44:45], v[42:43], v[44:45], s[12:13]
	v_cmp_nlt_f64_e64 s12, 0x40900000, v[23:24]
	v_cmp_ngt_f64_e64 s13, 0xc090cc00, v[23:24]
	v_fma_f64 v[44:45], v[42:43], v[44:45], 1.0
	v_fma_f64 v[40:41], v[42:43], v[44:45], 1.0
	v_ldexp_f64 v[40:41], v[40:41], v0
	v_cndmask_b32_e64 v0, 0x7ff00000, v41, s12
	s_and_b32 s12, s13, s12
	v_cndmask_b32_e64 v23, 0, v40, s12
	v_cndmask_b32_e64 v24, 0, v0, s13
	v_add_f64 v[21:22], v[21:22], v[23:24]
	s_or_b32 exec_lo, exec_lo, s18
	s_and_saveexec_b32 s18, s6
	s_cbranch_execz .LBB32_32
.LBB32_59:
	s_waitcnt lgkmcnt(0)
	v_add_f64 v[23:24], v[15:16], -v[19:20]
	s_mov_b32 s12, 0x652b82fe
	s_mov_b32 s13, 0x3ff71547
	;; [unrolled: 1-line block ×4, first 2 shown]
	v_mul_f64 v[40:41], v[23:24], s[12:13]
	s_mov_b32 s12, 0xfefa39ef
	s_mov_b32 s13, 0xbfe62e42
	v_rndne_f64_e32 v[40:41], v[40:41]
	v_fma_f64 v[42:43], v[40:41], s[12:13], v[23:24]
	s_mov_b32 s12, 0x3b39803f
	s_mov_b32 s13, 0xbc7abc9e
	v_cvt_i32_f64_e32 v0, v[40:41]
	v_fma_f64 v[42:43], v[40:41], s[12:13], v[42:43]
	s_mov_b32 s12, 0xfca7ab0c
	s_mov_b32 s13, 0x3e928af3
	v_fma_f64 v[44:45], v[42:43], s[20:21], s[12:13]
	s_mov_b32 s12, 0x623fde64
	s_mov_b32 s13, 0x3ec71dee
	v_fma_f64 v[44:45], v[42:43], v[44:45], s[12:13]
	s_mov_b32 s12, 0x7c89e6b0
	s_mov_b32 s13, 0x3efa0199
	v_fma_f64 v[44:45], v[42:43], v[44:45], s[12:13]
	s_mov_b32 s12, 0x14761f6e
	s_mov_b32 s13, 0x3f2a01a0
	v_fma_f64 v[44:45], v[42:43], v[44:45], s[12:13]
	s_mov_b32 s12, 0x1852b7b0
	s_mov_b32 s13, 0x3f56c16c
	v_fma_f64 v[44:45], v[42:43], v[44:45], s[12:13]
	s_mov_b32 s12, 0x11122322
	s_mov_b32 s13, 0x3f811111
	v_fma_f64 v[44:45], v[42:43], v[44:45], s[12:13]
	s_mov_b32 s12, 0x555502a1
	s_mov_b32 s13, 0x3fa55555
	v_fma_f64 v[44:45], v[42:43], v[44:45], s[12:13]
	s_mov_b32 s12, 0x55555511
	s_mov_b32 s13, 0x3fc55555
	v_fma_f64 v[44:45], v[42:43], v[44:45], s[12:13]
	s_mov_b32 s12, 11
	s_mov_b32 s13, 0x3fe00000
	v_fma_f64 v[44:45], v[42:43], v[44:45], s[12:13]
	v_cmp_nlt_f64_e64 s12, 0x40900000, v[23:24]
	v_cmp_ngt_f64_e64 s13, 0xc090cc00, v[23:24]
	v_fma_f64 v[44:45], v[42:43], v[44:45], 1.0
	v_fma_f64 v[40:41], v[42:43], v[44:45], 1.0
	v_ldexp_f64 v[40:41], v[40:41], v0
	v_cndmask_b32_e64 v0, 0x7ff00000, v41, s12
	s_and_b32 s12, s13, s12
	v_cndmask_b32_e64 v23, 0, v40, s12
	v_cndmask_b32_e64 v24, 0, v0, s13
	v_add_f64 v[21:22], v[21:22], v[23:24]
	s_or_b32 exec_lo, exec_lo, s18
	s_and_saveexec_b32 s18, s7
	s_cbranch_execnz .LBB32_33
	s_branch .LBB32_34
.LBB32_60:
	ds_read_b64 v[21:22], v39
	s_or_b32 exec_lo, exec_lo, s8
	s_and_saveexec_b32 s8, s10
	s_cbranch_execz .LBB32_38
.LBB32_61:
	s_waitcnt lgkmcnt(0)
	ds_bpermute_b32 v23, v33, v21
	ds_bpermute_b32 v24, v33, v22
	s_waitcnt lgkmcnt(0)
	v_add_f64 v[21:22], v[21:22], v[23:24]
	ds_bpermute_b32 v23, v34, v21
	ds_bpermute_b32 v24, v34, v22
	s_waitcnt lgkmcnt(0)
	v_add_f64 v[21:22], v[21:22], v[23:24]
	;; [unrolled: 4-line block ×5, first 2 shown]
	s_or_b32 exec_lo, exec_lo, s8
	s_and_saveexec_b32 s8, s11
	s_cbranch_execnz .LBB32_39
	s_branch .LBB32_40
.LBB32_62:
	v_add_f64 v[0:1], v[1:2], -v[19:20]
	v_add_f64 v[0:1], v[0:1], -v[21:22]
	global_store_dwordx2 v52, v[0:1], s[8:9]
	s_or_b32 exec_lo, exec_lo, s10
	s_and_saveexec_b32 s10, s0
	s_cbranch_execz .LBB32_42
.LBB32_63:
	v_add_f64 v[0:1], v[3:4], -v[19:20]
	v_add_f64 v[0:1], v[0:1], -v[21:22]
	global_store_dwordx2 v25, v[0:1], s[8:9]
	s_or_b32 exec_lo, exec_lo, s10
	s_and_saveexec_b32 s0, s1
	s_cbranch_execz .LBB32_43
.LBB32_64:
	v_add_f64 v[0:1], v[5:6], -v[19:20]
	v_add_f64 v[0:1], v[0:1], -v[21:22]
	global_store_dwordx2 v26, v[0:1], s[8:9]
	s_or_b32 exec_lo, exec_lo, s0
	s_and_saveexec_b32 s0, s2
	s_cbranch_execz .LBB32_44
.LBB32_65:
	v_add_f64 v[0:1], v[7:8], -v[19:20]
	v_add_f64 v[0:1], v[0:1], -v[21:22]
	global_store_dwordx2 v27, v[0:1], s[8:9]
	s_or_b32 exec_lo, exec_lo, s0
	s_and_saveexec_b32 s0, s3
	s_cbranch_execz .LBB32_45
.LBB32_66:
	v_add_f64 v[0:1], v[9:10], -v[19:20]
	v_add_f64 v[0:1], v[0:1], -v[21:22]
	global_store_dwordx2 v28, v[0:1], s[8:9]
	s_or_b32 exec_lo, exec_lo, s0
	s_and_saveexec_b32 s0, s4
	s_cbranch_execz .LBB32_46
.LBB32_67:
	v_add_f64 v[0:1], v[11:12], -v[19:20]
	v_add_f64 v[0:1], v[0:1], -v[21:22]
	global_store_dwordx2 v29, v[0:1], s[8:9]
	s_or_b32 exec_lo, exec_lo, s0
	s_and_saveexec_b32 s0, s5
	s_cbranch_execz .LBB32_47
.LBB32_68:
	v_add_f64 v[0:1], v[13:14], -v[19:20]
	v_add_f64 v[0:1], v[0:1], -v[21:22]
	global_store_dwordx2 v30, v[0:1], s[8:9]
	s_or_b32 exec_lo, exec_lo, s0
	s_and_saveexec_b32 s0, s6
	s_cbranch_execz .LBB32_48
.LBB32_69:
	v_add_f64 v[0:1], v[15:16], -v[19:20]
	v_add_f64 v[0:1], v[0:1], -v[21:22]
	global_store_dwordx2 v31, v[0:1], s[8:9]
	s_or_b32 exec_lo, exec_lo, s0
	s_and_saveexec_b32 s0, s7
	s_cbranch_execz .LBB32_49
.LBB32_70:
	v_add_f64 v[0:1], v[17:18], -v[19:20]
	v_add_f64 v[0:1], v[0:1], -v[21:22]
	global_store_dwordx2 v32, v[0:1], s[8:9]
	s_endpgm
	.section	.rodata,"a",@progbits
	.p2align	6, 0x0
	.amdhsa_kernel _ZN2at6native12_GLOBAL__N_122cunn_SoftMaxForwardRegIdddNS1_25LogSoftMaxForwardEpilogueElLi9EEEvPT1_PKT_T3_
		.amdhsa_group_segment_fixed_size 0
		.amdhsa_private_segment_fixed_size 0
		.amdhsa_kernarg_size 280
		.amdhsa_user_sgpr_count 6
		.amdhsa_user_sgpr_private_segment_buffer 1
		.amdhsa_user_sgpr_dispatch_ptr 0
		.amdhsa_user_sgpr_queue_ptr 0
		.amdhsa_user_sgpr_kernarg_segment_ptr 1
		.amdhsa_user_sgpr_dispatch_id 0
		.amdhsa_user_sgpr_flat_scratch_init 0
		.amdhsa_user_sgpr_private_segment_size 0
		.amdhsa_wavefront_size32 1
		.amdhsa_uses_dynamic_stack 0
		.amdhsa_system_sgpr_private_segment_wavefront_offset 0
		.amdhsa_system_sgpr_workgroup_id_x 1
		.amdhsa_system_sgpr_workgroup_id_y 0
		.amdhsa_system_sgpr_workgroup_id_z 0
		.amdhsa_system_sgpr_workgroup_info 0
		.amdhsa_system_vgpr_workitem_id 0
		.amdhsa_next_free_vgpr 64
		.amdhsa_next_free_sgpr 22
		.amdhsa_reserve_vcc 1
		.amdhsa_reserve_flat_scratch 0
		.amdhsa_float_round_mode_32 0
		.amdhsa_float_round_mode_16_64 0
		.amdhsa_float_denorm_mode_32 3
		.amdhsa_float_denorm_mode_16_64 3
		.amdhsa_dx10_clamp 1
		.amdhsa_ieee_mode 1
		.amdhsa_fp16_overflow 0
		.amdhsa_workgroup_processor_mode 1
		.amdhsa_memory_ordered 1
		.amdhsa_forward_progress 1
		.amdhsa_shared_vgpr_count 0
		.amdhsa_exception_fp_ieee_invalid_op 0
		.amdhsa_exception_fp_denorm_src 0
		.amdhsa_exception_fp_ieee_div_zero 0
		.amdhsa_exception_fp_ieee_overflow 0
		.amdhsa_exception_fp_ieee_underflow 0
		.amdhsa_exception_fp_ieee_inexact 0
		.amdhsa_exception_int_div_zero 0
	.end_amdhsa_kernel
	.section	.text._ZN2at6native12_GLOBAL__N_122cunn_SoftMaxForwardRegIdddNS1_25LogSoftMaxForwardEpilogueElLi9EEEvPT1_PKT_T3_,"axG",@progbits,_ZN2at6native12_GLOBAL__N_122cunn_SoftMaxForwardRegIdddNS1_25LogSoftMaxForwardEpilogueElLi9EEEvPT1_PKT_T3_,comdat
.Lfunc_end32:
	.size	_ZN2at6native12_GLOBAL__N_122cunn_SoftMaxForwardRegIdddNS1_25LogSoftMaxForwardEpilogueElLi9EEEvPT1_PKT_T3_, .Lfunc_end32-_ZN2at6native12_GLOBAL__N_122cunn_SoftMaxForwardRegIdddNS1_25LogSoftMaxForwardEpilogueElLi9EEEvPT1_PKT_T3_
                                        ; -- End function
	.set _ZN2at6native12_GLOBAL__N_122cunn_SoftMaxForwardRegIdddNS1_25LogSoftMaxForwardEpilogueElLi9EEEvPT1_PKT_T3_.num_vgpr, 64
	.set _ZN2at6native12_GLOBAL__N_122cunn_SoftMaxForwardRegIdddNS1_25LogSoftMaxForwardEpilogueElLi9EEEvPT1_PKT_T3_.num_agpr, 0
	.set _ZN2at6native12_GLOBAL__N_122cunn_SoftMaxForwardRegIdddNS1_25LogSoftMaxForwardEpilogueElLi9EEEvPT1_PKT_T3_.numbered_sgpr, 22
	.set _ZN2at6native12_GLOBAL__N_122cunn_SoftMaxForwardRegIdddNS1_25LogSoftMaxForwardEpilogueElLi9EEEvPT1_PKT_T3_.num_named_barrier, 0
	.set _ZN2at6native12_GLOBAL__N_122cunn_SoftMaxForwardRegIdddNS1_25LogSoftMaxForwardEpilogueElLi9EEEvPT1_PKT_T3_.private_seg_size, 0
	.set _ZN2at6native12_GLOBAL__N_122cunn_SoftMaxForwardRegIdddNS1_25LogSoftMaxForwardEpilogueElLi9EEEvPT1_PKT_T3_.uses_vcc, 1
	.set _ZN2at6native12_GLOBAL__N_122cunn_SoftMaxForwardRegIdddNS1_25LogSoftMaxForwardEpilogueElLi9EEEvPT1_PKT_T3_.uses_flat_scratch, 0
	.set _ZN2at6native12_GLOBAL__N_122cunn_SoftMaxForwardRegIdddNS1_25LogSoftMaxForwardEpilogueElLi9EEEvPT1_PKT_T3_.has_dyn_sized_stack, 0
	.set _ZN2at6native12_GLOBAL__N_122cunn_SoftMaxForwardRegIdddNS1_25LogSoftMaxForwardEpilogueElLi9EEEvPT1_PKT_T3_.has_recursion, 0
	.set _ZN2at6native12_GLOBAL__N_122cunn_SoftMaxForwardRegIdddNS1_25LogSoftMaxForwardEpilogueElLi9EEEvPT1_PKT_T3_.has_indirect_call, 0
	.section	.AMDGPU.csdata,"",@progbits
; Kernel info:
; codeLenInByte = 7388
; TotalNumSgprs: 24
; NumVgprs: 64
; ScratchSize: 0
; MemoryBound: 0
; FloatMode: 240
; IeeeMode: 1
; LDSByteSize: 0 bytes/workgroup (compile time only)
; SGPRBlocks: 0
; VGPRBlocks: 7
; NumSGPRsForWavesPerEU: 24
; NumVGPRsForWavesPerEU: 64
; Occupancy: 16
; WaveLimiterHint : 0
; COMPUTE_PGM_RSRC2:SCRATCH_EN: 0
; COMPUTE_PGM_RSRC2:USER_SGPR: 6
; COMPUTE_PGM_RSRC2:TRAP_HANDLER: 0
; COMPUTE_PGM_RSRC2:TGID_X_EN: 1
; COMPUTE_PGM_RSRC2:TGID_Y_EN: 0
; COMPUTE_PGM_RSRC2:TGID_Z_EN: 0
; COMPUTE_PGM_RSRC2:TIDIG_COMP_CNT: 0
	.section	.text._ZN2at6native12_GLOBAL__N_123cunn_SoftMaxForwardSmemILi2EdddNS1_25LogSoftMaxForwardEpilogueElEEvPT2_PKT0_T4_,"axG",@progbits,_ZN2at6native12_GLOBAL__N_123cunn_SoftMaxForwardSmemILi2EdddNS1_25LogSoftMaxForwardEpilogueElEEvPT2_PKT0_T4_,comdat
	.globl	_ZN2at6native12_GLOBAL__N_123cunn_SoftMaxForwardSmemILi2EdddNS1_25LogSoftMaxForwardEpilogueElEEvPT2_PKT0_T4_ ; -- Begin function _ZN2at6native12_GLOBAL__N_123cunn_SoftMaxForwardSmemILi2EdddNS1_25LogSoftMaxForwardEpilogueElEEvPT2_PKT0_T4_
	.p2align	8
	.type	_ZN2at6native12_GLOBAL__N_123cunn_SoftMaxForwardSmemILi2EdddNS1_25LogSoftMaxForwardEpilogueElEEvPT2_PKT0_T4_,@function
_ZN2at6native12_GLOBAL__N_123cunn_SoftMaxForwardSmemILi2EdddNS1_25LogSoftMaxForwardEpilogueElEEvPT2_PKT0_T4_: ; @_ZN2at6native12_GLOBAL__N_123cunn_SoftMaxForwardSmemILi2EdddNS1_25LogSoftMaxForwardEpilogueElEEvPT2_PKT0_T4_
; %bb.0:
	s_clause 0x1
	s_load_dwordx2 s[12:13], s[4:5], 0x10
	s_load_dwordx4 s[8:11], s[4:5], 0x0
	v_mov_b32_e32 v1, 0
	v_lshlrev_b32_e32 v3, 1, v0
	v_mov_b32_e32 v2, -1
	v_lshlrev_b32_e32 v8, 4, v0
	s_mov_b32 s2, 0
	v_mov_b32_e32 v4, v1
	s_waitcnt lgkmcnt(0)
	v_cmp_gt_i64_e32 vcc_lo, s[12:13], v[3:4]
	v_mov_b32_e32 v3, 0xffefffff
	s_mul_i32 s33, s13, s6
	s_mul_hi_u32 s42, s12, s6
	s_mul_i32 s14, s12, s6
	s_and_saveexec_b32 s3, vcc_lo
	s_cbranch_execz .LBB33_4
; %bb.1:
	s_load_dword s6, s[4:5], 0x24
	s_add_i32 s15, s42, s33
	v_mov_b32_e32 v7, v1
	s_lshl_b64 s[0:1], s[14:15], 3
	v_add_nc_u32_e32 v9, 0, v8
	v_mov_b32_e32 v6, v0
	s_waitcnt lgkmcnt(0)
	s_and_b32 s6, s6, 0xffff
	s_add_u32 s0, s10, s0
	s_addc_u32 s1, s11, s1
	v_add_co_u32 v4, s0, s0, v8
	v_add_co_ci_u32_e64 v5, null, s1, 0, s0
	s_lshl_b32 s7, s6, 4
	v_add_co_u32 v4, s0, v4, 8
	v_add_co_ci_u32_e64 v5, null, 0, v5, s0
	.p2align	6
.LBB33_2:                               ; =>This Inner Loop Header: Depth=1
	global_load_dwordx4 v[10:13], v[4:5], off offset:-8
	v_max_f64 v[2:3], v[2:3], v[2:3]
	v_add_co_u32 v6, s0, v6, s6
	v_add_co_ci_u32_e64 v7, null, 0, v7, s0
	v_add_co_u32 v4, s0, v4, s7
	v_add_co_ci_u32_e64 v5, null, 0, v5, s0
	s_waitcnt vmcnt(0)
	v_max_f64 v[14:15], v[10:11], v[10:11]
	v_max_f64 v[16:17], v[12:13], v[12:13]
	ds_write_b128 v9, v[10:13]
	v_add_nc_u32_e32 v9, s7, v9
	v_max_f64 v[2:3], v[2:3], v[14:15]
	v_lshlrev_b64 v[14:15], 1, v[6:7]
	v_cmp_le_i64_e64 s1, s[12:13], v[14:15]
	s_or_b32 s2, s1, s2
	v_max_f64 v[2:3], v[2:3], v[16:17]
	s_andn2_b32 exec_lo, exec_lo, s2
	s_cbranch_execnz .LBB33_2
; %bb.3:
	s_or_b32 exec_lo, exec_lo, s2
.LBB33_4:
	s_or_b32 exec_lo, exec_lo, s3
	v_mbcnt_lo_u32_b32 v6, -1, 0
	v_lshrrev_b32_e32 v14, 2, v0
	s_waitcnt lgkmcnt(0)
	s_barrier
	buffer_gl0_inv
	v_lshl_or_b32 v9, v6, 2, 64
	v_cmp_gt_u32_e64 s1, 24, v6
	ds_bpermute_b32 v4, v9, v2
	ds_bpermute_b32 v5, v9, v3
	v_cndmask_b32_e64 v7, 0, 8, s1
	v_cmp_gt_u32_e64 s1, 28, v6
	v_add_lshl_u32 v10, v7, v6, 2
	v_cndmask_b32_e64 v7, 0, 4, s1
	v_cmp_gt_u32_e64 s1, 30, v6
	v_add_lshl_u32 v11, v7, v6, 2
	v_cndmask_b32_e64 v7, 0, 2, s1
	v_cmp_ne_u32_e64 s1, 31, v6
	v_add_lshl_u32 v12, v7, v6, 2
	v_add_co_ci_u32_e64 v6, null, 0, v6, s1
	s_waitcnt lgkmcnt(0)
	v_cmp_lt_f64_e64 s0, v[2:3], v[4:5]
	s_lshl_b32 s1, s12, 3
	v_lshlrev_b32_e32 v13, 2, v6
	v_and_b32_e32 v6, 31, v0
	s_add_i32 s15, s1, 0
	v_cndmask_b32_e64 v3, v3, v5, s0
	v_cndmask_b32_e64 v2, v2, v4, s0
	ds_bpermute_b32 v5, v10, v3
	ds_bpermute_b32 v4, v10, v2
	s_waitcnt lgkmcnt(0)
	v_cmp_lt_f64_e64 s0, v[2:3], v[4:5]
	v_cndmask_b32_e64 v3, v3, v5, s0
	v_cndmask_b32_e64 v2, v2, v4, s0
	ds_bpermute_b32 v5, v11, v3
	ds_bpermute_b32 v4, v11, v2
	s_waitcnt lgkmcnt(0)
	v_cmp_lt_f64_e64 s0, v[2:3], v[4:5]
	;; [unrolled: 6-line block ×3, first 2 shown]
	v_cndmask_b32_e64 v3, v3, v5, s0
	v_cndmask_b32_e64 v2, v2, v4, s0
	v_cmp_eq_u32_e64 s0, 0, v6
	ds_bpermute_b32 v7, v13, v3
	ds_bpermute_b32 v4, v13, v2
	s_and_saveexec_b32 s2, s0
	s_cbranch_execz .LBB33_6
; %bb.5:
	s_waitcnt lgkmcnt(1)
	v_mov_b32_e32 v5, v7
	s_waitcnt lgkmcnt(0)
	v_cmp_lt_f64_e64 s1, v[2:3], v[4:5]
	v_add_nc_u32_e32 v5, s15, v14
	v_cndmask_b32_e64 v3, v3, v7, s1
	v_cndmask_b32_e64 v2, v2, v4, s1
	ds_write_b64 v5, v[2:3]
.LBB33_6:
	s_or_b32 exec_lo, exec_lo, s2
	s_waitcnt lgkmcnt(0)
	s_barrier
	buffer_gl0_inv
	s_load_dword s4, s[4:5], 0x24
	v_mov_b32_e32 v2, -1
	v_mov_b32_e32 v3, 0xffefffff
	v_lshl_add_u32 v15, v6, 3, s15
	s_waitcnt lgkmcnt(0)
	s_bfe_u32 s1, s4, 0xb0005
	v_cmp_gt_u32_e64 s1, s1, v0
	s_and_saveexec_b32 s2, s1
	s_cbranch_execnz .LBB33_24
; %bb.7:
	s_or_b32 exec_lo, exec_lo, s2
	v_cmp_gt_u32_e64 s2, 32, v0
	s_and_saveexec_b32 s5, s2
	s_cbranch_execnz .LBB33_25
.LBB33_8:
	s_or_b32 exec_lo, exec_lo, s5
	v_cmp_eq_u32_e64 s3, 0, v0
	s_and_saveexec_b32 s5, s3
	s_cbranch_execz .LBB33_10
.LBB33_9:
	v_mov_b32_e32 v4, s15
	s_waitcnt lgkmcnt(0)
	ds_write_b64 v4, v[2:3]
.LBB33_10:
	s_or_b32 exec_lo, exec_lo, s5
	s_waitcnt lgkmcnt(0)
	v_mov_b32_e32 v2, s15
	s_barrier
	buffer_gl0_inv
	v_mov_b32_e32 v4, 0
	ds_read_b64 v[2:3], v2
	v_mov_b32_e32 v5, 0
	s_and_b32 s43, 0xffff, s4
	s_and_saveexec_b32 s44, vcc_lo
	s_cbranch_execz .LBB33_14
; %bb.11:
	v_mov_b32_e32 v4, 0
	v_mov_b32_e32 v7, v1
	v_lshl_add_u32 v16, v0, 4, 0
	v_mov_b32_e32 v5, 0
	v_mov_b32_e32 v6, v0
	s_mov_b32 s10, 0x652b82fe
	s_mov_b32 s16, 0xfefa39ef
	;; [unrolled: 1-line block ×14, first 2 shown]
	s_lshl_b32 s46, s43, 4
	s_mov_b32 s11, 0x3ff71547
	s_mov_b32 s17, 0xbfe62e42
	;; [unrolled: 1-line block ×13, first 2 shown]
.LBB33_12:                              ; =>This Inner Loop Header: Depth=1
	ds_read_b128 v[17:20], v16
	v_add_nc_u32_e32 v16, s46, v16
	s_waitcnt lgkmcnt(0)
	v_add_f64 v[17:18], v[17:18], -v[2:3]
	v_add_f64 v[19:20], v[19:20], -v[2:3]
	v_mul_f64 v[21:22], v[17:18], s[10:11]
	v_mul_f64 v[23:24], v[19:20], s[10:11]
	v_cmp_nlt_f64_e64 s4, 0x40900000, v[17:18]
	v_cmp_ngt_f64_e64 s5, 0xc090cc00, v[17:18]
	v_cmp_nlt_f64_e64 s6, 0x40900000, v[19:20]
	v_cmp_ngt_f64_e64 s7, 0xc090cc00, v[19:20]
	v_rndne_f64_e32 v[21:22], v[21:22]
	v_rndne_f64_e32 v[23:24], v[23:24]
	v_fma_f64 v[25:26], v[21:22], s[16:17], v[17:18]
	v_fma_f64 v[27:28], v[23:24], s[16:17], v[19:20]
	v_cvt_i32_f64_e32 v33, v[21:22]
	v_fma_f64 v[25:26], v[21:22], s[18:19], v[25:26]
	v_fma_f64 v[27:28], v[23:24], s[18:19], v[27:28]
	;; [unrolled: 1-line block ×20, first 2 shown]
	v_fma_f64 v[29:30], v[25:26], v[29:30], 1.0
	v_fma_f64 v[21:22], v[27:28], v[31:32], 1.0
	v_fma_f64 v[25:26], v[25:26], v[29:30], 1.0
	v_cvt_i32_f64_e32 v29, v[23:24]
	v_fma_f64 v[21:22], v[27:28], v[21:22], 1.0
	v_ldexp_f64 v[23:24], v[25:26], v33
	v_ldexp_f64 v[21:22], v[21:22], v29
	v_cndmask_b32_e64 v24, 0x7ff00000, v24, s4
	s_and_b32 s4, s5, s4
	v_cndmask_b32_e64 v22, 0x7ff00000, v22, s6
	v_cndmask_b32_e64 v17, 0, v23, s4
	s_and_b32 s4, s7, s6
	v_cndmask_b32_e64 v18, 0, v24, s5
	v_add_f64 v[4:5], v[4:5], v[17:18]
	v_cndmask_b32_e64 v18, 0, v22, s7
	v_cndmask_b32_e64 v17, 0, v21, s4
	v_add_co_u32 v6, s4, v6, s43
	v_add_co_ci_u32_e64 v7, null, 0, v7, s4
	v_add_f64 v[4:5], v[4:5], v[17:18]
	v_lshlrev_b64 v[17:18], 1, v[6:7]
	v_cmp_le_i64_e64 s4, s[12:13], v[17:18]
	s_or_b32 s45, s4, s45
	s_andn2_b32 exec_lo, exec_lo, s45
	s_cbranch_execnz .LBB33_12
; %bb.13:
	s_or_b32 exec_lo, exec_lo, s45
.LBB33_14:
	s_or_b32 exec_lo, exec_lo, s44
	ds_bpermute_b32 v6, v9, v4
	ds_bpermute_b32 v7, v9, v5
	s_waitcnt lgkmcnt(0)
	s_barrier
	buffer_gl0_inv
	v_add_f64 v[4:5], v[4:5], v[6:7]
	ds_bpermute_b32 v6, v10, v4
	ds_bpermute_b32 v7, v10, v5
	s_waitcnt lgkmcnt(0)
	v_add_f64 v[4:5], v[4:5], v[6:7]
	ds_bpermute_b32 v6, v11, v4
	ds_bpermute_b32 v7, v11, v5
	s_waitcnt lgkmcnt(0)
	;; [unrolled: 4-line block ×3, first 2 shown]
	v_add_f64 v[4:5], v[4:5], v[6:7]
	ds_bpermute_b32 v6, v13, v4
	ds_bpermute_b32 v7, v13, v5
	s_and_saveexec_b32 s4, s0
	s_cbranch_execz .LBB33_16
; %bb.15:
	s_waitcnt lgkmcnt(0)
	v_add_f64 v[4:5], v[4:5], v[6:7]
	v_add_nc_u32_e32 v6, s15, v14
	ds_write_b64 v6, v[4:5]
.LBB33_16:
	s_or_b32 exec_lo, exec_lo, s4
	v_mov_b32_e32 v4, 0
	v_mov_b32_e32 v5, 0
	s_waitcnt lgkmcnt(0)
	s_barrier
	buffer_gl0_inv
	s_and_saveexec_b32 s0, s1
	s_cbranch_execnz .LBB33_26
; %bb.17:
	s_or_b32 exec_lo, exec_lo, s0
	s_and_saveexec_b32 s0, s2
	s_cbranch_execnz .LBB33_27
.LBB33_18:
	s_or_b32 exec_lo, exec_lo, s0
	s_and_saveexec_b32 s0, s3
	s_cbranch_execz .LBB33_20
.LBB33_19:
	v_mov_b32_e32 v6, s15
	s_waitcnt lgkmcnt(0)
	ds_write_b64 v6, v[4:5]
.LBB33_20:
	s_or_b32 exec_lo, exec_lo, s0
	s_waitcnt lgkmcnt(0)
	s_barrier
	buffer_gl0_inv
	s_and_saveexec_b32 s0, vcc_lo
	s_cbranch_execz .LBB33_23
; %bb.21:
	v_mov_b32_e32 v4, s15
	s_mov_b32 s1, 0x3fe55555
	s_mov_b32 s0, 0x55555555
	;; [unrolled: 1-line block ×4, first 2 shown]
	ds_read_b64 v[9:10], v4
	s_mov_b32 s3, 0x3fc38538
	s_mov_b32 s5, 0x3fc3ab76
	s_add_i32 s15, s42, s33
	s_waitcnt lgkmcnt(0)
	v_frexp_mant_f64_e32 v[4:5], v[9:10]
	v_cmp_gt_f64_e32 vcc_lo, s[0:1], v[4:5]
	s_mov_b32 s0, 0x55555780
	v_cndmask_b32_e64 v6, 0, 1, vcc_lo
	v_ldexp_f64 v[4:5], v[4:5], v6
	v_add_f64 v[6:7], v[4:5], 1.0
	v_add_f64 v[15:16], v[4:5], -1.0
	v_rcp_f64_e32 v[11:12], v[6:7]
	v_add_f64 v[17:18], v[6:7], -1.0
	v_add_f64 v[4:5], v[4:5], -v[17:18]
	v_fma_f64 v[13:14], -v[6:7], v[11:12], 1.0
	v_fma_f64 v[11:12], v[13:14], v[11:12], v[11:12]
	v_fma_f64 v[13:14], -v[6:7], v[11:12], 1.0
	v_fma_f64 v[11:12], v[13:14], v[11:12], v[11:12]
	v_mul_f64 v[13:14], v[15:16], v[11:12]
	v_mul_f64 v[19:20], v[6:7], v[13:14]
	v_fma_f64 v[6:7], v[13:14], v[6:7], -v[19:20]
	v_fma_f64 v[4:5], v[13:14], v[4:5], v[6:7]
	v_add_f64 v[6:7], v[19:20], v[4:5]
	v_add_f64 v[17:18], v[15:16], -v[6:7]
	v_add_f64 v[19:20], v[6:7], -v[19:20]
	;; [unrolled: 1-line block ×4, first 2 shown]
	v_frexp_exp_i32_f64_e32 v19, v[9:10]
	v_add_f64 v[6:7], v[15:16], -v[6:7]
	v_add_f64 v[4:5], v[4:5], v[6:7]
	v_add_f64 v[4:5], v[17:18], v[4:5]
	v_mul_f64 v[4:5], v[11:12], v[4:5]
	v_add_f64 v[6:7], v[13:14], v[4:5]
	v_mul_f64 v[11:12], v[6:7], v[6:7]
	v_fma_f64 v[15:16], v[11:12], s[4:5], s[2:3]
	s_mov_b32 s2, 0xd7f4df2e
	s_mov_b32 s3, 0x3fc7474d
	v_mul_f64 v[17:18], v[6:7], v[11:12]
	v_fma_f64 v[15:16], v[11:12], v[15:16], s[2:3]
	s_mov_b32 s2, 0x16291751
	s_mov_b32 s3, 0x3fcc71c0
	v_fma_f64 v[15:16], v[11:12], v[15:16], s[2:3]
	s_mov_b32 s2, 0x9b27acf1
	s_mov_b32 s3, 0x3fd24924
	;; [unrolled: 3-line block ×3, first 2 shown]
	v_fma_f64 v[15:16], v[11:12], v[15:16], s[2:3]
	v_fma_f64 v[11:12], v[11:12], v[15:16], s[0:1]
	v_ldexp_f64 v[15:16], v[6:7], 1
	v_add_f64 v[6:7], v[6:7], -v[13:14]
	s_mov_b32 s0, 0xfefa39ef
	s_mov_b32 s1, 0x3fe62e42
	v_mul_f64 v[11:12], v[17:18], v[11:12]
	v_subrev_co_ci_u32_e64 v17, null, 0, v19, vcc_lo
	v_add_f64 v[4:5], v[4:5], -v[6:7]
	v_cmp_class_f64_e64 vcc_lo, v[9:10], 0x204
	v_cvt_f64_i32_e32 v[17:18], v17
	v_add_f64 v[13:14], v[15:16], v[11:12]
	v_ldexp_f64 v[4:5], v[4:5], 1
	v_mul_f64 v[19:20], v[17:18], s[0:1]
	v_add_f64 v[6:7], v[13:14], -v[15:16]
	v_fma_f64 v[15:16], v[17:18], s[0:1], -v[19:20]
	s_mov_b32 s0, 0x3b39803f
	s_mov_b32 s1, 0x3c7abc9e
	v_add_f64 v[6:7], v[11:12], -v[6:7]
	v_fma_f64 v[11:12], v[17:18], s[0:1], v[15:16]
	s_lshl_b64 s[0:1], s[14:15], 3
	s_add_u32 s0, s8, s0
	s_addc_u32 s1, s9, s1
	s_lshl_b32 s2, s43, 4
	v_add_f64 v[4:5], v[4:5], v[6:7]
	v_add_f64 v[6:7], v[19:20], v[11:12]
	v_add_f64 v[15:16], v[13:14], v[4:5]
	v_add_f64 v[19:20], v[6:7], -v[19:20]
	v_add_f64 v[17:18], v[6:7], v[15:16]
	v_add_f64 v[13:14], v[15:16], -v[13:14]
	v_add_f64 v[11:12], v[11:12], -v[19:20]
	;; [unrolled: 1-line block ×6, first 2 shown]
	v_add_f64 v[15:16], v[11:12], v[4:5]
	v_add_f64 v[6:7], v[6:7], -v[23:24]
	v_add_f64 v[6:7], v[13:14], v[6:7]
	v_add_f64 v[13:14], v[15:16], -v[11:12]
	;; [unrolled: 2-line block ×3, first 2 shown]
	v_add_f64 v[4:5], v[4:5], -v[13:14]
	v_add_f64 v[19:20], v[17:18], v[6:7]
	v_add_f64 v[11:12], v[11:12], -v[15:16]
	v_add_f64 v[13:14], v[19:20], -v[17:18]
	v_add_f64 v[4:5], v[4:5], v[11:12]
	v_add_f64 v[6:7], v[6:7], -v[13:14]
	v_add_f64 v[4:5], v[4:5], v[6:7]
	v_add_f64 v[4:5], v[19:20], v[4:5]
	v_cndmask_b32_e32 v6, v4, v9, vcc_lo
	v_cndmask_b32_e32 v4, v5, v10, vcc_lo
	v_cmp_ngt_f64_e32 vcc_lo, 0, v[9:10]
	v_add_co_u32 v5, s0, s0, v8
	v_add_co_ci_u32_e64 v7, null, s1, 0, s0
	v_add_nc_u32_e32 v8, 0, v8
	s_mov_b32 s1, 0
	v_cndmask_b32_e32 v11, 0x7ff80000, v4, vcc_lo
	v_add_co_u32 v4, vcc_lo, v5, 8
	v_add_co_ci_u32_e64 v5, null, 0, v7, vcc_lo
	v_cmp_nge_f64_e32 vcc_lo, 0, v[9:10]
	v_cndmask_b32_e32 v6, 0, v6, vcc_lo
	v_cmp_neq_f64_e32 vcc_lo, 0, v[9:10]
	v_cndmask_b32_e32 v7, 0xfff00000, v11, vcc_lo
	.p2align	6
.LBB33_22:                              ; =>This Inner Loop Header: Depth=1
	ds_read_b128 v[9:12], v8
	v_add_co_u32 v0, vcc_lo, v0, s43
	v_add_co_ci_u32_e64 v1, null, 0, v1, vcc_lo
	v_add_nc_u32_e32 v8, s2, v8
	v_lshlrev_b64 v[13:14], 1, v[0:1]
	v_cmp_le_i64_e32 vcc_lo, s[12:13], v[13:14]
	s_or_b32 s1, vcc_lo, s1
	s_waitcnt lgkmcnt(0)
	v_add_f64 v[9:10], v[9:10], -v[2:3]
	v_add_f64 v[11:12], v[11:12], -v[2:3]
	;; [unrolled: 1-line block ×4, first 2 shown]
	global_store_dwordx4 v[4:5], v[9:12], off offset:-8
	v_add_co_u32 v4, s0, v4, s2
	v_add_co_ci_u32_e64 v5, null, 0, v5, s0
	s_andn2_b32 exec_lo, exec_lo, s1
	s_cbranch_execnz .LBB33_22
.LBB33_23:
	s_endpgm
.LBB33_24:
	ds_read_b64 v[2:3], v15
	s_or_b32 exec_lo, exec_lo, s2
	v_cmp_gt_u32_e64 s2, 32, v0
	s_and_saveexec_b32 s5, s2
	s_cbranch_execz .LBB33_8
.LBB33_25:
	s_waitcnt lgkmcnt(0)
	ds_bpermute_b32 v6, v9, v3
	ds_bpermute_b32 v4, v9, v2
	s_waitcnt lgkmcnt(1)
	v_mov_b32_e32 v5, v6
	s_waitcnt lgkmcnt(0)
	v_cmp_lt_f64_e64 s3, v[2:3], v[4:5]
	v_cndmask_b32_e64 v3, v3, v6, s3
	v_cndmask_b32_e64 v2, v2, v4, s3
	ds_bpermute_b32 v6, v10, v3
	ds_bpermute_b32 v4, v10, v2
	s_waitcnt lgkmcnt(1)
	v_mov_b32_e32 v5, v6
	s_waitcnt lgkmcnt(0)
	v_cmp_lt_f64_e64 s3, v[2:3], v[4:5]
	v_cndmask_b32_e64 v3, v3, v6, s3
	v_cndmask_b32_e64 v2, v2, v4, s3
	;; [unrolled: 8-line block ×5, first 2 shown]
	s_or_b32 exec_lo, exec_lo, s5
	v_cmp_eq_u32_e64 s3, 0, v0
	s_and_saveexec_b32 s5, s3
	s_cbranch_execnz .LBB33_9
	s_branch .LBB33_10
.LBB33_26:
	ds_read_b64 v[4:5], v15
	s_or_b32 exec_lo, exec_lo, s0
	s_and_saveexec_b32 s0, s2
	s_cbranch_execz .LBB33_18
.LBB33_27:
	s_waitcnt lgkmcnt(0)
	ds_bpermute_b32 v6, v9, v4
	ds_bpermute_b32 v7, v9, v5
	s_waitcnt lgkmcnt(0)
	v_add_f64 v[4:5], v[4:5], v[6:7]
	ds_bpermute_b32 v6, v10, v4
	ds_bpermute_b32 v7, v10, v5
	s_waitcnt lgkmcnt(0)
	v_add_f64 v[4:5], v[4:5], v[6:7]
	;; [unrolled: 4-line block ×5, first 2 shown]
	s_or_b32 exec_lo, exec_lo, s0
	s_and_saveexec_b32 s0, s3
	s_cbranch_execnz .LBB33_19
	s_branch .LBB33_20
	.section	.rodata,"a",@progbits
	.p2align	6, 0x0
	.amdhsa_kernel _ZN2at6native12_GLOBAL__N_123cunn_SoftMaxForwardSmemILi2EdddNS1_25LogSoftMaxForwardEpilogueElEEvPT2_PKT0_T4_
		.amdhsa_group_segment_fixed_size 0
		.amdhsa_private_segment_fixed_size 0
		.amdhsa_kernarg_size 280
		.amdhsa_user_sgpr_count 6
		.amdhsa_user_sgpr_private_segment_buffer 1
		.amdhsa_user_sgpr_dispatch_ptr 0
		.amdhsa_user_sgpr_queue_ptr 0
		.amdhsa_user_sgpr_kernarg_segment_ptr 1
		.amdhsa_user_sgpr_dispatch_id 0
		.amdhsa_user_sgpr_flat_scratch_init 0
		.amdhsa_user_sgpr_private_segment_size 0
		.amdhsa_wavefront_size32 1
		.amdhsa_uses_dynamic_stack 0
		.amdhsa_system_sgpr_private_segment_wavefront_offset 0
		.amdhsa_system_sgpr_workgroup_id_x 1
		.amdhsa_system_sgpr_workgroup_id_y 0
		.amdhsa_system_sgpr_workgroup_id_z 0
		.amdhsa_system_sgpr_workgroup_info 0
		.amdhsa_system_vgpr_workitem_id 0
		.amdhsa_next_free_vgpr 34
		.amdhsa_next_free_sgpr 47
		.amdhsa_reserve_vcc 1
		.amdhsa_reserve_flat_scratch 0
		.amdhsa_float_round_mode_32 0
		.amdhsa_float_round_mode_16_64 0
		.amdhsa_float_denorm_mode_32 3
		.amdhsa_float_denorm_mode_16_64 3
		.amdhsa_dx10_clamp 1
		.amdhsa_ieee_mode 1
		.amdhsa_fp16_overflow 0
		.amdhsa_workgroup_processor_mode 1
		.amdhsa_memory_ordered 1
		.amdhsa_forward_progress 1
		.amdhsa_shared_vgpr_count 0
		.amdhsa_exception_fp_ieee_invalid_op 0
		.amdhsa_exception_fp_denorm_src 0
		.amdhsa_exception_fp_ieee_div_zero 0
		.amdhsa_exception_fp_ieee_overflow 0
		.amdhsa_exception_fp_ieee_underflow 0
		.amdhsa_exception_fp_ieee_inexact 0
		.amdhsa_exception_int_div_zero 0
	.end_amdhsa_kernel
	.section	.text._ZN2at6native12_GLOBAL__N_123cunn_SoftMaxForwardSmemILi2EdddNS1_25LogSoftMaxForwardEpilogueElEEvPT2_PKT0_T4_,"axG",@progbits,_ZN2at6native12_GLOBAL__N_123cunn_SoftMaxForwardSmemILi2EdddNS1_25LogSoftMaxForwardEpilogueElEEvPT2_PKT0_T4_,comdat
.Lfunc_end33:
	.size	_ZN2at6native12_GLOBAL__N_123cunn_SoftMaxForwardSmemILi2EdddNS1_25LogSoftMaxForwardEpilogueElEEvPT2_PKT0_T4_, .Lfunc_end33-_ZN2at6native12_GLOBAL__N_123cunn_SoftMaxForwardSmemILi2EdddNS1_25LogSoftMaxForwardEpilogueElEEvPT2_PKT0_T4_
                                        ; -- End function
	.set _ZN2at6native12_GLOBAL__N_123cunn_SoftMaxForwardSmemILi2EdddNS1_25LogSoftMaxForwardEpilogueElEEvPT2_PKT0_T4_.num_vgpr, 34
	.set _ZN2at6native12_GLOBAL__N_123cunn_SoftMaxForwardSmemILi2EdddNS1_25LogSoftMaxForwardEpilogueElEEvPT2_PKT0_T4_.num_agpr, 0
	.set _ZN2at6native12_GLOBAL__N_123cunn_SoftMaxForwardSmemILi2EdddNS1_25LogSoftMaxForwardEpilogueElEEvPT2_PKT0_T4_.numbered_sgpr, 47
	.set _ZN2at6native12_GLOBAL__N_123cunn_SoftMaxForwardSmemILi2EdddNS1_25LogSoftMaxForwardEpilogueElEEvPT2_PKT0_T4_.num_named_barrier, 0
	.set _ZN2at6native12_GLOBAL__N_123cunn_SoftMaxForwardSmemILi2EdddNS1_25LogSoftMaxForwardEpilogueElEEvPT2_PKT0_T4_.private_seg_size, 0
	.set _ZN2at6native12_GLOBAL__N_123cunn_SoftMaxForwardSmemILi2EdddNS1_25LogSoftMaxForwardEpilogueElEEvPT2_PKT0_T4_.uses_vcc, 1
	.set _ZN2at6native12_GLOBAL__N_123cunn_SoftMaxForwardSmemILi2EdddNS1_25LogSoftMaxForwardEpilogueElEEvPT2_PKT0_T4_.uses_flat_scratch, 0
	.set _ZN2at6native12_GLOBAL__N_123cunn_SoftMaxForwardSmemILi2EdddNS1_25LogSoftMaxForwardEpilogueElEEvPT2_PKT0_T4_.has_dyn_sized_stack, 0
	.set _ZN2at6native12_GLOBAL__N_123cunn_SoftMaxForwardSmemILi2EdddNS1_25LogSoftMaxForwardEpilogueElEEvPT2_PKT0_T4_.has_recursion, 0
	.set _ZN2at6native12_GLOBAL__N_123cunn_SoftMaxForwardSmemILi2EdddNS1_25LogSoftMaxForwardEpilogueElEEvPT2_PKT0_T4_.has_indirect_call, 0
	.section	.AMDGPU.csdata,"",@progbits
; Kernel info:
; codeLenInByte = 3364
; TotalNumSgprs: 49
; NumVgprs: 34
; ScratchSize: 0
; MemoryBound: 0
; FloatMode: 240
; IeeeMode: 1
; LDSByteSize: 0 bytes/workgroup (compile time only)
; SGPRBlocks: 0
; VGPRBlocks: 4
; NumSGPRsForWavesPerEU: 49
; NumVGPRsForWavesPerEU: 34
; Occupancy: 16
; WaveLimiterHint : 0
; COMPUTE_PGM_RSRC2:SCRATCH_EN: 0
; COMPUTE_PGM_RSRC2:USER_SGPR: 6
; COMPUTE_PGM_RSRC2:TRAP_HANDLER: 0
; COMPUTE_PGM_RSRC2:TGID_X_EN: 1
; COMPUTE_PGM_RSRC2:TGID_Y_EN: 0
; COMPUTE_PGM_RSRC2:TGID_Z_EN: 0
; COMPUTE_PGM_RSRC2:TIDIG_COMP_CNT: 0
	.section	.text._ZN2at6native12_GLOBAL__N_119cunn_SoftMaxForwardILi2EdddNS1_25LogSoftMaxForwardEpilogueEEEvPT2_PKT0_i,"axG",@progbits,_ZN2at6native12_GLOBAL__N_119cunn_SoftMaxForwardILi2EdddNS1_25LogSoftMaxForwardEpilogueEEEvPT2_PKT0_i,comdat
	.globl	_ZN2at6native12_GLOBAL__N_119cunn_SoftMaxForwardILi2EdddNS1_25LogSoftMaxForwardEpilogueEEEvPT2_PKT0_i ; -- Begin function _ZN2at6native12_GLOBAL__N_119cunn_SoftMaxForwardILi2EdddNS1_25LogSoftMaxForwardEpilogueEEEvPT2_PKT0_i
	.p2align	8
	.type	_ZN2at6native12_GLOBAL__N_119cunn_SoftMaxForwardILi2EdddNS1_25LogSoftMaxForwardEpilogueEEEvPT2_PKT0_i,@function
_ZN2at6native12_GLOBAL__N_119cunn_SoftMaxForwardILi2EdddNS1_25LogSoftMaxForwardEpilogueEEEvPT2_PKT0_i: ; @_ZN2at6native12_GLOBAL__N_119cunn_SoftMaxForwardILi2EdddNS1_25LogSoftMaxForwardEpilogueEEEvPT2_PKT0_i
; %bb.0:
	s_clause 0x1
	s_load_dword s33, s[4:5], 0x10
	s_load_dwordx4 s[8:11], s[4:5], 0x0
	s_waitcnt lgkmcnt(0)
	s_ashr_i32 s0, s33, 31
	s_mul_hi_u32 s1, s33, s6
	s_mul_i32 s2, s0, s6
	s_mul_i32 s0, s33, s6
	s_add_i32 s1, s1, s2
	s_lshl_b64 s[12:13], s[0:1], 3
	s_add_u32 s10, s10, s12
	s_addc_u32 s11, s11, s13
	s_bitcmp1_b32 s10, 3
	s_cselect_b32 s7, -1, 0
	s_add_u32 s2, s4, 24
	s_addc_u32 s3, s5, 0
	s_and_b32 vcc_lo, exec_lo, s7
	s_cbranch_vccz .LBB34_4
; %bb.1:
	v_cmp_ne_u32_e32 vcc_lo, 0, v0
	v_cmp_ge_i32_e64 s0, s33, v0
	v_mov_b32_e32 v1, -1
	v_mov_b32_e32 v2, 0xffefffff
	s_mov_b32 s15, 0
	s_and_b32 s3, vcc_lo, s0
	s_mov_b32 s0, -1
	s_mov_b32 s1, 0xffefffff
	s_and_saveexec_b32 s2, s3
	s_cbranch_execz .LBB34_3
; %bb.2:
	v_lshlrev_b32_e32 v1, 3, v0
	global_load_dwordx2 v[1:2], v1, s[10:11] offset:-8
	s_waitcnt vmcnt(0)
	v_max_f64 v[1:2], v[1:2], v[1:2]
	v_max_f64 v[1:2], v[1:2], s[0:1]
.LBB34_3:
	s_or_b32 exec_lo, exec_lo, s2
	s_load_dword s0, s[4:5], 0x24
	s_add_i32 s1, s33, 1
	s_add_u32 s2, s4, 24
	s_addc_u32 s3, s5, 0
	s_waitcnt lgkmcnt(0)
	s_and_b32 s0, s0, 0xffff
	v_sub_nc_u32_e64 v3, s1, s0 clamp
	s_lshl_b32 s0, s0, 3
	s_add_u32 s0, s10, s0
	s_addc_u32 s1, s11, 0
	s_add_u32 s0, s0, -8
	v_readfirstlane_b32 s14, v3
	s_addc_u32 s1, s1, -1
	s_and_b32 vcc_lo, exec_lo, s15
	s_cbranch_vccnz .LBB34_5
	s_branch .LBB34_6
.LBB34_4:
                                        ; implicit-def: $sgpr0_sgpr1
                                        ; implicit-def: $sgpr14
                                        ; implicit-def: $vgpr1_vgpr2
	s_cbranch_execz .LBB34_6
.LBB34_5:
	v_mov_b32_e32 v1, -1
	v_mov_b32_e32 v2, 0xffefffff
	s_mov_b32 s14, s33
	s_mov_b64 s[0:1], s[10:11]
.LBB34_6:
	s_load_dword s15, s[2:3], 0x0
	v_mov_b32_e32 v3, 0
	v_lshlrev_b32_e32 v7, 1, v0
	s_waitcnt lgkmcnt(0)
	s_cmp_lt_u32 s6, s15
	s_cselect_b32 s15, 12, 18
	s_add_u32 s2, s2, s15
	s_addc_u32 s3, s3, 0
	global_load_ushort v5, v3, s[2:3]
	s_waitcnt vmcnt(0)
	v_readfirstlane_b32 s2, v5
	s_lshl_b32 s2, s2, 1
	v_cvt_f32_u32_e32 v3, s2
	s_sub_i32 s15, 0, s2
	v_rcp_iflag_f32_e32 v3, v3
	v_mul_f32_e32 v3, 0x4f7ffffe, v3
	v_cvt_u32_f32_e32 v3, v3
	v_readfirstlane_b32 s3, v3
	s_mul_i32 s15, s15, s3
	s_mul_hi_u32 s15, s3, s15
	s_add_i32 s3, s3, s15
	s_mul_hi_u32 s3, s14, s3
	s_mul_i32 s3, s3, s2
	s_sub_i32 s3, s14, s3
	s_sub_i32 s15, s3, s2
	s_cmp_ge_u32 s3, s2
	s_cselect_b32 s3, s15, s3
	s_sub_i32 s15, s3, s2
	s_cmp_ge_u32 s3, s2
	s_cselect_b32 s2, s15, s3
	s_mov_b32 s15, 0
	s_sub_i32 s2, s14, s2
	s_mov_b32 s3, exec_lo
	v_cmpx_gt_i32_e64 s2, v7
	s_cbranch_execz .LBB34_10
; %bb.7:
	v_mov_b32_e32 v3, v0
	.p2align	6
.LBB34_8:                               ; =>This Inner Loop Header: Depth=1
	v_ashrrev_i32_e32 v4, 31, v3
	v_max_f64 v[1:2], v[1:2], v[1:2]
	v_lshlrev_b64 v[8:9], 4, v[3:4]
	v_add_nc_u32_e32 v3, v3, v5
	v_lshlrev_b32_e32 v4, 1, v3
	v_add_co_u32 v8, vcc_lo, s0, v8
	v_add_co_ci_u32_e64 v9, null, s1, v9, vcc_lo
	v_cmp_le_i32_e32 vcc_lo, s2, v4
	global_load_dwordx4 v[8:11], v[8:9], off
	s_or_b32 s15, vcc_lo, s15
	s_waitcnt vmcnt(0)
	v_max_f64 v[8:9], v[8:9], v[8:9]
	v_max_f64 v[10:11], v[10:11], v[10:11]
	;; [unrolled: 1-line block ×4, first 2 shown]
	s_andn2_b32 exec_lo, exec_lo, s15
	s_cbranch_execnz .LBB34_8
; %bb.9:
	s_or_b32 exec_lo, exec_lo, s15
.LBB34_10:
	s_or_b32 exec_lo, exec_lo, s3
	v_add_nc_u32_e32 v3, s2, v0
	s_bfe_u32 s44, s10, 0x10003
	s_mov_b32 s2, exec_lo
	v_cmpx_gt_i32_e64 s14, v3
	s_cbranch_execz .LBB34_14
; %bb.11:
	s_mov_b32 s3, 0
	.p2align	6
.LBB34_12:                              ; =>This Inner Loop Header: Depth=1
	v_ashrrev_i32_e32 v4, 31, v3
	v_max_f64 v[1:2], v[1:2], v[1:2]
	v_lshlrev_b64 v[8:9], 3, v[3:4]
	v_add_nc_u32_e32 v3, v3, v5
	v_add_co_u32 v8, vcc_lo, s0, v8
	v_add_co_ci_u32_e64 v9, null, s1, v9, vcc_lo
	v_cmp_le_i32_e32 vcc_lo, s14, v3
	global_load_dwordx2 v[8:9], v[8:9], off
	s_or_b32 s3, vcc_lo, s3
	s_waitcnt vmcnt(0)
	v_max_f64 v[8:9], v[8:9], v[8:9]
	v_max_f64 v[1:2], v[1:2], v[8:9]
	s_andn2_b32 exec_lo, exec_lo, s3
	s_cbranch_execnz .LBB34_12
; %bb.13:
	s_or_b32 exec_lo, exec_lo, s3
.LBB34_14:
	s_or_b32 exec_lo, exec_lo, s2
	v_mbcnt_lo_u32_b32 v5, -1, 0
	v_lshrrev_b32_e32 v15, 2, v0
	s_barrier
	buffer_gl0_inv
	v_lshl_or_b32 v10, v5, 2, 64
	v_cmp_gt_u32_e64 s0, 24, v5
	ds_bpermute_b32 v3, v10, v1
	ds_bpermute_b32 v4, v10, v2
	v_cndmask_b32_e64 v6, 0, 8, s0
	v_cmp_gt_u32_e64 s0, 28, v5
	v_add_lshl_u32 v11, v6, v5, 2
	v_cndmask_b32_e64 v6, 0, 4, s0
	v_cmp_gt_u32_e64 s0, 30, v5
	v_add_lshl_u32 v12, v6, v5, 2
	v_cndmask_b32_e64 v6, 0, 2, s0
	v_cmp_ne_u32_e64 s0, 31, v5
	v_add_lshl_u32 v13, v6, v5, 2
	v_add_co_ci_u32_e64 v5, null, 0, v5, s0
	s_waitcnt lgkmcnt(0)
	v_cmp_lt_f64_e32 vcc_lo, v[1:2], v[3:4]
	v_lshlrev_b32_e32 v14, 2, v5
	v_and_b32_e32 v5, 31, v0
	v_cmp_eq_u32_e64 s1, 0, v5
	v_cndmask_b32_e32 v2, v2, v4, vcc_lo
	v_cndmask_b32_e32 v1, v1, v3, vcc_lo
	ds_bpermute_b32 v4, v11, v2
	ds_bpermute_b32 v3, v11, v1
	s_waitcnt lgkmcnt(0)
	v_cmp_lt_f64_e32 vcc_lo, v[1:2], v[3:4]
	v_cndmask_b32_e32 v2, v2, v4, vcc_lo
	v_cndmask_b32_e32 v1, v1, v3, vcc_lo
	ds_bpermute_b32 v4, v12, v2
	ds_bpermute_b32 v3, v12, v1
	s_waitcnt lgkmcnt(0)
	v_cmp_lt_f64_e32 vcc_lo, v[1:2], v[3:4]
	v_cndmask_b32_e32 v2, v2, v4, vcc_lo
	v_cndmask_b32_e32 v1, v1, v3, vcc_lo
	ds_bpermute_b32 v4, v13, v2
	ds_bpermute_b32 v3, v13, v1
	s_waitcnt lgkmcnt(0)
	v_cmp_lt_f64_e32 vcc_lo, v[1:2], v[3:4]
	v_cndmask_b32_e32 v2, v2, v4, vcc_lo
	v_cndmask_b32_e32 v1, v1, v3, vcc_lo
	ds_bpermute_b32 v6, v14, v2
	ds_bpermute_b32 v3, v14, v1
	s_and_saveexec_b32 s0, s1
	s_cbranch_execz .LBB34_16
; %bb.15:
	s_waitcnt lgkmcnt(1)
	v_mov_b32_e32 v4, v6
	s_waitcnt lgkmcnt(0)
	v_cmp_lt_f64_e32 vcc_lo, v[1:2], v[3:4]
	v_add_nc_u32_e32 v4, 0, v15
	v_cndmask_b32_e32 v2, v2, v6, vcc_lo
	v_cndmask_b32_e32 v1, v1, v3, vcc_lo
	ds_write_b64 v4, v[1:2]
.LBB34_16:
	s_or_b32 exec_lo, exec_lo, s0
	s_waitcnt lgkmcnt(0)
	s_barrier
	buffer_gl0_inv
	s_load_dword s45, s[4:5], 0x24
	s_add_u32 s16, s4, 24
	s_addc_u32 s17, s5, 0
	v_mov_b32_e32 v1, -1
	v_mov_b32_e32 v2, 0xffefffff
	v_lshl_add_u32 v16, v5, 3, 0
	s_waitcnt lgkmcnt(0)
	s_bfe_u32 s0, s45, 0xb0005
	v_cmp_gt_u32_e64 s2, s0, v0
	s_and_saveexec_b32 s0, s2
	s_cbranch_execnz .LBB34_55
; %bb.17:
	s_or_b32 exec_lo, exec_lo, s0
	v_cmp_gt_u32_e64 s3, 32, v0
	s_and_saveexec_b32 s0, s3
	s_cbranch_execnz .LBB34_56
.LBB34_18:
	s_or_b32 exec_lo, exec_lo, s0
	v_cmp_eq_u32_e64 s0, 0, v0
	s_and_saveexec_b32 s4, s0
	s_cbranch_execz .LBB34_20
.LBB34_19:
	v_mov_b32_e32 v3, 0
	s_waitcnt lgkmcnt(0)
	ds_write_b64 v3, v[1:2]
.LBB34_20:
	s_or_b32 exec_lo, exec_lo, s4
	s_waitcnt lgkmcnt(0)
	v_mov_b32_e32 v1, 0
	s_barrier
	buffer_gl0_inv
	v_mov_b32_e32 v3, 0
	ds_read_b64 v[1:2], v1
	v_cndmask_b32_e64 v9, 0, 1, s7
	v_mov_b32_e32 v4, 0
	s_andn2_b32 vcc_lo, exec_lo, s7
	s_mov_b64 s[14:15], s[10:11]
	s_mov_b32 s48, s33
	s_cbranch_vccnz .LBB34_24
; %bb.21:
	v_cmp_ge_i32_e32 vcc_lo, s33, v0
	v_mov_b32_e32 v3, 0
	v_mov_b32_e32 v4, 0
	s_xor_b32 s4, s0, -1
	s_and_b32 s4, s4, vcc_lo
	s_and_saveexec_b32 s5, s4
	s_cbranch_execz .LBB34_23
; %bb.22:
	v_lshlrev_b32_e32 v3, 3, v0
	s_mov_b32 s14, 0x652b82fe
	s_mov_b32 s15, 0x3ff71547
	;; [unrolled: 1-line block ×4, first 2 shown]
	global_load_dwordx2 v[3:4], v3, s[10:11] offset:-8
	s_waitcnt vmcnt(0) lgkmcnt(0)
	v_add_f64 v[3:4], v[3:4], -v[1:2]
	v_mul_f64 v[5:6], v[3:4], s[14:15]
	s_mov_b32 s14, 0xfefa39ef
	s_mov_b32 s15, 0xbfe62e42
	v_cmp_nlt_f64_e32 vcc_lo, 0x40900000, v[3:4]
	v_cmp_ngt_f64_e64 s4, 0xc090cc00, v[3:4]
	v_rndne_f64_e32 v[5:6], v[5:6]
	v_fma_f64 v[17:18], v[5:6], s[14:15], v[3:4]
	s_mov_b32 s14, 0x3b39803f
	s_mov_b32 s15, 0xbc7abc9e
	v_cvt_i32_f64_e32 v8, v[5:6]
	v_fma_f64 v[17:18], v[5:6], s[14:15], v[17:18]
	s_mov_b32 s14, 0xfca7ab0c
	s_mov_b32 s15, 0x3e928af3
	v_fma_f64 v[19:20], v[17:18], s[18:19], s[14:15]
	s_mov_b32 s14, 0x623fde64
	s_mov_b32 s15, 0x3ec71dee
	;; [unrolled: 3-line block ×9, first 2 shown]
	v_fma_f64 v[19:20], v[17:18], v[19:20], s[14:15]
	v_fma_f64 v[19:20], v[17:18], v[19:20], 1.0
	v_fma_f64 v[5:6], v[17:18], v[19:20], 1.0
	v_ldexp_f64 v[5:6], v[5:6], v8
	v_add_f64 v[5:6], v[5:6], 0
	v_cndmask_b32_e32 v6, 0x7ff00000, v6, vcc_lo
	s_and_b32 vcc_lo, s4, vcc_lo
	v_cndmask_b32_e32 v3, 0, v5, vcc_lo
	v_cndmask_b32_e64 v4, 0, v6, s4
.LBB34_23:
	s_or_b32 exec_lo, exec_lo, s5
	s_add_i32 s4, s33, 1
	s_and_b32 s5, 0xffff, s45
	v_sub_nc_u32_e64 v5, s4, s5 clamp
	s_lshl_b32 s4, s5, 3
	s_add_u32 s4, s10, s4
	s_addc_u32 s5, s11, 0
	v_readfirstlane_b32 s48, v5
	s_add_u32 s14, s4, -8
	s_addc_u32 s15, s5, -1
.LBB34_24:
	s_load_dword s4, s[16:17], 0x0
	v_mov_b32_e32 v5, 0
	s_mov_b32 s50, 0
	s_mov_b32 s49, exec_lo
	s_waitcnt lgkmcnt(0)
	s_cmp_lt_u32 s6, s4
	s_cselect_b32 s4, 12, 18
	s_add_u32 s4, s16, s4
	s_addc_u32 s5, s17, 0
	global_load_ushort v8, v5, s[4:5]
	s_waitcnt vmcnt(0)
	v_readfirstlane_b32 s4, v8
	s_lshl_b32 s46, s4, 1
	v_cvt_f32_u32_e32 v5, s46
	s_sub_i32 s4, 0, s46
	v_rcp_iflag_f32_e32 v5, v5
	v_mul_f32_e32 v5, 0x4f7ffffe, v5
	v_cvt_u32_f32_e32 v5, v5
	v_readfirstlane_b32 s47, v5
	s_mul_i32 s4, s4, s47
	s_mul_hi_u32 s4, s47, s4
	s_add_i32 s47, s47, s4
	s_mul_hi_u32 s4, s48, s47
	s_mul_i32 s4, s4, s46
	s_sub_i32 s4, s48, s4
	s_sub_i32 s5, s4, s46
	s_cmp_ge_u32 s4, s46
	s_cselect_b32 s4, s5, s4
	s_sub_i32 s5, s4, s46
	s_cmp_ge_u32 s4, s46
	s_cselect_b32 s4, s5, s4
	s_sub_i32 s7, s48, s4
	v_cmpx_gt_i32_e64 s7, v7
	s_cbranch_execz .LBB34_28
; %bb.25:
	v_mov_b32_e32 v5, v0
	s_mov_b32 s16, 0x652b82fe
	s_mov_b32 s18, 0xfefa39ef
	;; [unrolled: 1-line block ×26, first 2 shown]
.LBB34_26:                              ; =>This Inner Loop Header: Depth=1
	v_ashrrev_i32_e32 v6, 31, v5
	v_lshlrev_b64 v[17:18], 4, v[5:6]
	v_add_nc_u32_e32 v5, v5, v8
	v_add_co_u32 v17, vcc_lo, s14, v17
	v_add_co_ci_u32_e64 v18, null, s15, v18, vcc_lo
	global_load_dwordx4 v[17:20], v[17:18], off
	s_waitcnt vmcnt(0)
	v_add_f64 v[17:18], v[17:18], -v[1:2]
	v_add_f64 v[19:20], v[19:20], -v[1:2]
	v_mul_f64 v[21:22], v[17:18], s[16:17]
	v_mul_f64 v[23:24], v[19:20], s[16:17]
	v_cmp_nlt_f64_e32 vcc_lo, 0x40900000, v[17:18]
	v_cmp_ngt_f64_e64 s4, 0xc090cc00, v[17:18]
	v_cmp_nlt_f64_e64 s5, 0x40900000, v[19:20]
	v_cmp_ngt_f64_e64 s6, 0xc090cc00, v[19:20]
	v_rndne_f64_e32 v[21:22], v[21:22]
	v_rndne_f64_e32 v[23:24], v[23:24]
	v_fma_f64 v[25:26], v[21:22], s[18:19], v[17:18]
	v_fma_f64 v[27:28], v[23:24], s[18:19], v[19:20]
	v_cvt_i32_f64_e32 v6, v[21:22]
	v_fma_f64 v[25:26], v[21:22], s[20:21], v[25:26]
	v_fma_f64 v[27:28], v[23:24], s[20:21], v[27:28]
	;; [unrolled: 1-line block ×20, first 2 shown]
	v_fma_f64 v[29:30], v[25:26], v[29:30], 1.0
	v_fma_f64 v[21:22], v[27:28], v[31:32], 1.0
	;; [unrolled: 1-line block ×3, first 2 shown]
	v_cvt_i32_f64_e32 v29, v[23:24]
	v_fma_f64 v[21:22], v[27:28], v[21:22], 1.0
	v_ldexp_f64 v[23:24], v[25:26], v6
	v_ldexp_f64 v[21:22], v[21:22], v29
	v_cndmask_b32_e32 v6, 0x7ff00000, v24, vcc_lo
	s_and_b32 vcc_lo, s4, vcc_lo
	v_cndmask_b32_e64 v22, 0x7ff00000, v22, s5
	v_cndmask_b32_e32 v17, 0, v23, vcc_lo
	s_and_b32 vcc_lo, s6, s5
	v_cndmask_b32_e64 v18, 0, v6, s4
	v_lshlrev_b32_e32 v6, 1, v5
	v_add_f64 v[3:4], v[3:4], v[17:18]
	v_cndmask_b32_e64 v18, 0, v22, s6
	v_cndmask_b32_e32 v17, 0, v21, vcc_lo
	v_cmp_le_i32_e32 vcc_lo, s7, v6
	s_or_b32 s50, vcc_lo, s50
	v_add_f64 v[3:4], v[3:4], v[17:18]
	s_andn2_b32 exec_lo, exec_lo, s50
	s_cbranch_execnz .LBB34_26
; %bb.27:
	s_or_b32 exec_lo, exec_lo, s50
.LBB34_28:
	s_or_b32 exec_lo, exec_lo, s49
	v_add_nc_u32_e32 v5, s7, v0
	s_mov_b32 s5, exec_lo
	v_cmpx_gt_i32_e64 s48, v5
	s_cbranch_execz .LBB34_32
; %bb.29:
	s_mov_b32 s6, 0x652b82fe
	s_mov_b32 s16, 0xfefa39ef
	;; [unrolled: 1-line block ×27, first 2 shown]
.LBB34_30:                              ; =>This Inner Loop Header: Depth=1
	v_ashrrev_i32_e32 v6, 31, v5
	v_lshlrev_b64 v[17:18], 3, v[5:6]
	v_add_nc_u32_e32 v5, v5, v8
	v_add_co_u32 v17, vcc_lo, s14, v17
	v_add_co_ci_u32_e64 v18, null, s15, v18, vcc_lo
	global_load_dwordx2 v[17:18], v[17:18], off
	s_waitcnt vmcnt(0)
	v_add_f64 v[17:18], v[17:18], -v[1:2]
	v_mul_f64 v[19:20], v[17:18], s[6:7]
	v_cmp_nlt_f64_e32 vcc_lo, 0x40900000, v[17:18]
	v_cmp_ngt_f64_e64 s4, 0xc090cc00, v[17:18]
	v_rndne_f64_e32 v[19:20], v[19:20]
	v_fma_f64 v[21:22], v[19:20], s[16:17], v[17:18]
	v_cvt_i32_f64_e32 v6, v[19:20]
	v_fma_f64 v[21:22], v[19:20], s[18:19], v[21:22]
	v_fma_f64 v[23:24], v[21:22], s[22:23], s[20:21]
	;; [unrolled: 1-line block ×10, first 2 shown]
	v_fma_f64 v[23:24], v[21:22], v[23:24], 1.0
	v_fma_f64 v[19:20], v[21:22], v[23:24], 1.0
	v_ldexp_f64 v[19:20], v[19:20], v6
	v_cndmask_b32_e32 v6, 0x7ff00000, v20, vcc_lo
	s_and_b32 vcc_lo, s4, vcc_lo
	v_cndmask_b32_e32 v17, 0, v19, vcc_lo
	v_cmp_le_i32_e32 vcc_lo, s48, v5
	v_cndmask_b32_e64 v18, 0, v6, s4
	s_or_b32 s42, vcc_lo, s42
	v_add_f64 v[3:4], v[3:4], v[17:18]
	s_andn2_b32 exec_lo, exec_lo, s42
	s_cbranch_execnz .LBB34_30
; %bb.31:
	s_or_b32 exec_lo, exec_lo, s42
.LBB34_32:
	s_or_b32 exec_lo, exec_lo, s5
	ds_bpermute_b32 v5, v10, v3
	ds_bpermute_b32 v6, v10, v4
	s_waitcnt lgkmcnt(0)
	s_barrier
	buffer_gl0_inv
	v_add_f64 v[3:4], v[3:4], v[5:6]
	ds_bpermute_b32 v5, v11, v3
	ds_bpermute_b32 v6, v11, v4
	s_waitcnt lgkmcnt(0)
	v_add_f64 v[3:4], v[3:4], v[5:6]
	ds_bpermute_b32 v5, v12, v3
	ds_bpermute_b32 v6, v12, v4
	s_waitcnt lgkmcnt(0)
	;; [unrolled: 4-line block ×3, first 2 shown]
	v_add_f64 v[3:4], v[3:4], v[5:6]
	ds_bpermute_b32 v5, v14, v3
	ds_bpermute_b32 v6, v14, v4
	s_and_saveexec_b32 s4, s1
	s_cbranch_execz .LBB34_34
; %bb.33:
	s_waitcnt lgkmcnt(0)
	v_add_f64 v[3:4], v[3:4], v[5:6]
	v_add_nc_u32_e32 v5, 0, v15
	ds_write_b64 v5, v[3:4]
.LBB34_34:
	s_or_b32 exec_lo, exec_lo, s4
	v_mov_b32_e32 v3, 0
	v_mov_b32_e32 v4, 0
	s_waitcnt lgkmcnt(0)
	s_barrier
	buffer_gl0_inv
	s_and_saveexec_b32 s1, s2
	s_cbranch_execnz .LBB34_57
; %bb.35:
	s_or_b32 exec_lo, exec_lo, s1
	s_and_saveexec_b32 s1, s3
	s_cbranch_execnz .LBB34_58
.LBB34_36:
	s_or_b32 exec_lo, exec_lo, s1
	s_and_saveexec_b32 s1, s0
	s_cbranch_execz .LBB34_38
.LBB34_37:
	v_mov_b32_e32 v5, 0
	s_waitcnt lgkmcnt(0)
	ds_write_b64 v5, v[3:4]
.LBB34_38:
	s_or_b32 exec_lo, exec_lo, s1
	s_waitcnt lgkmcnt(0)
	v_mov_b32_e32 v3, 0
	s_barrier
	buffer_gl0_inv
	s_mov_b32 s3, 0x3fe55555
	ds_read_b64 v[4:5], v3
	s_mov_b32 s2, 0x55555555
	s_mov_b32 s4, 0x6b47b09a
	;; [unrolled: 1-line block ×5, first 2 shown]
	s_waitcnt lgkmcnt(0)
	v_frexp_mant_f64_e32 v[10:11], v[4:5]
	v_cmp_gt_f64_e32 vcc_lo, s[2:3], v[10:11]
	s_mov_b32 s2, 0x55555780
	v_cndmask_b32_e64 v3, 0, 1, vcc_lo
	v_ldexp_f64 v[10:11], v[10:11], v3
	v_frexp_exp_i32_f64_e32 v3, v[4:5]
	v_add_f64 v[12:13], v[10:11], 1.0
	v_add_f64 v[18:19], v[10:11], -1.0
	v_subrev_co_ci_u32_e64 v3, null, 0, v3, vcc_lo
	v_cmp_class_f64_e64 vcc_lo, v[4:5], 0x204
	v_rcp_f64_e32 v[14:15], v[12:13]
	v_add_f64 v[20:21], v[12:13], -1.0
	v_add_f64 v[10:11], v[10:11], -v[20:21]
	v_fma_f64 v[16:17], -v[12:13], v[14:15], 1.0
	v_fma_f64 v[14:15], v[16:17], v[14:15], v[14:15]
	v_fma_f64 v[16:17], -v[12:13], v[14:15], 1.0
	v_fma_f64 v[14:15], v[16:17], v[14:15], v[14:15]
	v_mul_f64 v[16:17], v[18:19], v[14:15]
	v_mul_f64 v[22:23], v[12:13], v[16:17]
	v_fma_f64 v[12:13], v[16:17], v[12:13], -v[22:23]
	v_fma_f64 v[10:11], v[16:17], v[10:11], v[12:13]
	v_add_f64 v[12:13], v[22:23], v[10:11]
	v_add_f64 v[20:21], v[18:19], -v[12:13]
	v_add_f64 v[22:23], v[12:13], -v[22:23]
	;; [unrolled: 1-line block ×5, first 2 shown]
	v_add_f64 v[10:11], v[10:11], v[12:13]
	v_add_f64 v[10:11], v[20:21], v[10:11]
	v_mul_f64 v[10:11], v[14:15], v[10:11]
	v_add_f64 v[12:13], v[16:17], v[10:11]
	v_mul_f64 v[14:15], v[12:13], v[12:13]
	v_fma_f64 v[18:19], v[14:15], s[6:7], s[4:5]
	s_mov_b32 s4, 0xd7f4df2e
	s_mov_b32 s5, 0x3fc7474d
	v_mul_f64 v[20:21], v[12:13], v[14:15]
	v_fma_f64 v[18:19], v[14:15], v[18:19], s[4:5]
	s_mov_b32 s4, 0x16291751
	s_mov_b32 s5, 0x3fcc71c0
	v_fma_f64 v[18:19], v[14:15], v[18:19], s[4:5]
	s_mov_b32 s4, 0x9b27acf1
	s_mov_b32 s5, 0x3fd24924
	;; [unrolled: 3-line block ×3, first 2 shown]
	v_fma_f64 v[18:19], v[14:15], v[18:19], s[4:5]
	s_and_b32 s4, 0xffff, s45
	v_fma_f64 v[14:15], v[14:15], v[18:19], s[2:3]
	v_ldexp_f64 v[18:19], v[12:13], 1
	v_add_f64 v[12:13], v[12:13], -v[16:17]
	s_mov_b32 s2, 0xfefa39ef
	s_mov_b32 s3, 0x3fe62e42
	v_mul_f64 v[14:15], v[20:21], v[14:15]
	v_cvt_f64_i32_e32 v[20:21], v3
	v_add_f64 v[10:11], v[10:11], -v[12:13]
	v_add_f64 v[16:17], v[18:19], v[14:15]
	v_mul_f64 v[22:23], v[20:21], s[2:3]
	v_ldexp_f64 v[10:11], v[10:11], 1
	v_add_f64 v[12:13], v[16:17], -v[18:19]
	v_fma_f64 v[18:19], v[20:21], s[2:3], -v[22:23]
	s_mov_b32 s2, 0x3b39803f
	s_mov_b32 s3, 0x3c7abc9e
	v_add_f64 v[12:13], v[14:15], -v[12:13]
	v_fma_f64 v[14:15], v[20:21], s[2:3], v[18:19]
	s_add_u32 s2, s8, s12
	s_addc_u32 s3, s9, s13
	s_bfe_u32 s1, s2, 0x10003
	s_cmp_lg_u32 s44, s1
	s_mov_b32 s1, -1
	v_add_f64 v[10:11], v[10:11], v[12:13]
	v_add_f64 v[12:13], v[22:23], v[14:15]
	;; [unrolled: 1-line block ×3, first 2 shown]
	v_add_f64 v[22:23], v[12:13], -v[22:23]
	v_add_f64 v[20:21], v[12:13], v[18:19]
	v_add_f64 v[16:17], v[18:19], -v[16:17]
	v_add_f64 v[14:15], v[14:15], -v[22:23]
	;; [unrolled: 1-line block ×6, first 2 shown]
	v_add_f64 v[18:19], v[14:15], v[10:11]
	v_add_f64 v[12:13], v[12:13], -v[26:27]
	v_add_f64 v[12:13], v[16:17], v[12:13]
	v_add_f64 v[16:17], v[18:19], -v[14:15]
	;; [unrolled: 2-line block ×3, first 2 shown]
	v_add_f64 v[10:11], v[10:11], -v[16:17]
	v_add_f64 v[22:23], v[20:21], v[12:13]
	v_add_f64 v[14:15], v[14:15], -v[18:19]
	v_add_f64 v[16:17], v[22:23], -v[20:21]
	v_add_f64 v[10:11], v[10:11], v[14:15]
	v_add_f64 v[12:13], v[12:13], -v[16:17]
	v_add_f64 v[10:11], v[10:11], v[12:13]
	v_add_f64 v[10:11], v[22:23], v[10:11]
	v_cndmask_b32_e32 v3, v10, v4, vcc_lo
	v_cndmask_b32_e32 v6, v11, v5, vcc_lo
	v_cmp_ngt_f64_e32 vcc_lo, 0, v[4:5]
	v_cndmask_b32_e32 v6, 0x7ff80000, v6, vcc_lo
	v_cmp_nge_f64_e32 vcc_lo, 0, v[4:5]
	v_cndmask_b32_e32 v3, 0, v3, vcc_lo
	v_cmp_neq_f64_e32 vcc_lo, 0, v[4:5]
	v_cndmask_b32_e32 v4, 0xfff00000, v6, vcc_lo
	s_cbranch_scc0 .LBB34_43
; %bb.39:
	s_mov_b32 s5, exec_lo
	v_cmpx_gt_i32_e64 s33, v0
	s_cbranch_execz .LBB34_42
; %bb.40:
	v_mov_b32_e32 v5, v0
	s_mov_b32 s6, 0
	.p2align	6
.LBB34_41:                              ; =>This Inner Loop Header: Depth=1
	v_ashrrev_i32_e32 v6, 31, v5
	v_lshlrev_b64 v[10:11], 3, v[5:6]
	v_add_nc_u32_e32 v5, s4, v5
	v_add_co_u32 v12, vcc_lo, s10, v10
	v_add_co_ci_u32_e64 v13, null, s11, v11, vcc_lo
	v_cmp_le_i32_e32 vcc_lo, s33, v5
	v_add_co_u32 v10, s1, s2, v10
	global_load_dwordx2 v[12:13], v[12:13], off
	v_add_co_ci_u32_e64 v11, null, s3, v11, s1
	s_or_b32 s6, vcc_lo, s6
	s_waitcnt vmcnt(0)
	v_add_f64 v[12:13], v[12:13], -v[1:2]
	v_add_f64 v[12:13], v[12:13], -v[3:4]
	global_store_dwordx2 v[10:11], v[12:13], off
	s_andn2_b32 exec_lo, exec_lo, s6
	s_cbranch_execnz .LBB34_41
.LBB34_42:
	s_or_b32 exec_lo, exec_lo, s5
	s_mov_b32 s1, 0
.LBB34_43:
	s_andn2_b32 vcc_lo, exec_lo, s1
	s_cbranch_vccnz .LBB34_54
; %bb.44:
	v_cmp_ne_u32_e32 vcc_lo, 1, v9
	s_cbranch_vccnz .LBB34_48
; %bb.45:
	v_cmp_ge_i32_e32 vcc_lo, s33, v0
	s_xor_b32 s0, s0, -1
	s_and_b32 s1, s0, vcc_lo
	s_and_saveexec_b32 s0, s1
	s_cbranch_execz .LBB34_47
; %bb.46:
	v_lshlrev_b32_e32 v9, 3, v0
	global_load_dwordx2 v[5:6], v9, s[10:11] offset:-8
	s_waitcnt vmcnt(0)
	v_add_f64 v[5:6], v[5:6], -v[1:2]
	v_add_f64 v[5:6], v[5:6], -v[3:4]
	global_store_dwordx2 v9, v[5:6], s[2:3] offset:-8
.LBB34_47:
	s_or_b32 exec_lo, exec_lo, s0
	s_add_i32 s0, s33, 1
	s_lshl_b32 s1, s4, 3
	v_sub_nc_u32_e64 v5, s0, s4 clamp
	s_add_u32 s0, s10, s1
	s_addc_u32 s4, s11, 0
	s_add_u32 s10, s0, -8
	s_addc_u32 s11, s4, -1
	v_readfirstlane_b32 s33, v5
	s_add_u32 s0, s2, s1
	s_addc_u32 s1, s3, 0
	s_add_u32 s2, s0, -8
	s_addc_u32 s3, s1, -1
.LBB34_48:
	s_mul_hi_u32 s0, s33, s47
	s_mov_b32 s4, exec_lo
	s_mul_i32 s0, s0, s46
	s_sub_i32 s0, s33, s0
	s_sub_i32 s1, s0, s46
	s_cmp_ge_u32 s0, s46
	s_cselect_b32 s0, s1, s0
	s_sub_i32 s1, s0, s46
	s_cmp_ge_u32 s0, s46
	s_cselect_b32 s0, s1, s0
	s_sub_i32 s1, s33, s0
	v_cmpx_gt_i32_e64 s1, v7
	s_cbranch_execz .LBB34_51
; %bb.49:
	v_mov_b32_e32 v5, v0
	s_mov_b32 s5, 0
	.p2align	6
.LBB34_50:                              ; =>This Inner Loop Header: Depth=1
	v_ashrrev_i32_e32 v6, 31, v5
	v_lshlrev_b64 v[6:7], 4, v[5:6]
	v_add_nc_u32_e32 v5, v5, v8
	v_lshlrev_b32_e32 v13, 1, v5
	v_add_co_u32 v9, vcc_lo, s10, v6
	v_add_co_ci_u32_e64 v10, null, s11, v7, vcc_lo
	v_cmp_le_i32_e32 vcc_lo, s1, v13
	v_add_co_u32 v6, s0, s2, v6
	global_load_dwordx4 v[9:12], v[9:10], off
	v_add_co_ci_u32_e64 v7, null, s3, v7, s0
	s_or_b32 s5, vcc_lo, s5
	s_waitcnt vmcnt(0)
	v_add_f64 v[9:10], v[9:10], -v[1:2]
	v_add_f64 v[11:12], v[11:12], -v[1:2]
	;; [unrolled: 1-line block ×4, first 2 shown]
	global_store_dwordx4 v[6:7], v[9:12], off
	s_andn2_b32 exec_lo, exec_lo, s5
	s_cbranch_execnz .LBB34_50
.LBB34_51:
	s_or_b32 exec_lo, exec_lo, s4
	v_add_nc_u32_e32 v5, s1, v0
	s_mov_b32 s0, exec_lo
	v_cmpx_gt_i32_e64 s33, v5
	s_cbranch_execz .LBB34_54
; %bb.52:
	s_mov_b32 s1, 0
	.p2align	6
.LBB34_53:                              ; =>This Inner Loop Header: Depth=1
	v_ashrrev_i32_e32 v6, 31, v5
	v_lshlrev_b64 v[6:7], 3, v[5:6]
	v_add_nc_u32_e32 v5, v5, v8
	v_add_co_u32 v9, vcc_lo, s10, v6
	v_add_co_ci_u32_e64 v10, null, s11, v7, vcc_lo
	v_cmp_le_i32_e32 vcc_lo, s33, v5
	v_add_co_u32 v6, s0, s2, v6
	global_load_dwordx2 v[9:10], v[9:10], off
	v_add_co_ci_u32_e64 v7, null, s3, v7, s0
	s_or_b32 s1, vcc_lo, s1
	s_waitcnt vmcnt(0)
	v_add_f64 v[9:10], v[9:10], -v[1:2]
	v_add_f64 v[9:10], v[9:10], -v[3:4]
	global_store_dwordx2 v[6:7], v[9:10], off
	s_andn2_b32 exec_lo, exec_lo, s1
	s_cbranch_execnz .LBB34_53
.LBB34_54:
	s_endpgm
.LBB34_55:
	ds_read_b64 v[1:2], v16
	s_or_b32 exec_lo, exec_lo, s0
	v_cmp_gt_u32_e64 s3, 32, v0
	s_and_saveexec_b32 s0, s3
	s_cbranch_execz .LBB34_18
.LBB34_56:
	s_waitcnt lgkmcnt(0)
	ds_bpermute_b32 v5, v10, v2
	ds_bpermute_b32 v3, v10, v1
	s_waitcnt lgkmcnt(1)
	v_mov_b32_e32 v4, v5
	s_waitcnt lgkmcnt(0)
	v_cmp_lt_f64_e32 vcc_lo, v[1:2], v[3:4]
	v_cndmask_b32_e32 v2, v2, v5, vcc_lo
	v_cndmask_b32_e32 v1, v1, v3, vcc_lo
	ds_bpermute_b32 v5, v11, v2
	ds_bpermute_b32 v3, v11, v1
	s_waitcnt lgkmcnt(1)
	v_mov_b32_e32 v4, v5
	s_waitcnt lgkmcnt(0)
	v_cmp_lt_f64_e32 vcc_lo, v[1:2], v[3:4]
	v_cndmask_b32_e32 v2, v2, v5, vcc_lo
	v_cndmask_b32_e32 v1, v1, v3, vcc_lo
	ds_bpermute_b32 v5, v12, v2
	ds_bpermute_b32 v3, v12, v1
	s_waitcnt lgkmcnt(1)
	v_mov_b32_e32 v4, v5
	s_waitcnt lgkmcnt(0)
	v_cmp_lt_f64_e32 vcc_lo, v[1:2], v[3:4]
	v_cndmask_b32_e32 v2, v2, v5, vcc_lo
	v_cndmask_b32_e32 v1, v1, v3, vcc_lo
	ds_bpermute_b32 v5, v13, v2
	ds_bpermute_b32 v3, v13, v1
	s_waitcnt lgkmcnt(1)
	v_mov_b32_e32 v4, v5
	s_waitcnt lgkmcnt(0)
	v_cmp_lt_f64_e32 vcc_lo, v[1:2], v[3:4]
	v_cndmask_b32_e32 v2, v2, v5, vcc_lo
	v_cndmask_b32_e32 v1, v1, v3, vcc_lo
	ds_bpermute_b32 v5, v14, v2
	ds_bpermute_b32 v3, v14, v1
	s_waitcnt lgkmcnt(1)
	v_mov_b32_e32 v4, v5
	s_waitcnt lgkmcnt(0)
	v_cmp_lt_f64_e32 vcc_lo, v[1:2], v[3:4]
	v_cndmask_b32_e32 v2, v2, v5, vcc_lo
	v_cndmask_b32_e32 v1, v1, v3, vcc_lo
	s_or_b32 exec_lo, exec_lo, s0
	v_cmp_eq_u32_e64 s0, 0, v0
	s_and_saveexec_b32 s4, s0
	s_cbranch_execnz .LBB34_19
	s_branch .LBB34_20
.LBB34_57:
	ds_read_b64 v[3:4], v16
	s_or_b32 exec_lo, exec_lo, s1
	s_and_saveexec_b32 s1, s3
	s_cbranch_execz .LBB34_36
.LBB34_58:
	s_waitcnt lgkmcnt(0)
	ds_bpermute_b32 v5, v10, v3
	ds_bpermute_b32 v6, v10, v4
	s_waitcnt lgkmcnt(0)
	v_add_f64 v[3:4], v[3:4], v[5:6]
	ds_bpermute_b32 v5, v11, v3
	ds_bpermute_b32 v6, v11, v4
	s_waitcnt lgkmcnt(0)
	v_add_f64 v[3:4], v[3:4], v[5:6]
	;; [unrolled: 4-line block ×5, first 2 shown]
	s_or_b32 exec_lo, exec_lo, s1
	s_and_saveexec_b32 s1, s0
	s_cbranch_execnz .LBB34_37
	s_branch .LBB34_38
	.section	.rodata,"a",@progbits
	.p2align	6, 0x0
	.amdhsa_kernel _ZN2at6native12_GLOBAL__N_119cunn_SoftMaxForwardILi2EdddNS1_25LogSoftMaxForwardEpilogueEEEvPT2_PKT0_i
		.amdhsa_group_segment_fixed_size 0
		.amdhsa_private_segment_fixed_size 0
		.amdhsa_kernarg_size 280
		.amdhsa_user_sgpr_count 6
		.amdhsa_user_sgpr_private_segment_buffer 1
		.amdhsa_user_sgpr_dispatch_ptr 0
		.amdhsa_user_sgpr_queue_ptr 0
		.amdhsa_user_sgpr_kernarg_segment_ptr 1
		.amdhsa_user_sgpr_dispatch_id 0
		.amdhsa_user_sgpr_flat_scratch_init 0
		.amdhsa_user_sgpr_private_segment_size 0
		.amdhsa_wavefront_size32 1
		.amdhsa_uses_dynamic_stack 0
		.amdhsa_system_sgpr_private_segment_wavefront_offset 0
		.amdhsa_system_sgpr_workgroup_id_x 1
		.amdhsa_system_sgpr_workgroup_id_y 0
		.amdhsa_system_sgpr_workgroup_id_z 0
		.amdhsa_system_sgpr_workgroup_info 0
		.amdhsa_system_vgpr_workitem_id 0
		.amdhsa_next_free_vgpr 33
		.amdhsa_next_free_sgpr 51
		.amdhsa_reserve_vcc 1
		.amdhsa_reserve_flat_scratch 0
		.amdhsa_float_round_mode_32 0
		.amdhsa_float_round_mode_16_64 0
		.amdhsa_float_denorm_mode_32 3
		.amdhsa_float_denorm_mode_16_64 3
		.amdhsa_dx10_clamp 1
		.amdhsa_ieee_mode 1
		.amdhsa_fp16_overflow 0
		.amdhsa_workgroup_processor_mode 1
		.amdhsa_memory_ordered 1
		.amdhsa_forward_progress 1
		.amdhsa_shared_vgpr_count 0
		.amdhsa_exception_fp_ieee_invalid_op 0
		.amdhsa_exception_fp_denorm_src 0
		.amdhsa_exception_fp_ieee_div_zero 0
		.amdhsa_exception_fp_ieee_overflow 0
		.amdhsa_exception_fp_ieee_underflow 0
		.amdhsa_exception_fp_ieee_inexact 0
		.amdhsa_exception_int_div_zero 0
	.end_amdhsa_kernel
	.section	.text._ZN2at6native12_GLOBAL__N_119cunn_SoftMaxForwardILi2EdddNS1_25LogSoftMaxForwardEpilogueEEEvPT2_PKT0_i,"axG",@progbits,_ZN2at6native12_GLOBAL__N_119cunn_SoftMaxForwardILi2EdddNS1_25LogSoftMaxForwardEpilogueEEEvPT2_PKT0_i,comdat
.Lfunc_end34:
	.size	_ZN2at6native12_GLOBAL__N_119cunn_SoftMaxForwardILi2EdddNS1_25LogSoftMaxForwardEpilogueEEEvPT2_PKT0_i, .Lfunc_end34-_ZN2at6native12_GLOBAL__N_119cunn_SoftMaxForwardILi2EdddNS1_25LogSoftMaxForwardEpilogueEEEvPT2_PKT0_i
                                        ; -- End function
	.set _ZN2at6native12_GLOBAL__N_119cunn_SoftMaxForwardILi2EdddNS1_25LogSoftMaxForwardEpilogueEEEvPT2_PKT0_i.num_vgpr, 33
	.set _ZN2at6native12_GLOBAL__N_119cunn_SoftMaxForwardILi2EdddNS1_25LogSoftMaxForwardEpilogueEEEvPT2_PKT0_i.num_agpr, 0
	.set _ZN2at6native12_GLOBAL__N_119cunn_SoftMaxForwardILi2EdddNS1_25LogSoftMaxForwardEpilogueEEEvPT2_PKT0_i.numbered_sgpr, 51
	.set _ZN2at6native12_GLOBAL__N_119cunn_SoftMaxForwardILi2EdddNS1_25LogSoftMaxForwardEpilogueEEEvPT2_PKT0_i.num_named_barrier, 0
	.set _ZN2at6native12_GLOBAL__N_119cunn_SoftMaxForwardILi2EdddNS1_25LogSoftMaxForwardEpilogueEEEvPT2_PKT0_i.private_seg_size, 0
	.set _ZN2at6native12_GLOBAL__N_119cunn_SoftMaxForwardILi2EdddNS1_25LogSoftMaxForwardEpilogueEEEvPT2_PKT0_i.uses_vcc, 1
	.set _ZN2at6native12_GLOBAL__N_119cunn_SoftMaxForwardILi2EdddNS1_25LogSoftMaxForwardEpilogueEEEvPT2_PKT0_i.uses_flat_scratch, 0
	.set _ZN2at6native12_GLOBAL__N_119cunn_SoftMaxForwardILi2EdddNS1_25LogSoftMaxForwardEpilogueEEEvPT2_PKT0_i.has_dyn_sized_stack, 0
	.set _ZN2at6native12_GLOBAL__N_119cunn_SoftMaxForwardILi2EdddNS1_25LogSoftMaxForwardEpilogueEEEvPT2_PKT0_i.has_recursion, 0
	.set _ZN2at6native12_GLOBAL__N_119cunn_SoftMaxForwardILi2EdddNS1_25LogSoftMaxForwardEpilogueEEEvPT2_PKT0_i.has_indirect_call, 0
	.section	.AMDGPU.csdata,"",@progbits
; Kernel info:
; codeLenInByte = 5276
; TotalNumSgprs: 53
; NumVgprs: 33
; ScratchSize: 0
; MemoryBound: 0
; FloatMode: 240
; IeeeMode: 1
; LDSByteSize: 0 bytes/workgroup (compile time only)
; SGPRBlocks: 0
; VGPRBlocks: 4
; NumSGPRsForWavesPerEU: 53
; NumVGPRsForWavesPerEU: 33
; Occupancy: 16
; WaveLimiterHint : 0
; COMPUTE_PGM_RSRC2:SCRATCH_EN: 0
; COMPUTE_PGM_RSRC2:USER_SGPR: 6
; COMPUTE_PGM_RSRC2:TRAP_HANDLER: 0
; COMPUTE_PGM_RSRC2:TGID_X_EN: 1
; COMPUTE_PGM_RSRC2:TGID_Y_EN: 0
; COMPUTE_PGM_RSRC2:TGID_Z_EN: 0
; COMPUTE_PGM_RSRC2:TIDIG_COMP_CNT: 0
	.section	.text._ZN12_GLOBAL__N_120softmax_warp_forwardIfffLi0ELb1ELb0ELi64EEEvPT0_PKT_iiiPKbib,"axG",@progbits,_ZN12_GLOBAL__N_120softmax_warp_forwardIfffLi0ELb1ELb0ELi64EEEvPT0_PKT_iiiPKbib,comdat
	.globl	_ZN12_GLOBAL__N_120softmax_warp_forwardIfffLi0ELb1ELb0ELi64EEEvPT0_PKT_iiiPKbib ; -- Begin function _ZN12_GLOBAL__N_120softmax_warp_forwardIfffLi0ELb1ELb0ELi64EEEvPT0_PKT_iiiPKbib
	.p2align	8
	.type	_ZN12_GLOBAL__N_120softmax_warp_forwardIfffLi0ELb1ELb0ELi64EEEvPT0_PKT_iiiPKbib,@function
_ZN12_GLOBAL__N_120softmax_warp_forwardIfffLi0ELb1ELb0ELi64EEEvPT0_PKT_iiiPKbib: ; @_ZN12_GLOBAL__N_120softmax_warp_forwardIfffLi0ELb1ELb0ELi64EEEvPT0_PKT_iiiPKbib
; %bb.0:
	s_clause 0x1
	s_load_dword s0, s[4:5], 0x3c
	s_load_dwordx8 s[8:15], s[4:5], 0x0
	v_mov_b32_e32 v6, 0xff800000
	v_mov_b32_e32 v7, 0xff800000
	s_waitcnt lgkmcnt(0)
	s_lshr_b32 s0, s0, 16
	v_cmp_gt_i32_e32 vcc_lo, s14, v0
	s_and_b32 s0, s0, 0xffff
	s_mul_i32 s6, s6, s0
	v_add_lshl_u32 v3, s6, v1, 1
	v_mad_u64_u32 v[1:2], null, v3, s13, v[0:1]
	v_sub_nc_u32_e32 v5, s12, v3
	v_cmp_lt_i32_e64 s0, 0, v5
	v_ashrrev_i32_e32 v2, 31, v1
	s_and_b32 s2, vcc_lo, s0
	v_lshlrev_b64 v[1:2], 2, v[1:2]
	v_add_co_u32 v3, s1, s10, v1
	v_add_co_ci_u32_e64 v4, null, s11, v2, s1
	s_and_saveexec_b32 s1, s2
	s_cbranch_execz .LBB35_2
; %bb.1:
	global_load_dword v7, v[3:4], off
.LBB35_2:
	s_or_b32 exec_lo, exec_lo, s1
	v_cmp_lt_i32_e64 s1, 1, v5
	s_and_b32 s1, vcc_lo, s1
	s_and_saveexec_b32 s2, s1
	s_cbranch_execz .LBB35_4
; %bb.3:
	s_mov_b32 s15, 0
	s_lshl_b64 s[4:5], s[14:15], 2
	v_add_co_u32 v3, s1, v3, s4
	v_add_co_ci_u32_e64 v4, null, s5, v4, s1
	global_load_dword v6, v[3:4], off
.LBB35_4:
	s_or_b32 exec_lo, exec_lo, s2
	s_and_saveexec_b32 s1, s0
	s_cbranch_execz .LBB35_9
; %bb.5:
	v_add_co_u32 v0, s0, s8, v1
	v_add_co_ci_u32_e64 v1, null, s9, v2, s0
	s_and_saveexec_b32 s2, vcc_lo
	s_cbranch_execz .LBB35_7
; %bb.6:
	s_waitcnt vmcnt(0)
	v_sub_f32_e32 v2, v7, v7
	v_mul_f32_e32 v3, 0x3fb8aa3b, v2
	v_cmp_ngt_f32_e64 s0, 0xc2ce8ed0, v2
	v_rndne_f32_e32 v4, v3
	v_fma_f32 v7, 0x3fb8aa3b, v2, -v3
	v_sub_f32_e32 v3, v3, v4
	v_fmamk_f32 v7, v2, 0x32a5705f, v7
	v_cvt_i32_f32_e32 v4, v4
	v_add_f32_e32 v3, v3, v7
	v_exp_f32_e32 v3, v3
	v_ldexp_f32 v3, v3, v4
	v_cndmask_b32_e64 v3, 0, v3, s0
	v_cmp_nlt_f32_e64 s0, 0x42b17218, v2
	v_cndmask_b32_e64 v3, 0x7f800000, v3, s0
	v_cmp_gt_f32_e64 s0, 0x800000, v3
	v_cndmask_b32_e64 v4, 0, 32, s0
	v_ldexp_f32 v3, v3, v4
	v_log_f32_e32 v3, v3
	v_mul_f32_e32 v4, 0x3f317217, v3
	v_cmp_gt_f32_e64 s1, 0x7f800000, |v3|
	v_fma_f32 v4, 0x3f317217, v3, -v4
	v_fmamk_f32 v4, v3, 0x3377d1cf, v4
	v_fmac_f32_e32 v4, 0x3f317217, v3
	v_cndmask_b32_e64 v3, v3, v4, s1
	v_cndmask_b32_e64 v4, 0, 0x41b17218, s0
	v_sub_f32_e32 v3, v3, v4
	v_sub_f32_e32 v2, v2, v3
	global_store_dword v[0:1], v2, off
.LBB35_7:
	s_or_b32 exec_lo, exec_lo, s2
	v_cmp_ne_u32_e64 s0, 1, v5
	s_and_b32 s0, s0, vcc_lo
	s_and_b32 exec_lo, exec_lo, s0
	s_cbranch_execz .LBB35_9
; %bb.8:
	s_waitcnt vmcnt(0)
	v_sub_f32_e32 v2, v6, v6
	s_mov_b32 s15, 0
	s_lshl_b64 s[0:1], s[14:15], 2
	v_mul_f32_e32 v3, 0x3fb8aa3b, v2
	v_cmp_ngt_f32_e32 vcc_lo, 0xc2ce8ed0, v2
	v_rndne_f32_e32 v4, v3
	v_fma_f32 v5, 0x3fb8aa3b, v2, -v3
	v_sub_f32_e32 v3, v3, v4
	v_fmamk_f32 v5, v2, 0x32a5705f, v5
	v_cvt_i32_f32_e32 v4, v4
	v_add_f32_e32 v3, v3, v5
	v_exp_f32_e32 v3, v3
	v_ldexp_f32 v3, v3, v4
	v_cndmask_b32_e32 v3, 0, v3, vcc_lo
	v_cmp_nlt_f32_e32 vcc_lo, 0x42b17218, v2
	v_cndmask_b32_e32 v3, 0x7f800000, v3, vcc_lo
	v_cmp_gt_f32_e32 vcc_lo, 0x800000, v3
	v_cndmask_b32_e64 v4, 0, 32, vcc_lo
	v_cndmask_b32_e64 v5, 0, 0x41b17218, vcc_lo
	v_ldexp_f32 v3, v3, v4
	v_log_f32_e32 v3, v3
	v_mul_f32_e32 v4, 0x3f317217, v3
	v_cmp_gt_f32_e64 vcc_lo, 0x7f800000, |v3|
	v_fma_f32 v4, 0x3f317217, v3, -v4
	v_fmamk_f32 v4, v3, 0x3377d1cf, v4
	v_fmac_f32_e32 v4, 0x3f317217, v3
	v_cndmask_b32_e32 v3, v3, v4, vcc_lo
	v_add_co_u32 v0, vcc_lo, v0, s0
	v_add_co_ci_u32_e64 v1, null, s1, v1, vcc_lo
	v_sub_f32_e32 v3, v3, v5
	v_sub_f32_e32 v2, v2, v3
	global_store_dword v[0:1], v2, off
.LBB35_9:
	s_endpgm
	.section	.rodata,"a",@progbits
	.p2align	6, 0x0
	.amdhsa_kernel _ZN12_GLOBAL__N_120softmax_warp_forwardIfffLi0ELb1ELb0ELi64EEEvPT0_PKT_iiiPKbib
		.amdhsa_group_segment_fixed_size 0
		.amdhsa_private_segment_fixed_size 0
		.amdhsa_kernarg_size 304
		.amdhsa_user_sgpr_count 6
		.amdhsa_user_sgpr_private_segment_buffer 1
		.amdhsa_user_sgpr_dispatch_ptr 0
		.amdhsa_user_sgpr_queue_ptr 0
		.amdhsa_user_sgpr_kernarg_segment_ptr 1
		.amdhsa_user_sgpr_dispatch_id 0
		.amdhsa_user_sgpr_flat_scratch_init 0
		.amdhsa_user_sgpr_private_segment_size 0
		.amdhsa_wavefront_size32 1
		.amdhsa_uses_dynamic_stack 0
		.amdhsa_system_sgpr_private_segment_wavefront_offset 0
		.amdhsa_system_sgpr_workgroup_id_x 1
		.amdhsa_system_sgpr_workgroup_id_y 0
		.amdhsa_system_sgpr_workgroup_id_z 0
		.amdhsa_system_sgpr_workgroup_info 0
		.amdhsa_system_vgpr_workitem_id 1
		.amdhsa_next_free_vgpr 8
		.amdhsa_next_free_sgpr 16
		.amdhsa_reserve_vcc 1
		.amdhsa_reserve_flat_scratch 0
		.amdhsa_float_round_mode_32 0
		.amdhsa_float_round_mode_16_64 0
		.amdhsa_float_denorm_mode_32 3
		.amdhsa_float_denorm_mode_16_64 3
		.amdhsa_dx10_clamp 1
		.amdhsa_ieee_mode 1
		.amdhsa_fp16_overflow 0
		.amdhsa_workgroup_processor_mode 1
		.amdhsa_memory_ordered 1
		.amdhsa_forward_progress 1
		.amdhsa_shared_vgpr_count 0
		.amdhsa_exception_fp_ieee_invalid_op 0
		.amdhsa_exception_fp_denorm_src 0
		.amdhsa_exception_fp_ieee_div_zero 0
		.amdhsa_exception_fp_ieee_overflow 0
		.amdhsa_exception_fp_ieee_underflow 0
		.amdhsa_exception_fp_ieee_inexact 0
		.amdhsa_exception_int_div_zero 0
	.end_amdhsa_kernel
	.section	.text._ZN12_GLOBAL__N_120softmax_warp_forwardIfffLi0ELb1ELb0ELi64EEEvPT0_PKT_iiiPKbib,"axG",@progbits,_ZN12_GLOBAL__N_120softmax_warp_forwardIfffLi0ELb1ELb0ELi64EEEvPT0_PKT_iiiPKbib,comdat
.Lfunc_end35:
	.size	_ZN12_GLOBAL__N_120softmax_warp_forwardIfffLi0ELb1ELb0ELi64EEEvPT0_PKT_iiiPKbib, .Lfunc_end35-_ZN12_GLOBAL__N_120softmax_warp_forwardIfffLi0ELb1ELb0ELi64EEEvPT0_PKT_iiiPKbib
                                        ; -- End function
	.set _ZN12_GLOBAL__N_120softmax_warp_forwardIfffLi0ELb1ELb0ELi64EEEvPT0_PKT_iiiPKbib.num_vgpr, 8
	.set _ZN12_GLOBAL__N_120softmax_warp_forwardIfffLi0ELb1ELb0ELi64EEEvPT0_PKT_iiiPKbib.num_agpr, 0
	.set _ZN12_GLOBAL__N_120softmax_warp_forwardIfffLi0ELb1ELb0ELi64EEEvPT0_PKT_iiiPKbib.numbered_sgpr, 16
	.set _ZN12_GLOBAL__N_120softmax_warp_forwardIfffLi0ELb1ELb0ELi64EEEvPT0_PKT_iiiPKbib.num_named_barrier, 0
	.set _ZN12_GLOBAL__N_120softmax_warp_forwardIfffLi0ELb1ELb0ELi64EEEvPT0_PKT_iiiPKbib.private_seg_size, 0
	.set _ZN12_GLOBAL__N_120softmax_warp_forwardIfffLi0ELb1ELb0ELi64EEEvPT0_PKT_iiiPKbib.uses_vcc, 1
	.set _ZN12_GLOBAL__N_120softmax_warp_forwardIfffLi0ELb1ELb0ELi64EEEvPT0_PKT_iiiPKbib.uses_flat_scratch, 0
	.set _ZN12_GLOBAL__N_120softmax_warp_forwardIfffLi0ELb1ELb0ELi64EEEvPT0_PKT_iiiPKbib.has_dyn_sized_stack, 0
	.set _ZN12_GLOBAL__N_120softmax_warp_forwardIfffLi0ELb1ELb0ELi64EEEvPT0_PKT_iiiPKbib.has_recursion, 0
	.set _ZN12_GLOBAL__N_120softmax_warp_forwardIfffLi0ELb1ELb0ELi64EEEvPT0_PKT_iiiPKbib.has_indirect_call, 0
	.section	.AMDGPU.csdata,"",@progbits
; Kernel info:
; codeLenInByte = 704
; TotalNumSgprs: 18
; NumVgprs: 8
; ScratchSize: 0
; MemoryBound: 0
; FloatMode: 240
; IeeeMode: 1
; LDSByteSize: 0 bytes/workgroup (compile time only)
; SGPRBlocks: 0
; VGPRBlocks: 0
; NumSGPRsForWavesPerEU: 18
; NumVGPRsForWavesPerEU: 8
; Occupancy: 16
; WaveLimiterHint : 0
; COMPUTE_PGM_RSRC2:SCRATCH_EN: 0
; COMPUTE_PGM_RSRC2:USER_SGPR: 6
; COMPUTE_PGM_RSRC2:TRAP_HANDLER: 0
; COMPUTE_PGM_RSRC2:TGID_X_EN: 1
; COMPUTE_PGM_RSRC2:TGID_Y_EN: 0
; COMPUTE_PGM_RSRC2:TGID_Z_EN: 0
; COMPUTE_PGM_RSRC2:TIDIG_COMP_CNT: 1
	.section	.text._ZN12_GLOBAL__N_120softmax_warp_forwardIfffLi0ELb1ELb0ELi32EEEvPT0_PKT_iiiPKbib,"axG",@progbits,_ZN12_GLOBAL__N_120softmax_warp_forwardIfffLi0ELb1ELb0ELi32EEEvPT0_PKT_iiiPKbib,comdat
	.globl	_ZN12_GLOBAL__N_120softmax_warp_forwardIfffLi0ELb1ELb0ELi32EEEvPT0_PKT_iiiPKbib ; -- Begin function _ZN12_GLOBAL__N_120softmax_warp_forwardIfffLi0ELb1ELb0ELi32EEEvPT0_PKT_iiiPKbib
	.p2align	8
	.type	_ZN12_GLOBAL__N_120softmax_warp_forwardIfffLi0ELb1ELb0ELi32EEEvPT0_PKT_iiiPKbib,@function
_ZN12_GLOBAL__N_120softmax_warp_forwardIfffLi0ELb1ELb0ELi32EEEvPT0_PKT_iiiPKbib: ; @_ZN12_GLOBAL__N_120softmax_warp_forwardIfffLi0ELb1ELb0ELi32EEEvPT0_PKT_iiiPKbib
; %bb.0:
	s_clause 0x1
	s_load_dword s0, s[4:5], 0x3c
	s_load_dwordx8 s[8:15], s[4:5], 0x0
	v_mov_b32_e32 v6, 0xff800000
	v_mov_b32_e32 v7, 0xff800000
	s_waitcnt lgkmcnt(0)
	s_lshr_b32 s0, s0, 16
	v_cmp_gt_i32_e32 vcc_lo, s14, v0
	s_and_b32 s0, s0, 0xffff
	s_mul_i32 s6, s6, s0
	v_add_lshl_u32 v3, s6, v1, 1
	v_mad_u64_u32 v[1:2], null, v3, s13, v[0:1]
	v_sub_nc_u32_e32 v5, s12, v3
	v_cmp_lt_i32_e64 s0, 0, v5
	v_ashrrev_i32_e32 v2, 31, v1
	s_and_b32 s2, vcc_lo, s0
	v_lshlrev_b64 v[1:2], 2, v[1:2]
	v_add_co_u32 v3, s1, s10, v1
	v_add_co_ci_u32_e64 v4, null, s11, v2, s1
	s_and_saveexec_b32 s1, s2
	s_cbranch_execz .LBB36_2
; %bb.1:
	global_load_dword v7, v[3:4], off
.LBB36_2:
	s_or_b32 exec_lo, exec_lo, s1
	v_cmp_lt_i32_e64 s1, 1, v5
	s_and_b32 s1, vcc_lo, s1
	s_and_saveexec_b32 s2, s1
	s_cbranch_execz .LBB36_4
; %bb.3:
	s_mov_b32 s15, 0
	s_lshl_b64 s[4:5], s[14:15], 2
	v_add_co_u32 v3, s1, v3, s4
	v_add_co_ci_u32_e64 v4, null, s5, v4, s1
	global_load_dword v6, v[3:4], off
.LBB36_4:
	s_or_b32 exec_lo, exec_lo, s2
	s_and_saveexec_b32 s1, s0
	s_cbranch_execz .LBB36_9
; %bb.5:
	v_add_co_u32 v0, s0, s8, v1
	v_add_co_ci_u32_e64 v1, null, s9, v2, s0
	s_and_saveexec_b32 s2, vcc_lo
	s_cbranch_execz .LBB36_7
; %bb.6:
	s_waitcnt vmcnt(0)
	v_sub_f32_e32 v2, v7, v7
	v_mul_f32_e32 v3, 0x3fb8aa3b, v2
	v_cmp_ngt_f32_e64 s0, 0xc2ce8ed0, v2
	v_rndne_f32_e32 v4, v3
	v_fma_f32 v7, 0x3fb8aa3b, v2, -v3
	v_sub_f32_e32 v3, v3, v4
	v_fmamk_f32 v7, v2, 0x32a5705f, v7
	v_cvt_i32_f32_e32 v4, v4
	v_add_f32_e32 v3, v3, v7
	v_exp_f32_e32 v3, v3
	v_ldexp_f32 v3, v3, v4
	v_cndmask_b32_e64 v3, 0, v3, s0
	v_cmp_nlt_f32_e64 s0, 0x42b17218, v2
	v_cndmask_b32_e64 v3, 0x7f800000, v3, s0
	v_cmp_gt_f32_e64 s0, 0x800000, v3
	v_cndmask_b32_e64 v4, 0, 32, s0
	v_ldexp_f32 v3, v3, v4
	v_log_f32_e32 v3, v3
	v_mul_f32_e32 v4, 0x3f317217, v3
	v_cmp_gt_f32_e64 s1, 0x7f800000, |v3|
	v_fma_f32 v4, 0x3f317217, v3, -v4
	v_fmamk_f32 v4, v3, 0x3377d1cf, v4
	v_fmac_f32_e32 v4, 0x3f317217, v3
	v_cndmask_b32_e64 v3, v3, v4, s1
	v_cndmask_b32_e64 v4, 0, 0x41b17218, s0
	v_sub_f32_e32 v3, v3, v4
	v_sub_f32_e32 v2, v2, v3
	global_store_dword v[0:1], v2, off
.LBB36_7:
	s_or_b32 exec_lo, exec_lo, s2
	v_cmp_ne_u32_e64 s0, 1, v5
	s_and_b32 s0, s0, vcc_lo
	s_and_b32 exec_lo, exec_lo, s0
	s_cbranch_execz .LBB36_9
; %bb.8:
	s_waitcnt vmcnt(0)
	v_sub_f32_e32 v2, v6, v6
	s_mov_b32 s15, 0
	s_lshl_b64 s[0:1], s[14:15], 2
	v_mul_f32_e32 v3, 0x3fb8aa3b, v2
	v_cmp_ngt_f32_e32 vcc_lo, 0xc2ce8ed0, v2
	v_rndne_f32_e32 v4, v3
	v_fma_f32 v5, 0x3fb8aa3b, v2, -v3
	v_sub_f32_e32 v3, v3, v4
	v_fmamk_f32 v5, v2, 0x32a5705f, v5
	v_cvt_i32_f32_e32 v4, v4
	v_add_f32_e32 v3, v3, v5
	v_exp_f32_e32 v3, v3
	v_ldexp_f32 v3, v3, v4
	v_cndmask_b32_e32 v3, 0, v3, vcc_lo
	v_cmp_nlt_f32_e32 vcc_lo, 0x42b17218, v2
	v_cndmask_b32_e32 v3, 0x7f800000, v3, vcc_lo
	v_cmp_gt_f32_e32 vcc_lo, 0x800000, v3
	v_cndmask_b32_e64 v4, 0, 32, vcc_lo
	v_cndmask_b32_e64 v5, 0, 0x41b17218, vcc_lo
	v_ldexp_f32 v3, v3, v4
	v_log_f32_e32 v3, v3
	v_mul_f32_e32 v4, 0x3f317217, v3
	v_cmp_gt_f32_e64 vcc_lo, 0x7f800000, |v3|
	v_fma_f32 v4, 0x3f317217, v3, -v4
	v_fmamk_f32 v4, v3, 0x3377d1cf, v4
	v_fmac_f32_e32 v4, 0x3f317217, v3
	v_cndmask_b32_e32 v3, v3, v4, vcc_lo
	v_add_co_u32 v0, vcc_lo, v0, s0
	v_add_co_ci_u32_e64 v1, null, s1, v1, vcc_lo
	v_sub_f32_e32 v3, v3, v5
	v_sub_f32_e32 v2, v2, v3
	global_store_dword v[0:1], v2, off
.LBB36_9:
	s_endpgm
	.section	.rodata,"a",@progbits
	.p2align	6, 0x0
	.amdhsa_kernel _ZN12_GLOBAL__N_120softmax_warp_forwardIfffLi0ELb1ELb0ELi32EEEvPT0_PKT_iiiPKbib
		.amdhsa_group_segment_fixed_size 0
		.amdhsa_private_segment_fixed_size 0
		.amdhsa_kernarg_size 304
		.amdhsa_user_sgpr_count 6
		.amdhsa_user_sgpr_private_segment_buffer 1
		.amdhsa_user_sgpr_dispatch_ptr 0
		.amdhsa_user_sgpr_queue_ptr 0
		.amdhsa_user_sgpr_kernarg_segment_ptr 1
		.amdhsa_user_sgpr_dispatch_id 0
		.amdhsa_user_sgpr_flat_scratch_init 0
		.amdhsa_user_sgpr_private_segment_size 0
		.amdhsa_wavefront_size32 1
		.amdhsa_uses_dynamic_stack 0
		.amdhsa_system_sgpr_private_segment_wavefront_offset 0
		.amdhsa_system_sgpr_workgroup_id_x 1
		.amdhsa_system_sgpr_workgroup_id_y 0
		.amdhsa_system_sgpr_workgroup_id_z 0
		.amdhsa_system_sgpr_workgroup_info 0
		.amdhsa_system_vgpr_workitem_id 1
		.amdhsa_next_free_vgpr 8
		.amdhsa_next_free_sgpr 16
		.amdhsa_reserve_vcc 1
		.amdhsa_reserve_flat_scratch 0
		.amdhsa_float_round_mode_32 0
		.amdhsa_float_round_mode_16_64 0
		.amdhsa_float_denorm_mode_32 3
		.amdhsa_float_denorm_mode_16_64 3
		.amdhsa_dx10_clamp 1
		.amdhsa_ieee_mode 1
		.amdhsa_fp16_overflow 0
		.amdhsa_workgroup_processor_mode 1
		.amdhsa_memory_ordered 1
		.amdhsa_forward_progress 1
		.amdhsa_shared_vgpr_count 0
		.amdhsa_exception_fp_ieee_invalid_op 0
		.amdhsa_exception_fp_denorm_src 0
		.amdhsa_exception_fp_ieee_div_zero 0
		.amdhsa_exception_fp_ieee_overflow 0
		.amdhsa_exception_fp_ieee_underflow 0
		.amdhsa_exception_fp_ieee_inexact 0
		.amdhsa_exception_int_div_zero 0
	.end_amdhsa_kernel
	.section	.text._ZN12_GLOBAL__N_120softmax_warp_forwardIfffLi0ELb1ELb0ELi32EEEvPT0_PKT_iiiPKbib,"axG",@progbits,_ZN12_GLOBAL__N_120softmax_warp_forwardIfffLi0ELb1ELb0ELi32EEEvPT0_PKT_iiiPKbib,comdat
.Lfunc_end36:
	.size	_ZN12_GLOBAL__N_120softmax_warp_forwardIfffLi0ELb1ELb0ELi32EEEvPT0_PKT_iiiPKbib, .Lfunc_end36-_ZN12_GLOBAL__N_120softmax_warp_forwardIfffLi0ELb1ELb0ELi32EEEvPT0_PKT_iiiPKbib
                                        ; -- End function
	.set _ZN12_GLOBAL__N_120softmax_warp_forwardIfffLi0ELb1ELb0ELi32EEEvPT0_PKT_iiiPKbib.num_vgpr, 8
	.set _ZN12_GLOBAL__N_120softmax_warp_forwardIfffLi0ELb1ELb0ELi32EEEvPT0_PKT_iiiPKbib.num_agpr, 0
	.set _ZN12_GLOBAL__N_120softmax_warp_forwardIfffLi0ELb1ELb0ELi32EEEvPT0_PKT_iiiPKbib.numbered_sgpr, 16
	.set _ZN12_GLOBAL__N_120softmax_warp_forwardIfffLi0ELb1ELb0ELi32EEEvPT0_PKT_iiiPKbib.num_named_barrier, 0
	.set _ZN12_GLOBAL__N_120softmax_warp_forwardIfffLi0ELb1ELb0ELi32EEEvPT0_PKT_iiiPKbib.private_seg_size, 0
	.set _ZN12_GLOBAL__N_120softmax_warp_forwardIfffLi0ELb1ELb0ELi32EEEvPT0_PKT_iiiPKbib.uses_vcc, 1
	.set _ZN12_GLOBAL__N_120softmax_warp_forwardIfffLi0ELb1ELb0ELi32EEEvPT0_PKT_iiiPKbib.uses_flat_scratch, 0
	.set _ZN12_GLOBAL__N_120softmax_warp_forwardIfffLi0ELb1ELb0ELi32EEEvPT0_PKT_iiiPKbib.has_dyn_sized_stack, 0
	.set _ZN12_GLOBAL__N_120softmax_warp_forwardIfffLi0ELb1ELb0ELi32EEEvPT0_PKT_iiiPKbib.has_recursion, 0
	.set _ZN12_GLOBAL__N_120softmax_warp_forwardIfffLi0ELb1ELb0ELi32EEEvPT0_PKT_iiiPKbib.has_indirect_call, 0
	.section	.AMDGPU.csdata,"",@progbits
; Kernel info:
; codeLenInByte = 704
; TotalNumSgprs: 18
; NumVgprs: 8
; ScratchSize: 0
; MemoryBound: 0
; FloatMode: 240
; IeeeMode: 1
; LDSByteSize: 0 bytes/workgroup (compile time only)
; SGPRBlocks: 0
; VGPRBlocks: 0
; NumSGPRsForWavesPerEU: 18
; NumVGPRsForWavesPerEU: 8
; Occupancy: 16
; WaveLimiterHint : 0
; COMPUTE_PGM_RSRC2:SCRATCH_EN: 0
; COMPUTE_PGM_RSRC2:USER_SGPR: 6
; COMPUTE_PGM_RSRC2:TRAP_HANDLER: 0
; COMPUTE_PGM_RSRC2:TGID_X_EN: 1
; COMPUTE_PGM_RSRC2:TGID_Y_EN: 0
; COMPUTE_PGM_RSRC2:TGID_Z_EN: 0
; COMPUTE_PGM_RSRC2:TIDIG_COMP_CNT: 1
	.section	.text._ZN12_GLOBAL__N_120softmax_warp_forwardIfffLi1ELb1ELb0ELi64EEEvPT0_PKT_iiiPKbib,"axG",@progbits,_ZN12_GLOBAL__N_120softmax_warp_forwardIfffLi1ELb1ELb0ELi64EEEvPT0_PKT_iiiPKbib,comdat
	.globl	_ZN12_GLOBAL__N_120softmax_warp_forwardIfffLi1ELb1ELb0ELi64EEEvPT0_PKT_iiiPKbib ; -- Begin function _ZN12_GLOBAL__N_120softmax_warp_forwardIfffLi1ELb1ELb0ELi64EEEvPT0_PKT_iiiPKbib
	.p2align	8
	.type	_ZN12_GLOBAL__N_120softmax_warp_forwardIfffLi1ELb1ELb0ELi64EEEvPT0_PKT_iiiPKbib,@function
_ZN12_GLOBAL__N_120softmax_warp_forwardIfffLi1ELb1ELb0ELi64EEEvPT0_PKT_iiiPKbib: ; @_ZN12_GLOBAL__N_120softmax_warp_forwardIfffLi1ELb1ELb0ELi64EEEvPT0_PKT_iiiPKbib
; %bb.0:
	s_clause 0x1
	s_load_dword s0, s[4:5], 0x3c
	s_load_dwordx8 s[8:15], s[4:5], 0x0
	v_mov_b32_e32 v6, 0xff800000
	s_waitcnt lgkmcnt(0)
	s_lshr_b32 s0, s0, 16
	v_cmp_gt_i32_e32 vcc_lo, s14, v0
	s_and_b32 s0, s0, 0xffff
	s_mul_i32 s6, s6, s0
	v_add_lshl_u32 v3, s6, v1, 1
	v_mad_u64_u32 v[1:2], null, v3, s13, v[0:1]
	v_sub_nc_u32_e32 v5, s12, v3
	v_mov_b32_e32 v0, 0xff800000
	v_cmp_lt_i32_e64 s0, 0, v5
	v_ashrrev_i32_e32 v2, 31, v1
	s_and_b32 s2, vcc_lo, s0
	v_lshlrev_b64 v[1:2], 2, v[1:2]
	v_add_co_u32 v3, s1, s10, v1
	v_add_co_ci_u32_e64 v4, null, s11, v2, s1
	s_and_saveexec_b32 s1, s2
	s_cbranch_execz .LBB37_2
; %bb.1:
	global_load_dword v0, v[3:4], off
.LBB37_2:
	s_or_b32 exec_lo, exec_lo, s1
	v_cmp_lt_i32_e64 s1, 1, v5
	s_and_b32 s1, vcc_lo, s1
	s_and_saveexec_b32 s2, s1
	s_cbranch_execz .LBB37_4
; %bb.3:
	s_mov_b32 s15, 0
	s_lshl_b64 s[4:5], s[14:15], 2
	v_add_co_u32 v3, s1, v3, s4
	v_add_co_ci_u32_e64 v4, null, s5, v4, s1
	global_load_dword v6, v[3:4], off
.LBB37_4:
	s_or_b32 exec_lo, exec_lo, s2
	v_mbcnt_lo_u32_b32 v3, -1, 0
	v_and_b32_e32 v4, 30, v3
	v_xor_b32_e32 v7, 1, v3
	v_add_nc_u32_e32 v4, 2, v4
	v_cmp_lt_i32_e64 s1, v7, v4
	v_cndmask_b32_e64 v3, v3, v7, s1
	v_lshlrev_b32_e32 v7, 2, v3
	s_waitcnt vmcnt(0)
	ds_bpermute_b32 v3, v7, v0
	ds_bpermute_b32 v4, v7, v6
	s_waitcnt lgkmcnt(1)
	v_cmp_lt_f32_e64 s1, v0, v3
	v_cndmask_b32_e64 v3, v0, v3, s1
	s_waitcnt lgkmcnt(0)
	v_cmp_lt_f32_e64 s1, v6, v4
	v_cndmask_b32_e64 v8, v6, v4, s1
	v_sub_f32_e32 v4, v0, v3
	v_sub_f32_e32 v3, v6, v8
	v_mul_f32_e32 v0, 0x3fb8aa3b, v4
	v_cmp_ngt_f32_e64 s1, 0xc2ce8ed0, v4
	v_mul_f32_e32 v6, 0x3fb8aa3b, v3
	v_fma_f32 v8, 0x3fb8aa3b, v4, -v0
	v_rndne_f32_e32 v9, v0
	v_fma_f32 v10, 0x3fb8aa3b, v3, -v6
	v_rndne_f32_e32 v11, v6
	v_fmac_f32_e32 v8, 0x32a5705f, v4
	v_sub_f32_e32 v0, v0, v9
	v_fmac_f32_e32 v10, 0x32a5705f, v3
	v_sub_f32_e32 v6, v6, v11
	v_add_f32_e32 v0, v0, v8
	v_cvt_i32_f32_e32 v8, v9
	v_cvt_i32_f32_e32 v9, v11
	v_add_f32_e32 v6, v6, v10
	v_exp_f32_e32 v0, v0
	v_exp_f32_e32 v6, v6
	v_ldexp_f32 v0, v0, v8
	v_ldexp_f32 v6, v6, v9
	v_cndmask_b32_e64 v0, 0, v0, s1
	v_cmp_ngt_f32_e64 s1, 0xc2ce8ed0, v3
	v_cndmask_b32_e64 v6, 0, v6, s1
	v_cmp_nlt_f32_e64 s1, 0x42b17218, v4
	v_cndmask_b32_e64 v8, 0x7f800000, v0, s1
	v_cmp_nlt_f32_e64 s1, 0x42b17218, v3
	ds_bpermute_b32 v9, v7, v8
	v_cndmask_b32_e64 v6, 0x7f800000, v6, s1
	ds_bpermute_b32 v7, v7, v6
	s_and_saveexec_b32 s1, s0
	s_cbranch_execz .LBB37_9
; %bb.5:
	v_add_co_u32 v0, s0, s8, v1
	v_add_co_ci_u32_e64 v1, null, s9, v2, s0
	s_and_saveexec_b32 s2, vcc_lo
	s_cbranch_execz .LBB37_7
; %bb.6:
	s_waitcnt lgkmcnt(1)
	v_add_f32_e32 v2, v8, v9
	v_cmp_gt_f32_e64 s0, 0x800000, v2
	v_cndmask_b32_e64 v8, 0, 32, s0
	v_ldexp_f32 v2, v2, v8
	v_log_f32_e32 v2, v2
	v_mul_f32_e32 v8, 0x3f317217, v2
	v_cmp_gt_f32_e64 s1, 0x7f800000, |v2|
	v_fma_f32 v8, 0x3f317217, v2, -v8
	v_fmamk_f32 v8, v2, 0x3377d1cf, v8
	v_fmac_f32_e32 v8, 0x3f317217, v2
	v_cndmask_b32_e64 v2, v2, v8, s1
	v_cndmask_b32_e64 v8, 0, 0x41b17218, s0
	v_sub_f32_e32 v2, v2, v8
	v_sub_f32_e32 v2, v4, v2
	global_store_dword v[0:1], v2, off
.LBB37_7:
	s_or_b32 exec_lo, exec_lo, s2
	v_cmp_ne_u32_e64 s0, 1, v5
	s_and_b32 s0, s0, vcc_lo
	s_and_b32 exec_lo, exec_lo, s0
	s_cbranch_execz .LBB37_9
; %bb.8:
	s_waitcnt lgkmcnt(0)
	v_add_f32_e32 v2, v6, v7
	s_mov_b32 s15, 0
	s_lshl_b64 s[0:1], s[14:15], 2
	v_cmp_gt_f32_e32 vcc_lo, 0x800000, v2
	v_cndmask_b32_e64 v4, 0, 32, vcc_lo
	v_cndmask_b32_e64 v5, 0, 0x41b17218, vcc_lo
	v_ldexp_f32 v2, v2, v4
	v_log_f32_e32 v2, v2
	v_mul_f32_e32 v4, 0x3f317217, v2
	v_cmp_gt_f32_e64 vcc_lo, 0x7f800000, |v2|
	v_fma_f32 v4, 0x3f317217, v2, -v4
	v_fmamk_f32 v4, v2, 0x3377d1cf, v4
	v_fmac_f32_e32 v4, 0x3f317217, v2
	v_cndmask_b32_e32 v2, v2, v4, vcc_lo
	v_add_co_u32 v0, vcc_lo, v0, s0
	v_add_co_ci_u32_e64 v1, null, s1, v1, vcc_lo
	v_sub_f32_e32 v2, v2, v5
	v_sub_f32_e32 v2, v3, v2
	global_store_dword v[0:1], v2, off
.LBB37_9:
	s_endpgm
	.section	.rodata,"a",@progbits
	.p2align	6, 0x0
	.amdhsa_kernel _ZN12_GLOBAL__N_120softmax_warp_forwardIfffLi1ELb1ELb0ELi64EEEvPT0_PKT_iiiPKbib
		.amdhsa_group_segment_fixed_size 0
		.amdhsa_private_segment_fixed_size 0
		.amdhsa_kernarg_size 304
		.amdhsa_user_sgpr_count 6
		.amdhsa_user_sgpr_private_segment_buffer 1
		.amdhsa_user_sgpr_dispatch_ptr 0
		.amdhsa_user_sgpr_queue_ptr 0
		.amdhsa_user_sgpr_kernarg_segment_ptr 1
		.amdhsa_user_sgpr_dispatch_id 0
		.amdhsa_user_sgpr_flat_scratch_init 0
		.amdhsa_user_sgpr_private_segment_size 0
		.amdhsa_wavefront_size32 1
		.amdhsa_uses_dynamic_stack 0
		.amdhsa_system_sgpr_private_segment_wavefront_offset 0
		.amdhsa_system_sgpr_workgroup_id_x 1
		.amdhsa_system_sgpr_workgroup_id_y 0
		.amdhsa_system_sgpr_workgroup_id_z 0
		.amdhsa_system_sgpr_workgroup_info 0
		.amdhsa_system_vgpr_workitem_id 1
		.amdhsa_next_free_vgpr 12
		.amdhsa_next_free_sgpr 16
		.amdhsa_reserve_vcc 1
		.amdhsa_reserve_flat_scratch 0
		.amdhsa_float_round_mode_32 0
		.amdhsa_float_round_mode_16_64 0
		.amdhsa_float_denorm_mode_32 3
		.amdhsa_float_denorm_mode_16_64 3
		.amdhsa_dx10_clamp 1
		.amdhsa_ieee_mode 1
		.amdhsa_fp16_overflow 0
		.amdhsa_workgroup_processor_mode 1
		.amdhsa_memory_ordered 1
		.amdhsa_forward_progress 1
		.amdhsa_shared_vgpr_count 0
		.amdhsa_exception_fp_ieee_invalid_op 0
		.amdhsa_exception_fp_denorm_src 0
		.amdhsa_exception_fp_ieee_div_zero 0
		.amdhsa_exception_fp_ieee_overflow 0
		.amdhsa_exception_fp_ieee_underflow 0
		.amdhsa_exception_fp_ieee_inexact 0
		.amdhsa_exception_int_div_zero 0
	.end_amdhsa_kernel
	.section	.text._ZN12_GLOBAL__N_120softmax_warp_forwardIfffLi1ELb1ELb0ELi64EEEvPT0_PKT_iiiPKbib,"axG",@progbits,_ZN12_GLOBAL__N_120softmax_warp_forwardIfffLi1ELb1ELb0ELi64EEEvPT0_PKT_iiiPKbib,comdat
.Lfunc_end37:
	.size	_ZN12_GLOBAL__N_120softmax_warp_forwardIfffLi1ELb1ELb0ELi64EEEvPT0_PKT_iiiPKbib, .Lfunc_end37-_ZN12_GLOBAL__N_120softmax_warp_forwardIfffLi1ELb1ELb0ELi64EEEvPT0_PKT_iiiPKbib
                                        ; -- End function
	.set _ZN12_GLOBAL__N_120softmax_warp_forwardIfffLi1ELb1ELb0ELi64EEEvPT0_PKT_iiiPKbib.num_vgpr, 12
	.set _ZN12_GLOBAL__N_120softmax_warp_forwardIfffLi1ELb1ELb0ELi64EEEvPT0_PKT_iiiPKbib.num_agpr, 0
	.set _ZN12_GLOBAL__N_120softmax_warp_forwardIfffLi1ELb1ELb0ELi64EEEvPT0_PKT_iiiPKbib.numbered_sgpr, 16
	.set _ZN12_GLOBAL__N_120softmax_warp_forwardIfffLi1ELb1ELb0ELi64EEEvPT0_PKT_iiiPKbib.num_named_barrier, 0
	.set _ZN12_GLOBAL__N_120softmax_warp_forwardIfffLi1ELb1ELb0ELi64EEEvPT0_PKT_iiiPKbib.private_seg_size, 0
	.set _ZN12_GLOBAL__N_120softmax_warp_forwardIfffLi1ELb1ELb0ELi64EEEvPT0_PKT_iiiPKbib.uses_vcc, 1
	.set _ZN12_GLOBAL__N_120softmax_warp_forwardIfffLi1ELb1ELb0ELi64EEEvPT0_PKT_iiiPKbib.uses_flat_scratch, 0
	.set _ZN12_GLOBAL__N_120softmax_warp_forwardIfffLi1ELb1ELb0ELi64EEEvPT0_PKT_iiiPKbib.has_dyn_sized_stack, 0
	.set _ZN12_GLOBAL__N_120softmax_warp_forwardIfffLi1ELb1ELb0ELi64EEEvPT0_PKT_iiiPKbib.has_recursion, 0
	.set _ZN12_GLOBAL__N_120softmax_warp_forwardIfffLi1ELb1ELb0ELi64EEEvPT0_PKT_iiiPKbib.has_indirect_call, 0
	.section	.AMDGPU.csdata,"",@progbits
; Kernel info:
; codeLenInByte = 844
; TotalNumSgprs: 18
; NumVgprs: 12
; ScratchSize: 0
; MemoryBound: 0
; FloatMode: 240
; IeeeMode: 1
; LDSByteSize: 0 bytes/workgroup (compile time only)
; SGPRBlocks: 0
; VGPRBlocks: 1
; NumSGPRsForWavesPerEU: 18
; NumVGPRsForWavesPerEU: 12
; Occupancy: 16
; WaveLimiterHint : 0
; COMPUTE_PGM_RSRC2:SCRATCH_EN: 0
; COMPUTE_PGM_RSRC2:USER_SGPR: 6
; COMPUTE_PGM_RSRC2:TRAP_HANDLER: 0
; COMPUTE_PGM_RSRC2:TGID_X_EN: 1
; COMPUTE_PGM_RSRC2:TGID_Y_EN: 0
; COMPUTE_PGM_RSRC2:TGID_Z_EN: 0
; COMPUTE_PGM_RSRC2:TIDIG_COMP_CNT: 1
	.section	.text._ZN12_GLOBAL__N_120softmax_warp_forwardIfffLi1ELb1ELb0ELi32EEEvPT0_PKT_iiiPKbib,"axG",@progbits,_ZN12_GLOBAL__N_120softmax_warp_forwardIfffLi1ELb1ELb0ELi32EEEvPT0_PKT_iiiPKbib,comdat
	.globl	_ZN12_GLOBAL__N_120softmax_warp_forwardIfffLi1ELb1ELb0ELi32EEEvPT0_PKT_iiiPKbib ; -- Begin function _ZN12_GLOBAL__N_120softmax_warp_forwardIfffLi1ELb1ELb0ELi32EEEvPT0_PKT_iiiPKbib
	.p2align	8
	.type	_ZN12_GLOBAL__N_120softmax_warp_forwardIfffLi1ELb1ELb0ELi32EEEvPT0_PKT_iiiPKbib,@function
_ZN12_GLOBAL__N_120softmax_warp_forwardIfffLi1ELb1ELb0ELi32EEEvPT0_PKT_iiiPKbib: ; @_ZN12_GLOBAL__N_120softmax_warp_forwardIfffLi1ELb1ELb0ELi32EEEvPT0_PKT_iiiPKbib
; %bb.0:
	s_clause 0x1
	s_load_dword s0, s[4:5], 0x3c
	s_load_dwordx8 s[8:15], s[4:5], 0x0
	v_mov_b32_e32 v6, 0xff800000
	s_waitcnt lgkmcnt(0)
	s_lshr_b32 s0, s0, 16
	v_cmp_gt_i32_e32 vcc_lo, s14, v0
	s_and_b32 s0, s0, 0xffff
	s_mul_i32 s6, s6, s0
	v_add_lshl_u32 v3, s6, v1, 1
	v_mad_u64_u32 v[1:2], null, v3, s13, v[0:1]
	v_sub_nc_u32_e32 v5, s12, v3
	v_mov_b32_e32 v0, 0xff800000
	v_cmp_lt_i32_e64 s0, 0, v5
	v_ashrrev_i32_e32 v2, 31, v1
	s_and_b32 s2, vcc_lo, s0
	v_lshlrev_b64 v[1:2], 2, v[1:2]
	v_add_co_u32 v3, s1, s10, v1
	v_add_co_ci_u32_e64 v4, null, s11, v2, s1
	s_and_saveexec_b32 s1, s2
	s_cbranch_execz .LBB38_2
; %bb.1:
	global_load_dword v0, v[3:4], off
.LBB38_2:
	s_or_b32 exec_lo, exec_lo, s1
	v_cmp_lt_i32_e64 s1, 1, v5
	s_and_b32 s1, vcc_lo, s1
	s_and_saveexec_b32 s2, s1
	s_cbranch_execz .LBB38_4
; %bb.3:
	s_mov_b32 s15, 0
	s_lshl_b64 s[4:5], s[14:15], 2
	v_add_co_u32 v3, s1, v3, s4
	v_add_co_ci_u32_e64 v4, null, s5, v4, s1
	global_load_dword v6, v[3:4], off
.LBB38_4:
	s_or_b32 exec_lo, exec_lo, s2
	v_mbcnt_lo_u32_b32 v3, -1, 0
	v_and_b32_e32 v4, 30, v3
	v_xor_b32_e32 v7, 1, v3
	v_add_nc_u32_e32 v4, 2, v4
	v_cmp_lt_i32_e64 s1, v7, v4
	v_cndmask_b32_e64 v3, v3, v7, s1
	v_lshlrev_b32_e32 v7, 2, v3
	s_waitcnt vmcnt(0)
	ds_bpermute_b32 v3, v7, v0
	ds_bpermute_b32 v4, v7, v6
	s_waitcnt lgkmcnt(1)
	v_cmp_lt_f32_e64 s1, v0, v3
	v_cndmask_b32_e64 v3, v0, v3, s1
	s_waitcnt lgkmcnt(0)
	v_cmp_lt_f32_e64 s1, v6, v4
	v_cndmask_b32_e64 v8, v6, v4, s1
	v_sub_f32_e32 v4, v0, v3
	v_sub_f32_e32 v3, v6, v8
	v_mul_f32_e32 v0, 0x3fb8aa3b, v4
	v_cmp_ngt_f32_e64 s1, 0xc2ce8ed0, v4
	v_mul_f32_e32 v6, 0x3fb8aa3b, v3
	v_fma_f32 v8, 0x3fb8aa3b, v4, -v0
	v_rndne_f32_e32 v9, v0
	v_fma_f32 v10, 0x3fb8aa3b, v3, -v6
	v_rndne_f32_e32 v11, v6
	v_fmac_f32_e32 v8, 0x32a5705f, v4
	v_sub_f32_e32 v0, v0, v9
	v_fmac_f32_e32 v10, 0x32a5705f, v3
	v_sub_f32_e32 v6, v6, v11
	v_add_f32_e32 v0, v0, v8
	v_cvt_i32_f32_e32 v8, v9
	v_cvt_i32_f32_e32 v9, v11
	v_add_f32_e32 v6, v6, v10
	v_exp_f32_e32 v0, v0
	v_exp_f32_e32 v6, v6
	v_ldexp_f32 v0, v0, v8
	v_ldexp_f32 v6, v6, v9
	v_cndmask_b32_e64 v0, 0, v0, s1
	v_cmp_ngt_f32_e64 s1, 0xc2ce8ed0, v3
	v_cndmask_b32_e64 v6, 0, v6, s1
	v_cmp_nlt_f32_e64 s1, 0x42b17218, v4
	v_cndmask_b32_e64 v8, 0x7f800000, v0, s1
	v_cmp_nlt_f32_e64 s1, 0x42b17218, v3
	ds_bpermute_b32 v9, v7, v8
	v_cndmask_b32_e64 v6, 0x7f800000, v6, s1
	ds_bpermute_b32 v7, v7, v6
	s_and_saveexec_b32 s1, s0
	s_cbranch_execz .LBB38_9
; %bb.5:
	v_add_co_u32 v0, s0, s8, v1
	v_add_co_ci_u32_e64 v1, null, s9, v2, s0
	s_and_saveexec_b32 s2, vcc_lo
	s_cbranch_execz .LBB38_7
; %bb.6:
	s_waitcnt lgkmcnt(1)
	v_add_f32_e32 v2, v8, v9
	v_cmp_gt_f32_e64 s0, 0x800000, v2
	v_cndmask_b32_e64 v8, 0, 32, s0
	v_ldexp_f32 v2, v2, v8
	v_log_f32_e32 v2, v2
	v_mul_f32_e32 v8, 0x3f317217, v2
	v_cmp_gt_f32_e64 s1, 0x7f800000, |v2|
	v_fma_f32 v8, 0x3f317217, v2, -v8
	v_fmamk_f32 v8, v2, 0x3377d1cf, v8
	v_fmac_f32_e32 v8, 0x3f317217, v2
	v_cndmask_b32_e64 v2, v2, v8, s1
	v_cndmask_b32_e64 v8, 0, 0x41b17218, s0
	v_sub_f32_e32 v2, v2, v8
	v_sub_f32_e32 v2, v4, v2
	global_store_dword v[0:1], v2, off
.LBB38_7:
	s_or_b32 exec_lo, exec_lo, s2
	v_cmp_ne_u32_e64 s0, 1, v5
	s_and_b32 s0, s0, vcc_lo
	s_and_b32 exec_lo, exec_lo, s0
	s_cbranch_execz .LBB38_9
; %bb.8:
	s_waitcnt lgkmcnt(0)
	v_add_f32_e32 v2, v6, v7
	s_mov_b32 s15, 0
	s_lshl_b64 s[0:1], s[14:15], 2
	v_cmp_gt_f32_e32 vcc_lo, 0x800000, v2
	v_cndmask_b32_e64 v4, 0, 32, vcc_lo
	v_cndmask_b32_e64 v5, 0, 0x41b17218, vcc_lo
	v_ldexp_f32 v2, v2, v4
	v_log_f32_e32 v2, v2
	v_mul_f32_e32 v4, 0x3f317217, v2
	v_cmp_gt_f32_e64 vcc_lo, 0x7f800000, |v2|
	v_fma_f32 v4, 0x3f317217, v2, -v4
	v_fmamk_f32 v4, v2, 0x3377d1cf, v4
	v_fmac_f32_e32 v4, 0x3f317217, v2
	v_cndmask_b32_e32 v2, v2, v4, vcc_lo
	v_add_co_u32 v0, vcc_lo, v0, s0
	v_add_co_ci_u32_e64 v1, null, s1, v1, vcc_lo
	v_sub_f32_e32 v2, v2, v5
	v_sub_f32_e32 v2, v3, v2
	global_store_dword v[0:1], v2, off
.LBB38_9:
	s_endpgm
	.section	.rodata,"a",@progbits
	.p2align	6, 0x0
	.amdhsa_kernel _ZN12_GLOBAL__N_120softmax_warp_forwardIfffLi1ELb1ELb0ELi32EEEvPT0_PKT_iiiPKbib
		.amdhsa_group_segment_fixed_size 0
		.amdhsa_private_segment_fixed_size 0
		.amdhsa_kernarg_size 304
		.amdhsa_user_sgpr_count 6
		.amdhsa_user_sgpr_private_segment_buffer 1
		.amdhsa_user_sgpr_dispatch_ptr 0
		.amdhsa_user_sgpr_queue_ptr 0
		.amdhsa_user_sgpr_kernarg_segment_ptr 1
		.amdhsa_user_sgpr_dispatch_id 0
		.amdhsa_user_sgpr_flat_scratch_init 0
		.amdhsa_user_sgpr_private_segment_size 0
		.amdhsa_wavefront_size32 1
		.amdhsa_uses_dynamic_stack 0
		.amdhsa_system_sgpr_private_segment_wavefront_offset 0
		.amdhsa_system_sgpr_workgroup_id_x 1
		.amdhsa_system_sgpr_workgroup_id_y 0
		.amdhsa_system_sgpr_workgroup_id_z 0
		.amdhsa_system_sgpr_workgroup_info 0
		.amdhsa_system_vgpr_workitem_id 1
		.amdhsa_next_free_vgpr 12
		.amdhsa_next_free_sgpr 16
		.amdhsa_reserve_vcc 1
		.amdhsa_reserve_flat_scratch 0
		.amdhsa_float_round_mode_32 0
		.amdhsa_float_round_mode_16_64 0
		.amdhsa_float_denorm_mode_32 3
		.amdhsa_float_denorm_mode_16_64 3
		.amdhsa_dx10_clamp 1
		.amdhsa_ieee_mode 1
		.amdhsa_fp16_overflow 0
		.amdhsa_workgroup_processor_mode 1
		.amdhsa_memory_ordered 1
		.amdhsa_forward_progress 1
		.amdhsa_shared_vgpr_count 0
		.amdhsa_exception_fp_ieee_invalid_op 0
		.amdhsa_exception_fp_denorm_src 0
		.amdhsa_exception_fp_ieee_div_zero 0
		.amdhsa_exception_fp_ieee_overflow 0
		.amdhsa_exception_fp_ieee_underflow 0
		.amdhsa_exception_fp_ieee_inexact 0
		.amdhsa_exception_int_div_zero 0
	.end_amdhsa_kernel
	.section	.text._ZN12_GLOBAL__N_120softmax_warp_forwardIfffLi1ELb1ELb0ELi32EEEvPT0_PKT_iiiPKbib,"axG",@progbits,_ZN12_GLOBAL__N_120softmax_warp_forwardIfffLi1ELb1ELb0ELi32EEEvPT0_PKT_iiiPKbib,comdat
.Lfunc_end38:
	.size	_ZN12_GLOBAL__N_120softmax_warp_forwardIfffLi1ELb1ELb0ELi32EEEvPT0_PKT_iiiPKbib, .Lfunc_end38-_ZN12_GLOBAL__N_120softmax_warp_forwardIfffLi1ELb1ELb0ELi32EEEvPT0_PKT_iiiPKbib
                                        ; -- End function
	.set _ZN12_GLOBAL__N_120softmax_warp_forwardIfffLi1ELb1ELb0ELi32EEEvPT0_PKT_iiiPKbib.num_vgpr, 12
	.set _ZN12_GLOBAL__N_120softmax_warp_forwardIfffLi1ELb1ELb0ELi32EEEvPT0_PKT_iiiPKbib.num_agpr, 0
	.set _ZN12_GLOBAL__N_120softmax_warp_forwardIfffLi1ELb1ELb0ELi32EEEvPT0_PKT_iiiPKbib.numbered_sgpr, 16
	.set _ZN12_GLOBAL__N_120softmax_warp_forwardIfffLi1ELb1ELb0ELi32EEEvPT0_PKT_iiiPKbib.num_named_barrier, 0
	.set _ZN12_GLOBAL__N_120softmax_warp_forwardIfffLi1ELb1ELb0ELi32EEEvPT0_PKT_iiiPKbib.private_seg_size, 0
	.set _ZN12_GLOBAL__N_120softmax_warp_forwardIfffLi1ELb1ELb0ELi32EEEvPT0_PKT_iiiPKbib.uses_vcc, 1
	.set _ZN12_GLOBAL__N_120softmax_warp_forwardIfffLi1ELb1ELb0ELi32EEEvPT0_PKT_iiiPKbib.uses_flat_scratch, 0
	.set _ZN12_GLOBAL__N_120softmax_warp_forwardIfffLi1ELb1ELb0ELi32EEEvPT0_PKT_iiiPKbib.has_dyn_sized_stack, 0
	.set _ZN12_GLOBAL__N_120softmax_warp_forwardIfffLi1ELb1ELb0ELi32EEEvPT0_PKT_iiiPKbib.has_recursion, 0
	.set _ZN12_GLOBAL__N_120softmax_warp_forwardIfffLi1ELb1ELb0ELi32EEEvPT0_PKT_iiiPKbib.has_indirect_call, 0
	.section	.AMDGPU.csdata,"",@progbits
; Kernel info:
; codeLenInByte = 844
; TotalNumSgprs: 18
; NumVgprs: 12
; ScratchSize: 0
; MemoryBound: 0
; FloatMode: 240
; IeeeMode: 1
; LDSByteSize: 0 bytes/workgroup (compile time only)
; SGPRBlocks: 0
; VGPRBlocks: 1
; NumSGPRsForWavesPerEU: 18
; NumVGPRsForWavesPerEU: 12
; Occupancy: 16
; WaveLimiterHint : 0
; COMPUTE_PGM_RSRC2:SCRATCH_EN: 0
; COMPUTE_PGM_RSRC2:USER_SGPR: 6
; COMPUTE_PGM_RSRC2:TRAP_HANDLER: 0
; COMPUTE_PGM_RSRC2:TGID_X_EN: 1
; COMPUTE_PGM_RSRC2:TGID_Y_EN: 0
; COMPUTE_PGM_RSRC2:TGID_Z_EN: 0
; COMPUTE_PGM_RSRC2:TIDIG_COMP_CNT: 1
	.section	.text._ZN12_GLOBAL__N_120softmax_warp_forwardIfffLi2ELb1ELb0ELi64EEEvPT0_PKT_iiiPKbib,"axG",@progbits,_ZN12_GLOBAL__N_120softmax_warp_forwardIfffLi2ELb1ELb0ELi64EEEvPT0_PKT_iiiPKbib,comdat
	.globl	_ZN12_GLOBAL__N_120softmax_warp_forwardIfffLi2ELb1ELb0ELi64EEEvPT0_PKT_iiiPKbib ; -- Begin function _ZN12_GLOBAL__N_120softmax_warp_forwardIfffLi2ELb1ELb0ELi64EEEvPT0_PKT_iiiPKbib
	.p2align	8
	.type	_ZN12_GLOBAL__N_120softmax_warp_forwardIfffLi2ELb1ELb0ELi64EEEvPT0_PKT_iiiPKbib,@function
_ZN12_GLOBAL__N_120softmax_warp_forwardIfffLi2ELb1ELb0ELi64EEEvPT0_PKT_iiiPKbib: ; @_ZN12_GLOBAL__N_120softmax_warp_forwardIfffLi2ELb1ELb0ELi64EEEvPT0_PKT_iiiPKbib
; %bb.0:
	s_clause 0x1
	s_load_dword s0, s[4:5], 0x3c
	s_load_dwordx8 s[8:15], s[4:5], 0x0
	v_mov_b32_e32 v6, 0xff800000
	s_waitcnt lgkmcnt(0)
	s_lshr_b32 s0, s0, 16
	v_cmp_gt_i32_e32 vcc_lo, s14, v0
	s_and_b32 s0, s0, 0xffff
	s_mul_i32 s6, s6, s0
	v_add_lshl_u32 v3, s6, v1, 1
	v_mad_u64_u32 v[1:2], null, v3, s13, v[0:1]
	v_sub_nc_u32_e32 v5, s12, v3
	v_mov_b32_e32 v0, 0xff800000
	v_cmp_lt_i32_e64 s0, 0, v5
	v_ashrrev_i32_e32 v2, 31, v1
	s_and_b32 s2, vcc_lo, s0
	v_lshlrev_b64 v[1:2], 2, v[1:2]
	v_add_co_u32 v3, s1, s10, v1
	v_add_co_ci_u32_e64 v4, null, s11, v2, s1
	s_and_saveexec_b32 s1, s2
	s_cbranch_execz .LBB39_2
; %bb.1:
	global_load_dword v0, v[3:4], off
.LBB39_2:
	s_or_b32 exec_lo, exec_lo, s1
	v_cmp_lt_i32_e64 s1, 1, v5
	s_and_b32 s1, vcc_lo, s1
	s_and_saveexec_b32 s2, s1
	s_cbranch_execz .LBB39_4
; %bb.3:
	s_mov_b32 s15, 0
	s_lshl_b64 s[4:5], s[14:15], 2
	v_add_co_u32 v3, s1, v3, s4
	v_add_co_ci_u32_e64 v4, null, s5, v4, s1
	global_load_dword v6, v[3:4], off
.LBB39_4:
	s_or_b32 exec_lo, exec_lo, s2
	v_mbcnt_lo_u32_b32 v3, -1, 0
	v_and_b32_e32 v4, 28, v3
	v_xor_b32_e32 v7, 2, v3
	v_xor_b32_e32 v10, 1, v3
	v_add_nc_u32_e32 v4, 4, v4
	v_cmp_lt_i32_e64 s1, v7, v4
	v_cndmask_b32_e64 v7, v3, v7, s1
	v_cmp_lt_i32_e64 s1, v10, v4
	v_lshlrev_b32_e32 v7, 2, v7
	v_cndmask_b32_e64 v3, v3, v10, s1
	s_waitcnt vmcnt(0)
	ds_bpermute_b32 v8, v7, v0
	ds_bpermute_b32 v9, v7, v6
	v_lshlrev_b32_e32 v10, 2, v3
	s_waitcnt lgkmcnt(1)
	v_cmp_lt_f32_e64 s1, v0, v8
	v_cndmask_b32_e64 v3, v0, v8, s1
	s_waitcnt lgkmcnt(0)
	v_cmp_lt_f32_e64 s1, v6, v9
	ds_bpermute_b32 v8, v10, v3
	v_cndmask_b32_e64 v4, v6, v9, s1
	ds_bpermute_b32 v9, v10, v4
	s_waitcnt lgkmcnt(1)
	v_cmp_lt_f32_e64 s1, v3, v8
	v_cndmask_b32_e64 v3, v3, v8, s1
	s_waitcnt lgkmcnt(0)
	v_cmp_lt_f32_e64 s1, v4, v9
	v_cndmask_b32_e64 v8, v4, v9, s1
	v_sub_f32_e32 v4, v0, v3
	v_sub_f32_e32 v3, v6, v8
	v_mul_f32_e32 v0, 0x3fb8aa3b, v4
	v_cmp_ngt_f32_e64 s1, 0xc2ce8ed0, v4
	v_mul_f32_e32 v6, 0x3fb8aa3b, v3
	v_fma_f32 v8, 0x3fb8aa3b, v4, -v0
	v_rndne_f32_e32 v9, v0
	v_fma_f32 v11, 0x3fb8aa3b, v3, -v6
	v_rndne_f32_e32 v12, v6
	v_fmac_f32_e32 v8, 0x32a5705f, v4
	v_sub_f32_e32 v0, v0, v9
	v_fmac_f32_e32 v11, 0x32a5705f, v3
	v_sub_f32_e32 v6, v6, v12
	v_add_f32_e32 v0, v0, v8
	v_cvt_i32_f32_e32 v8, v9
	v_cvt_i32_f32_e32 v9, v12
	v_add_f32_e32 v6, v6, v11
	v_exp_f32_e32 v0, v0
	v_exp_f32_e32 v6, v6
	v_ldexp_f32 v0, v0, v8
	v_ldexp_f32 v6, v6, v9
	v_cndmask_b32_e64 v0, 0, v0, s1
	v_cmp_ngt_f32_e64 s1, 0xc2ce8ed0, v3
	v_cndmask_b32_e64 v6, 0, v6, s1
	v_cmp_nlt_f32_e64 s1, 0x42b17218, v4
	v_cndmask_b32_e64 v0, 0x7f800000, v0, s1
	v_cmp_nlt_f32_e64 s1, 0x42b17218, v3
	ds_bpermute_b32 v8, v7, v0
	v_cndmask_b32_e64 v6, 0x7f800000, v6, s1
	ds_bpermute_b32 v7, v7, v6
	s_waitcnt lgkmcnt(1)
	v_add_f32_e32 v8, v0, v8
	ds_bpermute_b32 v9, v10, v8
	s_waitcnt lgkmcnt(1)
	v_add_f32_e32 v6, v6, v7
	ds_bpermute_b32 v7, v10, v6
	s_and_saveexec_b32 s1, s0
	s_cbranch_execz .LBB39_9
; %bb.5:
	v_add_co_u32 v0, s0, s8, v1
	v_add_co_ci_u32_e64 v1, null, s9, v2, s0
	s_and_saveexec_b32 s2, vcc_lo
	s_cbranch_execz .LBB39_7
; %bb.6:
	s_waitcnt lgkmcnt(1)
	v_add_f32_e32 v2, v8, v9
	v_cmp_gt_f32_e64 s0, 0x800000, v2
	v_cndmask_b32_e64 v8, 0, 32, s0
	v_ldexp_f32 v2, v2, v8
	v_log_f32_e32 v2, v2
	v_mul_f32_e32 v8, 0x3f317217, v2
	v_cmp_gt_f32_e64 s1, 0x7f800000, |v2|
	v_fma_f32 v8, 0x3f317217, v2, -v8
	v_fmamk_f32 v8, v2, 0x3377d1cf, v8
	v_fmac_f32_e32 v8, 0x3f317217, v2
	v_cndmask_b32_e64 v2, v2, v8, s1
	v_cndmask_b32_e64 v8, 0, 0x41b17218, s0
	v_sub_f32_e32 v2, v2, v8
	v_sub_f32_e32 v2, v4, v2
	global_store_dword v[0:1], v2, off
.LBB39_7:
	s_or_b32 exec_lo, exec_lo, s2
	v_cmp_ne_u32_e64 s0, 1, v5
	s_and_b32 s0, s0, vcc_lo
	s_and_b32 exec_lo, exec_lo, s0
	s_cbranch_execz .LBB39_9
; %bb.8:
	s_waitcnt lgkmcnt(0)
	v_add_f32_e32 v2, v6, v7
	s_mov_b32 s15, 0
	s_lshl_b64 s[0:1], s[14:15], 2
	v_cmp_gt_f32_e32 vcc_lo, 0x800000, v2
	v_cndmask_b32_e64 v4, 0, 32, vcc_lo
	v_cndmask_b32_e64 v5, 0, 0x41b17218, vcc_lo
	v_ldexp_f32 v2, v2, v4
	v_log_f32_e32 v2, v2
	v_mul_f32_e32 v4, 0x3f317217, v2
	v_cmp_gt_f32_e64 vcc_lo, 0x7f800000, |v2|
	v_fma_f32 v4, 0x3f317217, v2, -v4
	v_fmamk_f32 v4, v2, 0x3377d1cf, v4
	v_fmac_f32_e32 v4, 0x3f317217, v2
	v_cndmask_b32_e32 v2, v2, v4, vcc_lo
	v_add_co_u32 v0, vcc_lo, v0, s0
	v_add_co_ci_u32_e64 v1, null, s1, v1, vcc_lo
	v_sub_f32_e32 v2, v2, v5
	v_sub_f32_e32 v2, v3, v2
	global_store_dword v[0:1], v2, off
.LBB39_9:
	s_endpgm
	.section	.rodata,"a",@progbits
	.p2align	6, 0x0
	.amdhsa_kernel _ZN12_GLOBAL__N_120softmax_warp_forwardIfffLi2ELb1ELb0ELi64EEEvPT0_PKT_iiiPKbib
		.amdhsa_group_segment_fixed_size 0
		.amdhsa_private_segment_fixed_size 0
		.amdhsa_kernarg_size 304
		.amdhsa_user_sgpr_count 6
		.amdhsa_user_sgpr_private_segment_buffer 1
		.amdhsa_user_sgpr_dispatch_ptr 0
		.amdhsa_user_sgpr_queue_ptr 0
		.amdhsa_user_sgpr_kernarg_segment_ptr 1
		.amdhsa_user_sgpr_dispatch_id 0
		.amdhsa_user_sgpr_flat_scratch_init 0
		.amdhsa_user_sgpr_private_segment_size 0
		.amdhsa_wavefront_size32 1
		.amdhsa_uses_dynamic_stack 0
		.amdhsa_system_sgpr_private_segment_wavefront_offset 0
		.amdhsa_system_sgpr_workgroup_id_x 1
		.amdhsa_system_sgpr_workgroup_id_y 0
		.amdhsa_system_sgpr_workgroup_id_z 0
		.amdhsa_system_sgpr_workgroup_info 0
		.amdhsa_system_vgpr_workitem_id 1
		.amdhsa_next_free_vgpr 13
		.amdhsa_next_free_sgpr 16
		.amdhsa_reserve_vcc 1
		.amdhsa_reserve_flat_scratch 0
		.amdhsa_float_round_mode_32 0
		.amdhsa_float_round_mode_16_64 0
		.amdhsa_float_denorm_mode_32 3
		.amdhsa_float_denorm_mode_16_64 3
		.amdhsa_dx10_clamp 1
		.amdhsa_ieee_mode 1
		.amdhsa_fp16_overflow 0
		.amdhsa_workgroup_processor_mode 1
		.amdhsa_memory_ordered 1
		.amdhsa_forward_progress 1
		.amdhsa_shared_vgpr_count 0
		.amdhsa_exception_fp_ieee_invalid_op 0
		.amdhsa_exception_fp_denorm_src 0
		.amdhsa_exception_fp_ieee_div_zero 0
		.amdhsa_exception_fp_ieee_overflow 0
		.amdhsa_exception_fp_ieee_underflow 0
		.amdhsa_exception_fp_ieee_inexact 0
		.amdhsa_exception_int_div_zero 0
	.end_amdhsa_kernel
	.section	.text._ZN12_GLOBAL__N_120softmax_warp_forwardIfffLi2ELb1ELb0ELi64EEEvPT0_PKT_iiiPKbib,"axG",@progbits,_ZN12_GLOBAL__N_120softmax_warp_forwardIfffLi2ELb1ELb0ELi64EEEvPT0_PKT_iiiPKbib,comdat
.Lfunc_end39:
	.size	_ZN12_GLOBAL__N_120softmax_warp_forwardIfffLi2ELb1ELb0ELi64EEEvPT0_PKT_iiiPKbib, .Lfunc_end39-_ZN12_GLOBAL__N_120softmax_warp_forwardIfffLi2ELb1ELb0ELi64EEEvPT0_PKT_iiiPKbib
                                        ; -- End function
	.set _ZN12_GLOBAL__N_120softmax_warp_forwardIfffLi2ELb1ELb0ELi64EEEvPT0_PKT_iiiPKbib.num_vgpr, 13
	.set _ZN12_GLOBAL__N_120softmax_warp_forwardIfffLi2ELb1ELb0ELi64EEEvPT0_PKT_iiiPKbib.num_agpr, 0
	.set _ZN12_GLOBAL__N_120softmax_warp_forwardIfffLi2ELb1ELb0ELi64EEEvPT0_PKT_iiiPKbib.numbered_sgpr, 16
	.set _ZN12_GLOBAL__N_120softmax_warp_forwardIfffLi2ELb1ELb0ELi64EEEvPT0_PKT_iiiPKbib.num_named_barrier, 0
	.set _ZN12_GLOBAL__N_120softmax_warp_forwardIfffLi2ELb1ELb0ELi64EEEvPT0_PKT_iiiPKbib.private_seg_size, 0
	.set _ZN12_GLOBAL__N_120softmax_warp_forwardIfffLi2ELb1ELb0ELi64EEEvPT0_PKT_iiiPKbib.uses_vcc, 1
	.set _ZN12_GLOBAL__N_120softmax_warp_forwardIfffLi2ELb1ELb0ELi64EEEvPT0_PKT_iiiPKbib.uses_flat_scratch, 0
	.set _ZN12_GLOBAL__N_120softmax_warp_forwardIfffLi2ELb1ELb0ELi64EEEvPT0_PKT_iiiPKbib.has_dyn_sized_stack, 0
	.set _ZN12_GLOBAL__N_120softmax_warp_forwardIfffLi2ELb1ELb0ELi64EEEvPT0_PKT_iiiPKbib.has_recursion, 0
	.set _ZN12_GLOBAL__N_120softmax_warp_forwardIfffLi2ELb1ELb0ELi64EEEvPT0_PKT_iiiPKbib.has_indirect_call, 0
	.section	.AMDGPU.csdata,"",@progbits
; Kernel info:
; codeLenInByte = 956
; TotalNumSgprs: 18
; NumVgprs: 13
; ScratchSize: 0
; MemoryBound: 0
; FloatMode: 240
; IeeeMode: 1
; LDSByteSize: 0 bytes/workgroup (compile time only)
; SGPRBlocks: 0
; VGPRBlocks: 1
; NumSGPRsForWavesPerEU: 18
; NumVGPRsForWavesPerEU: 13
; Occupancy: 16
; WaveLimiterHint : 0
; COMPUTE_PGM_RSRC2:SCRATCH_EN: 0
; COMPUTE_PGM_RSRC2:USER_SGPR: 6
; COMPUTE_PGM_RSRC2:TRAP_HANDLER: 0
; COMPUTE_PGM_RSRC2:TGID_X_EN: 1
; COMPUTE_PGM_RSRC2:TGID_Y_EN: 0
; COMPUTE_PGM_RSRC2:TGID_Z_EN: 0
; COMPUTE_PGM_RSRC2:TIDIG_COMP_CNT: 1
	.section	.text._ZN12_GLOBAL__N_120softmax_warp_forwardIfffLi2ELb1ELb0ELi32EEEvPT0_PKT_iiiPKbib,"axG",@progbits,_ZN12_GLOBAL__N_120softmax_warp_forwardIfffLi2ELb1ELb0ELi32EEEvPT0_PKT_iiiPKbib,comdat
	.globl	_ZN12_GLOBAL__N_120softmax_warp_forwardIfffLi2ELb1ELb0ELi32EEEvPT0_PKT_iiiPKbib ; -- Begin function _ZN12_GLOBAL__N_120softmax_warp_forwardIfffLi2ELb1ELb0ELi32EEEvPT0_PKT_iiiPKbib
	.p2align	8
	.type	_ZN12_GLOBAL__N_120softmax_warp_forwardIfffLi2ELb1ELb0ELi32EEEvPT0_PKT_iiiPKbib,@function
_ZN12_GLOBAL__N_120softmax_warp_forwardIfffLi2ELb1ELb0ELi32EEEvPT0_PKT_iiiPKbib: ; @_ZN12_GLOBAL__N_120softmax_warp_forwardIfffLi2ELb1ELb0ELi32EEEvPT0_PKT_iiiPKbib
; %bb.0:
	s_clause 0x1
	s_load_dword s0, s[4:5], 0x3c
	s_load_dwordx8 s[8:15], s[4:5], 0x0
	v_mov_b32_e32 v6, 0xff800000
	s_waitcnt lgkmcnt(0)
	s_lshr_b32 s0, s0, 16
	v_cmp_gt_i32_e32 vcc_lo, s14, v0
	s_and_b32 s0, s0, 0xffff
	s_mul_i32 s6, s6, s0
	v_add_lshl_u32 v3, s6, v1, 1
	v_mad_u64_u32 v[1:2], null, v3, s13, v[0:1]
	v_sub_nc_u32_e32 v5, s12, v3
	v_mov_b32_e32 v0, 0xff800000
	v_cmp_lt_i32_e64 s0, 0, v5
	v_ashrrev_i32_e32 v2, 31, v1
	s_and_b32 s2, vcc_lo, s0
	v_lshlrev_b64 v[1:2], 2, v[1:2]
	v_add_co_u32 v3, s1, s10, v1
	v_add_co_ci_u32_e64 v4, null, s11, v2, s1
	s_and_saveexec_b32 s1, s2
	s_cbranch_execz .LBB40_2
; %bb.1:
	global_load_dword v0, v[3:4], off
.LBB40_2:
	s_or_b32 exec_lo, exec_lo, s1
	v_cmp_lt_i32_e64 s1, 1, v5
	s_and_b32 s1, vcc_lo, s1
	s_and_saveexec_b32 s2, s1
	s_cbranch_execz .LBB40_4
; %bb.3:
	s_mov_b32 s15, 0
	s_lshl_b64 s[4:5], s[14:15], 2
	v_add_co_u32 v3, s1, v3, s4
	v_add_co_ci_u32_e64 v4, null, s5, v4, s1
	global_load_dword v6, v[3:4], off
.LBB40_4:
	s_or_b32 exec_lo, exec_lo, s2
	v_mbcnt_lo_u32_b32 v3, -1, 0
	v_and_b32_e32 v4, 28, v3
	v_xor_b32_e32 v7, 2, v3
	v_xor_b32_e32 v10, 1, v3
	v_add_nc_u32_e32 v4, 4, v4
	v_cmp_lt_i32_e64 s1, v7, v4
	v_cndmask_b32_e64 v7, v3, v7, s1
	v_cmp_lt_i32_e64 s1, v10, v4
	v_lshlrev_b32_e32 v7, 2, v7
	v_cndmask_b32_e64 v3, v3, v10, s1
	s_waitcnt vmcnt(0)
	ds_bpermute_b32 v8, v7, v0
	ds_bpermute_b32 v9, v7, v6
	v_lshlrev_b32_e32 v10, 2, v3
	s_waitcnt lgkmcnt(1)
	v_cmp_lt_f32_e64 s1, v0, v8
	v_cndmask_b32_e64 v3, v0, v8, s1
	s_waitcnt lgkmcnt(0)
	v_cmp_lt_f32_e64 s1, v6, v9
	ds_bpermute_b32 v8, v10, v3
	v_cndmask_b32_e64 v4, v6, v9, s1
	ds_bpermute_b32 v9, v10, v4
	s_waitcnt lgkmcnt(1)
	v_cmp_lt_f32_e64 s1, v3, v8
	v_cndmask_b32_e64 v3, v3, v8, s1
	s_waitcnt lgkmcnt(0)
	v_cmp_lt_f32_e64 s1, v4, v9
	v_cndmask_b32_e64 v8, v4, v9, s1
	v_sub_f32_e32 v4, v0, v3
	v_sub_f32_e32 v3, v6, v8
	v_mul_f32_e32 v0, 0x3fb8aa3b, v4
	v_cmp_ngt_f32_e64 s1, 0xc2ce8ed0, v4
	v_mul_f32_e32 v6, 0x3fb8aa3b, v3
	v_fma_f32 v8, 0x3fb8aa3b, v4, -v0
	v_rndne_f32_e32 v9, v0
	v_fma_f32 v11, 0x3fb8aa3b, v3, -v6
	v_rndne_f32_e32 v12, v6
	v_fmac_f32_e32 v8, 0x32a5705f, v4
	v_sub_f32_e32 v0, v0, v9
	v_fmac_f32_e32 v11, 0x32a5705f, v3
	v_sub_f32_e32 v6, v6, v12
	v_add_f32_e32 v0, v0, v8
	v_cvt_i32_f32_e32 v8, v9
	v_cvt_i32_f32_e32 v9, v12
	v_add_f32_e32 v6, v6, v11
	v_exp_f32_e32 v0, v0
	v_exp_f32_e32 v6, v6
	v_ldexp_f32 v0, v0, v8
	v_ldexp_f32 v6, v6, v9
	v_cndmask_b32_e64 v0, 0, v0, s1
	v_cmp_ngt_f32_e64 s1, 0xc2ce8ed0, v3
	v_cndmask_b32_e64 v6, 0, v6, s1
	v_cmp_nlt_f32_e64 s1, 0x42b17218, v4
	v_cndmask_b32_e64 v0, 0x7f800000, v0, s1
	v_cmp_nlt_f32_e64 s1, 0x42b17218, v3
	ds_bpermute_b32 v8, v7, v0
	v_cndmask_b32_e64 v6, 0x7f800000, v6, s1
	ds_bpermute_b32 v7, v7, v6
	s_waitcnt lgkmcnt(1)
	v_add_f32_e32 v8, v0, v8
	ds_bpermute_b32 v9, v10, v8
	s_waitcnt lgkmcnt(1)
	v_add_f32_e32 v6, v6, v7
	ds_bpermute_b32 v7, v10, v6
	s_and_saveexec_b32 s1, s0
	s_cbranch_execz .LBB40_9
; %bb.5:
	v_add_co_u32 v0, s0, s8, v1
	v_add_co_ci_u32_e64 v1, null, s9, v2, s0
	s_and_saveexec_b32 s2, vcc_lo
	s_cbranch_execz .LBB40_7
; %bb.6:
	s_waitcnt lgkmcnt(1)
	v_add_f32_e32 v2, v8, v9
	v_cmp_gt_f32_e64 s0, 0x800000, v2
	v_cndmask_b32_e64 v8, 0, 32, s0
	v_ldexp_f32 v2, v2, v8
	v_log_f32_e32 v2, v2
	v_mul_f32_e32 v8, 0x3f317217, v2
	v_cmp_gt_f32_e64 s1, 0x7f800000, |v2|
	v_fma_f32 v8, 0x3f317217, v2, -v8
	v_fmamk_f32 v8, v2, 0x3377d1cf, v8
	v_fmac_f32_e32 v8, 0x3f317217, v2
	v_cndmask_b32_e64 v2, v2, v8, s1
	v_cndmask_b32_e64 v8, 0, 0x41b17218, s0
	v_sub_f32_e32 v2, v2, v8
	v_sub_f32_e32 v2, v4, v2
	global_store_dword v[0:1], v2, off
.LBB40_7:
	s_or_b32 exec_lo, exec_lo, s2
	v_cmp_ne_u32_e64 s0, 1, v5
	s_and_b32 s0, s0, vcc_lo
	s_and_b32 exec_lo, exec_lo, s0
	s_cbranch_execz .LBB40_9
; %bb.8:
	s_waitcnt lgkmcnt(0)
	v_add_f32_e32 v2, v6, v7
	s_mov_b32 s15, 0
	s_lshl_b64 s[0:1], s[14:15], 2
	v_cmp_gt_f32_e32 vcc_lo, 0x800000, v2
	v_cndmask_b32_e64 v4, 0, 32, vcc_lo
	v_cndmask_b32_e64 v5, 0, 0x41b17218, vcc_lo
	v_ldexp_f32 v2, v2, v4
	v_log_f32_e32 v2, v2
	v_mul_f32_e32 v4, 0x3f317217, v2
	v_cmp_gt_f32_e64 vcc_lo, 0x7f800000, |v2|
	v_fma_f32 v4, 0x3f317217, v2, -v4
	v_fmamk_f32 v4, v2, 0x3377d1cf, v4
	v_fmac_f32_e32 v4, 0x3f317217, v2
	v_cndmask_b32_e32 v2, v2, v4, vcc_lo
	v_add_co_u32 v0, vcc_lo, v0, s0
	v_add_co_ci_u32_e64 v1, null, s1, v1, vcc_lo
	v_sub_f32_e32 v2, v2, v5
	v_sub_f32_e32 v2, v3, v2
	global_store_dword v[0:1], v2, off
.LBB40_9:
	s_endpgm
	.section	.rodata,"a",@progbits
	.p2align	6, 0x0
	.amdhsa_kernel _ZN12_GLOBAL__N_120softmax_warp_forwardIfffLi2ELb1ELb0ELi32EEEvPT0_PKT_iiiPKbib
		.amdhsa_group_segment_fixed_size 0
		.amdhsa_private_segment_fixed_size 0
		.amdhsa_kernarg_size 304
		.amdhsa_user_sgpr_count 6
		.amdhsa_user_sgpr_private_segment_buffer 1
		.amdhsa_user_sgpr_dispatch_ptr 0
		.amdhsa_user_sgpr_queue_ptr 0
		.amdhsa_user_sgpr_kernarg_segment_ptr 1
		.amdhsa_user_sgpr_dispatch_id 0
		.amdhsa_user_sgpr_flat_scratch_init 0
		.amdhsa_user_sgpr_private_segment_size 0
		.amdhsa_wavefront_size32 1
		.amdhsa_uses_dynamic_stack 0
		.amdhsa_system_sgpr_private_segment_wavefront_offset 0
		.amdhsa_system_sgpr_workgroup_id_x 1
		.amdhsa_system_sgpr_workgroup_id_y 0
		.amdhsa_system_sgpr_workgroup_id_z 0
		.amdhsa_system_sgpr_workgroup_info 0
		.amdhsa_system_vgpr_workitem_id 1
		.amdhsa_next_free_vgpr 13
		.amdhsa_next_free_sgpr 16
		.amdhsa_reserve_vcc 1
		.amdhsa_reserve_flat_scratch 0
		.amdhsa_float_round_mode_32 0
		.amdhsa_float_round_mode_16_64 0
		.amdhsa_float_denorm_mode_32 3
		.amdhsa_float_denorm_mode_16_64 3
		.amdhsa_dx10_clamp 1
		.amdhsa_ieee_mode 1
		.amdhsa_fp16_overflow 0
		.amdhsa_workgroup_processor_mode 1
		.amdhsa_memory_ordered 1
		.amdhsa_forward_progress 1
		.amdhsa_shared_vgpr_count 0
		.amdhsa_exception_fp_ieee_invalid_op 0
		.amdhsa_exception_fp_denorm_src 0
		.amdhsa_exception_fp_ieee_div_zero 0
		.amdhsa_exception_fp_ieee_overflow 0
		.amdhsa_exception_fp_ieee_underflow 0
		.amdhsa_exception_fp_ieee_inexact 0
		.amdhsa_exception_int_div_zero 0
	.end_amdhsa_kernel
	.section	.text._ZN12_GLOBAL__N_120softmax_warp_forwardIfffLi2ELb1ELb0ELi32EEEvPT0_PKT_iiiPKbib,"axG",@progbits,_ZN12_GLOBAL__N_120softmax_warp_forwardIfffLi2ELb1ELb0ELi32EEEvPT0_PKT_iiiPKbib,comdat
.Lfunc_end40:
	.size	_ZN12_GLOBAL__N_120softmax_warp_forwardIfffLi2ELb1ELb0ELi32EEEvPT0_PKT_iiiPKbib, .Lfunc_end40-_ZN12_GLOBAL__N_120softmax_warp_forwardIfffLi2ELb1ELb0ELi32EEEvPT0_PKT_iiiPKbib
                                        ; -- End function
	.set _ZN12_GLOBAL__N_120softmax_warp_forwardIfffLi2ELb1ELb0ELi32EEEvPT0_PKT_iiiPKbib.num_vgpr, 13
	.set _ZN12_GLOBAL__N_120softmax_warp_forwardIfffLi2ELb1ELb0ELi32EEEvPT0_PKT_iiiPKbib.num_agpr, 0
	.set _ZN12_GLOBAL__N_120softmax_warp_forwardIfffLi2ELb1ELb0ELi32EEEvPT0_PKT_iiiPKbib.numbered_sgpr, 16
	.set _ZN12_GLOBAL__N_120softmax_warp_forwardIfffLi2ELb1ELb0ELi32EEEvPT0_PKT_iiiPKbib.num_named_barrier, 0
	.set _ZN12_GLOBAL__N_120softmax_warp_forwardIfffLi2ELb1ELb0ELi32EEEvPT0_PKT_iiiPKbib.private_seg_size, 0
	.set _ZN12_GLOBAL__N_120softmax_warp_forwardIfffLi2ELb1ELb0ELi32EEEvPT0_PKT_iiiPKbib.uses_vcc, 1
	.set _ZN12_GLOBAL__N_120softmax_warp_forwardIfffLi2ELb1ELb0ELi32EEEvPT0_PKT_iiiPKbib.uses_flat_scratch, 0
	.set _ZN12_GLOBAL__N_120softmax_warp_forwardIfffLi2ELb1ELb0ELi32EEEvPT0_PKT_iiiPKbib.has_dyn_sized_stack, 0
	.set _ZN12_GLOBAL__N_120softmax_warp_forwardIfffLi2ELb1ELb0ELi32EEEvPT0_PKT_iiiPKbib.has_recursion, 0
	.set _ZN12_GLOBAL__N_120softmax_warp_forwardIfffLi2ELb1ELb0ELi32EEEvPT0_PKT_iiiPKbib.has_indirect_call, 0
	.section	.AMDGPU.csdata,"",@progbits
; Kernel info:
; codeLenInByte = 956
; TotalNumSgprs: 18
; NumVgprs: 13
; ScratchSize: 0
; MemoryBound: 0
; FloatMode: 240
; IeeeMode: 1
; LDSByteSize: 0 bytes/workgroup (compile time only)
; SGPRBlocks: 0
; VGPRBlocks: 1
; NumSGPRsForWavesPerEU: 18
; NumVGPRsForWavesPerEU: 13
; Occupancy: 16
; WaveLimiterHint : 0
; COMPUTE_PGM_RSRC2:SCRATCH_EN: 0
; COMPUTE_PGM_RSRC2:USER_SGPR: 6
; COMPUTE_PGM_RSRC2:TRAP_HANDLER: 0
; COMPUTE_PGM_RSRC2:TGID_X_EN: 1
; COMPUTE_PGM_RSRC2:TGID_Y_EN: 0
; COMPUTE_PGM_RSRC2:TGID_Z_EN: 0
; COMPUTE_PGM_RSRC2:TIDIG_COMP_CNT: 1
	.section	.text._ZN12_GLOBAL__N_120softmax_warp_forwardIfffLi3ELb1ELb0ELi64EEEvPT0_PKT_iiiPKbib,"axG",@progbits,_ZN12_GLOBAL__N_120softmax_warp_forwardIfffLi3ELb1ELb0ELi64EEEvPT0_PKT_iiiPKbib,comdat
	.globl	_ZN12_GLOBAL__N_120softmax_warp_forwardIfffLi3ELb1ELb0ELi64EEEvPT0_PKT_iiiPKbib ; -- Begin function _ZN12_GLOBAL__N_120softmax_warp_forwardIfffLi3ELb1ELb0ELi64EEEvPT0_PKT_iiiPKbib
	.p2align	8
	.type	_ZN12_GLOBAL__N_120softmax_warp_forwardIfffLi3ELb1ELb0ELi64EEEvPT0_PKT_iiiPKbib,@function
_ZN12_GLOBAL__N_120softmax_warp_forwardIfffLi3ELb1ELb0ELi64EEEvPT0_PKT_iiiPKbib: ; @_ZN12_GLOBAL__N_120softmax_warp_forwardIfffLi3ELb1ELb0ELi64EEEvPT0_PKT_iiiPKbib
; %bb.0:
	s_clause 0x1
	s_load_dword s0, s[4:5], 0x3c
	s_load_dwordx8 s[8:15], s[4:5], 0x0
	v_mov_b32_e32 v6, 0xff800000
	s_waitcnt lgkmcnt(0)
	s_lshr_b32 s0, s0, 16
	v_cmp_gt_i32_e32 vcc_lo, s14, v0
	s_and_b32 s0, s0, 0xffff
	s_mul_i32 s6, s6, s0
	v_add_lshl_u32 v3, s6, v1, 1
	v_mad_u64_u32 v[1:2], null, v3, s13, v[0:1]
	v_sub_nc_u32_e32 v5, s12, v3
	v_mov_b32_e32 v0, 0xff800000
	v_cmp_lt_i32_e64 s0, 0, v5
	v_ashrrev_i32_e32 v2, 31, v1
	s_and_b32 s2, vcc_lo, s0
	v_lshlrev_b64 v[1:2], 2, v[1:2]
	v_add_co_u32 v3, s1, s10, v1
	v_add_co_ci_u32_e64 v4, null, s11, v2, s1
	s_and_saveexec_b32 s1, s2
	s_cbranch_execz .LBB41_2
; %bb.1:
	global_load_dword v0, v[3:4], off
.LBB41_2:
	s_or_b32 exec_lo, exec_lo, s1
	v_cmp_lt_i32_e64 s1, 1, v5
	s_and_b32 s1, vcc_lo, s1
	s_and_saveexec_b32 s2, s1
	s_cbranch_execz .LBB41_4
; %bb.3:
	s_mov_b32 s15, 0
	s_lshl_b64 s[4:5], s[14:15], 2
	v_add_co_u32 v3, s1, v3, s4
	v_add_co_ci_u32_e64 v4, null, s5, v4, s1
	global_load_dword v6, v[3:4], off
.LBB41_4:
	s_or_b32 exec_lo, exec_lo, s2
	v_mbcnt_lo_u32_b32 v3, -1, 0
	v_and_b32_e32 v4, 24, v3
	v_xor_b32_e32 v7, 4, v3
	v_xor_b32_e32 v10, 2, v3
	;; [unrolled: 1-line block ×3, first 2 shown]
	v_add_nc_u32_e32 v4, 8, v4
	v_cmp_lt_i32_e64 s1, v7, v4
	v_cndmask_b32_e64 v7, v3, v7, s1
	v_cmp_lt_i32_e64 s1, v10, v4
	v_lshlrev_b32_e32 v7, 2, v7
	v_cndmask_b32_e64 v10, v3, v10, s1
	s_waitcnt vmcnt(0)
	ds_bpermute_b32 v8, v7, v0
	ds_bpermute_b32 v9, v7, v6
	v_lshlrev_b32_e32 v10, 2, v10
	s_waitcnt lgkmcnt(1)
	v_cmp_lt_f32_e64 s1, v0, v8
	v_cndmask_b32_e64 v8, v0, v8, s1
	s_waitcnt lgkmcnt(0)
	v_cmp_lt_f32_e64 s1, v6, v9
	ds_bpermute_b32 v11, v10, v8
	v_cndmask_b32_e64 v9, v6, v9, s1
	v_cmp_lt_i32_e64 s1, v13, v4
	ds_bpermute_b32 v12, v10, v9
	v_cndmask_b32_e64 v3, v3, v13, s1
	v_lshlrev_b32_e32 v13, 2, v3
	s_waitcnt lgkmcnt(1)
	v_cmp_lt_f32_e64 s1, v8, v11
	v_cndmask_b32_e64 v3, v8, v11, s1
	s_waitcnt lgkmcnt(0)
	v_cmp_lt_f32_e64 s1, v9, v12
	ds_bpermute_b32 v8, v13, v3
	v_cndmask_b32_e64 v4, v9, v12, s1
	ds_bpermute_b32 v9, v13, v4
	s_waitcnt lgkmcnt(1)
	v_cmp_lt_f32_e64 s1, v3, v8
	v_cndmask_b32_e64 v3, v3, v8, s1
	s_waitcnt lgkmcnt(0)
	v_cmp_lt_f32_e64 s1, v4, v9
	v_cndmask_b32_e64 v8, v4, v9, s1
	v_sub_f32_e32 v4, v0, v3
	v_sub_f32_e32 v3, v6, v8
	v_mul_f32_e32 v0, 0x3fb8aa3b, v4
	v_cmp_ngt_f32_e64 s1, 0xc2ce8ed0, v4
	v_mul_f32_e32 v6, 0x3fb8aa3b, v3
	v_fma_f32 v8, 0x3fb8aa3b, v4, -v0
	v_rndne_f32_e32 v9, v0
	v_fma_f32 v11, 0x3fb8aa3b, v3, -v6
	v_rndne_f32_e32 v12, v6
	v_fmac_f32_e32 v8, 0x32a5705f, v4
	v_sub_f32_e32 v0, v0, v9
	v_fmac_f32_e32 v11, 0x32a5705f, v3
	v_sub_f32_e32 v6, v6, v12
	v_add_f32_e32 v0, v0, v8
	v_cvt_i32_f32_e32 v8, v9
	v_cvt_i32_f32_e32 v9, v12
	v_add_f32_e32 v6, v6, v11
	v_exp_f32_e32 v0, v0
	v_exp_f32_e32 v6, v6
	v_ldexp_f32 v0, v0, v8
	v_ldexp_f32 v6, v6, v9
	v_cndmask_b32_e64 v0, 0, v0, s1
	v_cmp_ngt_f32_e64 s1, 0xc2ce8ed0, v3
	v_cndmask_b32_e64 v6, 0, v6, s1
	v_cmp_nlt_f32_e64 s1, 0x42b17218, v4
	v_cndmask_b32_e64 v0, 0x7f800000, v0, s1
	v_cmp_nlt_f32_e64 s1, 0x42b17218, v3
	ds_bpermute_b32 v8, v7, v0
	v_cndmask_b32_e64 v6, 0x7f800000, v6, s1
	ds_bpermute_b32 v7, v7, v6
	s_waitcnt lgkmcnt(1)
	v_add_f32_e32 v0, v0, v8
	s_waitcnt lgkmcnt(0)
	v_add_f32_e32 v6, v6, v7
	ds_bpermute_b32 v7, v10, v0
	ds_bpermute_b32 v9, v10, v6
	s_waitcnt lgkmcnt(1)
	v_add_f32_e32 v8, v0, v7
	s_waitcnt lgkmcnt(0)
	v_add_f32_e32 v6, v6, v9
	ds_bpermute_b32 v9, v13, v8
	ds_bpermute_b32 v7, v13, v6
	s_and_saveexec_b32 s1, s0
	s_cbranch_execz .LBB41_9
; %bb.5:
	v_add_co_u32 v0, s0, s8, v1
	v_add_co_ci_u32_e64 v1, null, s9, v2, s0
	s_and_saveexec_b32 s2, vcc_lo
	s_cbranch_execz .LBB41_7
; %bb.6:
	s_waitcnt lgkmcnt(1)
	v_add_f32_e32 v2, v8, v9
	v_cmp_gt_f32_e64 s0, 0x800000, v2
	v_cndmask_b32_e64 v8, 0, 32, s0
	v_ldexp_f32 v2, v2, v8
	v_log_f32_e32 v2, v2
	v_mul_f32_e32 v8, 0x3f317217, v2
	v_cmp_gt_f32_e64 s1, 0x7f800000, |v2|
	v_fma_f32 v8, 0x3f317217, v2, -v8
	v_fmamk_f32 v8, v2, 0x3377d1cf, v8
	v_fmac_f32_e32 v8, 0x3f317217, v2
	v_cndmask_b32_e64 v2, v2, v8, s1
	v_cndmask_b32_e64 v8, 0, 0x41b17218, s0
	v_sub_f32_e32 v2, v2, v8
	v_sub_f32_e32 v2, v4, v2
	global_store_dword v[0:1], v2, off
.LBB41_7:
	s_or_b32 exec_lo, exec_lo, s2
	v_cmp_ne_u32_e64 s0, 1, v5
	s_and_b32 s0, s0, vcc_lo
	s_and_b32 exec_lo, exec_lo, s0
	s_cbranch_execz .LBB41_9
; %bb.8:
	s_waitcnt lgkmcnt(0)
	v_add_f32_e32 v2, v6, v7
	s_mov_b32 s15, 0
	s_lshl_b64 s[0:1], s[14:15], 2
	v_cmp_gt_f32_e32 vcc_lo, 0x800000, v2
	v_cndmask_b32_e64 v4, 0, 32, vcc_lo
	v_cndmask_b32_e64 v5, 0, 0x41b17218, vcc_lo
	v_ldexp_f32 v2, v2, v4
	v_log_f32_e32 v2, v2
	v_mul_f32_e32 v4, 0x3f317217, v2
	v_cmp_gt_f32_e64 vcc_lo, 0x7f800000, |v2|
	v_fma_f32 v4, 0x3f317217, v2, -v4
	v_fmamk_f32 v4, v2, 0x3377d1cf, v4
	v_fmac_f32_e32 v4, 0x3f317217, v2
	v_cndmask_b32_e32 v2, v2, v4, vcc_lo
	v_add_co_u32 v0, vcc_lo, v0, s0
	v_add_co_ci_u32_e64 v1, null, s1, v1, vcc_lo
	v_sub_f32_e32 v2, v2, v5
	v_sub_f32_e32 v2, v3, v2
	global_store_dword v[0:1], v2, off
.LBB41_9:
	s_endpgm
	.section	.rodata,"a",@progbits
	.p2align	6, 0x0
	.amdhsa_kernel _ZN12_GLOBAL__N_120softmax_warp_forwardIfffLi3ELb1ELb0ELi64EEEvPT0_PKT_iiiPKbib
		.amdhsa_group_segment_fixed_size 0
		.amdhsa_private_segment_fixed_size 0
		.amdhsa_kernarg_size 304
		.amdhsa_user_sgpr_count 6
		.amdhsa_user_sgpr_private_segment_buffer 1
		.amdhsa_user_sgpr_dispatch_ptr 0
		.amdhsa_user_sgpr_queue_ptr 0
		.amdhsa_user_sgpr_kernarg_segment_ptr 1
		.amdhsa_user_sgpr_dispatch_id 0
		.amdhsa_user_sgpr_flat_scratch_init 0
		.amdhsa_user_sgpr_private_segment_size 0
		.amdhsa_wavefront_size32 1
		.amdhsa_uses_dynamic_stack 0
		.amdhsa_system_sgpr_private_segment_wavefront_offset 0
		.amdhsa_system_sgpr_workgroup_id_x 1
		.amdhsa_system_sgpr_workgroup_id_y 0
		.amdhsa_system_sgpr_workgroup_id_z 0
		.amdhsa_system_sgpr_workgroup_info 0
		.amdhsa_system_vgpr_workitem_id 1
		.amdhsa_next_free_vgpr 14
		.amdhsa_next_free_sgpr 16
		.amdhsa_reserve_vcc 1
		.amdhsa_reserve_flat_scratch 0
		.amdhsa_float_round_mode_32 0
		.amdhsa_float_round_mode_16_64 0
		.amdhsa_float_denorm_mode_32 3
		.amdhsa_float_denorm_mode_16_64 3
		.amdhsa_dx10_clamp 1
		.amdhsa_ieee_mode 1
		.amdhsa_fp16_overflow 0
		.amdhsa_workgroup_processor_mode 1
		.amdhsa_memory_ordered 1
		.amdhsa_forward_progress 1
		.amdhsa_shared_vgpr_count 0
		.amdhsa_exception_fp_ieee_invalid_op 0
		.amdhsa_exception_fp_denorm_src 0
		.amdhsa_exception_fp_ieee_div_zero 0
		.amdhsa_exception_fp_ieee_overflow 0
		.amdhsa_exception_fp_ieee_underflow 0
		.amdhsa_exception_fp_ieee_inexact 0
		.amdhsa_exception_int_div_zero 0
	.end_amdhsa_kernel
	.section	.text._ZN12_GLOBAL__N_120softmax_warp_forwardIfffLi3ELb1ELb0ELi64EEEvPT0_PKT_iiiPKbib,"axG",@progbits,_ZN12_GLOBAL__N_120softmax_warp_forwardIfffLi3ELb1ELb0ELi64EEEvPT0_PKT_iiiPKbib,comdat
.Lfunc_end41:
	.size	_ZN12_GLOBAL__N_120softmax_warp_forwardIfffLi3ELb1ELb0ELi64EEEvPT0_PKT_iiiPKbib, .Lfunc_end41-_ZN12_GLOBAL__N_120softmax_warp_forwardIfffLi3ELb1ELb0ELi64EEEvPT0_PKT_iiiPKbib
                                        ; -- End function
	.set _ZN12_GLOBAL__N_120softmax_warp_forwardIfffLi3ELb1ELb0ELi64EEEvPT0_PKT_iiiPKbib.num_vgpr, 14
	.set _ZN12_GLOBAL__N_120softmax_warp_forwardIfffLi3ELb1ELb0ELi64EEEvPT0_PKT_iiiPKbib.num_agpr, 0
	.set _ZN12_GLOBAL__N_120softmax_warp_forwardIfffLi3ELb1ELb0ELi64EEEvPT0_PKT_iiiPKbib.numbered_sgpr, 16
	.set _ZN12_GLOBAL__N_120softmax_warp_forwardIfffLi3ELb1ELb0ELi64EEEvPT0_PKT_iiiPKbib.num_named_barrier, 0
	.set _ZN12_GLOBAL__N_120softmax_warp_forwardIfffLi3ELb1ELb0ELi64EEEvPT0_PKT_iiiPKbib.private_seg_size, 0
	.set _ZN12_GLOBAL__N_120softmax_warp_forwardIfffLi3ELb1ELb0ELi64EEEvPT0_PKT_iiiPKbib.uses_vcc, 1
	.set _ZN12_GLOBAL__N_120softmax_warp_forwardIfffLi3ELb1ELb0ELi64EEEvPT0_PKT_iiiPKbib.uses_flat_scratch, 0
	.set _ZN12_GLOBAL__N_120softmax_warp_forwardIfffLi3ELb1ELb0ELi64EEEvPT0_PKT_iiiPKbib.has_dyn_sized_stack, 0
	.set _ZN12_GLOBAL__N_120softmax_warp_forwardIfffLi3ELb1ELb0ELi64EEEvPT0_PKT_iiiPKbib.has_recursion, 0
	.set _ZN12_GLOBAL__N_120softmax_warp_forwardIfffLi3ELb1ELb0ELi64EEEvPT0_PKT_iiiPKbib.has_indirect_call, 0
	.section	.AMDGPU.csdata,"",@progbits
; Kernel info:
; codeLenInByte = 1068
; TotalNumSgprs: 18
; NumVgprs: 14
; ScratchSize: 0
; MemoryBound: 0
; FloatMode: 240
; IeeeMode: 1
; LDSByteSize: 0 bytes/workgroup (compile time only)
; SGPRBlocks: 0
; VGPRBlocks: 1
; NumSGPRsForWavesPerEU: 18
; NumVGPRsForWavesPerEU: 14
; Occupancy: 16
; WaveLimiterHint : 0
; COMPUTE_PGM_RSRC2:SCRATCH_EN: 0
; COMPUTE_PGM_RSRC2:USER_SGPR: 6
; COMPUTE_PGM_RSRC2:TRAP_HANDLER: 0
; COMPUTE_PGM_RSRC2:TGID_X_EN: 1
; COMPUTE_PGM_RSRC2:TGID_Y_EN: 0
; COMPUTE_PGM_RSRC2:TGID_Z_EN: 0
; COMPUTE_PGM_RSRC2:TIDIG_COMP_CNT: 1
	.section	.text._ZN12_GLOBAL__N_120softmax_warp_forwardIfffLi3ELb1ELb0ELi32EEEvPT0_PKT_iiiPKbib,"axG",@progbits,_ZN12_GLOBAL__N_120softmax_warp_forwardIfffLi3ELb1ELb0ELi32EEEvPT0_PKT_iiiPKbib,comdat
	.globl	_ZN12_GLOBAL__N_120softmax_warp_forwardIfffLi3ELb1ELb0ELi32EEEvPT0_PKT_iiiPKbib ; -- Begin function _ZN12_GLOBAL__N_120softmax_warp_forwardIfffLi3ELb1ELb0ELi32EEEvPT0_PKT_iiiPKbib
	.p2align	8
	.type	_ZN12_GLOBAL__N_120softmax_warp_forwardIfffLi3ELb1ELb0ELi32EEEvPT0_PKT_iiiPKbib,@function
_ZN12_GLOBAL__N_120softmax_warp_forwardIfffLi3ELb1ELb0ELi32EEEvPT0_PKT_iiiPKbib: ; @_ZN12_GLOBAL__N_120softmax_warp_forwardIfffLi3ELb1ELb0ELi32EEEvPT0_PKT_iiiPKbib
; %bb.0:
	s_clause 0x1
	s_load_dword s0, s[4:5], 0x3c
	s_load_dwordx8 s[8:15], s[4:5], 0x0
	v_mov_b32_e32 v6, 0xff800000
	s_waitcnt lgkmcnt(0)
	s_lshr_b32 s0, s0, 16
	v_cmp_gt_i32_e32 vcc_lo, s14, v0
	s_and_b32 s0, s0, 0xffff
	s_mul_i32 s6, s6, s0
	v_add_lshl_u32 v3, s6, v1, 1
	v_mad_u64_u32 v[1:2], null, v3, s13, v[0:1]
	v_sub_nc_u32_e32 v5, s12, v3
	v_mov_b32_e32 v0, 0xff800000
	v_cmp_lt_i32_e64 s0, 0, v5
	v_ashrrev_i32_e32 v2, 31, v1
	s_and_b32 s2, vcc_lo, s0
	v_lshlrev_b64 v[1:2], 2, v[1:2]
	v_add_co_u32 v3, s1, s10, v1
	v_add_co_ci_u32_e64 v4, null, s11, v2, s1
	s_and_saveexec_b32 s1, s2
	s_cbranch_execz .LBB42_2
; %bb.1:
	global_load_dword v0, v[3:4], off
.LBB42_2:
	s_or_b32 exec_lo, exec_lo, s1
	v_cmp_lt_i32_e64 s1, 1, v5
	s_and_b32 s1, vcc_lo, s1
	s_and_saveexec_b32 s2, s1
	s_cbranch_execz .LBB42_4
; %bb.3:
	s_mov_b32 s15, 0
	s_lshl_b64 s[4:5], s[14:15], 2
	v_add_co_u32 v3, s1, v3, s4
	v_add_co_ci_u32_e64 v4, null, s5, v4, s1
	global_load_dword v6, v[3:4], off
.LBB42_4:
	s_or_b32 exec_lo, exec_lo, s2
	v_mbcnt_lo_u32_b32 v3, -1, 0
	v_and_b32_e32 v4, 24, v3
	v_xor_b32_e32 v7, 4, v3
	v_xor_b32_e32 v10, 2, v3
	;; [unrolled: 1-line block ×3, first 2 shown]
	v_add_nc_u32_e32 v4, 8, v4
	v_cmp_lt_i32_e64 s1, v7, v4
	v_cndmask_b32_e64 v7, v3, v7, s1
	v_cmp_lt_i32_e64 s1, v10, v4
	v_lshlrev_b32_e32 v7, 2, v7
	v_cndmask_b32_e64 v10, v3, v10, s1
	s_waitcnt vmcnt(0)
	ds_bpermute_b32 v8, v7, v0
	ds_bpermute_b32 v9, v7, v6
	v_lshlrev_b32_e32 v10, 2, v10
	s_waitcnt lgkmcnt(1)
	v_cmp_lt_f32_e64 s1, v0, v8
	v_cndmask_b32_e64 v8, v0, v8, s1
	s_waitcnt lgkmcnt(0)
	v_cmp_lt_f32_e64 s1, v6, v9
	ds_bpermute_b32 v11, v10, v8
	v_cndmask_b32_e64 v9, v6, v9, s1
	v_cmp_lt_i32_e64 s1, v13, v4
	ds_bpermute_b32 v12, v10, v9
	v_cndmask_b32_e64 v3, v3, v13, s1
	v_lshlrev_b32_e32 v13, 2, v3
	s_waitcnt lgkmcnt(1)
	v_cmp_lt_f32_e64 s1, v8, v11
	v_cndmask_b32_e64 v3, v8, v11, s1
	s_waitcnt lgkmcnt(0)
	v_cmp_lt_f32_e64 s1, v9, v12
	ds_bpermute_b32 v8, v13, v3
	v_cndmask_b32_e64 v4, v9, v12, s1
	ds_bpermute_b32 v9, v13, v4
	s_waitcnt lgkmcnt(1)
	v_cmp_lt_f32_e64 s1, v3, v8
	v_cndmask_b32_e64 v3, v3, v8, s1
	s_waitcnt lgkmcnt(0)
	v_cmp_lt_f32_e64 s1, v4, v9
	v_cndmask_b32_e64 v8, v4, v9, s1
	v_sub_f32_e32 v4, v0, v3
	v_sub_f32_e32 v3, v6, v8
	v_mul_f32_e32 v0, 0x3fb8aa3b, v4
	v_cmp_ngt_f32_e64 s1, 0xc2ce8ed0, v4
	v_mul_f32_e32 v6, 0x3fb8aa3b, v3
	v_fma_f32 v8, 0x3fb8aa3b, v4, -v0
	v_rndne_f32_e32 v9, v0
	v_fma_f32 v11, 0x3fb8aa3b, v3, -v6
	v_rndne_f32_e32 v12, v6
	v_fmac_f32_e32 v8, 0x32a5705f, v4
	v_sub_f32_e32 v0, v0, v9
	v_fmac_f32_e32 v11, 0x32a5705f, v3
	v_sub_f32_e32 v6, v6, v12
	v_add_f32_e32 v0, v0, v8
	v_cvt_i32_f32_e32 v8, v9
	v_cvt_i32_f32_e32 v9, v12
	v_add_f32_e32 v6, v6, v11
	v_exp_f32_e32 v0, v0
	v_exp_f32_e32 v6, v6
	v_ldexp_f32 v0, v0, v8
	v_ldexp_f32 v6, v6, v9
	v_cndmask_b32_e64 v0, 0, v0, s1
	v_cmp_ngt_f32_e64 s1, 0xc2ce8ed0, v3
	v_cndmask_b32_e64 v6, 0, v6, s1
	v_cmp_nlt_f32_e64 s1, 0x42b17218, v4
	v_cndmask_b32_e64 v0, 0x7f800000, v0, s1
	v_cmp_nlt_f32_e64 s1, 0x42b17218, v3
	ds_bpermute_b32 v8, v7, v0
	v_cndmask_b32_e64 v6, 0x7f800000, v6, s1
	ds_bpermute_b32 v7, v7, v6
	s_waitcnt lgkmcnt(1)
	v_add_f32_e32 v0, v0, v8
	s_waitcnt lgkmcnt(0)
	v_add_f32_e32 v6, v6, v7
	ds_bpermute_b32 v7, v10, v0
	ds_bpermute_b32 v9, v10, v6
	s_waitcnt lgkmcnt(1)
	v_add_f32_e32 v8, v0, v7
	s_waitcnt lgkmcnt(0)
	v_add_f32_e32 v6, v6, v9
	ds_bpermute_b32 v9, v13, v8
	ds_bpermute_b32 v7, v13, v6
	s_and_saveexec_b32 s1, s0
	s_cbranch_execz .LBB42_9
; %bb.5:
	v_add_co_u32 v0, s0, s8, v1
	v_add_co_ci_u32_e64 v1, null, s9, v2, s0
	s_and_saveexec_b32 s2, vcc_lo
	s_cbranch_execz .LBB42_7
; %bb.6:
	s_waitcnt lgkmcnt(1)
	v_add_f32_e32 v2, v8, v9
	v_cmp_gt_f32_e64 s0, 0x800000, v2
	v_cndmask_b32_e64 v8, 0, 32, s0
	v_ldexp_f32 v2, v2, v8
	v_log_f32_e32 v2, v2
	v_mul_f32_e32 v8, 0x3f317217, v2
	v_cmp_gt_f32_e64 s1, 0x7f800000, |v2|
	v_fma_f32 v8, 0x3f317217, v2, -v8
	v_fmamk_f32 v8, v2, 0x3377d1cf, v8
	v_fmac_f32_e32 v8, 0x3f317217, v2
	v_cndmask_b32_e64 v2, v2, v8, s1
	v_cndmask_b32_e64 v8, 0, 0x41b17218, s0
	v_sub_f32_e32 v2, v2, v8
	v_sub_f32_e32 v2, v4, v2
	global_store_dword v[0:1], v2, off
.LBB42_7:
	s_or_b32 exec_lo, exec_lo, s2
	v_cmp_ne_u32_e64 s0, 1, v5
	s_and_b32 s0, s0, vcc_lo
	s_and_b32 exec_lo, exec_lo, s0
	s_cbranch_execz .LBB42_9
; %bb.8:
	s_waitcnt lgkmcnt(0)
	v_add_f32_e32 v2, v6, v7
	s_mov_b32 s15, 0
	s_lshl_b64 s[0:1], s[14:15], 2
	v_cmp_gt_f32_e32 vcc_lo, 0x800000, v2
	v_cndmask_b32_e64 v4, 0, 32, vcc_lo
	v_cndmask_b32_e64 v5, 0, 0x41b17218, vcc_lo
	v_ldexp_f32 v2, v2, v4
	v_log_f32_e32 v2, v2
	v_mul_f32_e32 v4, 0x3f317217, v2
	v_cmp_gt_f32_e64 vcc_lo, 0x7f800000, |v2|
	v_fma_f32 v4, 0x3f317217, v2, -v4
	v_fmamk_f32 v4, v2, 0x3377d1cf, v4
	v_fmac_f32_e32 v4, 0x3f317217, v2
	v_cndmask_b32_e32 v2, v2, v4, vcc_lo
	v_add_co_u32 v0, vcc_lo, v0, s0
	v_add_co_ci_u32_e64 v1, null, s1, v1, vcc_lo
	v_sub_f32_e32 v2, v2, v5
	v_sub_f32_e32 v2, v3, v2
	global_store_dword v[0:1], v2, off
.LBB42_9:
	s_endpgm
	.section	.rodata,"a",@progbits
	.p2align	6, 0x0
	.amdhsa_kernel _ZN12_GLOBAL__N_120softmax_warp_forwardIfffLi3ELb1ELb0ELi32EEEvPT0_PKT_iiiPKbib
		.amdhsa_group_segment_fixed_size 0
		.amdhsa_private_segment_fixed_size 0
		.amdhsa_kernarg_size 304
		.amdhsa_user_sgpr_count 6
		.amdhsa_user_sgpr_private_segment_buffer 1
		.amdhsa_user_sgpr_dispatch_ptr 0
		.amdhsa_user_sgpr_queue_ptr 0
		.amdhsa_user_sgpr_kernarg_segment_ptr 1
		.amdhsa_user_sgpr_dispatch_id 0
		.amdhsa_user_sgpr_flat_scratch_init 0
		.amdhsa_user_sgpr_private_segment_size 0
		.amdhsa_wavefront_size32 1
		.amdhsa_uses_dynamic_stack 0
		.amdhsa_system_sgpr_private_segment_wavefront_offset 0
		.amdhsa_system_sgpr_workgroup_id_x 1
		.amdhsa_system_sgpr_workgroup_id_y 0
		.amdhsa_system_sgpr_workgroup_id_z 0
		.amdhsa_system_sgpr_workgroup_info 0
		.amdhsa_system_vgpr_workitem_id 1
		.amdhsa_next_free_vgpr 14
		.amdhsa_next_free_sgpr 16
		.amdhsa_reserve_vcc 1
		.amdhsa_reserve_flat_scratch 0
		.amdhsa_float_round_mode_32 0
		.amdhsa_float_round_mode_16_64 0
		.amdhsa_float_denorm_mode_32 3
		.amdhsa_float_denorm_mode_16_64 3
		.amdhsa_dx10_clamp 1
		.amdhsa_ieee_mode 1
		.amdhsa_fp16_overflow 0
		.amdhsa_workgroup_processor_mode 1
		.amdhsa_memory_ordered 1
		.amdhsa_forward_progress 1
		.amdhsa_shared_vgpr_count 0
		.amdhsa_exception_fp_ieee_invalid_op 0
		.amdhsa_exception_fp_denorm_src 0
		.amdhsa_exception_fp_ieee_div_zero 0
		.amdhsa_exception_fp_ieee_overflow 0
		.amdhsa_exception_fp_ieee_underflow 0
		.amdhsa_exception_fp_ieee_inexact 0
		.amdhsa_exception_int_div_zero 0
	.end_amdhsa_kernel
	.section	.text._ZN12_GLOBAL__N_120softmax_warp_forwardIfffLi3ELb1ELb0ELi32EEEvPT0_PKT_iiiPKbib,"axG",@progbits,_ZN12_GLOBAL__N_120softmax_warp_forwardIfffLi3ELb1ELb0ELi32EEEvPT0_PKT_iiiPKbib,comdat
.Lfunc_end42:
	.size	_ZN12_GLOBAL__N_120softmax_warp_forwardIfffLi3ELb1ELb0ELi32EEEvPT0_PKT_iiiPKbib, .Lfunc_end42-_ZN12_GLOBAL__N_120softmax_warp_forwardIfffLi3ELb1ELb0ELi32EEEvPT0_PKT_iiiPKbib
                                        ; -- End function
	.set _ZN12_GLOBAL__N_120softmax_warp_forwardIfffLi3ELb1ELb0ELi32EEEvPT0_PKT_iiiPKbib.num_vgpr, 14
	.set _ZN12_GLOBAL__N_120softmax_warp_forwardIfffLi3ELb1ELb0ELi32EEEvPT0_PKT_iiiPKbib.num_agpr, 0
	.set _ZN12_GLOBAL__N_120softmax_warp_forwardIfffLi3ELb1ELb0ELi32EEEvPT0_PKT_iiiPKbib.numbered_sgpr, 16
	.set _ZN12_GLOBAL__N_120softmax_warp_forwardIfffLi3ELb1ELb0ELi32EEEvPT0_PKT_iiiPKbib.num_named_barrier, 0
	.set _ZN12_GLOBAL__N_120softmax_warp_forwardIfffLi3ELb1ELb0ELi32EEEvPT0_PKT_iiiPKbib.private_seg_size, 0
	.set _ZN12_GLOBAL__N_120softmax_warp_forwardIfffLi3ELb1ELb0ELi32EEEvPT0_PKT_iiiPKbib.uses_vcc, 1
	.set _ZN12_GLOBAL__N_120softmax_warp_forwardIfffLi3ELb1ELb0ELi32EEEvPT0_PKT_iiiPKbib.uses_flat_scratch, 0
	.set _ZN12_GLOBAL__N_120softmax_warp_forwardIfffLi3ELb1ELb0ELi32EEEvPT0_PKT_iiiPKbib.has_dyn_sized_stack, 0
	.set _ZN12_GLOBAL__N_120softmax_warp_forwardIfffLi3ELb1ELb0ELi32EEEvPT0_PKT_iiiPKbib.has_recursion, 0
	.set _ZN12_GLOBAL__N_120softmax_warp_forwardIfffLi3ELb1ELb0ELi32EEEvPT0_PKT_iiiPKbib.has_indirect_call, 0
	.section	.AMDGPU.csdata,"",@progbits
; Kernel info:
; codeLenInByte = 1068
; TotalNumSgprs: 18
; NumVgprs: 14
; ScratchSize: 0
; MemoryBound: 0
; FloatMode: 240
; IeeeMode: 1
; LDSByteSize: 0 bytes/workgroup (compile time only)
; SGPRBlocks: 0
; VGPRBlocks: 1
; NumSGPRsForWavesPerEU: 18
; NumVGPRsForWavesPerEU: 14
; Occupancy: 16
; WaveLimiterHint : 0
; COMPUTE_PGM_RSRC2:SCRATCH_EN: 0
; COMPUTE_PGM_RSRC2:USER_SGPR: 6
; COMPUTE_PGM_RSRC2:TRAP_HANDLER: 0
; COMPUTE_PGM_RSRC2:TGID_X_EN: 1
; COMPUTE_PGM_RSRC2:TGID_Y_EN: 0
; COMPUTE_PGM_RSRC2:TGID_Z_EN: 0
; COMPUTE_PGM_RSRC2:TIDIG_COMP_CNT: 1
	.section	.text._ZN12_GLOBAL__N_120softmax_warp_forwardIfffLi4ELb1ELb0ELi64EEEvPT0_PKT_iiiPKbib,"axG",@progbits,_ZN12_GLOBAL__N_120softmax_warp_forwardIfffLi4ELb1ELb0ELi64EEEvPT0_PKT_iiiPKbib,comdat
	.globl	_ZN12_GLOBAL__N_120softmax_warp_forwardIfffLi4ELb1ELb0ELi64EEEvPT0_PKT_iiiPKbib ; -- Begin function _ZN12_GLOBAL__N_120softmax_warp_forwardIfffLi4ELb1ELb0ELi64EEEvPT0_PKT_iiiPKbib
	.p2align	8
	.type	_ZN12_GLOBAL__N_120softmax_warp_forwardIfffLi4ELb1ELb0ELi64EEEvPT0_PKT_iiiPKbib,@function
_ZN12_GLOBAL__N_120softmax_warp_forwardIfffLi4ELb1ELb0ELi64EEEvPT0_PKT_iiiPKbib: ; @_ZN12_GLOBAL__N_120softmax_warp_forwardIfffLi4ELb1ELb0ELi64EEEvPT0_PKT_iiiPKbib
; %bb.0:
	s_clause 0x1
	s_load_dword s0, s[4:5], 0x3c
	s_load_dwordx8 s[8:15], s[4:5], 0x0
	v_mov_b32_e32 v6, 0xff800000
	s_waitcnt lgkmcnt(0)
	s_lshr_b32 s0, s0, 16
	v_cmp_gt_i32_e32 vcc_lo, s14, v0
	s_and_b32 s0, s0, 0xffff
	s_mul_i32 s6, s6, s0
	v_add_lshl_u32 v3, s6, v1, 1
	v_mad_u64_u32 v[1:2], null, v3, s13, v[0:1]
	v_sub_nc_u32_e32 v5, s12, v3
	v_mov_b32_e32 v0, 0xff800000
	v_cmp_lt_i32_e64 s0, 0, v5
	v_ashrrev_i32_e32 v2, 31, v1
	s_and_b32 s2, vcc_lo, s0
	v_lshlrev_b64 v[1:2], 2, v[1:2]
	v_add_co_u32 v3, s1, s10, v1
	v_add_co_ci_u32_e64 v4, null, s11, v2, s1
	s_and_saveexec_b32 s1, s2
	s_cbranch_execz .LBB43_2
; %bb.1:
	global_load_dword v0, v[3:4], off
.LBB43_2:
	s_or_b32 exec_lo, exec_lo, s1
	v_cmp_lt_i32_e64 s1, 1, v5
	s_and_b32 s1, vcc_lo, s1
	s_and_saveexec_b32 s2, s1
	s_cbranch_execz .LBB43_4
; %bb.3:
	s_mov_b32 s15, 0
	s_lshl_b64 s[4:5], s[14:15], 2
	v_add_co_u32 v3, s1, v3, s4
	v_add_co_ci_u32_e64 v4, null, s5, v4, s1
	global_load_dword v6, v[3:4], off
.LBB43_4:
	s_or_b32 exec_lo, exec_lo, s2
	v_mbcnt_lo_u32_b32 v3, -1, 0
	v_and_b32_e32 v4, 16, v3
	v_xor_b32_e32 v7, 8, v3
	v_xor_b32_e32 v10, 4, v3
	v_xor_b32_e32 v13, 2, v3
	v_xor_b32_e32 v14, 1, v3
	v_add_nc_u32_e32 v4, 16, v4
	v_cmp_lt_i32_e64 s1, v7, v4
	v_cndmask_b32_e64 v7, v3, v7, s1
	v_cmp_lt_i32_e64 s1, v10, v4
	v_lshlrev_b32_e32 v7, 2, v7
	v_cndmask_b32_e64 v10, v3, v10, s1
	s_waitcnt vmcnt(0)
	ds_bpermute_b32 v8, v7, v0
	ds_bpermute_b32 v9, v7, v6
	v_lshlrev_b32_e32 v10, 2, v10
	s_waitcnt lgkmcnt(1)
	v_cmp_lt_f32_e64 s1, v0, v8
	v_cndmask_b32_e64 v8, v0, v8, s1
	s_waitcnt lgkmcnt(0)
	v_cmp_lt_f32_e64 s1, v6, v9
	ds_bpermute_b32 v11, v10, v8
	v_cndmask_b32_e64 v9, v6, v9, s1
	v_cmp_lt_i32_e64 s1, v13, v4
	ds_bpermute_b32 v12, v10, v9
	v_cndmask_b32_e64 v13, v3, v13, s1
	v_lshlrev_b32_e32 v13, 2, v13
	s_waitcnt lgkmcnt(1)
	v_cmp_lt_f32_e64 s1, v8, v11
	v_cndmask_b32_e64 v8, v8, v11, s1
	s_waitcnt lgkmcnt(0)
	v_cmp_lt_f32_e64 s1, v9, v12
	ds_bpermute_b32 v11, v13, v8
	v_cndmask_b32_e64 v9, v9, v12, s1
	v_cmp_lt_i32_e64 s1, v14, v4
	ds_bpermute_b32 v12, v13, v9
	v_cndmask_b32_e64 v3, v3, v14, s1
	v_lshlrev_b32_e32 v14, 2, v3
	s_waitcnt lgkmcnt(1)
	v_cmp_lt_f32_e64 s1, v8, v11
	v_cndmask_b32_e64 v3, v8, v11, s1
	s_waitcnt lgkmcnt(0)
	v_cmp_lt_f32_e64 s1, v9, v12
	ds_bpermute_b32 v8, v14, v3
	v_cndmask_b32_e64 v4, v9, v12, s1
	ds_bpermute_b32 v9, v14, v4
	s_waitcnt lgkmcnt(1)
	v_cmp_lt_f32_e64 s1, v3, v8
	v_cndmask_b32_e64 v3, v3, v8, s1
	s_waitcnt lgkmcnt(0)
	v_cmp_lt_f32_e64 s1, v4, v9
	v_cndmask_b32_e64 v8, v4, v9, s1
	v_sub_f32_e32 v4, v0, v3
	v_sub_f32_e32 v3, v6, v8
	v_mul_f32_e32 v0, 0x3fb8aa3b, v4
	v_cmp_ngt_f32_e64 s1, 0xc2ce8ed0, v4
	v_mul_f32_e32 v6, 0x3fb8aa3b, v3
	v_fma_f32 v8, 0x3fb8aa3b, v4, -v0
	v_rndne_f32_e32 v9, v0
	v_fma_f32 v11, 0x3fb8aa3b, v3, -v6
	v_rndne_f32_e32 v12, v6
	v_fmac_f32_e32 v8, 0x32a5705f, v4
	v_sub_f32_e32 v0, v0, v9
	v_fmac_f32_e32 v11, 0x32a5705f, v3
	v_sub_f32_e32 v6, v6, v12
	v_add_f32_e32 v0, v0, v8
	v_cvt_i32_f32_e32 v8, v9
	v_cvt_i32_f32_e32 v9, v12
	v_add_f32_e32 v6, v6, v11
	v_exp_f32_e32 v0, v0
	v_exp_f32_e32 v6, v6
	v_ldexp_f32 v0, v0, v8
	v_ldexp_f32 v6, v6, v9
	v_cndmask_b32_e64 v0, 0, v0, s1
	v_cmp_ngt_f32_e64 s1, 0xc2ce8ed0, v3
	v_cndmask_b32_e64 v6, 0, v6, s1
	v_cmp_nlt_f32_e64 s1, 0x42b17218, v4
	v_cndmask_b32_e64 v0, 0x7f800000, v0, s1
	v_cmp_nlt_f32_e64 s1, 0x42b17218, v3
	ds_bpermute_b32 v8, v7, v0
	v_cndmask_b32_e64 v6, 0x7f800000, v6, s1
	ds_bpermute_b32 v7, v7, v6
	s_waitcnt lgkmcnt(1)
	v_add_f32_e32 v0, v0, v8
	s_waitcnt lgkmcnt(0)
	v_add_f32_e32 v6, v6, v7
	ds_bpermute_b32 v7, v10, v0
	ds_bpermute_b32 v8, v10, v6
	s_waitcnt lgkmcnt(1)
	v_add_f32_e32 v0, v0, v7
	s_waitcnt lgkmcnt(0)
	v_add_f32_e32 v6, v6, v8
	ds_bpermute_b32 v7, v13, v0
	;; [unrolled: 6-line block ×3, first 2 shown]
	ds_bpermute_b32 v7, v14, v6
	s_and_saveexec_b32 s1, s0
	s_cbranch_execz .LBB43_9
; %bb.5:
	v_add_co_u32 v0, s0, s8, v1
	v_add_co_ci_u32_e64 v1, null, s9, v2, s0
	s_and_saveexec_b32 s2, vcc_lo
	s_cbranch_execz .LBB43_7
; %bb.6:
	s_waitcnt lgkmcnt(1)
	v_add_f32_e32 v2, v8, v9
	v_cmp_gt_f32_e64 s0, 0x800000, v2
	v_cndmask_b32_e64 v8, 0, 32, s0
	v_ldexp_f32 v2, v2, v8
	v_log_f32_e32 v2, v2
	v_mul_f32_e32 v8, 0x3f317217, v2
	v_cmp_gt_f32_e64 s1, 0x7f800000, |v2|
	v_fma_f32 v8, 0x3f317217, v2, -v8
	v_fmamk_f32 v8, v2, 0x3377d1cf, v8
	v_fmac_f32_e32 v8, 0x3f317217, v2
	v_cndmask_b32_e64 v2, v2, v8, s1
	v_cndmask_b32_e64 v8, 0, 0x41b17218, s0
	v_sub_f32_e32 v2, v2, v8
	v_sub_f32_e32 v2, v4, v2
	global_store_dword v[0:1], v2, off
.LBB43_7:
	s_or_b32 exec_lo, exec_lo, s2
	v_cmp_ne_u32_e64 s0, 1, v5
	s_and_b32 s0, s0, vcc_lo
	s_and_b32 exec_lo, exec_lo, s0
	s_cbranch_execz .LBB43_9
; %bb.8:
	s_waitcnt lgkmcnt(0)
	v_add_f32_e32 v2, v6, v7
	s_mov_b32 s15, 0
	s_lshl_b64 s[0:1], s[14:15], 2
	v_cmp_gt_f32_e32 vcc_lo, 0x800000, v2
	v_cndmask_b32_e64 v4, 0, 32, vcc_lo
	v_cndmask_b32_e64 v5, 0, 0x41b17218, vcc_lo
	v_ldexp_f32 v2, v2, v4
	v_log_f32_e32 v2, v2
	v_mul_f32_e32 v4, 0x3f317217, v2
	v_cmp_gt_f32_e64 vcc_lo, 0x7f800000, |v2|
	v_fma_f32 v4, 0x3f317217, v2, -v4
	v_fmamk_f32 v4, v2, 0x3377d1cf, v4
	v_fmac_f32_e32 v4, 0x3f317217, v2
	v_cndmask_b32_e32 v2, v2, v4, vcc_lo
	v_add_co_u32 v0, vcc_lo, v0, s0
	v_add_co_ci_u32_e64 v1, null, s1, v1, vcc_lo
	v_sub_f32_e32 v2, v2, v5
	v_sub_f32_e32 v2, v3, v2
	global_store_dword v[0:1], v2, off
.LBB43_9:
	s_endpgm
	.section	.rodata,"a",@progbits
	.p2align	6, 0x0
	.amdhsa_kernel _ZN12_GLOBAL__N_120softmax_warp_forwardIfffLi4ELb1ELb0ELi64EEEvPT0_PKT_iiiPKbib
		.amdhsa_group_segment_fixed_size 0
		.amdhsa_private_segment_fixed_size 0
		.amdhsa_kernarg_size 304
		.amdhsa_user_sgpr_count 6
		.amdhsa_user_sgpr_private_segment_buffer 1
		.amdhsa_user_sgpr_dispatch_ptr 0
		.amdhsa_user_sgpr_queue_ptr 0
		.amdhsa_user_sgpr_kernarg_segment_ptr 1
		.amdhsa_user_sgpr_dispatch_id 0
		.amdhsa_user_sgpr_flat_scratch_init 0
		.amdhsa_user_sgpr_private_segment_size 0
		.amdhsa_wavefront_size32 1
		.amdhsa_uses_dynamic_stack 0
		.amdhsa_system_sgpr_private_segment_wavefront_offset 0
		.amdhsa_system_sgpr_workgroup_id_x 1
		.amdhsa_system_sgpr_workgroup_id_y 0
		.amdhsa_system_sgpr_workgroup_id_z 0
		.amdhsa_system_sgpr_workgroup_info 0
		.amdhsa_system_vgpr_workitem_id 1
		.amdhsa_next_free_vgpr 15
		.amdhsa_next_free_sgpr 16
		.amdhsa_reserve_vcc 1
		.amdhsa_reserve_flat_scratch 0
		.amdhsa_float_round_mode_32 0
		.amdhsa_float_round_mode_16_64 0
		.amdhsa_float_denorm_mode_32 3
		.amdhsa_float_denorm_mode_16_64 3
		.amdhsa_dx10_clamp 1
		.amdhsa_ieee_mode 1
		.amdhsa_fp16_overflow 0
		.amdhsa_workgroup_processor_mode 1
		.amdhsa_memory_ordered 1
		.amdhsa_forward_progress 1
		.amdhsa_shared_vgpr_count 0
		.amdhsa_exception_fp_ieee_invalid_op 0
		.amdhsa_exception_fp_denorm_src 0
		.amdhsa_exception_fp_ieee_div_zero 0
		.amdhsa_exception_fp_ieee_overflow 0
		.amdhsa_exception_fp_ieee_underflow 0
		.amdhsa_exception_fp_ieee_inexact 0
		.amdhsa_exception_int_div_zero 0
	.end_amdhsa_kernel
	.section	.text._ZN12_GLOBAL__N_120softmax_warp_forwardIfffLi4ELb1ELb0ELi64EEEvPT0_PKT_iiiPKbib,"axG",@progbits,_ZN12_GLOBAL__N_120softmax_warp_forwardIfffLi4ELb1ELb0ELi64EEEvPT0_PKT_iiiPKbib,comdat
.Lfunc_end43:
	.size	_ZN12_GLOBAL__N_120softmax_warp_forwardIfffLi4ELb1ELb0ELi64EEEvPT0_PKT_iiiPKbib, .Lfunc_end43-_ZN12_GLOBAL__N_120softmax_warp_forwardIfffLi4ELb1ELb0ELi64EEEvPT0_PKT_iiiPKbib
                                        ; -- End function
	.set _ZN12_GLOBAL__N_120softmax_warp_forwardIfffLi4ELb1ELb0ELi64EEEvPT0_PKT_iiiPKbib.num_vgpr, 15
	.set _ZN12_GLOBAL__N_120softmax_warp_forwardIfffLi4ELb1ELb0ELi64EEEvPT0_PKT_iiiPKbib.num_agpr, 0
	.set _ZN12_GLOBAL__N_120softmax_warp_forwardIfffLi4ELb1ELb0ELi64EEEvPT0_PKT_iiiPKbib.numbered_sgpr, 16
	.set _ZN12_GLOBAL__N_120softmax_warp_forwardIfffLi4ELb1ELb0ELi64EEEvPT0_PKT_iiiPKbib.num_named_barrier, 0
	.set _ZN12_GLOBAL__N_120softmax_warp_forwardIfffLi4ELb1ELb0ELi64EEEvPT0_PKT_iiiPKbib.private_seg_size, 0
	.set _ZN12_GLOBAL__N_120softmax_warp_forwardIfffLi4ELb1ELb0ELi64EEEvPT0_PKT_iiiPKbib.uses_vcc, 1
	.set _ZN12_GLOBAL__N_120softmax_warp_forwardIfffLi4ELb1ELb0ELi64EEEvPT0_PKT_iiiPKbib.uses_flat_scratch, 0
	.set _ZN12_GLOBAL__N_120softmax_warp_forwardIfffLi4ELb1ELb0ELi64EEEvPT0_PKT_iiiPKbib.has_dyn_sized_stack, 0
	.set _ZN12_GLOBAL__N_120softmax_warp_forwardIfffLi4ELb1ELb0ELi64EEEvPT0_PKT_iiiPKbib.has_recursion, 0
	.set _ZN12_GLOBAL__N_120softmax_warp_forwardIfffLi4ELb1ELb0ELi64EEEvPT0_PKT_iiiPKbib.has_indirect_call, 0
	.section	.AMDGPU.csdata,"",@progbits
; Kernel info:
; codeLenInByte = 1180
; TotalNumSgprs: 18
; NumVgprs: 15
; ScratchSize: 0
; MemoryBound: 0
; FloatMode: 240
; IeeeMode: 1
; LDSByteSize: 0 bytes/workgroup (compile time only)
; SGPRBlocks: 0
; VGPRBlocks: 1
; NumSGPRsForWavesPerEU: 18
; NumVGPRsForWavesPerEU: 15
; Occupancy: 16
; WaveLimiterHint : 0
; COMPUTE_PGM_RSRC2:SCRATCH_EN: 0
; COMPUTE_PGM_RSRC2:USER_SGPR: 6
; COMPUTE_PGM_RSRC2:TRAP_HANDLER: 0
; COMPUTE_PGM_RSRC2:TGID_X_EN: 1
; COMPUTE_PGM_RSRC2:TGID_Y_EN: 0
; COMPUTE_PGM_RSRC2:TGID_Z_EN: 0
; COMPUTE_PGM_RSRC2:TIDIG_COMP_CNT: 1
	.section	.text._ZN12_GLOBAL__N_120softmax_warp_forwardIfffLi4ELb1ELb0ELi32EEEvPT0_PKT_iiiPKbib,"axG",@progbits,_ZN12_GLOBAL__N_120softmax_warp_forwardIfffLi4ELb1ELb0ELi32EEEvPT0_PKT_iiiPKbib,comdat
	.globl	_ZN12_GLOBAL__N_120softmax_warp_forwardIfffLi4ELb1ELb0ELi32EEEvPT0_PKT_iiiPKbib ; -- Begin function _ZN12_GLOBAL__N_120softmax_warp_forwardIfffLi4ELb1ELb0ELi32EEEvPT0_PKT_iiiPKbib
	.p2align	8
	.type	_ZN12_GLOBAL__N_120softmax_warp_forwardIfffLi4ELb1ELb0ELi32EEEvPT0_PKT_iiiPKbib,@function
_ZN12_GLOBAL__N_120softmax_warp_forwardIfffLi4ELb1ELb0ELi32EEEvPT0_PKT_iiiPKbib: ; @_ZN12_GLOBAL__N_120softmax_warp_forwardIfffLi4ELb1ELb0ELi32EEEvPT0_PKT_iiiPKbib
; %bb.0:
	s_clause 0x1
	s_load_dword s0, s[4:5], 0x3c
	s_load_dwordx8 s[8:15], s[4:5], 0x0
	v_mov_b32_e32 v6, 0xff800000
	s_waitcnt lgkmcnt(0)
	s_lshr_b32 s0, s0, 16
	v_cmp_gt_i32_e32 vcc_lo, s14, v0
	s_and_b32 s0, s0, 0xffff
	s_mul_i32 s6, s6, s0
	v_add_lshl_u32 v3, s6, v1, 1
	v_mad_u64_u32 v[1:2], null, v3, s13, v[0:1]
	v_sub_nc_u32_e32 v5, s12, v3
	v_mov_b32_e32 v0, 0xff800000
	v_cmp_lt_i32_e64 s0, 0, v5
	v_ashrrev_i32_e32 v2, 31, v1
	s_and_b32 s2, vcc_lo, s0
	v_lshlrev_b64 v[1:2], 2, v[1:2]
	v_add_co_u32 v3, s1, s10, v1
	v_add_co_ci_u32_e64 v4, null, s11, v2, s1
	s_and_saveexec_b32 s1, s2
	s_cbranch_execz .LBB44_2
; %bb.1:
	global_load_dword v0, v[3:4], off
.LBB44_2:
	s_or_b32 exec_lo, exec_lo, s1
	v_cmp_lt_i32_e64 s1, 1, v5
	s_and_b32 s1, vcc_lo, s1
	s_and_saveexec_b32 s2, s1
	s_cbranch_execz .LBB44_4
; %bb.3:
	s_mov_b32 s15, 0
	s_lshl_b64 s[4:5], s[14:15], 2
	v_add_co_u32 v3, s1, v3, s4
	v_add_co_ci_u32_e64 v4, null, s5, v4, s1
	global_load_dword v6, v[3:4], off
.LBB44_4:
	s_or_b32 exec_lo, exec_lo, s2
	v_mbcnt_lo_u32_b32 v3, -1, 0
	v_and_b32_e32 v4, 16, v3
	v_xor_b32_e32 v7, 8, v3
	v_xor_b32_e32 v10, 4, v3
	;; [unrolled: 1-line block ×4, first 2 shown]
	v_add_nc_u32_e32 v4, 16, v4
	v_cmp_lt_i32_e64 s1, v7, v4
	v_cndmask_b32_e64 v7, v3, v7, s1
	v_cmp_lt_i32_e64 s1, v10, v4
	v_lshlrev_b32_e32 v7, 2, v7
	v_cndmask_b32_e64 v10, v3, v10, s1
	s_waitcnt vmcnt(0)
	ds_bpermute_b32 v8, v7, v0
	ds_bpermute_b32 v9, v7, v6
	v_lshlrev_b32_e32 v10, 2, v10
	s_waitcnt lgkmcnt(1)
	v_cmp_lt_f32_e64 s1, v0, v8
	v_cndmask_b32_e64 v8, v0, v8, s1
	s_waitcnt lgkmcnt(0)
	v_cmp_lt_f32_e64 s1, v6, v9
	ds_bpermute_b32 v11, v10, v8
	v_cndmask_b32_e64 v9, v6, v9, s1
	v_cmp_lt_i32_e64 s1, v13, v4
	ds_bpermute_b32 v12, v10, v9
	v_cndmask_b32_e64 v13, v3, v13, s1
	v_lshlrev_b32_e32 v13, 2, v13
	s_waitcnt lgkmcnt(1)
	v_cmp_lt_f32_e64 s1, v8, v11
	v_cndmask_b32_e64 v8, v8, v11, s1
	s_waitcnt lgkmcnt(0)
	v_cmp_lt_f32_e64 s1, v9, v12
	ds_bpermute_b32 v11, v13, v8
	v_cndmask_b32_e64 v9, v9, v12, s1
	v_cmp_lt_i32_e64 s1, v14, v4
	ds_bpermute_b32 v12, v13, v9
	v_cndmask_b32_e64 v3, v3, v14, s1
	v_lshlrev_b32_e32 v14, 2, v3
	s_waitcnt lgkmcnt(1)
	v_cmp_lt_f32_e64 s1, v8, v11
	v_cndmask_b32_e64 v3, v8, v11, s1
	s_waitcnt lgkmcnt(0)
	v_cmp_lt_f32_e64 s1, v9, v12
	ds_bpermute_b32 v8, v14, v3
	v_cndmask_b32_e64 v4, v9, v12, s1
	ds_bpermute_b32 v9, v14, v4
	s_waitcnt lgkmcnt(1)
	v_cmp_lt_f32_e64 s1, v3, v8
	v_cndmask_b32_e64 v3, v3, v8, s1
	s_waitcnt lgkmcnt(0)
	v_cmp_lt_f32_e64 s1, v4, v9
	v_cndmask_b32_e64 v8, v4, v9, s1
	v_sub_f32_e32 v4, v0, v3
	v_sub_f32_e32 v3, v6, v8
	v_mul_f32_e32 v0, 0x3fb8aa3b, v4
	v_cmp_ngt_f32_e64 s1, 0xc2ce8ed0, v4
	v_mul_f32_e32 v6, 0x3fb8aa3b, v3
	v_fma_f32 v8, 0x3fb8aa3b, v4, -v0
	v_rndne_f32_e32 v9, v0
	v_fma_f32 v11, 0x3fb8aa3b, v3, -v6
	v_rndne_f32_e32 v12, v6
	v_fmac_f32_e32 v8, 0x32a5705f, v4
	v_sub_f32_e32 v0, v0, v9
	v_fmac_f32_e32 v11, 0x32a5705f, v3
	v_sub_f32_e32 v6, v6, v12
	v_add_f32_e32 v0, v0, v8
	v_cvt_i32_f32_e32 v8, v9
	v_cvt_i32_f32_e32 v9, v12
	v_add_f32_e32 v6, v6, v11
	v_exp_f32_e32 v0, v0
	v_exp_f32_e32 v6, v6
	v_ldexp_f32 v0, v0, v8
	v_ldexp_f32 v6, v6, v9
	v_cndmask_b32_e64 v0, 0, v0, s1
	v_cmp_ngt_f32_e64 s1, 0xc2ce8ed0, v3
	v_cndmask_b32_e64 v6, 0, v6, s1
	v_cmp_nlt_f32_e64 s1, 0x42b17218, v4
	v_cndmask_b32_e64 v0, 0x7f800000, v0, s1
	v_cmp_nlt_f32_e64 s1, 0x42b17218, v3
	ds_bpermute_b32 v8, v7, v0
	v_cndmask_b32_e64 v6, 0x7f800000, v6, s1
	ds_bpermute_b32 v7, v7, v6
	s_waitcnt lgkmcnt(1)
	v_add_f32_e32 v0, v0, v8
	s_waitcnt lgkmcnt(0)
	v_add_f32_e32 v6, v6, v7
	ds_bpermute_b32 v7, v10, v0
	ds_bpermute_b32 v8, v10, v6
	s_waitcnt lgkmcnt(1)
	v_add_f32_e32 v0, v0, v7
	s_waitcnt lgkmcnt(0)
	v_add_f32_e32 v6, v6, v8
	ds_bpermute_b32 v7, v13, v0
	;; [unrolled: 6-line block ×3, first 2 shown]
	ds_bpermute_b32 v7, v14, v6
	s_and_saveexec_b32 s1, s0
	s_cbranch_execz .LBB44_9
; %bb.5:
	v_add_co_u32 v0, s0, s8, v1
	v_add_co_ci_u32_e64 v1, null, s9, v2, s0
	s_and_saveexec_b32 s2, vcc_lo
	s_cbranch_execz .LBB44_7
; %bb.6:
	s_waitcnt lgkmcnt(1)
	v_add_f32_e32 v2, v8, v9
	v_cmp_gt_f32_e64 s0, 0x800000, v2
	v_cndmask_b32_e64 v8, 0, 32, s0
	v_ldexp_f32 v2, v2, v8
	v_log_f32_e32 v2, v2
	v_mul_f32_e32 v8, 0x3f317217, v2
	v_cmp_gt_f32_e64 s1, 0x7f800000, |v2|
	v_fma_f32 v8, 0x3f317217, v2, -v8
	v_fmamk_f32 v8, v2, 0x3377d1cf, v8
	v_fmac_f32_e32 v8, 0x3f317217, v2
	v_cndmask_b32_e64 v2, v2, v8, s1
	v_cndmask_b32_e64 v8, 0, 0x41b17218, s0
	v_sub_f32_e32 v2, v2, v8
	v_sub_f32_e32 v2, v4, v2
	global_store_dword v[0:1], v2, off
.LBB44_7:
	s_or_b32 exec_lo, exec_lo, s2
	v_cmp_ne_u32_e64 s0, 1, v5
	s_and_b32 s0, s0, vcc_lo
	s_and_b32 exec_lo, exec_lo, s0
	s_cbranch_execz .LBB44_9
; %bb.8:
	s_waitcnt lgkmcnt(0)
	v_add_f32_e32 v2, v6, v7
	s_mov_b32 s15, 0
	s_lshl_b64 s[0:1], s[14:15], 2
	v_cmp_gt_f32_e32 vcc_lo, 0x800000, v2
	v_cndmask_b32_e64 v4, 0, 32, vcc_lo
	v_cndmask_b32_e64 v5, 0, 0x41b17218, vcc_lo
	v_ldexp_f32 v2, v2, v4
	v_log_f32_e32 v2, v2
	v_mul_f32_e32 v4, 0x3f317217, v2
	v_cmp_gt_f32_e64 vcc_lo, 0x7f800000, |v2|
	v_fma_f32 v4, 0x3f317217, v2, -v4
	v_fmamk_f32 v4, v2, 0x3377d1cf, v4
	v_fmac_f32_e32 v4, 0x3f317217, v2
	v_cndmask_b32_e32 v2, v2, v4, vcc_lo
	v_add_co_u32 v0, vcc_lo, v0, s0
	v_add_co_ci_u32_e64 v1, null, s1, v1, vcc_lo
	v_sub_f32_e32 v2, v2, v5
	v_sub_f32_e32 v2, v3, v2
	global_store_dword v[0:1], v2, off
.LBB44_9:
	s_endpgm
	.section	.rodata,"a",@progbits
	.p2align	6, 0x0
	.amdhsa_kernel _ZN12_GLOBAL__N_120softmax_warp_forwardIfffLi4ELb1ELb0ELi32EEEvPT0_PKT_iiiPKbib
		.amdhsa_group_segment_fixed_size 0
		.amdhsa_private_segment_fixed_size 0
		.amdhsa_kernarg_size 304
		.amdhsa_user_sgpr_count 6
		.amdhsa_user_sgpr_private_segment_buffer 1
		.amdhsa_user_sgpr_dispatch_ptr 0
		.amdhsa_user_sgpr_queue_ptr 0
		.amdhsa_user_sgpr_kernarg_segment_ptr 1
		.amdhsa_user_sgpr_dispatch_id 0
		.amdhsa_user_sgpr_flat_scratch_init 0
		.amdhsa_user_sgpr_private_segment_size 0
		.amdhsa_wavefront_size32 1
		.amdhsa_uses_dynamic_stack 0
		.amdhsa_system_sgpr_private_segment_wavefront_offset 0
		.amdhsa_system_sgpr_workgroup_id_x 1
		.amdhsa_system_sgpr_workgroup_id_y 0
		.amdhsa_system_sgpr_workgroup_id_z 0
		.amdhsa_system_sgpr_workgroup_info 0
		.amdhsa_system_vgpr_workitem_id 1
		.amdhsa_next_free_vgpr 15
		.amdhsa_next_free_sgpr 16
		.amdhsa_reserve_vcc 1
		.amdhsa_reserve_flat_scratch 0
		.amdhsa_float_round_mode_32 0
		.amdhsa_float_round_mode_16_64 0
		.amdhsa_float_denorm_mode_32 3
		.amdhsa_float_denorm_mode_16_64 3
		.amdhsa_dx10_clamp 1
		.amdhsa_ieee_mode 1
		.amdhsa_fp16_overflow 0
		.amdhsa_workgroup_processor_mode 1
		.amdhsa_memory_ordered 1
		.amdhsa_forward_progress 1
		.amdhsa_shared_vgpr_count 0
		.amdhsa_exception_fp_ieee_invalid_op 0
		.amdhsa_exception_fp_denorm_src 0
		.amdhsa_exception_fp_ieee_div_zero 0
		.amdhsa_exception_fp_ieee_overflow 0
		.amdhsa_exception_fp_ieee_underflow 0
		.amdhsa_exception_fp_ieee_inexact 0
		.amdhsa_exception_int_div_zero 0
	.end_amdhsa_kernel
	.section	.text._ZN12_GLOBAL__N_120softmax_warp_forwardIfffLi4ELb1ELb0ELi32EEEvPT0_PKT_iiiPKbib,"axG",@progbits,_ZN12_GLOBAL__N_120softmax_warp_forwardIfffLi4ELb1ELb0ELi32EEEvPT0_PKT_iiiPKbib,comdat
.Lfunc_end44:
	.size	_ZN12_GLOBAL__N_120softmax_warp_forwardIfffLi4ELb1ELb0ELi32EEEvPT0_PKT_iiiPKbib, .Lfunc_end44-_ZN12_GLOBAL__N_120softmax_warp_forwardIfffLi4ELb1ELb0ELi32EEEvPT0_PKT_iiiPKbib
                                        ; -- End function
	.set _ZN12_GLOBAL__N_120softmax_warp_forwardIfffLi4ELb1ELb0ELi32EEEvPT0_PKT_iiiPKbib.num_vgpr, 15
	.set _ZN12_GLOBAL__N_120softmax_warp_forwardIfffLi4ELb1ELb0ELi32EEEvPT0_PKT_iiiPKbib.num_agpr, 0
	.set _ZN12_GLOBAL__N_120softmax_warp_forwardIfffLi4ELb1ELb0ELi32EEEvPT0_PKT_iiiPKbib.numbered_sgpr, 16
	.set _ZN12_GLOBAL__N_120softmax_warp_forwardIfffLi4ELb1ELb0ELi32EEEvPT0_PKT_iiiPKbib.num_named_barrier, 0
	.set _ZN12_GLOBAL__N_120softmax_warp_forwardIfffLi4ELb1ELb0ELi32EEEvPT0_PKT_iiiPKbib.private_seg_size, 0
	.set _ZN12_GLOBAL__N_120softmax_warp_forwardIfffLi4ELb1ELb0ELi32EEEvPT0_PKT_iiiPKbib.uses_vcc, 1
	.set _ZN12_GLOBAL__N_120softmax_warp_forwardIfffLi4ELb1ELb0ELi32EEEvPT0_PKT_iiiPKbib.uses_flat_scratch, 0
	.set _ZN12_GLOBAL__N_120softmax_warp_forwardIfffLi4ELb1ELb0ELi32EEEvPT0_PKT_iiiPKbib.has_dyn_sized_stack, 0
	.set _ZN12_GLOBAL__N_120softmax_warp_forwardIfffLi4ELb1ELb0ELi32EEEvPT0_PKT_iiiPKbib.has_recursion, 0
	.set _ZN12_GLOBAL__N_120softmax_warp_forwardIfffLi4ELb1ELb0ELi32EEEvPT0_PKT_iiiPKbib.has_indirect_call, 0
	.section	.AMDGPU.csdata,"",@progbits
; Kernel info:
; codeLenInByte = 1180
; TotalNumSgprs: 18
; NumVgprs: 15
; ScratchSize: 0
; MemoryBound: 0
; FloatMode: 240
; IeeeMode: 1
; LDSByteSize: 0 bytes/workgroup (compile time only)
; SGPRBlocks: 0
; VGPRBlocks: 1
; NumSGPRsForWavesPerEU: 18
; NumVGPRsForWavesPerEU: 15
; Occupancy: 16
; WaveLimiterHint : 0
; COMPUTE_PGM_RSRC2:SCRATCH_EN: 0
; COMPUTE_PGM_RSRC2:USER_SGPR: 6
; COMPUTE_PGM_RSRC2:TRAP_HANDLER: 0
; COMPUTE_PGM_RSRC2:TGID_X_EN: 1
; COMPUTE_PGM_RSRC2:TGID_Y_EN: 0
; COMPUTE_PGM_RSRC2:TGID_Z_EN: 0
; COMPUTE_PGM_RSRC2:TIDIG_COMP_CNT: 1
	.section	.text._ZN12_GLOBAL__N_120softmax_warp_forwardIfffLi5ELb1ELb0ELi64EEEvPT0_PKT_iiiPKbib,"axG",@progbits,_ZN12_GLOBAL__N_120softmax_warp_forwardIfffLi5ELb1ELb0ELi64EEEvPT0_PKT_iiiPKbib,comdat
	.globl	_ZN12_GLOBAL__N_120softmax_warp_forwardIfffLi5ELb1ELb0ELi64EEEvPT0_PKT_iiiPKbib ; -- Begin function _ZN12_GLOBAL__N_120softmax_warp_forwardIfffLi5ELb1ELb0ELi64EEEvPT0_PKT_iiiPKbib
	.p2align	8
	.type	_ZN12_GLOBAL__N_120softmax_warp_forwardIfffLi5ELb1ELb0ELi64EEEvPT0_PKT_iiiPKbib,@function
_ZN12_GLOBAL__N_120softmax_warp_forwardIfffLi5ELb1ELb0ELi64EEEvPT0_PKT_iiiPKbib: ; @_ZN12_GLOBAL__N_120softmax_warp_forwardIfffLi5ELb1ELb0ELi64EEEvPT0_PKT_iiiPKbib
; %bb.0:
	s_clause 0x1
	s_load_dword s0, s[4:5], 0x3c
	s_load_dwordx8 s[8:15], s[4:5], 0x0
	v_mov_b32_e32 v6, 0xff800000
	s_waitcnt lgkmcnt(0)
	s_lshr_b32 s0, s0, 16
	v_cmp_gt_i32_e32 vcc_lo, s14, v0
	s_and_b32 s0, s0, 0xffff
	s_mul_i32 s6, s6, s0
	v_add_lshl_u32 v3, s6, v1, 1
	v_mad_u64_u32 v[1:2], null, v3, s13, v[0:1]
	v_sub_nc_u32_e32 v5, s12, v3
	v_mov_b32_e32 v0, 0xff800000
	v_cmp_lt_i32_e64 s0, 0, v5
	v_ashrrev_i32_e32 v2, 31, v1
	s_and_b32 s2, vcc_lo, s0
	v_lshlrev_b64 v[1:2], 2, v[1:2]
	v_add_co_u32 v3, s1, s10, v1
	v_add_co_ci_u32_e64 v4, null, s11, v2, s1
	s_and_saveexec_b32 s1, s2
	s_cbranch_execz .LBB45_2
; %bb.1:
	global_load_dword v0, v[3:4], off
.LBB45_2:
	s_or_b32 exec_lo, exec_lo, s1
	v_cmp_lt_i32_e64 s1, 1, v5
	s_and_b32 s1, vcc_lo, s1
	s_and_saveexec_b32 s2, s1
	s_cbranch_execz .LBB45_4
; %bb.3:
	s_mov_b32 s15, 0
	s_lshl_b64 s[4:5], s[14:15], 2
	v_add_co_u32 v3, s1, v3, s4
	v_add_co_ci_u32_e64 v4, null, s5, v4, s1
	global_load_dword v6, v[3:4], off
.LBB45_4:
	s_or_b32 exec_lo, exec_lo, s2
	v_mbcnt_lo_u32_b32 v3, -1, 0
	v_xor_b32_e32 v4, 16, v3
	v_xor_b32_e32 v9, 8, v3
	v_xor_b32_e32 v12, 4, v3
	v_xor_b32_e32 v13, 2, v3
	v_xor_b32_e32 v14, 1, v3
	v_cmp_gt_i32_e64 s1, 32, v4
	v_cndmask_b32_e64 v4, v3, v4, s1
	v_cmp_gt_i32_e64 s1, 32, v9
	v_lshlrev_b32_e32 v7, 2, v4
	v_cndmask_b32_e64 v9, v3, v9, s1
	s_waitcnt vmcnt(0)
	ds_bpermute_b32 v4, v7, v0
	ds_bpermute_b32 v8, v7, v6
	v_lshlrev_b32_e32 v9, 2, v9
	s_waitcnt lgkmcnt(1)
	v_cmp_lt_f32_e64 s1, v0, v4
	v_cndmask_b32_e64 v4, v0, v4, s1
	s_waitcnt lgkmcnt(0)
	v_cmp_lt_f32_e64 s1, v6, v8
	ds_bpermute_b32 v10, v9, v4
	v_cndmask_b32_e64 v8, v6, v8, s1
	v_cmp_gt_i32_e64 s1, 32, v12
	ds_bpermute_b32 v11, v9, v8
	v_cndmask_b32_e64 v12, v3, v12, s1
	v_lshlrev_b32_e32 v12, 2, v12
	s_waitcnt lgkmcnt(1)
	v_cmp_lt_f32_e64 s1, v4, v10
	v_cndmask_b32_e64 v4, v4, v10, s1
	s_waitcnt lgkmcnt(0)
	v_cmp_lt_f32_e64 s1, v8, v11
	ds_bpermute_b32 v10, v12, v4
	v_cndmask_b32_e64 v8, v8, v11, s1
	v_cmp_gt_i32_e64 s1, 32, v13
	ds_bpermute_b32 v11, v12, v8
	v_cndmask_b32_e64 v13, v3, v13, s1
	;; [unrolled: 11-line block ×3, first 2 shown]
	v_lshlrev_b32_e32 v14, 2, v3
	s_waitcnt lgkmcnt(1)
	v_cmp_lt_f32_e64 s1, v4, v10
	v_cndmask_b32_e64 v3, v4, v10, s1
	s_waitcnt lgkmcnt(0)
	v_cmp_lt_f32_e64 s1, v8, v11
	v_cndmask_b32_e64 v4, v8, v11, s1
	ds_bpermute_b32 v8, v14, v3
	ds_bpermute_b32 v10, v14, v4
	s_waitcnt lgkmcnt(1)
	v_cmp_lt_f32_e64 s1, v3, v8
	v_cndmask_b32_e64 v3, v3, v8, s1
	s_waitcnt lgkmcnt(0)
	v_cmp_lt_f32_e64 s1, v4, v10
	v_cndmask_b32_e64 v8, v4, v10, s1
	v_sub_f32_e32 v4, v0, v3
	v_sub_f32_e32 v3, v6, v8
	v_mul_f32_e32 v0, 0x3fb8aa3b, v4
	v_cmp_ngt_f32_e64 s1, 0xc2ce8ed0, v4
	v_mul_f32_e32 v6, 0x3fb8aa3b, v3
	v_fma_f32 v8, 0x3fb8aa3b, v4, -v0
	v_rndne_f32_e32 v10, v0
	v_fma_f32 v11, 0x3fb8aa3b, v3, -v6
	v_rndne_f32_e32 v15, v6
	v_fmac_f32_e32 v8, 0x32a5705f, v4
	v_sub_f32_e32 v0, v0, v10
	v_fmac_f32_e32 v11, 0x32a5705f, v3
	v_sub_f32_e32 v6, v6, v15
	v_add_f32_e32 v0, v0, v8
	v_cvt_i32_f32_e32 v8, v10
	v_cvt_i32_f32_e32 v10, v15
	v_add_f32_e32 v6, v6, v11
	v_exp_f32_e32 v0, v0
	v_exp_f32_e32 v6, v6
	v_ldexp_f32 v0, v0, v8
	v_ldexp_f32 v6, v6, v10
	v_cndmask_b32_e64 v0, 0, v0, s1
	v_cmp_ngt_f32_e64 s1, 0xc2ce8ed0, v3
	v_cndmask_b32_e64 v6, 0, v6, s1
	v_cmp_nlt_f32_e64 s1, 0x42b17218, v4
	v_cndmask_b32_e64 v0, 0x7f800000, v0, s1
	v_cmp_nlt_f32_e64 s1, 0x42b17218, v3
	ds_bpermute_b32 v8, v7, v0
	v_cndmask_b32_e64 v6, 0x7f800000, v6, s1
	ds_bpermute_b32 v7, v7, v6
	s_waitcnt lgkmcnt(1)
	v_add_f32_e32 v0, v0, v8
	s_waitcnt lgkmcnt(0)
	v_add_f32_e32 v6, v6, v7
	ds_bpermute_b32 v7, v9, v0
	ds_bpermute_b32 v8, v9, v6
	s_waitcnt lgkmcnt(1)
	v_add_f32_e32 v0, v0, v7
	s_waitcnt lgkmcnt(0)
	v_add_f32_e32 v6, v6, v8
	ds_bpermute_b32 v7, v12, v0
	;; [unrolled: 6-line block ×4, first 2 shown]
	ds_bpermute_b32 v7, v14, v6
	s_and_saveexec_b32 s1, s0
	s_cbranch_execz .LBB45_9
; %bb.5:
	v_add_co_u32 v0, s0, s8, v1
	v_add_co_ci_u32_e64 v1, null, s9, v2, s0
	s_and_saveexec_b32 s2, vcc_lo
	s_cbranch_execz .LBB45_7
; %bb.6:
	s_waitcnt lgkmcnt(1)
	v_add_f32_e32 v2, v8, v9
	v_cmp_gt_f32_e64 s0, 0x800000, v2
	v_cndmask_b32_e64 v8, 0, 32, s0
	v_ldexp_f32 v2, v2, v8
	v_log_f32_e32 v2, v2
	v_mul_f32_e32 v8, 0x3f317217, v2
	v_cmp_gt_f32_e64 s1, 0x7f800000, |v2|
	v_fma_f32 v8, 0x3f317217, v2, -v8
	v_fmamk_f32 v8, v2, 0x3377d1cf, v8
	v_fmac_f32_e32 v8, 0x3f317217, v2
	v_cndmask_b32_e64 v2, v2, v8, s1
	v_cndmask_b32_e64 v8, 0, 0x41b17218, s0
	v_sub_f32_e32 v2, v2, v8
	v_sub_f32_e32 v2, v4, v2
	global_store_dword v[0:1], v2, off
.LBB45_7:
	s_or_b32 exec_lo, exec_lo, s2
	v_cmp_ne_u32_e64 s0, 1, v5
	s_and_b32 s0, s0, vcc_lo
	s_and_b32 exec_lo, exec_lo, s0
	s_cbranch_execz .LBB45_9
; %bb.8:
	s_waitcnt lgkmcnt(0)
	v_add_f32_e32 v2, v6, v7
	s_mov_b32 s15, 0
	s_lshl_b64 s[0:1], s[14:15], 2
	v_cmp_gt_f32_e32 vcc_lo, 0x800000, v2
	v_cndmask_b32_e64 v4, 0, 32, vcc_lo
	v_cndmask_b32_e64 v5, 0, 0x41b17218, vcc_lo
	v_ldexp_f32 v2, v2, v4
	v_log_f32_e32 v2, v2
	v_mul_f32_e32 v4, 0x3f317217, v2
	v_cmp_gt_f32_e64 vcc_lo, 0x7f800000, |v2|
	v_fma_f32 v4, 0x3f317217, v2, -v4
	v_fmamk_f32 v4, v2, 0x3377d1cf, v4
	v_fmac_f32_e32 v4, 0x3f317217, v2
	v_cndmask_b32_e32 v2, v2, v4, vcc_lo
	v_add_co_u32 v0, vcc_lo, v0, s0
	v_add_co_ci_u32_e64 v1, null, s1, v1, vcc_lo
	v_sub_f32_e32 v2, v2, v5
	v_sub_f32_e32 v2, v3, v2
	global_store_dword v[0:1], v2, off
.LBB45_9:
	s_endpgm
	.section	.rodata,"a",@progbits
	.p2align	6, 0x0
	.amdhsa_kernel _ZN12_GLOBAL__N_120softmax_warp_forwardIfffLi5ELb1ELb0ELi64EEEvPT0_PKT_iiiPKbib
		.amdhsa_group_segment_fixed_size 0
		.amdhsa_private_segment_fixed_size 0
		.amdhsa_kernarg_size 304
		.amdhsa_user_sgpr_count 6
		.amdhsa_user_sgpr_private_segment_buffer 1
		.amdhsa_user_sgpr_dispatch_ptr 0
		.amdhsa_user_sgpr_queue_ptr 0
		.amdhsa_user_sgpr_kernarg_segment_ptr 1
		.amdhsa_user_sgpr_dispatch_id 0
		.amdhsa_user_sgpr_flat_scratch_init 0
		.amdhsa_user_sgpr_private_segment_size 0
		.amdhsa_wavefront_size32 1
		.amdhsa_uses_dynamic_stack 0
		.amdhsa_system_sgpr_private_segment_wavefront_offset 0
		.amdhsa_system_sgpr_workgroup_id_x 1
		.amdhsa_system_sgpr_workgroup_id_y 0
		.amdhsa_system_sgpr_workgroup_id_z 0
		.amdhsa_system_sgpr_workgroup_info 0
		.amdhsa_system_vgpr_workitem_id 1
		.amdhsa_next_free_vgpr 16
		.amdhsa_next_free_sgpr 16
		.amdhsa_reserve_vcc 1
		.amdhsa_reserve_flat_scratch 0
		.amdhsa_float_round_mode_32 0
		.amdhsa_float_round_mode_16_64 0
		.amdhsa_float_denorm_mode_32 3
		.amdhsa_float_denorm_mode_16_64 3
		.amdhsa_dx10_clamp 1
		.amdhsa_ieee_mode 1
		.amdhsa_fp16_overflow 0
		.amdhsa_workgroup_processor_mode 1
		.amdhsa_memory_ordered 1
		.amdhsa_forward_progress 1
		.amdhsa_shared_vgpr_count 0
		.amdhsa_exception_fp_ieee_invalid_op 0
		.amdhsa_exception_fp_denorm_src 0
		.amdhsa_exception_fp_ieee_div_zero 0
		.amdhsa_exception_fp_ieee_overflow 0
		.amdhsa_exception_fp_ieee_underflow 0
		.amdhsa_exception_fp_ieee_inexact 0
		.amdhsa_exception_int_div_zero 0
	.end_amdhsa_kernel
	.section	.text._ZN12_GLOBAL__N_120softmax_warp_forwardIfffLi5ELb1ELb0ELi64EEEvPT0_PKT_iiiPKbib,"axG",@progbits,_ZN12_GLOBAL__N_120softmax_warp_forwardIfffLi5ELb1ELb0ELi64EEEvPT0_PKT_iiiPKbib,comdat
.Lfunc_end45:
	.size	_ZN12_GLOBAL__N_120softmax_warp_forwardIfffLi5ELb1ELb0ELi64EEEvPT0_PKT_iiiPKbib, .Lfunc_end45-_ZN12_GLOBAL__N_120softmax_warp_forwardIfffLi5ELb1ELb0ELi64EEEvPT0_PKT_iiiPKbib
                                        ; -- End function
	.set _ZN12_GLOBAL__N_120softmax_warp_forwardIfffLi5ELb1ELb0ELi64EEEvPT0_PKT_iiiPKbib.num_vgpr, 16
	.set _ZN12_GLOBAL__N_120softmax_warp_forwardIfffLi5ELb1ELb0ELi64EEEvPT0_PKT_iiiPKbib.num_agpr, 0
	.set _ZN12_GLOBAL__N_120softmax_warp_forwardIfffLi5ELb1ELb0ELi64EEEvPT0_PKT_iiiPKbib.numbered_sgpr, 16
	.set _ZN12_GLOBAL__N_120softmax_warp_forwardIfffLi5ELb1ELb0ELi64EEEvPT0_PKT_iiiPKbib.num_named_barrier, 0
	.set _ZN12_GLOBAL__N_120softmax_warp_forwardIfffLi5ELb1ELb0ELi64EEEvPT0_PKT_iiiPKbib.private_seg_size, 0
	.set _ZN12_GLOBAL__N_120softmax_warp_forwardIfffLi5ELb1ELb0ELi64EEEvPT0_PKT_iiiPKbib.uses_vcc, 1
	.set _ZN12_GLOBAL__N_120softmax_warp_forwardIfffLi5ELb1ELb0ELi64EEEvPT0_PKT_iiiPKbib.uses_flat_scratch, 0
	.set _ZN12_GLOBAL__N_120softmax_warp_forwardIfffLi5ELb1ELb0ELi64EEEvPT0_PKT_iiiPKbib.has_dyn_sized_stack, 0
	.set _ZN12_GLOBAL__N_120softmax_warp_forwardIfffLi5ELb1ELb0ELi64EEEvPT0_PKT_iiiPKbib.has_recursion, 0
	.set _ZN12_GLOBAL__N_120softmax_warp_forwardIfffLi5ELb1ELb0ELi64EEEvPT0_PKT_iiiPKbib.has_indirect_call, 0
	.section	.AMDGPU.csdata,"",@progbits
; Kernel info:
; codeLenInByte = 1284
; TotalNumSgprs: 18
; NumVgprs: 16
; ScratchSize: 0
; MemoryBound: 0
; FloatMode: 240
; IeeeMode: 1
; LDSByteSize: 0 bytes/workgroup (compile time only)
; SGPRBlocks: 0
; VGPRBlocks: 1
; NumSGPRsForWavesPerEU: 18
; NumVGPRsForWavesPerEU: 16
; Occupancy: 16
; WaveLimiterHint : 0
; COMPUTE_PGM_RSRC2:SCRATCH_EN: 0
; COMPUTE_PGM_RSRC2:USER_SGPR: 6
; COMPUTE_PGM_RSRC2:TRAP_HANDLER: 0
; COMPUTE_PGM_RSRC2:TGID_X_EN: 1
; COMPUTE_PGM_RSRC2:TGID_Y_EN: 0
; COMPUTE_PGM_RSRC2:TGID_Z_EN: 0
; COMPUTE_PGM_RSRC2:TIDIG_COMP_CNT: 1
	.section	.text._ZN12_GLOBAL__N_120softmax_warp_forwardIfffLi5ELb1ELb0ELi32EEEvPT0_PKT_iiiPKbib,"axG",@progbits,_ZN12_GLOBAL__N_120softmax_warp_forwardIfffLi5ELb1ELb0ELi32EEEvPT0_PKT_iiiPKbib,comdat
	.globl	_ZN12_GLOBAL__N_120softmax_warp_forwardIfffLi5ELb1ELb0ELi32EEEvPT0_PKT_iiiPKbib ; -- Begin function _ZN12_GLOBAL__N_120softmax_warp_forwardIfffLi5ELb1ELb0ELi32EEEvPT0_PKT_iiiPKbib
	.p2align	8
	.type	_ZN12_GLOBAL__N_120softmax_warp_forwardIfffLi5ELb1ELb0ELi32EEEvPT0_PKT_iiiPKbib,@function
_ZN12_GLOBAL__N_120softmax_warp_forwardIfffLi5ELb1ELb0ELi32EEEvPT0_PKT_iiiPKbib: ; @_ZN12_GLOBAL__N_120softmax_warp_forwardIfffLi5ELb1ELb0ELi32EEEvPT0_PKT_iiiPKbib
; %bb.0:
	s_clause 0x1
	s_load_dword s0, s[4:5], 0x3c
	s_load_dwordx8 s[8:15], s[4:5], 0x0
	v_mov_b32_e32 v6, 0xff800000
	s_waitcnt lgkmcnt(0)
	s_lshr_b32 s0, s0, 16
	v_cmp_gt_i32_e32 vcc_lo, s14, v0
	s_and_b32 s0, s0, 0xffff
	s_mul_i32 s6, s6, s0
	v_add_lshl_u32 v3, s6, v1, 1
	v_mad_u64_u32 v[1:2], null, v3, s13, v[0:1]
	v_sub_nc_u32_e32 v5, s12, v3
	v_mov_b32_e32 v0, 0xff800000
	v_cmp_lt_i32_e64 s0, 0, v5
	v_ashrrev_i32_e32 v2, 31, v1
	s_and_b32 s2, vcc_lo, s0
	v_lshlrev_b64 v[1:2], 2, v[1:2]
	v_add_co_u32 v3, s1, s10, v1
	v_add_co_ci_u32_e64 v4, null, s11, v2, s1
	s_and_saveexec_b32 s1, s2
	s_cbranch_execz .LBB46_2
; %bb.1:
	global_load_dword v0, v[3:4], off
.LBB46_2:
	s_or_b32 exec_lo, exec_lo, s1
	v_cmp_lt_i32_e64 s1, 1, v5
	s_and_b32 s1, vcc_lo, s1
	s_and_saveexec_b32 s2, s1
	s_cbranch_execz .LBB46_4
; %bb.3:
	s_mov_b32 s15, 0
	s_lshl_b64 s[4:5], s[14:15], 2
	v_add_co_u32 v3, s1, v3, s4
	v_add_co_ci_u32_e64 v4, null, s5, v4, s1
	global_load_dword v6, v[3:4], off
.LBB46_4:
	s_or_b32 exec_lo, exec_lo, s2
	v_mbcnt_lo_u32_b32 v3, -1, 0
	v_xor_b32_e32 v4, 16, v3
	v_xor_b32_e32 v9, 8, v3
	;; [unrolled: 1-line block ×5, first 2 shown]
	v_cmp_gt_i32_e64 s1, 32, v4
	v_cndmask_b32_e64 v4, v3, v4, s1
	v_cmp_gt_i32_e64 s1, 32, v9
	v_lshlrev_b32_e32 v7, 2, v4
	v_cndmask_b32_e64 v9, v3, v9, s1
	s_waitcnt vmcnt(0)
	ds_bpermute_b32 v4, v7, v0
	ds_bpermute_b32 v8, v7, v6
	v_lshlrev_b32_e32 v9, 2, v9
	s_waitcnt lgkmcnt(1)
	v_cmp_lt_f32_e64 s1, v0, v4
	v_cndmask_b32_e64 v4, v0, v4, s1
	s_waitcnt lgkmcnt(0)
	v_cmp_lt_f32_e64 s1, v6, v8
	ds_bpermute_b32 v10, v9, v4
	v_cndmask_b32_e64 v8, v6, v8, s1
	v_cmp_gt_i32_e64 s1, 32, v12
	ds_bpermute_b32 v11, v9, v8
	v_cndmask_b32_e64 v12, v3, v12, s1
	v_lshlrev_b32_e32 v12, 2, v12
	s_waitcnt lgkmcnt(1)
	v_cmp_lt_f32_e64 s1, v4, v10
	v_cndmask_b32_e64 v4, v4, v10, s1
	s_waitcnt lgkmcnt(0)
	v_cmp_lt_f32_e64 s1, v8, v11
	ds_bpermute_b32 v10, v12, v4
	v_cndmask_b32_e64 v8, v8, v11, s1
	v_cmp_gt_i32_e64 s1, 32, v13
	ds_bpermute_b32 v11, v12, v8
	v_cndmask_b32_e64 v13, v3, v13, s1
	;; [unrolled: 11-line block ×3, first 2 shown]
	v_lshlrev_b32_e32 v14, 2, v3
	s_waitcnt lgkmcnt(1)
	v_cmp_lt_f32_e64 s1, v4, v10
	v_cndmask_b32_e64 v3, v4, v10, s1
	s_waitcnt lgkmcnt(0)
	v_cmp_lt_f32_e64 s1, v8, v11
	v_cndmask_b32_e64 v4, v8, v11, s1
	ds_bpermute_b32 v8, v14, v3
	ds_bpermute_b32 v10, v14, v4
	s_waitcnt lgkmcnt(1)
	v_cmp_lt_f32_e64 s1, v3, v8
	v_cndmask_b32_e64 v3, v3, v8, s1
	s_waitcnt lgkmcnt(0)
	v_cmp_lt_f32_e64 s1, v4, v10
	v_cndmask_b32_e64 v8, v4, v10, s1
	v_sub_f32_e32 v4, v0, v3
	v_sub_f32_e32 v3, v6, v8
	v_mul_f32_e32 v0, 0x3fb8aa3b, v4
	v_cmp_ngt_f32_e64 s1, 0xc2ce8ed0, v4
	v_mul_f32_e32 v6, 0x3fb8aa3b, v3
	v_fma_f32 v8, 0x3fb8aa3b, v4, -v0
	v_rndne_f32_e32 v10, v0
	v_fma_f32 v11, 0x3fb8aa3b, v3, -v6
	v_rndne_f32_e32 v15, v6
	v_fmac_f32_e32 v8, 0x32a5705f, v4
	v_sub_f32_e32 v0, v0, v10
	v_fmac_f32_e32 v11, 0x32a5705f, v3
	v_sub_f32_e32 v6, v6, v15
	v_add_f32_e32 v0, v0, v8
	v_cvt_i32_f32_e32 v8, v10
	v_cvt_i32_f32_e32 v10, v15
	v_add_f32_e32 v6, v6, v11
	v_exp_f32_e32 v0, v0
	v_exp_f32_e32 v6, v6
	v_ldexp_f32 v0, v0, v8
	v_ldexp_f32 v6, v6, v10
	v_cndmask_b32_e64 v0, 0, v0, s1
	v_cmp_ngt_f32_e64 s1, 0xc2ce8ed0, v3
	v_cndmask_b32_e64 v6, 0, v6, s1
	v_cmp_nlt_f32_e64 s1, 0x42b17218, v4
	v_cndmask_b32_e64 v0, 0x7f800000, v0, s1
	v_cmp_nlt_f32_e64 s1, 0x42b17218, v3
	ds_bpermute_b32 v8, v7, v0
	v_cndmask_b32_e64 v6, 0x7f800000, v6, s1
	ds_bpermute_b32 v7, v7, v6
	s_waitcnt lgkmcnt(1)
	v_add_f32_e32 v0, v0, v8
	s_waitcnt lgkmcnt(0)
	v_add_f32_e32 v6, v6, v7
	ds_bpermute_b32 v7, v9, v0
	ds_bpermute_b32 v8, v9, v6
	s_waitcnt lgkmcnt(1)
	v_add_f32_e32 v0, v0, v7
	s_waitcnt lgkmcnt(0)
	v_add_f32_e32 v6, v6, v8
	ds_bpermute_b32 v7, v12, v0
	ds_bpermute_b32 v8, v12, v6
	s_waitcnt lgkmcnt(1)
	v_add_f32_e32 v0, v0, v7
	s_waitcnt lgkmcnt(0)
	v_add_f32_e32 v6, v6, v8
	ds_bpermute_b32 v7, v13, v0
	ds_bpermute_b32 v9, v13, v6
	s_waitcnt lgkmcnt(1)
	v_add_f32_e32 v8, v0, v7
	s_waitcnt lgkmcnt(0)
	v_add_f32_e32 v6, v6, v9
	ds_bpermute_b32 v9, v14, v8
	ds_bpermute_b32 v7, v14, v6
	s_and_saveexec_b32 s1, s0
	s_cbranch_execz .LBB46_9
; %bb.5:
	v_add_co_u32 v0, s0, s8, v1
	v_add_co_ci_u32_e64 v1, null, s9, v2, s0
	s_and_saveexec_b32 s2, vcc_lo
	s_cbranch_execz .LBB46_7
; %bb.6:
	s_waitcnt lgkmcnt(1)
	v_add_f32_e32 v2, v8, v9
	v_cmp_gt_f32_e64 s0, 0x800000, v2
	v_cndmask_b32_e64 v8, 0, 32, s0
	v_ldexp_f32 v2, v2, v8
	v_log_f32_e32 v2, v2
	v_mul_f32_e32 v8, 0x3f317217, v2
	v_cmp_gt_f32_e64 s1, 0x7f800000, |v2|
	v_fma_f32 v8, 0x3f317217, v2, -v8
	v_fmamk_f32 v8, v2, 0x3377d1cf, v8
	v_fmac_f32_e32 v8, 0x3f317217, v2
	v_cndmask_b32_e64 v2, v2, v8, s1
	v_cndmask_b32_e64 v8, 0, 0x41b17218, s0
	v_sub_f32_e32 v2, v2, v8
	v_sub_f32_e32 v2, v4, v2
	global_store_dword v[0:1], v2, off
.LBB46_7:
	s_or_b32 exec_lo, exec_lo, s2
	v_cmp_ne_u32_e64 s0, 1, v5
	s_and_b32 s0, s0, vcc_lo
	s_and_b32 exec_lo, exec_lo, s0
	s_cbranch_execz .LBB46_9
; %bb.8:
	s_waitcnt lgkmcnt(0)
	v_add_f32_e32 v2, v6, v7
	s_mov_b32 s15, 0
	s_lshl_b64 s[0:1], s[14:15], 2
	v_cmp_gt_f32_e32 vcc_lo, 0x800000, v2
	v_cndmask_b32_e64 v4, 0, 32, vcc_lo
	v_cndmask_b32_e64 v5, 0, 0x41b17218, vcc_lo
	v_ldexp_f32 v2, v2, v4
	v_log_f32_e32 v2, v2
	v_mul_f32_e32 v4, 0x3f317217, v2
	v_cmp_gt_f32_e64 vcc_lo, 0x7f800000, |v2|
	v_fma_f32 v4, 0x3f317217, v2, -v4
	v_fmamk_f32 v4, v2, 0x3377d1cf, v4
	v_fmac_f32_e32 v4, 0x3f317217, v2
	v_cndmask_b32_e32 v2, v2, v4, vcc_lo
	v_add_co_u32 v0, vcc_lo, v0, s0
	v_add_co_ci_u32_e64 v1, null, s1, v1, vcc_lo
	v_sub_f32_e32 v2, v2, v5
	v_sub_f32_e32 v2, v3, v2
	global_store_dword v[0:1], v2, off
.LBB46_9:
	s_endpgm
	.section	.rodata,"a",@progbits
	.p2align	6, 0x0
	.amdhsa_kernel _ZN12_GLOBAL__N_120softmax_warp_forwardIfffLi5ELb1ELb0ELi32EEEvPT0_PKT_iiiPKbib
		.amdhsa_group_segment_fixed_size 0
		.amdhsa_private_segment_fixed_size 0
		.amdhsa_kernarg_size 304
		.amdhsa_user_sgpr_count 6
		.amdhsa_user_sgpr_private_segment_buffer 1
		.amdhsa_user_sgpr_dispatch_ptr 0
		.amdhsa_user_sgpr_queue_ptr 0
		.amdhsa_user_sgpr_kernarg_segment_ptr 1
		.amdhsa_user_sgpr_dispatch_id 0
		.amdhsa_user_sgpr_flat_scratch_init 0
		.amdhsa_user_sgpr_private_segment_size 0
		.amdhsa_wavefront_size32 1
		.amdhsa_uses_dynamic_stack 0
		.amdhsa_system_sgpr_private_segment_wavefront_offset 0
		.amdhsa_system_sgpr_workgroup_id_x 1
		.amdhsa_system_sgpr_workgroup_id_y 0
		.amdhsa_system_sgpr_workgroup_id_z 0
		.amdhsa_system_sgpr_workgroup_info 0
		.amdhsa_system_vgpr_workitem_id 1
		.amdhsa_next_free_vgpr 16
		.amdhsa_next_free_sgpr 16
		.amdhsa_reserve_vcc 1
		.amdhsa_reserve_flat_scratch 0
		.amdhsa_float_round_mode_32 0
		.amdhsa_float_round_mode_16_64 0
		.amdhsa_float_denorm_mode_32 3
		.amdhsa_float_denorm_mode_16_64 3
		.amdhsa_dx10_clamp 1
		.amdhsa_ieee_mode 1
		.amdhsa_fp16_overflow 0
		.amdhsa_workgroup_processor_mode 1
		.amdhsa_memory_ordered 1
		.amdhsa_forward_progress 1
		.amdhsa_shared_vgpr_count 0
		.amdhsa_exception_fp_ieee_invalid_op 0
		.amdhsa_exception_fp_denorm_src 0
		.amdhsa_exception_fp_ieee_div_zero 0
		.amdhsa_exception_fp_ieee_overflow 0
		.amdhsa_exception_fp_ieee_underflow 0
		.amdhsa_exception_fp_ieee_inexact 0
		.amdhsa_exception_int_div_zero 0
	.end_amdhsa_kernel
	.section	.text._ZN12_GLOBAL__N_120softmax_warp_forwardIfffLi5ELb1ELb0ELi32EEEvPT0_PKT_iiiPKbib,"axG",@progbits,_ZN12_GLOBAL__N_120softmax_warp_forwardIfffLi5ELb1ELb0ELi32EEEvPT0_PKT_iiiPKbib,comdat
.Lfunc_end46:
	.size	_ZN12_GLOBAL__N_120softmax_warp_forwardIfffLi5ELb1ELb0ELi32EEEvPT0_PKT_iiiPKbib, .Lfunc_end46-_ZN12_GLOBAL__N_120softmax_warp_forwardIfffLi5ELb1ELb0ELi32EEEvPT0_PKT_iiiPKbib
                                        ; -- End function
	.set _ZN12_GLOBAL__N_120softmax_warp_forwardIfffLi5ELb1ELb0ELi32EEEvPT0_PKT_iiiPKbib.num_vgpr, 16
	.set _ZN12_GLOBAL__N_120softmax_warp_forwardIfffLi5ELb1ELb0ELi32EEEvPT0_PKT_iiiPKbib.num_agpr, 0
	.set _ZN12_GLOBAL__N_120softmax_warp_forwardIfffLi5ELb1ELb0ELi32EEEvPT0_PKT_iiiPKbib.numbered_sgpr, 16
	.set _ZN12_GLOBAL__N_120softmax_warp_forwardIfffLi5ELb1ELb0ELi32EEEvPT0_PKT_iiiPKbib.num_named_barrier, 0
	.set _ZN12_GLOBAL__N_120softmax_warp_forwardIfffLi5ELb1ELb0ELi32EEEvPT0_PKT_iiiPKbib.private_seg_size, 0
	.set _ZN12_GLOBAL__N_120softmax_warp_forwardIfffLi5ELb1ELb0ELi32EEEvPT0_PKT_iiiPKbib.uses_vcc, 1
	.set _ZN12_GLOBAL__N_120softmax_warp_forwardIfffLi5ELb1ELb0ELi32EEEvPT0_PKT_iiiPKbib.uses_flat_scratch, 0
	.set _ZN12_GLOBAL__N_120softmax_warp_forwardIfffLi5ELb1ELb0ELi32EEEvPT0_PKT_iiiPKbib.has_dyn_sized_stack, 0
	.set _ZN12_GLOBAL__N_120softmax_warp_forwardIfffLi5ELb1ELb0ELi32EEEvPT0_PKT_iiiPKbib.has_recursion, 0
	.set _ZN12_GLOBAL__N_120softmax_warp_forwardIfffLi5ELb1ELb0ELi32EEEvPT0_PKT_iiiPKbib.has_indirect_call, 0
	.section	.AMDGPU.csdata,"",@progbits
; Kernel info:
; codeLenInByte = 1284
; TotalNumSgprs: 18
; NumVgprs: 16
; ScratchSize: 0
; MemoryBound: 0
; FloatMode: 240
; IeeeMode: 1
; LDSByteSize: 0 bytes/workgroup (compile time only)
; SGPRBlocks: 0
; VGPRBlocks: 1
; NumSGPRsForWavesPerEU: 18
; NumVGPRsForWavesPerEU: 16
; Occupancy: 16
; WaveLimiterHint : 0
; COMPUTE_PGM_RSRC2:SCRATCH_EN: 0
; COMPUTE_PGM_RSRC2:USER_SGPR: 6
; COMPUTE_PGM_RSRC2:TRAP_HANDLER: 0
; COMPUTE_PGM_RSRC2:TGID_X_EN: 1
; COMPUTE_PGM_RSRC2:TGID_Y_EN: 0
; COMPUTE_PGM_RSRC2:TGID_Z_EN: 0
; COMPUTE_PGM_RSRC2:TIDIG_COMP_CNT: 1
	.section	.text._ZN12_GLOBAL__N_120softmax_warp_forwardIfffLi6ELb1ELb0ELi64EEEvPT0_PKT_iiiPKbib,"axG",@progbits,_ZN12_GLOBAL__N_120softmax_warp_forwardIfffLi6ELb1ELb0ELi64EEEvPT0_PKT_iiiPKbib,comdat
	.globl	_ZN12_GLOBAL__N_120softmax_warp_forwardIfffLi6ELb1ELb0ELi64EEEvPT0_PKT_iiiPKbib ; -- Begin function _ZN12_GLOBAL__N_120softmax_warp_forwardIfffLi6ELb1ELb0ELi64EEEvPT0_PKT_iiiPKbib
	.p2align	8
	.type	_ZN12_GLOBAL__N_120softmax_warp_forwardIfffLi6ELb1ELb0ELi64EEEvPT0_PKT_iiiPKbib,@function
_ZN12_GLOBAL__N_120softmax_warp_forwardIfffLi6ELb1ELb0ELi64EEEvPT0_PKT_iiiPKbib: ; @_ZN12_GLOBAL__N_120softmax_warp_forwardIfffLi6ELb1ELb0ELi64EEEvPT0_PKT_iiiPKbib
; %bb.0:
	s_clause 0x1
	s_load_dword s0, s[4:5], 0x3c
	s_load_dwordx8 s[8:15], s[4:5], 0x0
	v_mov_b32_e32 v6, 0xff800000
	s_waitcnt lgkmcnt(0)
	s_lshr_b32 s0, s0, 16
	v_cmp_gt_i32_e32 vcc_lo, s14, v0
	s_and_b32 s0, s0, 0xffff
	s_mul_i32 s6, s6, s0
	v_add_lshl_u32 v3, s6, v1, 1
	v_mad_u64_u32 v[1:2], null, v3, s13, v[0:1]
	v_sub_nc_u32_e32 v5, s12, v3
	v_mov_b32_e32 v0, 0xff800000
	v_cmp_lt_i32_e64 s0, 0, v5
	v_ashrrev_i32_e32 v2, 31, v1
	s_and_b32 s2, vcc_lo, s0
	v_lshlrev_b64 v[1:2], 2, v[1:2]
	v_add_co_u32 v3, s1, s10, v1
	v_add_co_ci_u32_e64 v4, null, s11, v2, s1
	s_and_saveexec_b32 s1, s2
	s_cbranch_execz .LBB47_2
; %bb.1:
	global_load_dword v0, v[3:4], off
.LBB47_2:
	s_or_b32 exec_lo, exec_lo, s1
	v_cmp_lt_i32_e64 s1, 1, v5
	s_and_b32 s1, vcc_lo, s1
	s_and_saveexec_b32 s2, s1
	s_cbranch_execz .LBB47_4
; %bb.3:
	s_mov_b32 s15, 0
	s_lshl_b64 s[4:5], s[14:15], 2
	v_add_co_u32 v3, s1, v3, s4
	v_add_co_ci_u32_e64 v4, null, s5, v4, s1
	global_load_dword v6, v[3:4], off
.LBB47_4:
	s_or_b32 exec_lo, exec_lo, s2
	v_mbcnt_lo_u32_b32 v3, -1, 0
	v_or_b32_e32 v4, 32, v3
	v_xor_b32_e32 v9, 16, v3
	v_xor_b32_e32 v12, 8, v3
	;; [unrolled: 1-line block ×4, first 2 shown]
	v_cmp_gt_i32_e64 s1, 64, v4
	v_xor_b32_e32 v15, 1, v3
	v_cndmask_b32_e64 v4, v3, v4, s1
	v_cmp_gt_i32_e64 s1, 64, v9
	v_lshlrev_b32_e32 v7, 2, v4
	v_cndmask_b32_e64 v9, v3, v9, s1
	s_waitcnt vmcnt(0)
	ds_bpermute_b32 v4, v7, v0
	ds_bpermute_b32 v8, v7, v6
	v_lshlrev_b32_e32 v9, 2, v9
	s_waitcnt lgkmcnt(1)
	v_cmp_lt_f32_e64 s1, v0, v4
	v_cndmask_b32_e64 v4, v0, v4, s1
	s_waitcnt lgkmcnt(0)
	v_cmp_lt_f32_e64 s1, v6, v8
	ds_bpermute_b32 v10, v9, v4
	v_cndmask_b32_e64 v8, v6, v8, s1
	v_cmp_gt_i32_e64 s1, 64, v12
	ds_bpermute_b32 v11, v9, v8
	v_cndmask_b32_e64 v12, v3, v12, s1
	v_lshlrev_b32_e32 v12, 2, v12
	s_waitcnt lgkmcnt(1)
	v_cmp_lt_f32_e64 s1, v4, v10
	v_cndmask_b32_e64 v4, v4, v10, s1
	s_waitcnt lgkmcnt(0)
	v_cmp_lt_f32_e64 s1, v8, v11
	ds_bpermute_b32 v10, v12, v4
	v_cndmask_b32_e64 v8, v8, v11, s1
	v_cmp_gt_i32_e64 s1, 64, v13
	ds_bpermute_b32 v11, v12, v8
	v_cndmask_b32_e64 v13, v3, v13, s1
	;; [unrolled: 11-line block ×4, first 2 shown]
	v_lshlrev_b32_e32 v15, 2, v3
	s_waitcnt lgkmcnt(1)
	v_cmp_lt_f32_e64 s1, v4, v10
	v_cndmask_b32_e64 v3, v4, v10, s1
	s_waitcnt lgkmcnt(0)
	v_cmp_lt_f32_e64 s1, v8, v11
	v_cndmask_b32_e64 v4, v8, v11, s1
	ds_bpermute_b32 v8, v15, v3
	ds_bpermute_b32 v10, v15, v4
	s_waitcnt lgkmcnt(1)
	v_cmp_lt_f32_e64 s1, v3, v8
	v_cndmask_b32_e64 v3, v3, v8, s1
	s_waitcnt lgkmcnt(0)
	v_cmp_lt_f32_e64 s1, v4, v10
	v_cndmask_b32_e64 v8, v4, v10, s1
	v_sub_f32_e32 v4, v0, v3
	v_sub_f32_e32 v3, v6, v8
	v_mul_f32_e32 v0, 0x3fb8aa3b, v4
	v_cmp_ngt_f32_e64 s1, 0xc2ce8ed0, v4
	v_mul_f32_e32 v6, 0x3fb8aa3b, v3
	v_fma_f32 v8, 0x3fb8aa3b, v4, -v0
	v_rndne_f32_e32 v10, v0
	v_fma_f32 v11, 0x3fb8aa3b, v3, -v6
	v_rndne_f32_e32 v16, v6
	v_fmac_f32_e32 v8, 0x32a5705f, v4
	v_sub_f32_e32 v0, v0, v10
	v_fmac_f32_e32 v11, 0x32a5705f, v3
	v_sub_f32_e32 v6, v6, v16
	v_add_f32_e32 v0, v0, v8
	v_cvt_i32_f32_e32 v8, v10
	v_cvt_i32_f32_e32 v10, v16
	v_add_f32_e32 v6, v6, v11
	v_exp_f32_e32 v0, v0
	v_exp_f32_e32 v6, v6
	v_ldexp_f32 v0, v0, v8
	v_ldexp_f32 v6, v6, v10
	v_cndmask_b32_e64 v0, 0, v0, s1
	v_cmp_ngt_f32_e64 s1, 0xc2ce8ed0, v3
	v_cndmask_b32_e64 v6, 0, v6, s1
	v_cmp_nlt_f32_e64 s1, 0x42b17218, v4
	v_cndmask_b32_e64 v0, 0x7f800000, v0, s1
	v_cmp_nlt_f32_e64 s1, 0x42b17218, v3
	ds_bpermute_b32 v8, v7, v0
	v_cndmask_b32_e64 v6, 0x7f800000, v6, s1
	ds_bpermute_b32 v7, v7, v6
	s_waitcnt lgkmcnt(1)
	v_add_f32_e32 v0, v0, v8
	s_waitcnt lgkmcnt(0)
	v_add_f32_e32 v6, v6, v7
	ds_bpermute_b32 v7, v9, v0
	ds_bpermute_b32 v8, v9, v6
	s_waitcnt lgkmcnt(1)
	v_add_f32_e32 v0, v0, v7
	s_waitcnt lgkmcnt(0)
	v_add_f32_e32 v6, v6, v8
	ds_bpermute_b32 v7, v12, v0
	;; [unrolled: 6-line block ×5, first 2 shown]
	ds_bpermute_b32 v7, v15, v6
	s_and_saveexec_b32 s1, s0
	s_cbranch_execz .LBB47_9
; %bb.5:
	v_add_co_u32 v0, s0, s8, v1
	v_add_co_ci_u32_e64 v1, null, s9, v2, s0
	s_and_saveexec_b32 s2, vcc_lo
	s_cbranch_execz .LBB47_7
; %bb.6:
	s_waitcnt lgkmcnt(1)
	v_add_f32_e32 v2, v8, v9
	v_cmp_gt_f32_e64 s0, 0x800000, v2
	v_cndmask_b32_e64 v8, 0, 32, s0
	v_ldexp_f32 v2, v2, v8
	v_log_f32_e32 v2, v2
	v_mul_f32_e32 v8, 0x3f317217, v2
	v_cmp_gt_f32_e64 s1, 0x7f800000, |v2|
	v_fma_f32 v8, 0x3f317217, v2, -v8
	v_fmamk_f32 v8, v2, 0x3377d1cf, v8
	v_fmac_f32_e32 v8, 0x3f317217, v2
	v_cndmask_b32_e64 v2, v2, v8, s1
	v_cndmask_b32_e64 v8, 0, 0x41b17218, s0
	v_sub_f32_e32 v2, v2, v8
	v_sub_f32_e32 v2, v4, v2
	global_store_dword v[0:1], v2, off
.LBB47_7:
	s_or_b32 exec_lo, exec_lo, s2
	v_cmp_ne_u32_e64 s0, 1, v5
	s_and_b32 s0, s0, vcc_lo
	s_and_b32 exec_lo, exec_lo, s0
	s_cbranch_execz .LBB47_9
; %bb.8:
	s_waitcnt lgkmcnt(0)
	v_add_f32_e32 v2, v6, v7
	s_mov_b32 s15, 0
	s_lshl_b64 s[0:1], s[14:15], 2
	v_cmp_gt_f32_e32 vcc_lo, 0x800000, v2
	v_cndmask_b32_e64 v4, 0, 32, vcc_lo
	v_cndmask_b32_e64 v5, 0, 0x41b17218, vcc_lo
	v_ldexp_f32 v2, v2, v4
	v_log_f32_e32 v2, v2
	v_mul_f32_e32 v4, 0x3f317217, v2
	v_cmp_gt_f32_e64 vcc_lo, 0x7f800000, |v2|
	v_fma_f32 v4, 0x3f317217, v2, -v4
	v_fmamk_f32 v4, v2, 0x3377d1cf, v4
	v_fmac_f32_e32 v4, 0x3f317217, v2
	v_cndmask_b32_e32 v2, v2, v4, vcc_lo
	v_add_co_u32 v0, vcc_lo, v0, s0
	v_add_co_ci_u32_e64 v1, null, s1, v1, vcc_lo
	v_sub_f32_e32 v2, v2, v5
	v_sub_f32_e32 v2, v3, v2
	global_store_dword v[0:1], v2, off
.LBB47_9:
	s_endpgm
	.section	.rodata,"a",@progbits
	.p2align	6, 0x0
	.amdhsa_kernel _ZN12_GLOBAL__N_120softmax_warp_forwardIfffLi6ELb1ELb0ELi64EEEvPT0_PKT_iiiPKbib
		.amdhsa_group_segment_fixed_size 0
		.amdhsa_private_segment_fixed_size 0
		.amdhsa_kernarg_size 304
		.amdhsa_user_sgpr_count 6
		.amdhsa_user_sgpr_private_segment_buffer 1
		.amdhsa_user_sgpr_dispatch_ptr 0
		.amdhsa_user_sgpr_queue_ptr 0
		.amdhsa_user_sgpr_kernarg_segment_ptr 1
		.amdhsa_user_sgpr_dispatch_id 0
		.amdhsa_user_sgpr_flat_scratch_init 0
		.amdhsa_user_sgpr_private_segment_size 0
		.amdhsa_wavefront_size32 1
		.amdhsa_uses_dynamic_stack 0
		.amdhsa_system_sgpr_private_segment_wavefront_offset 0
		.amdhsa_system_sgpr_workgroup_id_x 1
		.amdhsa_system_sgpr_workgroup_id_y 0
		.amdhsa_system_sgpr_workgroup_id_z 0
		.amdhsa_system_sgpr_workgroup_info 0
		.amdhsa_system_vgpr_workitem_id 1
		.amdhsa_next_free_vgpr 17
		.amdhsa_next_free_sgpr 16
		.amdhsa_reserve_vcc 1
		.amdhsa_reserve_flat_scratch 0
		.amdhsa_float_round_mode_32 0
		.amdhsa_float_round_mode_16_64 0
		.amdhsa_float_denorm_mode_32 3
		.amdhsa_float_denorm_mode_16_64 3
		.amdhsa_dx10_clamp 1
		.amdhsa_ieee_mode 1
		.amdhsa_fp16_overflow 0
		.amdhsa_workgroup_processor_mode 1
		.amdhsa_memory_ordered 1
		.amdhsa_forward_progress 1
		.amdhsa_shared_vgpr_count 0
		.amdhsa_exception_fp_ieee_invalid_op 0
		.amdhsa_exception_fp_denorm_src 0
		.amdhsa_exception_fp_ieee_div_zero 0
		.amdhsa_exception_fp_ieee_overflow 0
		.amdhsa_exception_fp_ieee_underflow 0
		.amdhsa_exception_fp_ieee_inexact 0
		.amdhsa_exception_int_div_zero 0
	.end_amdhsa_kernel
	.section	.text._ZN12_GLOBAL__N_120softmax_warp_forwardIfffLi6ELb1ELb0ELi64EEEvPT0_PKT_iiiPKbib,"axG",@progbits,_ZN12_GLOBAL__N_120softmax_warp_forwardIfffLi6ELb1ELb0ELi64EEEvPT0_PKT_iiiPKbib,comdat
.Lfunc_end47:
	.size	_ZN12_GLOBAL__N_120softmax_warp_forwardIfffLi6ELb1ELb0ELi64EEEvPT0_PKT_iiiPKbib, .Lfunc_end47-_ZN12_GLOBAL__N_120softmax_warp_forwardIfffLi6ELb1ELb0ELi64EEEvPT0_PKT_iiiPKbib
                                        ; -- End function
	.set _ZN12_GLOBAL__N_120softmax_warp_forwardIfffLi6ELb1ELb0ELi64EEEvPT0_PKT_iiiPKbib.num_vgpr, 17
	.set _ZN12_GLOBAL__N_120softmax_warp_forwardIfffLi6ELb1ELb0ELi64EEEvPT0_PKT_iiiPKbib.num_agpr, 0
	.set _ZN12_GLOBAL__N_120softmax_warp_forwardIfffLi6ELb1ELb0ELi64EEEvPT0_PKT_iiiPKbib.numbered_sgpr, 16
	.set _ZN12_GLOBAL__N_120softmax_warp_forwardIfffLi6ELb1ELb0ELi64EEEvPT0_PKT_iiiPKbib.num_named_barrier, 0
	.set _ZN12_GLOBAL__N_120softmax_warp_forwardIfffLi6ELb1ELb0ELi64EEEvPT0_PKT_iiiPKbib.private_seg_size, 0
	.set _ZN12_GLOBAL__N_120softmax_warp_forwardIfffLi6ELb1ELb0ELi64EEEvPT0_PKT_iiiPKbib.uses_vcc, 1
	.set _ZN12_GLOBAL__N_120softmax_warp_forwardIfffLi6ELb1ELb0ELi64EEEvPT0_PKT_iiiPKbib.uses_flat_scratch, 0
	.set _ZN12_GLOBAL__N_120softmax_warp_forwardIfffLi6ELb1ELb0ELi64EEEvPT0_PKT_iiiPKbib.has_dyn_sized_stack, 0
	.set _ZN12_GLOBAL__N_120softmax_warp_forwardIfffLi6ELb1ELb0ELi64EEEvPT0_PKT_iiiPKbib.has_recursion, 0
	.set _ZN12_GLOBAL__N_120softmax_warp_forwardIfffLi6ELb1ELb0ELi64EEEvPT0_PKT_iiiPKbib.has_indirect_call, 0
	.section	.AMDGPU.csdata,"",@progbits
; Kernel info:
; codeLenInByte = 1396
; TotalNumSgprs: 18
; NumVgprs: 17
; ScratchSize: 0
; MemoryBound: 0
; FloatMode: 240
; IeeeMode: 1
; LDSByteSize: 0 bytes/workgroup (compile time only)
; SGPRBlocks: 0
; VGPRBlocks: 2
; NumSGPRsForWavesPerEU: 18
; NumVGPRsForWavesPerEU: 17
; Occupancy: 16
; WaveLimiterHint : 0
; COMPUTE_PGM_RSRC2:SCRATCH_EN: 0
; COMPUTE_PGM_RSRC2:USER_SGPR: 6
; COMPUTE_PGM_RSRC2:TRAP_HANDLER: 0
; COMPUTE_PGM_RSRC2:TGID_X_EN: 1
; COMPUTE_PGM_RSRC2:TGID_Y_EN: 0
; COMPUTE_PGM_RSRC2:TGID_Z_EN: 0
; COMPUTE_PGM_RSRC2:TIDIG_COMP_CNT: 1
	.section	.text._ZN12_GLOBAL__N_120softmax_warp_forwardIfffLi6ELb1ELb0ELi32EEEvPT0_PKT_iiiPKbib,"axG",@progbits,_ZN12_GLOBAL__N_120softmax_warp_forwardIfffLi6ELb1ELb0ELi32EEEvPT0_PKT_iiiPKbib,comdat
	.globl	_ZN12_GLOBAL__N_120softmax_warp_forwardIfffLi6ELb1ELb0ELi32EEEvPT0_PKT_iiiPKbib ; -- Begin function _ZN12_GLOBAL__N_120softmax_warp_forwardIfffLi6ELb1ELb0ELi32EEEvPT0_PKT_iiiPKbib
	.p2align	8
	.type	_ZN12_GLOBAL__N_120softmax_warp_forwardIfffLi6ELb1ELb0ELi32EEEvPT0_PKT_iiiPKbib,@function
_ZN12_GLOBAL__N_120softmax_warp_forwardIfffLi6ELb1ELb0ELi32EEEvPT0_PKT_iiiPKbib: ; @_ZN12_GLOBAL__N_120softmax_warp_forwardIfffLi6ELb1ELb0ELi32EEEvPT0_PKT_iiiPKbib
; %bb.0:
	s_clause 0x1
	s_load_dword s0, s[4:5], 0x3c
	s_load_dwordx8 s[8:15], s[4:5], 0x0
	v_mov_b32_e32 v6, 0xff800000
	v_mov_b32_e32 v7, 0xff800000
	s_waitcnt lgkmcnt(0)
	s_lshr_b32 s0, s0, 16
	s_and_b32 s0, s0, 0xffff
	s_mul_i32 s6, s6, s0
	v_cmp_gt_i32_e64 s0, s14, v0
	v_add_lshl_u32 v3, s6, v1, 1
	v_mad_u64_u32 v[1:2], null, v3, s13, v[0:1]
	v_sub_nc_u32_e32 v5, s12, v3
	v_cmp_lt_i32_e64 s1, 0, v5
	v_ashrrev_i32_e32 v2, 31, v1
	s_and_b32 s3, s1, s0
	v_lshlrev_b64 v[1:2], 2, v[1:2]
	v_add_co_u32 v3, vcc_lo, s10, v1
	v_add_co_ci_u32_e64 v4, null, s11, v2, vcc_lo
	s_and_saveexec_b32 s2, s3
	s_cbranch_execz .LBB48_2
; %bb.1:
	global_load_dword v7, v[3:4], off
.LBB48_2:
	s_or_b32 exec_lo, exec_lo, s2
	v_add_nc_u32_e32 v0, 32, v0
	v_cmp_gt_i32_e32 vcc_lo, s14, v0
	s_and_b32 s3, s1, vcc_lo
	s_and_saveexec_b32 s2, s3
	s_cbranch_execz .LBB48_4
; %bb.3:
	global_load_dword v6, v[3:4], off offset:128
.LBB48_4:
	s_or_b32 exec_lo, exec_lo, s2
	v_cmp_lt_i32_e64 s2, 1, v5
	v_mov_b32_e32 v0, 0xff800000
	v_mov_b32_e32 v8, 0xff800000
	s_and_b32 s3, s2, s0
	s_and_saveexec_b32 s4, s3
	s_cbranch_execz .LBB48_6
; %bb.5:
	s_mov_b32 s15, 0
	s_lshl_b64 s[6:7], s[14:15], 2
	v_add_co_u32 v8, s3, v3, s6
	v_add_co_ci_u32_e64 v9, null, s7, v4, s3
	global_load_dword v8, v[8:9], off
.LBB48_6:
	s_or_b32 exec_lo, exec_lo, s4
	s_and_b32 s2, s2, vcc_lo
	s_and_saveexec_b32 s3, s2
	s_cbranch_execz .LBB48_8
; %bb.7:
	s_mov_b32 s15, 0
	s_lshl_b64 s[4:5], s[14:15], 2
	v_add_co_u32 v3, s2, v3, s4
	v_add_co_ci_u32_e64 v4, null, s5, v4, s2
	global_load_dword v0, v[3:4], off offset:128
.LBB48_8:
	s_or_b32 exec_lo, exec_lo, s3
	v_mbcnt_lo_u32_b32 v3, -1, 0
	v_xor_b32_e32 v4, 16, v3
	v_xor_b32_e32 v13, 8, v3
	;; [unrolled: 1-line block ×5, first 2 shown]
	v_cmp_gt_i32_e64 s2, 32, v4
	v_cndmask_b32_e64 v4, v3, v4, s2
	s_waitcnt vmcnt(0)
	v_cmp_gt_f32_e64 s2, v7, v6
	v_lshlrev_b32_e32 v10, 2, v4
	v_cndmask_b32_e64 v9, v6, v7, s2
	v_cmp_gt_f32_e64 s2, v8, v0
	ds_bpermute_b32 v11, v10, v9
	v_cndmask_b32_e64 v4, v0, v8, s2
	v_cmp_gt_i32_e64 s2, 32, v13
	ds_bpermute_b32 v12, v10, v4
	v_cndmask_b32_e64 v13, v3, v13, s2
	v_lshlrev_b32_e32 v13, 2, v13
	s_waitcnt lgkmcnt(1)
	v_cmp_lt_f32_e64 s2, v9, v11
	v_cndmask_b32_e64 v9, v9, v11, s2
	s_waitcnt lgkmcnt(0)
	v_cmp_lt_f32_e64 s2, v4, v12
	ds_bpermute_b32 v11, v13, v9
	v_cndmask_b32_e64 v4, v4, v12, s2
	v_cmp_gt_i32_e64 s2, 32, v14
	ds_bpermute_b32 v12, v13, v4
	v_cndmask_b32_e64 v14, v3, v14, s2
	v_lshlrev_b32_e32 v14, 2, v14
	s_waitcnt lgkmcnt(1)
	v_cmp_lt_f32_e64 s2, v9, v11
	v_cndmask_b32_e64 v9, v9, v11, s2
	s_waitcnt lgkmcnt(0)
	v_cmp_lt_f32_e64 s2, v4, v12
	;; [unrolled: 11-line block ×4, first 2 shown]
	ds_bpermute_b32 v9, v16, v3
	v_cndmask_b32_e64 v4, v4, v12, s2
	ds_bpermute_b32 v11, v16, v4
	s_waitcnt lgkmcnt(1)
	v_cmp_lt_f32_e64 s2, v3, v9
	v_cndmask_b32_e64 v3, v3, v9, s2
	s_waitcnt lgkmcnt(0)
	v_cmp_lt_f32_e64 s2, v4, v11
	v_sub_f32_e32 v7, v7, v3
	v_cndmask_b32_e64 v4, v4, v11, s2
	v_sub_f32_e32 v6, v6, v3
	v_cmp_ngt_f32_e64 s2, 0xc2ce8ed0, v7
	v_sub_f32_e32 v3, v8, v4
	v_sub_f32_e32 v4, v0, v4
	v_mul_f32_e32 v0, 0x3fb8aa3b, v7
	v_mul_f32_e32 v8, 0x3fb8aa3b, v6
	;; [unrolled: 1-line block ×4, first 2 shown]
	v_fma_f32 v12, 0x3fb8aa3b, v7, -v0
	v_rndne_f32_e32 v17, v0
	v_fma_f32 v18, 0x3fb8aa3b, v6, -v8
	v_rndne_f32_e32 v19, v8
	v_fma_f32 v20, 0x3fb8aa3b, v3, -v9
	v_fmac_f32_e32 v12, 0x32a5705f, v7
	v_sub_f32_e32 v0, v0, v17
	v_rndne_f32_e32 v21, v9
	v_fmac_f32_e32 v18, 0x32a5705f, v6
	v_sub_f32_e32 v8, v8, v19
	v_fma_f32 v22, 0x3fb8aa3b, v4, -v11
	v_add_f32_e32 v0, v0, v12
	v_rndne_f32_e32 v23, v11
	v_fmac_f32_e32 v20, 0x32a5705f, v3
	v_sub_f32_e32 v9, v9, v21
	v_add_f32_e32 v8, v8, v18
	v_exp_f32_e32 v0, v0
	v_fmac_f32_e32 v22, 0x32a5705f, v4
	v_sub_f32_e32 v11, v11, v23
	v_add_f32_e32 v9, v9, v20
	v_exp_f32_e32 v8, v8
	v_cvt_i32_f32_e32 v12, v17
	v_cvt_i32_f32_e32 v17, v19
	v_add_f32_e32 v11, v11, v22
	v_exp_f32_e32 v9, v9
	v_cvt_i32_f32_e32 v18, v21
	v_ldexp_f32 v0, v0, v12
	v_cvt_i32_f32_e32 v19, v23
	v_exp_f32_e32 v11, v11
	v_ldexp_f32 v8, v8, v17
	v_cndmask_b32_e64 v0, 0, v0, s2
	v_cmp_ngt_f32_e64 s2, 0xc2ce8ed0, v6
	v_ldexp_f32 v9, v9, v18
	v_cndmask_b32_e64 v8, 0, v8, s2
	v_cmp_ngt_f32_e64 s2, 0xc2ce8ed0, v3
	;; [unrolled: 3-line block ×3, first 2 shown]
	v_cndmask_b32_e64 v11, 0, v11, s2
	v_cmp_nlt_f32_e64 s2, 0x42b17218, v7
	v_cndmask_b32_e64 v0, 0x7f800000, v0, s2
	v_cmp_nlt_f32_e64 s2, 0x42b17218, v6
	;; [unrolled: 2-line block ×3, first 2 shown]
	v_add_f32_e32 v0, v0, v8
	v_cndmask_b32_e64 v9, 0x7f800000, v9, s2
	v_cmp_nlt_f32_e64 s2, 0x42b17218, v4
	v_cndmask_b32_e64 v11, 0x7f800000, v11, s2
	v_add_f32_e32 v8, v9, v11
	ds_bpermute_b32 v9, v10, v0
	ds_bpermute_b32 v10, v10, v8
	s_waitcnt lgkmcnt(1)
	v_add_f32_e32 v0, v0, v9
	s_waitcnt lgkmcnt(0)
	v_add_f32_e32 v8, v8, v10
	ds_bpermute_b32 v9, v13, v0
	ds_bpermute_b32 v10, v13, v8
	s_waitcnt lgkmcnt(1)
	v_add_f32_e32 v0, v0, v9
	s_waitcnt lgkmcnt(0)
	;; [unrolled: 6-line block ×4, first 2 shown]
	v_add_f32_e32 v8, v8, v11
	ds_bpermute_b32 v11, v16, v10
	ds_bpermute_b32 v9, v16, v8
	s_and_saveexec_b32 s2, s1
	s_cbranch_execz .LBB48_16
; %bb.9:
	v_add_co_u32 v0, s1, s8, v1
	v_add_co_ci_u32_e64 v1, null, s9, v2, s1
	s_and_saveexec_b32 s3, s0
	s_cbranch_execz .LBB48_12
; %bb.10:
	s_waitcnt lgkmcnt(1)
	v_add_f32_e32 v2, v10, v11
	v_cmp_gt_f32_e64 s1, 0x800000, v2
	v_cndmask_b32_e64 v10, 0, 32, s1
	v_ldexp_f32 v2, v2, v10
	v_log_f32_e32 v2, v2
	v_mul_f32_e32 v10, 0x3f317217, v2
	v_cmp_gt_f32_e64 s2, 0x7f800000, |v2|
	v_fma_f32 v10, 0x3f317217, v2, -v10
	v_fmamk_f32 v10, v2, 0x3377d1cf, v10
	v_fmac_f32_e32 v10, 0x3f317217, v2
	v_cndmask_b32_e64 v2, v2, v10, s2
	v_cndmask_b32_e64 v10, 0, 0x41b17218, s1
	v_sub_f32_e32 v2, v2, v10
	v_sub_f32_e32 v7, v7, v2
	global_store_dword v[0:1], v7, off
	s_and_b32 exec_lo, exec_lo, vcc_lo
	s_cbranch_execz .LBB48_12
; %bb.11:
	v_sub_f32_e32 v2, v6, v2
	global_store_dword v[0:1], v2, off offset:128
.LBB48_12:
	s_or_b32 exec_lo, exec_lo, s3
	v_cmp_ne_u32_e64 s1, 1, v5
	s_and_b32 exec_lo, exec_lo, s1
	s_cbranch_execz .LBB48_16
; %bb.13:
	s_and_b32 exec_lo, exec_lo, s0
	s_cbranch_execz .LBB48_16
; %bb.14:
	s_waitcnt lgkmcnt(0)
	v_add_f32_e32 v2, v8, v9
	s_mov_b32 s15, 0
	v_cmp_gt_f32_e64 s0, 0x800000, v2
	v_cndmask_b32_e64 v5, 0, 32, s0
	v_cndmask_b32_e64 v6, 0, 0x41b17218, s0
	v_ldexp_f32 v2, v2, v5
	v_log_f32_e32 v2, v2
	v_mul_f32_e32 v5, 0x3f317217, v2
	v_cmp_gt_f32_e64 s0, 0x7f800000, |v2|
	v_fma_f32 v5, 0x3f317217, v2, -v5
	v_fmamk_f32 v5, v2, 0x3377d1cf, v5
	v_fmac_f32_e32 v5, 0x3f317217, v2
	v_cndmask_b32_e64 v2, v2, v5, s0
	s_lshl_b64 s[0:1], s[14:15], 2
	v_add_co_u32 v0, s0, v0, s0
	v_sub_f32_e32 v2, v2, v6
	v_add_co_ci_u32_e64 v1, null, s1, v1, s0
	v_sub_f32_e32 v3, v3, v2
	global_store_dword v[0:1], v3, off
	s_and_b32 exec_lo, exec_lo, vcc_lo
	s_cbranch_execz .LBB48_16
; %bb.15:
	v_sub_f32_e32 v2, v4, v2
	global_store_dword v[0:1], v2, off offset:128
.LBB48_16:
	s_endpgm
	.section	.rodata,"a",@progbits
	.p2align	6, 0x0
	.amdhsa_kernel _ZN12_GLOBAL__N_120softmax_warp_forwardIfffLi6ELb1ELb0ELi32EEEvPT0_PKT_iiiPKbib
		.amdhsa_group_segment_fixed_size 0
		.amdhsa_private_segment_fixed_size 0
		.amdhsa_kernarg_size 304
		.amdhsa_user_sgpr_count 6
		.amdhsa_user_sgpr_private_segment_buffer 1
		.amdhsa_user_sgpr_dispatch_ptr 0
		.amdhsa_user_sgpr_queue_ptr 0
		.amdhsa_user_sgpr_kernarg_segment_ptr 1
		.amdhsa_user_sgpr_dispatch_id 0
		.amdhsa_user_sgpr_flat_scratch_init 0
		.amdhsa_user_sgpr_private_segment_size 0
		.amdhsa_wavefront_size32 1
		.amdhsa_uses_dynamic_stack 0
		.amdhsa_system_sgpr_private_segment_wavefront_offset 0
		.amdhsa_system_sgpr_workgroup_id_x 1
		.amdhsa_system_sgpr_workgroup_id_y 0
		.amdhsa_system_sgpr_workgroup_id_z 0
		.amdhsa_system_sgpr_workgroup_info 0
		.amdhsa_system_vgpr_workitem_id 1
		.amdhsa_next_free_vgpr 24
		.amdhsa_next_free_sgpr 16
		.amdhsa_reserve_vcc 1
		.amdhsa_reserve_flat_scratch 0
		.amdhsa_float_round_mode_32 0
		.amdhsa_float_round_mode_16_64 0
		.amdhsa_float_denorm_mode_32 3
		.amdhsa_float_denorm_mode_16_64 3
		.amdhsa_dx10_clamp 1
		.amdhsa_ieee_mode 1
		.amdhsa_fp16_overflow 0
		.amdhsa_workgroup_processor_mode 1
		.amdhsa_memory_ordered 1
		.amdhsa_forward_progress 1
		.amdhsa_shared_vgpr_count 0
		.amdhsa_exception_fp_ieee_invalid_op 0
		.amdhsa_exception_fp_denorm_src 0
		.amdhsa_exception_fp_ieee_div_zero 0
		.amdhsa_exception_fp_ieee_overflow 0
		.amdhsa_exception_fp_ieee_underflow 0
		.amdhsa_exception_fp_ieee_inexact 0
		.amdhsa_exception_int_div_zero 0
	.end_amdhsa_kernel
	.section	.text._ZN12_GLOBAL__N_120softmax_warp_forwardIfffLi6ELb1ELb0ELi32EEEvPT0_PKT_iiiPKbib,"axG",@progbits,_ZN12_GLOBAL__N_120softmax_warp_forwardIfffLi6ELb1ELb0ELi32EEEvPT0_PKT_iiiPKbib,comdat
.Lfunc_end48:
	.size	_ZN12_GLOBAL__N_120softmax_warp_forwardIfffLi6ELb1ELb0ELi32EEEvPT0_PKT_iiiPKbib, .Lfunc_end48-_ZN12_GLOBAL__N_120softmax_warp_forwardIfffLi6ELb1ELb0ELi32EEEvPT0_PKT_iiiPKbib
                                        ; -- End function
	.set _ZN12_GLOBAL__N_120softmax_warp_forwardIfffLi6ELb1ELb0ELi32EEEvPT0_PKT_iiiPKbib.num_vgpr, 24
	.set _ZN12_GLOBAL__N_120softmax_warp_forwardIfffLi6ELb1ELb0ELi32EEEvPT0_PKT_iiiPKbib.num_agpr, 0
	.set _ZN12_GLOBAL__N_120softmax_warp_forwardIfffLi6ELb1ELb0ELi32EEEvPT0_PKT_iiiPKbib.numbered_sgpr, 16
	.set _ZN12_GLOBAL__N_120softmax_warp_forwardIfffLi6ELb1ELb0ELi32EEEvPT0_PKT_iiiPKbib.num_named_barrier, 0
	.set _ZN12_GLOBAL__N_120softmax_warp_forwardIfffLi6ELb1ELb0ELi32EEEvPT0_PKT_iiiPKbib.private_seg_size, 0
	.set _ZN12_GLOBAL__N_120softmax_warp_forwardIfffLi6ELb1ELb0ELi32EEEvPT0_PKT_iiiPKbib.uses_vcc, 1
	.set _ZN12_GLOBAL__N_120softmax_warp_forwardIfffLi6ELb1ELb0ELi32EEEvPT0_PKT_iiiPKbib.uses_flat_scratch, 0
	.set _ZN12_GLOBAL__N_120softmax_warp_forwardIfffLi6ELb1ELb0ELi32EEEvPT0_PKT_iiiPKbib.has_dyn_sized_stack, 0
	.set _ZN12_GLOBAL__N_120softmax_warp_forwardIfffLi6ELb1ELb0ELi32EEEvPT0_PKT_iiiPKbib.has_recursion, 0
	.set _ZN12_GLOBAL__N_120softmax_warp_forwardIfffLi6ELb1ELb0ELi32EEEvPT0_PKT_iiiPKbib.has_indirect_call, 0
	.section	.AMDGPU.csdata,"",@progbits
; Kernel info:
; codeLenInByte = 1684
; TotalNumSgprs: 18
; NumVgprs: 24
; ScratchSize: 0
; MemoryBound: 0
; FloatMode: 240
; IeeeMode: 1
; LDSByteSize: 0 bytes/workgroup (compile time only)
; SGPRBlocks: 0
; VGPRBlocks: 2
; NumSGPRsForWavesPerEU: 18
; NumVGPRsForWavesPerEU: 24
; Occupancy: 16
; WaveLimiterHint : 0
; COMPUTE_PGM_RSRC2:SCRATCH_EN: 0
; COMPUTE_PGM_RSRC2:USER_SGPR: 6
; COMPUTE_PGM_RSRC2:TRAP_HANDLER: 0
; COMPUTE_PGM_RSRC2:TGID_X_EN: 1
; COMPUTE_PGM_RSRC2:TGID_Y_EN: 0
; COMPUTE_PGM_RSRC2:TGID_Z_EN: 0
; COMPUTE_PGM_RSRC2:TIDIG_COMP_CNT: 1
	.section	.text._ZN12_GLOBAL__N_120softmax_warp_forwardIfffLi7ELb1ELb0ELi64EEEvPT0_PKT_iiiPKbib,"axG",@progbits,_ZN12_GLOBAL__N_120softmax_warp_forwardIfffLi7ELb1ELb0ELi64EEEvPT0_PKT_iiiPKbib,comdat
	.globl	_ZN12_GLOBAL__N_120softmax_warp_forwardIfffLi7ELb1ELb0ELi64EEEvPT0_PKT_iiiPKbib ; -- Begin function _ZN12_GLOBAL__N_120softmax_warp_forwardIfffLi7ELb1ELb0ELi64EEEvPT0_PKT_iiiPKbib
	.p2align	8
	.type	_ZN12_GLOBAL__N_120softmax_warp_forwardIfffLi7ELb1ELb0ELi64EEEvPT0_PKT_iiiPKbib,@function
_ZN12_GLOBAL__N_120softmax_warp_forwardIfffLi7ELb1ELb0ELi64EEEvPT0_PKT_iiiPKbib: ; @_ZN12_GLOBAL__N_120softmax_warp_forwardIfffLi7ELb1ELb0ELi64EEEvPT0_PKT_iiiPKbib
; %bb.0:
	s_clause 0x1
	s_load_dword s0, s[4:5], 0x3c
	s_load_dwordx8 s[8:15], s[4:5], 0x0
	v_mov_b32_e32 v6, 0xff800000
	v_mov_b32_e32 v7, 0xff800000
	s_waitcnt lgkmcnt(0)
	s_lshr_b32 s0, s0, 16
	s_and_b32 s0, s0, 0xffff
	s_mul_i32 s6, s6, s0
	v_cmp_gt_i32_e64 s0, s14, v0
	v_add_lshl_u32 v3, s6, v1, 1
	v_mad_u64_u32 v[1:2], null, v3, s13, v[0:1]
	v_sub_nc_u32_e32 v5, s12, v3
	v_cmp_lt_i32_e64 s1, 0, v5
	v_ashrrev_i32_e32 v2, 31, v1
	s_and_b32 s3, s1, s0
	v_lshlrev_b64 v[1:2], 2, v[1:2]
	v_add_co_u32 v3, vcc_lo, s10, v1
	v_add_co_ci_u32_e64 v4, null, s11, v2, vcc_lo
	s_and_saveexec_b32 s2, s3
	s_cbranch_execz .LBB49_2
; %bb.1:
	global_load_dword v7, v[3:4], off
.LBB49_2:
	s_or_b32 exec_lo, exec_lo, s2
	v_add_nc_u32_e32 v0, 64, v0
	v_cmp_gt_i32_e32 vcc_lo, s14, v0
	s_and_b32 s3, s1, vcc_lo
	s_and_saveexec_b32 s2, s3
	s_cbranch_execz .LBB49_4
; %bb.3:
	global_load_dword v6, v[3:4], off offset:256
.LBB49_4:
	s_or_b32 exec_lo, exec_lo, s2
	v_cmp_lt_i32_e64 s2, 1, v5
	v_mov_b32_e32 v0, 0xff800000
	v_mov_b32_e32 v8, 0xff800000
	s_and_b32 s3, s2, s0
	s_and_saveexec_b32 s4, s3
	s_cbranch_execz .LBB49_6
; %bb.5:
	s_mov_b32 s15, 0
	s_lshl_b64 s[6:7], s[14:15], 2
	v_add_co_u32 v8, s3, v3, s6
	v_add_co_ci_u32_e64 v9, null, s7, v4, s3
	global_load_dword v8, v[8:9], off
.LBB49_6:
	s_or_b32 exec_lo, exec_lo, s4
	s_and_b32 s2, s2, vcc_lo
	s_and_saveexec_b32 s3, s2
	s_cbranch_execz .LBB49_8
; %bb.7:
	s_mov_b32 s15, 0
	s_lshl_b64 s[4:5], s[14:15], 2
	v_add_co_u32 v3, s2, v3, s4
	v_add_co_ci_u32_e64 v4, null, s5, v4, s2
	global_load_dword v0, v[3:4], off offset:256
.LBB49_8:
	s_or_b32 exec_lo, exec_lo, s3
	v_mbcnt_lo_u32_b32 v3, -1, 0
	v_or_b32_e32 v4, 32, v3
	v_xor_b32_e32 v13, 16, v3
	v_xor_b32_e32 v14, 8, v3
	;; [unrolled: 1-line block ×4, first 2 shown]
	v_cmp_gt_i32_e64 s2, 64, v4
	v_xor_b32_e32 v17, 1, v3
	v_cndmask_b32_e64 v4, v3, v4, s2
	s_waitcnt vmcnt(0)
	v_cmp_gt_f32_e64 s2, v7, v6
	v_lshlrev_b32_e32 v10, 2, v4
	v_cndmask_b32_e64 v9, v6, v7, s2
	v_cmp_gt_f32_e64 s2, v8, v0
	ds_bpermute_b32 v11, v10, v9
	v_cndmask_b32_e64 v4, v0, v8, s2
	v_cmp_gt_i32_e64 s2, 64, v13
	ds_bpermute_b32 v12, v10, v4
	v_cndmask_b32_e64 v13, v3, v13, s2
	v_lshlrev_b32_e32 v13, 2, v13
	s_waitcnt lgkmcnt(1)
	v_cmp_lt_f32_e64 s2, v9, v11
	v_cndmask_b32_e64 v9, v9, v11, s2
	s_waitcnt lgkmcnt(0)
	v_cmp_lt_f32_e64 s2, v4, v12
	ds_bpermute_b32 v11, v13, v9
	v_cndmask_b32_e64 v4, v4, v12, s2
	v_cmp_gt_i32_e64 s2, 64, v14
	ds_bpermute_b32 v12, v13, v4
	v_cndmask_b32_e64 v14, v3, v14, s2
	v_lshlrev_b32_e32 v14, 2, v14
	s_waitcnt lgkmcnt(1)
	v_cmp_lt_f32_e64 s2, v9, v11
	v_cndmask_b32_e64 v9, v9, v11, s2
	s_waitcnt lgkmcnt(0)
	v_cmp_lt_f32_e64 s2, v4, v12
	;; [unrolled: 11-line block ×5, first 2 shown]
	ds_bpermute_b32 v9, v17, v3
	v_cndmask_b32_e64 v4, v4, v12, s2
	ds_bpermute_b32 v11, v17, v4
	s_waitcnt lgkmcnt(1)
	v_cmp_lt_f32_e64 s2, v3, v9
	v_cndmask_b32_e64 v3, v3, v9, s2
	s_waitcnt lgkmcnt(0)
	v_cmp_lt_f32_e64 s2, v4, v11
	v_sub_f32_e32 v7, v7, v3
	v_cndmask_b32_e64 v4, v4, v11, s2
	v_sub_f32_e32 v6, v6, v3
	v_cmp_ngt_f32_e64 s2, 0xc2ce8ed0, v7
	v_sub_f32_e32 v3, v8, v4
	v_sub_f32_e32 v4, v0, v4
	v_mul_f32_e32 v0, 0x3fb8aa3b, v7
	v_mul_f32_e32 v8, 0x3fb8aa3b, v6
	;; [unrolled: 1-line block ×4, first 2 shown]
	v_fma_f32 v12, 0x3fb8aa3b, v7, -v0
	v_rndne_f32_e32 v18, v0
	v_fma_f32 v19, 0x3fb8aa3b, v6, -v8
	v_rndne_f32_e32 v20, v8
	v_fma_f32 v21, 0x3fb8aa3b, v3, -v9
	v_fmac_f32_e32 v12, 0x32a5705f, v7
	v_sub_f32_e32 v0, v0, v18
	v_rndne_f32_e32 v22, v9
	v_fmac_f32_e32 v19, 0x32a5705f, v6
	v_sub_f32_e32 v8, v8, v20
	v_fma_f32 v23, 0x3fb8aa3b, v4, -v11
	v_add_f32_e32 v0, v0, v12
	v_rndne_f32_e32 v24, v11
	v_fmac_f32_e32 v21, 0x32a5705f, v3
	v_sub_f32_e32 v9, v9, v22
	v_add_f32_e32 v8, v8, v19
	v_exp_f32_e32 v0, v0
	v_fmac_f32_e32 v23, 0x32a5705f, v4
	v_sub_f32_e32 v11, v11, v24
	v_add_f32_e32 v9, v9, v21
	v_exp_f32_e32 v8, v8
	v_cvt_i32_f32_e32 v12, v18
	v_cvt_i32_f32_e32 v18, v20
	v_add_f32_e32 v11, v11, v23
	v_exp_f32_e32 v9, v9
	v_cvt_i32_f32_e32 v19, v22
	v_ldexp_f32 v0, v0, v12
	v_cvt_i32_f32_e32 v20, v24
	v_exp_f32_e32 v11, v11
	v_ldexp_f32 v8, v8, v18
	v_cndmask_b32_e64 v0, 0, v0, s2
	v_cmp_ngt_f32_e64 s2, 0xc2ce8ed0, v6
	v_ldexp_f32 v9, v9, v19
	v_cndmask_b32_e64 v8, 0, v8, s2
	v_cmp_ngt_f32_e64 s2, 0xc2ce8ed0, v3
	;; [unrolled: 3-line block ×3, first 2 shown]
	v_cndmask_b32_e64 v11, 0, v11, s2
	v_cmp_nlt_f32_e64 s2, 0x42b17218, v7
	v_cndmask_b32_e64 v0, 0x7f800000, v0, s2
	v_cmp_nlt_f32_e64 s2, 0x42b17218, v6
	;; [unrolled: 2-line block ×3, first 2 shown]
	v_add_f32_e32 v0, v0, v8
	v_cndmask_b32_e64 v9, 0x7f800000, v9, s2
	v_cmp_nlt_f32_e64 s2, 0x42b17218, v4
	v_cndmask_b32_e64 v11, 0x7f800000, v11, s2
	v_add_f32_e32 v8, v9, v11
	ds_bpermute_b32 v9, v10, v0
	ds_bpermute_b32 v10, v10, v8
	s_waitcnt lgkmcnt(1)
	v_add_f32_e32 v0, v0, v9
	s_waitcnt lgkmcnt(0)
	v_add_f32_e32 v8, v8, v10
	ds_bpermute_b32 v9, v13, v0
	ds_bpermute_b32 v10, v13, v8
	s_waitcnt lgkmcnt(1)
	v_add_f32_e32 v0, v0, v9
	s_waitcnt lgkmcnt(0)
	;; [unrolled: 6-line block ×5, first 2 shown]
	v_add_f32_e32 v8, v8, v11
	ds_bpermute_b32 v11, v17, v10
	ds_bpermute_b32 v9, v17, v8
	s_and_saveexec_b32 s2, s1
	s_cbranch_execz .LBB49_16
; %bb.9:
	v_add_co_u32 v0, s1, s8, v1
	v_add_co_ci_u32_e64 v1, null, s9, v2, s1
	s_and_saveexec_b32 s3, s0
	s_cbranch_execz .LBB49_12
; %bb.10:
	s_waitcnt lgkmcnt(1)
	v_add_f32_e32 v2, v10, v11
	v_cmp_gt_f32_e64 s1, 0x800000, v2
	v_cndmask_b32_e64 v10, 0, 32, s1
	v_ldexp_f32 v2, v2, v10
	v_log_f32_e32 v2, v2
	v_mul_f32_e32 v10, 0x3f317217, v2
	v_cmp_gt_f32_e64 s2, 0x7f800000, |v2|
	v_fma_f32 v10, 0x3f317217, v2, -v10
	v_fmamk_f32 v10, v2, 0x3377d1cf, v10
	v_fmac_f32_e32 v10, 0x3f317217, v2
	v_cndmask_b32_e64 v2, v2, v10, s2
	v_cndmask_b32_e64 v10, 0, 0x41b17218, s1
	v_sub_f32_e32 v2, v2, v10
	v_sub_f32_e32 v7, v7, v2
	global_store_dword v[0:1], v7, off
	s_and_b32 exec_lo, exec_lo, vcc_lo
	s_cbranch_execz .LBB49_12
; %bb.11:
	v_sub_f32_e32 v2, v6, v2
	global_store_dword v[0:1], v2, off offset:256
.LBB49_12:
	s_or_b32 exec_lo, exec_lo, s3
	v_cmp_ne_u32_e64 s1, 1, v5
	s_and_b32 exec_lo, exec_lo, s1
	s_cbranch_execz .LBB49_16
; %bb.13:
	s_and_b32 exec_lo, exec_lo, s0
	s_cbranch_execz .LBB49_16
; %bb.14:
	s_waitcnt lgkmcnt(0)
	v_add_f32_e32 v2, v8, v9
	s_mov_b32 s15, 0
	v_cmp_gt_f32_e64 s0, 0x800000, v2
	v_cndmask_b32_e64 v5, 0, 32, s0
	v_cndmask_b32_e64 v6, 0, 0x41b17218, s0
	v_ldexp_f32 v2, v2, v5
	v_log_f32_e32 v2, v2
	v_mul_f32_e32 v5, 0x3f317217, v2
	v_cmp_gt_f32_e64 s0, 0x7f800000, |v2|
	v_fma_f32 v5, 0x3f317217, v2, -v5
	v_fmamk_f32 v5, v2, 0x3377d1cf, v5
	v_fmac_f32_e32 v5, 0x3f317217, v2
	v_cndmask_b32_e64 v2, v2, v5, s0
	s_lshl_b64 s[0:1], s[14:15], 2
	v_add_co_u32 v0, s0, v0, s0
	v_sub_f32_e32 v2, v2, v6
	v_add_co_ci_u32_e64 v1, null, s1, v1, s0
	v_sub_f32_e32 v3, v3, v2
	global_store_dword v[0:1], v3, off
	s_and_b32 exec_lo, exec_lo, vcc_lo
	s_cbranch_execz .LBB49_16
; %bb.15:
	v_sub_f32_e32 v2, v4, v2
	global_store_dword v[0:1], v2, off offset:256
.LBB49_16:
	s_endpgm
	.section	.rodata,"a",@progbits
	.p2align	6, 0x0
	.amdhsa_kernel _ZN12_GLOBAL__N_120softmax_warp_forwardIfffLi7ELb1ELb0ELi64EEEvPT0_PKT_iiiPKbib
		.amdhsa_group_segment_fixed_size 0
		.amdhsa_private_segment_fixed_size 0
		.amdhsa_kernarg_size 304
		.amdhsa_user_sgpr_count 6
		.amdhsa_user_sgpr_private_segment_buffer 1
		.amdhsa_user_sgpr_dispatch_ptr 0
		.amdhsa_user_sgpr_queue_ptr 0
		.amdhsa_user_sgpr_kernarg_segment_ptr 1
		.amdhsa_user_sgpr_dispatch_id 0
		.amdhsa_user_sgpr_flat_scratch_init 0
		.amdhsa_user_sgpr_private_segment_size 0
		.amdhsa_wavefront_size32 1
		.amdhsa_uses_dynamic_stack 0
		.amdhsa_system_sgpr_private_segment_wavefront_offset 0
		.amdhsa_system_sgpr_workgroup_id_x 1
		.amdhsa_system_sgpr_workgroup_id_y 0
		.amdhsa_system_sgpr_workgroup_id_z 0
		.amdhsa_system_sgpr_workgroup_info 0
		.amdhsa_system_vgpr_workitem_id 1
		.amdhsa_next_free_vgpr 25
		.amdhsa_next_free_sgpr 16
		.amdhsa_reserve_vcc 1
		.amdhsa_reserve_flat_scratch 0
		.amdhsa_float_round_mode_32 0
		.amdhsa_float_round_mode_16_64 0
		.amdhsa_float_denorm_mode_32 3
		.amdhsa_float_denorm_mode_16_64 3
		.amdhsa_dx10_clamp 1
		.amdhsa_ieee_mode 1
		.amdhsa_fp16_overflow 0
		.amdhsa_workgroup_processor_mode 1
		.amdhsa_memory_ordered 1
		.amdhsa_forward_progress 1
		.amdhsa_shared_vgpr_count 0
		.amdhsa_exception_fp_ieee_invalid_op 0
		.amdhsa_exception_fp_denorm_src 0
		.amdhsa_exception_fp_ieee_div_zero 0
		.amdhsa_exception_fp_ieee_overflow 0
		.amdhsa_exception_fp_ieee_underflow 0
		.amdhsa_exception_fp_ieee_inexact 0
		.amdhsa_exception_int_div_zero 0
	.end_amdhsa_kernel
	.section	.text._ZN12_GLOBAL__N_120softmax_warp_forwardIfffLi7ELb1ELb0ELi64EEEvPT0_PKT_iiiPKbib,"axG",@progbits,_ZN12_GLOBAL__N_120softmax_warp_forwardIfffLi7ELb1ELb0ELi64EEEvPT0_PKT_iiiPKbib,comdat
.Lfunc_end49:
	.size	_ZN12_GLOBAL__N_120softmax_warp_forwardIfffLi7ELb1ELb0ELi64EEEvPT0_PKT_iiiPKbib, .Lfunc_end49-_ZN12_GLOBAL__N_120softmax_warp_forwardIfffLi7ELb1ELb0ELi64EEEvPT0_PKT_iiiPKbib
                                        ; -- End function
	.set _ZN12_GLOBAL__N_120softmax_warp_forwardIfffLi7ELb1ELb0ELi64EEEvPT0_PKT_iiiPKbib.num_vgpr, 25
	.set _ZN12_GLOBAL__N_120softmax_warp_forwardIfffLi7ELb1ELb0ELi64EEEvPT0_PKT_iiiPKbib.num_agpr, 0
	.set _ZN12_GLOBAL__N_120softmax_warp_forwardIfffLi7ELb1ELb0ELi64EEEvPT0_PKT_iiiPKbib.numbered_sgpr, 16
	.set _ZN12_GLOBAL__N_120softmax_warp_forwardIfffLi7ELb1ELb0ELi64EEEvPT0_PKT_iiiPKbib.num_named_barrier, 0
	.set _ZN12_GLOBAL__N_120softmax_warp_forwardIfffLi7ELb1ELb0ELi64EEEvPT0_PKT_iiiPKbib.private_seg_size, 0
	.set _ZN12_GLOBAL__N_120softmax_warp_forwardIfffLi7ELb1ELb0ELi64EEEvPT0_PKT_iiiPKbib.uses_vcc, 1
	.set _ZN12_GLOBAL__N_120softmax_warp_forwardIfffLi7ELb1ELb0ELi64EEEvPT0_PKT_iiiPKbib.uses_flat_scratch, 0
	.set _ZN12_GLOBAL__N_120softmax_warp_forwardIfffLi7ELb1ELb0ELi64EEEvPT0_PKT_iiiPKbib.has_dyn_sized_stack, 0
	.set _ZN12_GLOBAL__N_120softmax_warp_forwardIfffLi7ELb1ELb0ELi64EEEvPT0_PKT_iiiPKbib.has_recursion, 0
	.set _ZN12_GLOBAL__N_120softmax_warp_forwardIfffLi7ELb1ELb0ELi64EEEvPT0_PKT_iiiPKbib.has_indirect_call, 0
	.section	.AMDGPU.csdata,"",@progbits
; Kernel info:
; codeLenInByte = 1796
; TotalNumSgprs: 18
; NumVgprs: 25
; ScratchSize: 0
; MemoryBound: 0
; FloatMode: 240
; IeeeMode: 1
; LDSByteSize: 0 bytes/workgroup (compile time only)
; SGPRBlocks: 0
; VGPRBlocks: 3
; NumSGPRsForWavesPerEU: 18
; NumVGPRsForWavesPerEU: 25
; Occupancy: 16
; WaveLimiterHint : 0
; COMPUTE_PGM_RSRC2:SCRATCH_EN: 0
; COMPUTE_PGM_RSRC2:USER_SGPR: 6
; COMPUTE_PGM_RSRC2:TRAP_HANDLER: 0
; COMPUTE_PGM_RSRC2:TGID_X_EN: 1
; COMPUTE_PGM_RSRC2:TGID_Y_EN: 0
; COMPUTE_PGM_RSRC2:TGID_Z_EN: 0
; COMPUTE_PGM_RSRC2:TIDIG_COMP_CNT: 1
	.section	.text._ZN12_GLOBAL__N_120softmax_warp_forwardIfffLi7ELb1ELb0ELi32EEEvPT0_PKT_iiiPKbib,"axG",@progbits,_ZN12_GLOBAL__N_120softmax_warp_forwardIfffLi7ELb1ELb0ELi32EEEvPT0_PKT_iiiPKbib,comdat
	.globl	_ZN12_GLOBAL__N_120softmax_warp_forwardIfffLi7ELb1ELb0ELi32EEEvPT0_PKT_iiiPKbib ; -- Begin function _ZN12_GLOBAL__N_120softmax_warp_forwardIfffLi7ELb1ELb0ELi32EEEvPT0_PKT_iiiPKbib
	.p2align	8
	.type	_ZN12_GLOBAL__N_120softmax_warp_forwardIfffLi7ELb1ELb0ELi32EEEvPT0_PKT_iiiPKbib,@function
_ZN12_GLOBAL__N_120softmax_warp_forwardIfffLi7ELb1ELb0ELi32EEEvPT0_PKT_iiiPKbib: ; @_ZN12_GLOBAL__N_120softmax_warp_forwardIfffLi7ELb1ELb0ELi32EEEvPT0_PKT_iiiPKbib
; %bb.0:
	s_clause 0x1
	s_load_dword s0, s[4:5], 0x3c
	s_load_dwordx8 s[8:15], s[4:5], 0x0
	v_mov_b32_e32 v8, 0xff800000
	v_mov_b32_e32 v7, 0xff800000
	s_waitcnt lgkmcnt(0)
	s_lshr_b32 s0, s0, 16
	v_cmp_gt_i32_e64 s1, s14, v0
	s_and_b32 s0, s0, 0xffff
	s_mul_i32 s6, s6, s0
	v_add_lshl_u32 v3, s6, v1, 1
	v_mad_u64_u32 v[1:2], null, v3, s13, v[0:1]
	v_sub_nc_u32_e32 v5, s12, v3
	v_cmp_lt_i32_e64 s3, 0, v5
	v_ashrrev_i32_e32 v2, 31, v1
	s_and_b32 s2, s3, s1
	v_lshlrev_b64 v[1:2], 2, v[1:2]
	v_add_co_u32 v3, vcc_lo, s10, v1
	v_add_co_ci_u32_e64 v4, null, s11, v2, vcc_lo
	s_and_saveexec_b32 s0, s2
	s_cbranch_execz .LBB50_2
; %bb.1:
	global_load_dword v7, v[3:4], off
.LBB50_2:
	s_or_b32 exec_lo, exec_lo, s0
	v_add_nc_u32_e32 v6, 32, v0
	v_cmp_gt_i32_e32 vcc_lo, s14, v6
	s_and_b32 s2, s3, vcc_lo
	s_and_saveexec_b32 s0, s2
	s_cbranch_execz .LBB50_4
; %bb.3:
	global_load_dword v8, v[3:4], off offset:128
.LBB50_4:
	s_or_b32 exec_lo, exec_lo, s0
	v_add_nc_u32_e32 v6, 64, v0
	v_mov_b32_e32 v11, 0xff800000
	v_mov_b32_e32 v12, 0xff800000
	v_cmp_gt_i32_e64 s0, s14, v6
	s_and_b32 s4, s3, s0
	s_and_saveexec_b32 s2, s4
	s_cbranch_execz .LBB50_6
; %bb.5:
	global_load_dword v12, v[3:4], off offset:256
.LBB50_6:
	s_or_b32 exec_lo, exec_lo, s2
	v_add_nc_u32_e32 v0, 0x60, v0
	v_cmp_gt_i32_e64 s2, s14, v0
	s_and_b32 s5, s3, s2
	s_and_saveexec_b32 s4, s5
	s_cbranch_execz .LBB50_8
; %bb.7:
	global_load_dword v11, v[3:4], off offset:384
.LBB50_8:
	s_or_b32 exec_lo, exec_lo, s4
	v_cmp_lt_i32_e64 s4, 1, v5
	v_mov_b32_e32 v13, 0xff800000
	v_mov_b32_e32 v17, 0xff800000
	s_and_b32 s5, s4, s1
	s_and_saveexec_b32 s6, s5
	s_cbranch_execz .LBB50_10
; %bb.9:
	s_mov_b32 s15, 0
	s_lshl_b64 s[10:11], s[14:15], 2
	v_add_co_u32 v9, s5, v3, s10
	v_add_co_ci_u32_e64 v10, null, s11, v4, s5
	global_load_dword v17, v[9:10], off
.LBB50_10:
	s_or_b32 exec_lo, exec_lo, s6
	s_and_b32 s5, s4, vcc_lo
	s_and_saveexec_b32 s6, s5
	s_cbranch_execz .LBB50_12
; %bb.11:
	s_mov_b32 s15, 0
	s_lshl_b64 s[10:11], s[14:15], 2
	v_add_co_u32 v9, s5, v3, s10
	v_add_co_ci_u32_e64 v10, null, s11, v4, s5
	global_load_dword v13, v[9:10], off offset:128
.LBB50_12:
	s_or_b32 exec_lo, exec_lo, s6
	v_mov_b32_e32 v16, 0xff800000
	v_mov_b32_e32 v18, 0xff800000
	s_and_b32 s5, s4, s0
	s_and_saveexec_b32 s6, s5
	s_cbranch_execz .LBB50_14
; %bb.13:
	s_mov_b32 s15, 0
	s_lshl_b64 s[10:11], s[14:15], 2
	v_add_co_u32 v9, s5, v3, s10
	v_add_co_ci_u32_e64 v10, null, s11, v4, s5
	global_load_dword v18, v[9:10], off offset:256
.LBB50_14:
	s_or_b32 exec_lo, exec_lo, s6
	s_and_b32 s4, s4, s2
	s_and_saveexec_b32 s5, s4
	s_cbranch_execz .LBB50_16
; %bb.15:
	s_mov_b32 s15, 0
	s_lshl_b64 s[6:7], s[14:15], 2
	v_add_co_u32 v3, s4, v3, s6
	v_add_co_ci_u32_e64 v4, null, s7, v4, s4
	global_load_dword v16, v[3:4], off offset:384
.LBB50_16:
	s_or_b32 exec_lo, exec_lo, s5
	s_waitcnt vmcnt(0)
	v_cmp_gt_f32_e64 s4, v7, v8
	v_mbcnt_lo_u32_b32 v4, -1, 0
	v_cndmask_b32_e64 v0, v8, v7, s4
	v_cmp_gt_f32_e64 s4, v17, v13
	v_xor_b32_e32 v3, 16, v4
	v_cndmask_b32_e64 v6, v13, v17, s4
	v_cmp_gt_f32_e64 s4, v0, v12
	v_cndmask_b32_e64 v0, v12, v0, s4
	v_cmp_gt_i32_e64 s4, 32, v3
	v_cndmask_b32_e64 v3, v4, v3, s4
	v_cmp_gt_f32_e64 s4, v6, v18
	v_cndmask_b32_e64 v6, v18, v6, s4
	v_cmp_gt_f32_e64 s4, v0, v11
	v_cndmask_b32_e64 v9, v11, v0, s4
	v_lshlrev_b32_e32 v0, 2, v3
	v_cmp_gt_f32_e64 s4, v6, v16
	v_xor_b32_e32 v3, 8, v4
	ds_bpermute_b32 v10, v0, v9
	v_cndmask_b32_e64 v6, v16, v6, s4
	v_cmp_gt_i32_e64 s4, 32, v3
	ds_bpermute_b32 v14, v0, v6
	v_cndmask_b32_e64 v3, v4, v3, s4
	v_lshlrev_b32_e32 v3, 2, v3
	s_waitcnt lgkmcnt(1)
	v_cmp_lt_f32_e64 s4, v9, v10
	v_cndmask_b32_e64 v9, v9, v10, s4
	s_waitcnt lgkmcnt(0)
	v_cmp_lt_f32_e64 s4, v6, v14
	v_cndmask_b32_e64 v10, v6, v14, s4
	ds_bpermute_b32 v14, v3, v9
	v_xor_b32_e32 v6, 4, v4
	ds_bpermute_b32 v15, v3, v10
	v_cmp_gt_i32_e64 s4, 32, v6
	v_cndmask_b32_e64 v6, v4, v6, s4
	v_lshlrev_b32_e32 v6, 2, v6
	s_waitcnt lgkmcnt(1)
	v_cmp_lt_f32_e64 s4, v9, v14
	v_cndmask_b32_e64 v9, v9, v14, s4
	s_waitcnt lgkmcnt(0)
	v_cmp_lt_f32_e64 s4, v10, v15
	v_cndmask_b32_e64 v14, v10, v15, s4
	ds_bpermute_b32 v15, v6, v9
	v_xor_b32_e32 v10, 2, v4
	ds_bpermute_b32 v19, v6, v14
	v_cmp_gt_i32_e64 s4, 32, v10
	;; [unrolled: 12-line block ×3, first 2 shown]
	v_cndmask_b32_e64 v4, v4, v14, s4
	v_lshlrev_b32_e32 v14, 2, v4
	s_waitcnt lgkmcnt(1)
	v_cmp_lt_f32_e64 s4, v9, v19
	v_cndmask_b32_e64 v4, v9, v19, s4
	s_waitcnt lgkmcnt(0)
	v_cmp_lt_f32_e64 s4, v15, v20
	v_cndmask_b32_e64 v9, v15, v20, s4
	ds_bpermute_b32 v15, v14, v4
	ds_bpermute_b32 v19, v14, v9
	s_waitcnt lgkmcnt(1)
	v_cmp_lt_f32_e64 s4, v4, v15
	v_cndmask_b32_e64 v4, v4, v15, s4
	s_waitcnt lgkmcnt(0)
	v_cmp_lt_f32_e64 s4, v9, v19
	v_sub_f32_e32 v7, v7, v4
	v_cndmask_b32_e64 v19, v9, v19, s4
	v_sub_f32_e32 v9, v8, v4
	v_sub_f32_e32 v12, v12, v4
	;; [unrolled: 1-line block ×3, first 2 shown]
	v_cmp_ngt_f32_e64 s4, 0xc2ce8ed0, v7
	v_sub_f32_e32 v8, v13, v19
	v_sub_f32_e32 v13, v16, v19
	v_mul_f32_e32 v16, 0x3fb8aa3b, v7
	v_sub_f32_e32 v4, v17, v19
	v_mul_f32_e32 v17, 0x3fb8aa3b, v9
	;; [unrolled: 2-line block ×3, first 2 shown]
	v_fma_f32 v24, 0x3fb8aa3b, v7, -v16
	v_rndne_f32_e32 v25, v16
	v_fma_f32 v26, 0x3fb8aa3b, v9, -v17
	v_rndne_f32_e32 v27, v17
	v_mul_f32_e32 v19, 0x3fb8aa3b, v15
	v_fmac_f32_e32 v24, 0x32a5705f, v7
	v_sub_f32_e32 v16, v16, v25
	v_fma_f32 v28, 0x3fb8aa3b, v12, -v18
	v_rndne_f32_e32 v29, v18
	v_fmac_f32_e32 v26, 0x32a5705f, v9
	v_sub_f32_e32 v17, v17, v27
	v_add_f32_e32 v16, v16, v24
	v_mul_f32_e32 v20, 0x3fb8aa3b, v4
	v_fma_f32 v30, 0x3fb8aa3b, v15, -v19
	v_rndne_f32_e32 v31, v19
	v_fmac_f32_e32 v28, 0x32a5705f, v12
	v_sub_f32_e32 v18, v18, v29
	v_add_f32_e32 v17, v17, v26
	v_exp_f32_e32 v16, v16
	v_mul_f32_e32 v21, 0x3fb8aa3b, v8
	v_fma_f32 v32, 0x3fb8aa3b, v4, -v20
	v_rndne_f32_e32 v33, v20
	v_cvt_i32_f32_e32 v25, v25
	v_fmac_f32_e32 v30, 0x32a5705f, v15
	v_sub_f32_e32 v19, v19, v31
	v_add_f32_e32 v18, v18, v28
	v_exp_f32_e32 v17, v17
	v_mul_f32_e32 v22, 0x3fb8aa3b, v11
	v_fma_f32 v34, 0x3fb8aa3b, v8, -v21
	v_rndne_f32_e32 v35, v21
	v_cvt_i32_f32_e32 v27, v27
	v_fmac_f32_e32 v32, 0x32a5705f, v4
	v_sub_f32_e32 v20, v20, v33
	v_add_f32_e32 v19, v19, v30
	v_exp_f32_e32 v18, v18
	v_ldexp_f32 v16, v16, v25
	v_mul_f32_e32 v23, 0x3fb8aa3b, v13
	v_fma_f32 v36, 0x3fb8aa3b, v11, -v22
	v_rndne_f32_e32 v37, v22
	v_cvt_i32_f32_e32 v29, v29
	v_fmac_f32_e32 v34, 0x32a5705f, v8
	v_sub_f32_e32 v21, v21, v35
	v_add_f32_e32 v20, v20, v32
	v_exp_f32_e32 v19, v19
	v_ldexp_f32 v17, v17, v27
	v_cndmask_b32_e64 v16, 0, v16, s4
	v_cmp_ngt_f32_e64 s4, 0xc2ce8ed0, v9
	v_fma_f32 v38, 0x3fb8aa3b, v13, -v23
	v_rndne_f32_e32 v39, v23
	v_cvt_i32_f32_e32 v31, v31
	v_fmac_f32_e32 v36, 0x32a5705f, v11
	v_sub_f32_e32 v22, v22, v37
	v_add_f32_e32 v21, v21, v34
	v_exp_f32_e32 v20, v20
	v_ldexp_f32 v18, v18, v29
	v_cndmask_b32_e64 v17, 0, v17, s4
	v_cmp_ngt_f32_e64 s4, 0xc2ce8ed0, v12
	v_cvt_i32_f32_e32 v33, v33
	v_fmac_f32_e32 v38, 0x32a5705f, v13
	v_sub_f32_e32 v23, v23, v39
	v_add_f32_e32 v22, v22, v36
	v_exp_f32_e32 v21, v21
	v_ldexp_f32 v19, v19, v31
	v_cndmask_b32_e64 v18, 0, v18, s4
	v_cmp_ngt_f32_e64 s4, 0xc2ce8ed0, v15
	v_cvt_i32_f32_e32 v35, v35
	v_add_f32_e32 v23, v23, v38
	v_exp_f32_e32 v22, v22
	v_ldexp_f32 v20, v20, v33
	v_cndmask_b32_e64 v19, 0, v19, s4
	v_cmp_ngt_f32_e64 s4, 0xc2ce8ed0, v4
	v_exp_f32_e32 v23, v23
	v_cvt_i32_f32_e32 v24, v37
	v_ldexp_f32 v21, v21, v35
	v_cvt_i32_f32_e32 v26, v39
	v_cndmask_b32_e64 v20, 0, v20, s4
	v_cmp_ngt_f32_e64 s4, 0xc2ce8ed0, v8
	v_ldexp_f32 v22, v22, v24
	v_cndmask_b32_e64 v21, 0, v21, s4
	v_cmp_ngt_f32_e64 s4, 0xc2ce8ed0, v11
	v_ldexp_f32 v23, v23, v26
	v_cndmask_b32_e64 v22, 0, v22, s4
	v_cmp_ngt_f32_e64 s4, 0xc2ce8ed0, v13
	v_cndmask_b32_e64 v23, 0, v23, s4
	v_cmp_nlt_f32_e64 s4, 0x42b17218, v7
	v_cndmask_b32_e64 v16, 0x7f800000, v16, s4
	v_cmp_nlt_f32_e64 s4, 0x42b17218, v9
	;; [unrolled: 2-line block ×3, first 2 shown]
	v_add_f32_e32 v16, v16, v17
	v_cndmask_b32_e64 v20, 0x7f800000, v20, s4
	v_cmp_nlt_f32_e64 s4, 0x42b17218, v8
	v_cndmask_b32_e64 v21, 0x7f800000, v21, s4
	v_cmp_nlt_f32_e64 s4, 0x42b17218, v12
	v_add_f32_e32 v17, v20, v21
	v_cndmask_b32_e64 v18, 0x7f800000, v18, s4
	v_cmp_nlt_f32_e64 s4, 0x42b17218, v11
	v_add_f32_e32 v16, v16, v18
	;; [unrolled: 3-line block ×4, first 2 shown]
	v_cndmask_b32_e64 v20, 0x7f800000, v23, s4
	ds_bpermute_b32 v18, v0, v16
	v_add_f32_e32 v17, v17, v20
	ds_bpermute_b32 v0, v0, v17
	s_waitcnt lgkmcnt(1)
	v_add_f32_e32 v16, v16, v18
	s_waitcnt lgkmcnt(0)
	v_add_f32_e32 v0, v17, v0
	ds_bpermute_b32 v17, v3, v16
	ds_bpermute_b32 v3, v3, v0
	s_waitcnt lgkmcnt(1)
	v_add_f32_e32 v16, v16, v17
	s_waitcnt lgkmcnt(0)
	v_add_f32_e32 v0, v0, v3
	ds_bpermute_b32 v3, v6, v16
	;; [unrolled: 6-line block ×4, first 2 shown]
	ds_bpermute_b32 v6, v14, v3
	s_and_saveexec_b32 s4, s3
	s_cbranch_execz .LBB50_28
; %bb.17:
	v_add_co_u32 v0, s3, s8, v1
	v_add_co_ci_u32_e64 v1, null, s9, v2, s3
	s_and_saveexec_b32 s5, s1
	s_cbranch_execz .LBB50_22
; %bb.18:
	s_waitcnt lgkmcnt(1)
	v_add_f32_e32 v2, v10, v16
	v_cmp_gt_f32_e64 s3, 0x800000, v2
	v_cndmask_b32_e64 v10, 0, 32, s3
	v_ldexp_f32 v2, v2, v10
	v_log_f32_e32 v2, v2
	v_mul_f32_e32 v10, 0x3f317217, v2
	v_cmp_gt_f32_e64 s4, 0x7f800000, |v2|
	v_fma_f32 v10, 0x3f317217, v2, -v10
	v_fmamk_f32 v10, v2, 0x3377d1cf, v10
	v_fmac_f32_e32 v10, 0x3f317217, v2
	v_cndmask_b32_e64 v2, v2, v10, s4
	v_cndmask_b32_e64 v10, 0, 0x41b17218, s3
	v_sub_f32_e32 v2, v2, v10
	v_sub_f32_e32 v7, v7, v2
	global_store_dword v[0:1], v7, off
	s_and_b32 exec_lo, exec_lo, vcc_lo
	s_cbranch_execz .LBB50_22
; %bb.19:
	v_sub_f32_e32 v7, v9, v2
	global_store_dword v[0:1], v7, off offset:128
	s_and_b32 exec_lo, exec_lo, s0
	s_cbranch_execz .LBB50_22
; %bb.20:
	v_sub_f32_e32 v7, v12, v2
	global_store_dword v[0:1], v7, off offset:256
	s_and_b32 exec_lo, exec_lo, s2
	s_cbranch_execz .LBB50_22
; %bb.21:
	v_sub_f32_e32 v2, v15, v2
	global_store_dword v[0:1], v2, off offset:384
.LBB50_22:
	s_or_b32 exec_lo, exec_lo, s5
	v_cmp_ne_u32_e64 s3, 1, v5
	s_and_b32 exec_lo, exec_lo, s3
	s_cbranch_execz .LBB50_28
; %bb.23:
	s_and_b32 exec_lo, exec_lo, s1
	s_cbranch_execz .LBB50_28
; %bb.24:
	s_waitcnt lgkmcnt(0)
	v_add_f32_e32 v2, v3, v6
	s_mov_b32 s15, 0
	s_lshl_b64 s[4:5], s[14:15], 2
	v_cmp_gt_f32_e64 s1, 0x800000, v2
	v_cndmask_b32_e64 v3, 0, 32, s1
	v_cndmask_b32_e64 v5, 0, 0x41b17218, s1
	v_ldexp_f32 v2, v2, v3
	v_log_f32_e32 v2, v2
	v_mul_f32_e32 v3, 0x3f317217, v2
	v_cmp_gt_f32_e64 s1, 0x7f800000, |v2|
	v_fma_f32 v3, 0x3f317217, v2, -v3
	v_fmamk_f32 v3, v2, 0x3377d1cf, v3
	v_fmac_f32_e32 v3, 0x3f317217, v2
	v_cndmask_b32_e64 v2, v2, v3, s1
	v_add_co_u32 v0, s1, v0, s4
	v_add_co_ci_u32_e64 v1, null, s5, v1, s1
	v_sub_f32_e32 v2, v2, v5
	v_sub_f32_e32 v3, v4, v2
	global_store_dword v[0:1], v3, off
	s_and_b32 exec_lo, exec_lo, vcc_lo
	s_cbranch_execz .LBB50_28
; %bb.25:
	v_sub_f32_e32 v3, v8, v2
	global_store_dword v[0:1], v3, off offset:128
	s_and_b32 exec_lo, exec_lo, s0
	s_cbranch_execz .LBB50_28
; %bb.26:
	v_sub_f32_e32 v3, v11, v2
	global_store_dword v[0:1], v3, off offset:256
	s_and_b32 exec_lo, exec_lo, s2
	s_cbranch_execz .LBB50_28
; %bb.27:
	v_sub_f32_e32 v2, v13, v2
	global_store_dword v[0:1], v2, off offset:384
.LBB50_28:
	s_endpgm
	.section	.rodata,"a",@progbits
	.p2align	6, 0x0
	.amdhsa_kernel _ZN12_GLOBAL__N_120softmax_warp_forwardIfffLi7ELb1ELb0ELi32EEEvPT0_PKT_iiiPKbib
		.amdhsa_group_segment_fixed_size 0
		.amdhsa_private_segment_fixed_size 0
		.amdhsa_kernarg_size 304
		.amdhsa_user_sgpr_count 6
		.amdhsa_user_sgpr_private_segment_buffer 1
		.amdhsa_user_sgpr_dispatch_ptr 0
		.amdhsa_user_sgpr_queue_ptr 0
		.amdhsa_user_sgpr_kernarg_segment_ptr 1
		.amdhsa_user_sgpr_dispatch_id 0
		.amdhsa_user_sgpr_flat_scratch_init 0
		.amdhsa_user_sgpr_private_segment_size 0
		.amdhsa_wavefront_size32 1
		.amdhsa_uses_dynamic_stack 0
		.amdhsa_system_sgpr_private_segment_wavefront_offset 0
		.amdhsa_system_sgpr_workgroup_id_x 1
		.amdhsa_system_sgpr_workgroup_id_y 0
		.amdhsa_system_sgpr_workgroup_id_z 0
		.amdhsa_system_sgpr_workgroup_info 0
		.amdhsa_system_vgpr_workitem_id 1
		.amdhsa_next_free_vgpr 40
		.amdhsa_next_free_sgpr 16
		.amdhsa_reserve_vcc 1
		.amdhsa_reserve_flat_scratch 0
		.amdhsa_float_round_mode_32 0
		.amdhsa_float_round_mode_16_64 0
		.amdhsa_float_denorm_mode_32 3
		.amdhsa_float_denorm_mode_16_64 3
		.amdhsa_dx10_clamp 1
		.amdhsa_ieee_mode 1
		.amdhsa_fp16_overflow 0
		.amdhsa_workgroup_processor_mode 1
		.amdhsa_memory_ordered 1
		.amdhsa_forward_progress 1
		.amdhsa_shared_vgpr_count 0
		.amdhsa_exception_fp_ieee_invalid_op 0
		.amdhsa_exception_fp_denorm_src 0
		.amdhsa_exception_fp_ieee_div_zero 0
		.amdhsa_exception_fp_ieee_overflow 0
		.amdhsa_exception_fp_ieee_underflow 0
		.amdhsa_exception_fp_ieee_inexact 0
		.amdhsa_exception_int_div_zero 0
	.end_amdhsa_kernel
	.section	.text._ZN12_GLOBAL__N_120softmax_warp_forwardIfffLi7ELb1ELb0ELi32EEEvPT0_PKT_iiiPKbib,"axG",@progbits,_ZN12_GLOBAL__N_120softmax_warp_forwardIfffLi7ELb1ELb0ELi32EEEvPT0_PKT_iiiPKbib,comdat
.Lfunc_end50:
	.size	_ZN12_GLOBAL__N_120softmax_warp_forwardIfffLi7ELb1ELb0ELi32EEEvPT0_PKT_iiiPKbib, .Lfunc_end50-_ZN12_GLOBAL__N_120softmax_warp_forwardIfffLi7ELb1ELb0ELi32EEEvPT0_PKT_iiiPKbib
                                        ; -- End function
	.set _ZN12_GLOBAL__N_120softmax_warp_forwardIfffLi7ELb1ELb0ELi32EEEvPT0_PKT_iiiPKbib.num_vgpr, 40
	.set _ZN12_GLOBAL__N_120softmax_warp_forwardIfffLi7ELb1ELb0ELi32EEEvPT0_PKT_iiiPKbib.num_agpr, 0
	.set _ZN12_GLOBAL__N_120softmax_warp_forwardIfffLi7ELb1ELb0ELi32EEEvPT0_PKT_iiiPKbib.numbered_sgpr, 16
	.set _ZN12_GLOBAL__N_120softmax_warp_forwardIfffLi7ELb1ELb0ELi32EEEvPT0_PKT_iiiPKbib.num_named_barrier, 0
	.set _ZN12_GLOBAL__N_120softmax_warp_forwardIfffLi7ELb1ELb0ELi32EEEvPT0_PKT_iiiPKbib.private_seg_size, 0
	.set _ZN12_GLOBAL__N_120softmax_warp_forwardIfffLi7ELb1ELb0ELi32EEEvPT0_PKT_iiiPKbib.uses_vcc, 1
	.set _ZN12_GLOBAL__N_120softmax_warp_forwardIfffLi7ELb1ELb0ELi32EEEvPT0_PKT_iiiPKbib.uses_flat_scratch, 0
	.set _ZN12_GLOBAL__N_120softmax_warp_forwardIfffLi7ELb1ELb0ELi32EEEvPT0_PKT_iiiPKbib.has_dyn_sized_stack, 0
	.set _ZN12_GLOBAL__N_120softmax_warp_forwardIfffLi7ELb1ELb0ELi32EEEvPT0_PKT_iiiPKbib.has_recursion, 0
	.set _ZN12_GLOBAL__N_120softmax_warp_forwardIfffLi7ELb1ELb0ELi32EEEvPT0_PKT_iiiPKbib.has_indirect_call, 0
	.section	.AMDGPU.csdata,"",@progbits
; Kernel info:
; codeLenInByte = 2464
; TotalNumSgprs: 18
; NumVgprs: 40
; ScratchSize: 0
; MemoryBound: 0
; FloatMode: 240
; IeeeMode: 1
; LDSByteSize: 0 bytes/workgroup (compile time only)
; SGPRBlocks: 0
; VGPRBlocks: 4
; NumSGPRsForWavesPerEU: 18
; NumVGPRsForWavesPerEU: 40
; Occupancy: 16
; WaveLimiterHint : 0
; COMPUTE_PGM_RSRC2:SCRATCH_EN: 0
; COMPUTE_PGM_RSRC2:USER_SGPR: 6
; COMPUTE_PGM_RSRC2:TRAP_HANDLER: 0
; COMPUTE_PGM_RSRC2:TGID_X_EN: 1
; COMPUTE_PGM_RSRC2:TGID_Y_EN: 0
; COMPUTE_PGM_RSRC2:TGID_Z_EN: 0
; COMPUTE_PGM_RSRC2:TIDIG_COMP_CNT: 1
	.section	.text._ZN12_GLOBAL__N_120softmax_warp_forwardIfffLi8ELb1ELb0ELi64EEEvPT0_PKT_iiiPKbib,"axG",@progbits,_ZN12_GLOBAL__N_120softmax_warp_forwardIfffLi8ELb1ELb0ELi64EEEvPT0_PKT_iiiPKbib,comdat
	.globl	_ZN12_GLOBAL__N_120softmax_warp_forwardIfffLi8ELb1ELb0ELi64EEEvPT0_PKT_iiiPKbib ; -- Begin function _ZN12_GLOBAL__N_120softmax_warp_forwardIfffLi8ELb1ELb0ELi64EEEvPT0_PKT_iiiPKbib
	.p2align	8
	.type	_ZN12_GLOBAL__N_120softmax_warp_forwardIfffLi8ELb1ELb0ELi64EEEvPT0_PKT_iiiPKbib,@function
_ZN12_GLOBAL__N_120softmax_warp_forwardIfffLi8ELb1ELb0ELi64EEEvPT0_PKT_iiiPKbib: ; @_ZN12_GLOBAL__N_120softmax_warp_forwardIfffLi8ELb1ELb0ELi64EEEvPT0_PKT_iiiPKbib
; %bb.0:
	s_clause 0x1
	s_load_dword s0, s[4:5], 0x3c
	s_load_dwordx8 s[8:15], s[4:5], 0x0
	v_mov_b32_e32 v6, 0xff800000
	v_mov_b32_e32 v8, 0xff800000
	s_waitcnt lgkmcnt(0)
	s_lshr_b32 s0, s0, 16
	v_cmp_gt_i32_e64 s1, s14, v0
	v_mad_u64_u32 v[1:2], null, s6, s0, v[1:2]
	v_mad_u64_u32 v[2:3], null, v1, s13, v[0:1]
	v_sub_nc_u32_e32 v5, s12, v1
	v_cmp_lt_i32_e64 s3, 0, v5
	v_ashrrev_i32_e32 v3, 31, v2
	s_and_b32 s2, s3, s1
	v_lshlrev_b64 v[1:2], 2, v[2:3]
	v_add_co_u32 v3, vcc_lo, s10, v1
	v_add_co_ci_u32_e64 v4, null, s11, v2, vcc_lo
	s_and_saveexec_b32 s0, s2
	s_cbranch_execz .LBB51_2
; %bb.1:
	global_load_dword v8, v[3:4], off
.LBB51_2:
	s_or_b32 exec_lo, exec_lo, s0
	v_add_nc_u32_e32 v7, 64, v0
	v_cmp_gt_i32_e32 vcc_lo, s14, v7
	s_and_b32 s2, s3, vcc_lo
	s_and_saveexec_b32 s0, s2
	s_cbranch_execz .LBB51_4
; %bb.3:
	global_load_dword v6, v[3:4], off offset:256
.LBB51_4:
	s_or_b32 exec_lo, exec_lo, s0
	v_add_nc_u32_e32 v7, 0x80, v0
	v_mov_b32_e32 v9, 0xff800000
	v_cmp_gt_i32_e64 s0, s14, v7
	v_mov_b32_e32 v7, 0xff800000
	s_and_b32 s4, s3, s0
	s_and_saveexec_b32 s2, s4
	s_cbranch_execz .LBB51_6
; %bb.5:
	global_load_dword v9, v[3:4], off offset:512
.LBB51_6:
	s_or_b32 exec_lo, exec_lo, s2
	v_add_nc_u32_e32 v0, 0xc0, v0
	v_cmp_gt_i32_e64 s2, s14, v0
	s_and_b32 s4, s3, s2
	s_and_saveexec_b32 s3, s4
	s_cbranch_execz .LBB51_8
; %bb.7:
	global_load_dword v7, v[3:4], off offset:768
.LBB51_8:
	s_or_b32 exec_lo, exec_lo, s3
	s_waitcnt vmcnt(0)
	v_cmp_gt_f32_e64 s3, v8, v6
	v_mbcnt_lo_u32_b32 v0, -1, 0
	s_mov_b32 s4, exec_lo
	v_cndmask_b32_e64 v3, v6, v8, s3
	v_or_b32_e32 v4, 32, v0
	v_xor_b32_e32 v11, 16, v0
	v_xor_b32_e32 v12, 8, v0
	;; [unrolled: 1-line block ×3, first 2 shown]
	v_cmp_gt_f32_e64 s3, v3, v9
	v_xor_b32_e32 v14, 2, v0
	v_xor_b32_e32 v15, 1, v0
	v_cndmask_b32_e64 v3, v9, v3, s3
	v_cmp_gt_i32_e64 s3, 64, v4
	v_cndmask_b32_e64 v4, v0, v4, s3
	v_cmp_gt_f32_e64 s3, v3, v7
	v_lshlrev_b32_e32 v10, 2, v4
	v_cndmask_b32_e64 v3, v7, v3, s3
	v_cmp_gt_i32_e64 s3, 64, v11
	ds_bpermute_b32 v4, v10, v3
	v_cndmask_b32_e64 v11, v0, v11, s3
	v_lshlrev_b32_e32 v11, 2, v11
	s_waitcnt lgkmcnt(0)
	v_cmp_lt_f32_e64 s3, v3, v4
	v_cndmask_b32_e64 v3, v3, v4, s3
	v_cmp_gt_i32_e64 s3, 64, v12
	ds_bpermute_b32 v4, v11, v3
	v_cndmask_b32_e64 v12, v0, v12, s3
	v_lshlrev_b32_e32 v12, 2, v12
	s_waitcnt lgkmcnt(0)
	v_cmp_lt_f32_e64 s3, v3, v4
	;; [unrolled: 7-line block ×5, first 2 shown]
	v_cndmask_b32_e64 v0, v3, v4, s3
	ds_bpermute_b32 v3, v15, v0
	s_waitcnt lgkmcnt(0)
	v_cmp_lt_f32_e64 s3, v0, v3
	v_cndmask_b32_e64 v0, v0, v3, s3
	v_sub_f32_e32 v3, v8, v0
	v_sub_f32_e32 v4, v6, v0
	;; [unrolled: 1-line block ×4, first 2 shown]
	v_mul_f32_e32 v0, 0x3fb8aa3b, v3
	v_mul_f32_e32 v8, 0x3fb8aa3b, v4
	;; [unrolled: 1-line block ×4, first 2 shown]
	v_cmp_ngt_f32_e64 s3, 0xc2ce8ed0, v3
	v_fma_f32 v17, 0x3fb8aa3b, v3, -v0
	v_rndne_f32_e32 v18, v0
	v_fma_f32 v19, 0x3fb8aa3b, v4, -v8
	v_rndne_f32_e32 v20, v8
	v_fma_f32 v21, 0x3fb8aa3b, v6, -v9
	v_fmac_f32_e32 v17, 0x32a5705f, v3
	v_sub_f32_e32 v0, v0, v18
	v_rndne_f32_e32 v22, v9
	v_fmac_f32_e32 v19, 0x32a5705f, v4
	v_sub_f32_e32 v8, v8, v20
	v_fmac_f32_e32 v21, 0x32a5705f, v6
	v_add_f32_e32 v0, v0, v17
	v_sub_f32_e32 v9, v9, v22
	v_cvt_i32_f32_e32 v18, v18
	v_add_f32_e32 v8, v8, v19
	v_cvt_i32_f32_e32 v19, v20
	v_exp_f32_e32 v0, v0
	v_add_f32_e32 v9, v9, v21
	v_fma_f32 v23, 0x3fb8aa3b, v7, -v16
	v_exp_f32_e32 v8, v8
	v_rndne_f32_e32 v17, v16
	v_cvt_i32_f32_e32 v20, v22
	v_exp_f32_e32 v9, v9
	v_fmac_f32_e32 v23, 0x32a5705f, v7
	v_sub_f32_e32 v16, v16, v17
	v_ldexp_f32 v0, v0, v18
	v_cvt_i32_f32_e32 v17, v17
	v_ldexp_f32 v8, v8, v19
	v_add_f32_e32 v16, v16, v23
	v_cndmask_b32_e64 v0, 0, v0, s3
	v_cmp_ngt_f32_e64 s3, 0xc2ce8ed0, v4
	v_ldexp_f32 v9, v9, v20
	v_exp_f32_e32 v16, v16
	v_cndmask_b32_e64 v8, 0, v8, s3
	v_cmp_ngt_f32_e64 s3, 0xc2ce8ed0, v6
	v_cndmask_b32_e64 v9, 0, v9, s3
	v_cmp_nlt_f32_e64 s3, 0x42b17218, v3
	v_ldexp_f32 v16, v16, v17
	v_cndmask_b32_e64 v0, 0x7f800000, v0, s3
	v_cmp_nlt_f32_e64 s3, 0x42b17218, v4
	v_cndmask_b32_e64 v8, 0x7f800000, v8, s3
	v_cmp_nlt_f32_e64 s3, 0x42b17218, v6
	v_add_f32_e32 v0, v0, v8
	v_cndmask_b32_e64 v9, 0x7f800000, v9, s3
	v_cmp_ngt_f32_e64 s3, 0xc2ce8ed0, v7
	v_add_f32_e32 v0, v0, v9
	v_cndmask_b32_e64 v8, 0, v16, s3
	v_cmp_nlt_f32_e64 s3, 0x42b17218, v7
	v_cndmask_b32_e64 v8, 0x7f800000, v8, s3
	v_add_f32_e32 v0, v0, v8
	ds_bpermute_b32 v8, v10, v0
	s_waitcnt lgkmcnt(0)
	v_add_f32_e32 v0, v0, v8
	ds_bpermute_b32 v8, v11, v0
	s_waitcnt lgkmcnt(0)
	;; [unrolled: 3-line block ×5, first 2 shown]
	v_add_f32_e32 v0, v0, v8
	ds_bpermute_b32 v8, v15, v0
	v_cmpx_lt_i32_e32 0, v5
	s_cbranch_execz .LBB51_14
; %bb.9:
	s_and_b32 exec_lo, exec_lo, s1
	s_cbranch_execz .LBB51_14
; %bb.10:
	s_waitcnt lgkmcnt(0)
	v_add_f32_e32 v0, v0, v8
	v_cmp_gt_f32_e64 s1, 0x800000, v0
	v_cndmask_b32_e64 v5, 0, 32, s1
	v_ldexp_f32 v0, v0, v5
	v_log_f32_e32 v0, v0
	v_mul_f32_e32 v5, 0x3f317217, v0
	v_cmp_gt_f32_e64 s3, 0x7f800000, |v0|
	v_fma_f32 v5, 0x3f317217, v0, -v5
	v_fmamk_f32 v5, v0, 0x3377d1cf, v5
	v_fmac_f32_e32 v5, 0x3f317217, v0
	v_cndmask_b32_e64 v0, v0, v5, s3
	v_cndmask_b32_e64 v5, 0, 0x41b17218, s1
	v_sub_f32_e32 v5, v0, v5
	v_add_co_u32 v0, s1, s8, v1
	v_add_co_ci_u32_e64 v1, null, s9, v2, s1
	v_sub_f32_e32 v2, v3, v5
	global_store_dword v[0:1], v2, off
	s_and_b32 exec_lo, exec_lo, vcc_lo
	s_cbranch_execz .LBB51_14
; %bb.11:
	v_sub_f32_e32 v2, v4, v5
	global_store_dword v[0:1], v2, off offset:256
	s_and_b32 exec_lo, exec_lo, s0
	s_cbranch_execz .LBB51_14
; %bb.12:
	v_sub_f32_e32 v2, v6, v5
	global_store_dword v[0:1], v2, off offset:512
	s_and_b32 exec_lo, exec_lo, s2
	s_cbranch_execz .LBB51_14
; %bb.13:
	v_sub_f32_e32 v2, v7, v5
	global_store_dword v[0:1], v2, off offset:768
.LBB51_14:
	s_endpgm
	.section	.rodata,"a",@progbits
	.p2align	6, 0x0
	.amdhsa_kernel _ZN12_GLOBAL__N_120softmax_warp_forwardIfffLi8ELb1ELb0ELi64EEEvPT0_PKT_iiiPKbib
		.amdhsa_group_segment_fixed_size 0
		.amdhsa_private_segment_fixed_size 0
		.amdhsa_kernarg_size 304
		.amdhsa_user_sgpr_count 6
		.amdhsa_user_sgpr_private_segment_buffer 1
		.amdhsa_user_sgpr_dispatch_ptr 0
		.amdhsa_user_sgpr_queue_ptr 0
		.amdhsa_user_sgpr_kernarg_segment_ptr 1
		.amdhsa_user_sgpr_dispatch_id 0
		.amdhsa_user_sgpr_flat_scratch_init 0
		.amdhsa_user_sgpr_private_segment_size 0
		.amdhsa_wavefront_size32 1
		.amdhsa_uses_dynamic_stack 0
		.amdhsa_system_sgpr_private_segment_wavefront_offset 0
		.amdhsa_system_sgpr_workgroup_id_x 1
		.amdhsa_system_sgpr_workgroup_id_y 0
		.amdhsa_system_sgpr_workgroup_id_z 0
		.amdhsa_system_sgpr_workgroup_info 0
		.amdhsa_system_vgpr_workitem_id 1
		.amdhsa_next_free_vgpr 24
		.amdhsa_next_free_sgpr 16
		.amdhsa_reserve_vcc 1
		.amdhsa_reserve_flat_scratch 0
		.amdhsa_float_round_mode_32 0
		.amdhsa_float_round_mode_16_64 0
		.amdhsa_float_denorm_mode_32 3
		.amdhsa_float_denorm_mode_16_64 3
		.amdhsa_dx10_clamp 1
		.amdhsa_ieee_mode 1
		.amdhsa_fp16_overflow 0
		.amdhsa_workgroup_processor_mode 1
		.amdhsa_memory_ordered 1
		.amdhsa_forward_progress 1
		.amdhsa_shared_vgpr_count 0
		.amdhsa_exception_fp_ieee_invalid_op 0
		.amdhsa_exception_fp_denorm_src 0
		.amdhsa_exception_fp_ieee_div_zero 0
		.amdhsa_exception_fp_ieee_overflow 0
		.amdhsa_exception_fp_ieee_underflow 0
		.amdhsa_exception_fp_ieee_inexact 0
		.amdhsa_exception_int_div_zero 0
	.end_amdhsa_kernel
	.section	.text._ZN12_GLOBAL__N_120softmax_warp_forwardIfffLi8ELb1ELb0ELi64EEEvPT0_PKT_iiiPKbib,"axG",@progbits,_ZN12_GLOBAL__N_120softmax_warp_forwardIfffLi8ELb1ELb0ELi64EEEvPT0_PKT_iiiPKbib,comdat
.Lfunc_end51:
	.size	_ZN12_GLOBAL__N_120softmax_warp_forwardIfffLi8ELb1ELb0ELi64EEEvPT0_PKT_iiiPKbib, .Lfunc_end51-_ZN12_GLOBAL__N_120softmax_warp_forwardIfffLi8ELb1ELb0ELi64EEEvPT0_PKT_iiiPKbib
                                        ; -- End function
	.set _ZN12_GLOBAL__N_120softmax_warp_forwardIfffLi8ELb1ELb0ELi64EEEvPT0_PKT_iiiPKbib.num_vgpr, 24
	.set _ZN12_GLOBAL__N_120softmax_warp_forwardIfffLi8ELb1ELb0ELi64EEEvPT0_PKT_iiiPKbib.num_agpr, 0
	.set _ZN12_GLOBAL__N_120softmax_warp_forwardIfffLi8ELb1ELb0ELi64EEEvPT0_PKT_iiiPKbib.numbered_sgpr, 16
	.set _ZN12_GLOBAL__N_120softmax_warp_forwardIfffLi8ELb1ELb0ELi64EEEvPT0_PKT_iiiPKbib.num_named_barrier, 0
	.set _ZN12_GLOBAL__N_120softmax_warp_forwardIfffLi8ELb1ELb0ELi64EEEvPT0_PKT_iiiPKbib.private_seg_size, 0
	.set _ZN12_GLOBAL__N_120softmax_warp_forwardIfffLi8ELb1ELb0ELi64EEEvPT0_PKT_iiiPKbib.uses_vcc, 1
	.set _ZN12_GLOBAL__N_120softmax_warp_forwardIfffLi8ELb1ELb0ELi64EEEvPT0_PKT_iiiPKbib.uses_flat_scratch, 0
	.set _ZN12_GLOBAL__N_120softmax_warp_forwardIfffLi8ELb1ELb0ELi64EEEvPT0_PKT_iiiPKbib.has_dyn_sized_stack, 0
	.set _ZN12_GLOBAL__N_120softmax_warp_forwardIfffLi8ELb1ELb0ELi64EEEvPT0_PKT_iiiPKbib.has_recursion, 0
	.set _ZN12_GLOBAL__N_120softmax_warp_forwardIfffLi8ELb1ELb0ELi64EEEvPT0_PKT_iiiPKbib.has_indirect_call, 0
	.section	.AMDGPU.csdata,"",@progbits
; Kernel info:
; codeLenInByte = 1372
; TotalNumSgprs: 18
; NumVgprs: 24
; ScratchSize: 0
; MemoryBound: 0
; FloatMode: 240
; IeeeMode: 1
; LDSByteSize: 0 bytes/workgroup (compile time only)
; SGPRBlocks: 0
; VGPRBlocks: 2
; NumSGPRsForWavesPerEU: 18
; NumVGPRsForWavesPerEU: 24
; Occupancy: 16
; WaveLimiterHint : 0
; COMPUTE_PGM_RSRC2:SCRATCH_EN: 0
; COMPUTE_PGM_RSRC2:USER_SGPR: 6
; COMPUTE_PGM_RSRC2:TRAP_HANDLER: 0
; COMPUTE_PGM_RSRC2:TGID_X_EN: 1
; COMPUTE_PGM_RSRC2:TGID_Y_EN: 0
; COMPUTE_PGM_RSRC2:TGID_Z_EN: 0
; COMPUTE_PGM_RSRC2:TIDIG_COMP_CNT: 1
	.section	.text._ZN12_GLOBAL__N_120softmax_warp_forwardIfffLi8ELb1ELb0ELi32EEEvPT0_PKT_iiiPKbib,"axG",@progbits,_ZN12_GLOBAL__N_120softmax_warp_forwardIfffLi8ELb1ELb0ELi32EEEvPT0_PKT_iiiPKbib,comdat
	.globl	_ZN12_GLOBAL__N_120softmax_warp_forwardIfffLi8ELb1ELb0ELi32EEEvPT0_PKT_iiiPKbib ; -- Begin function _ZN12_GLOBAL__N_120softmax_warp_forwardIfffLi8ELb1ELb0ELi32EEEvPT0_PKT_iiiPKbib
	.p2align	8
	.type	_ZN12_GLOBAL__N_120softmax_warp_forwardIfffLi8ELb1ELb0ELi32EEEvPT0_PKT_iiiPKbib,@function
_ZN12_GLOBAL__N_120softmax_warp_forwardIfffLi8ELb1ELb0ELi32EEEvPT0_PKT_iiiPKbib: ; @_ZN12_GLOBAL__N_120softmax_warp_forwardIfffLi8ELb1ELb0ELi32EEEvPT0_PKT_iiiPKbib
; %bb.0:
	s_clause 0x1
	s_load_dword s0, s[4:5], 0x3c
	s_load_dwordx8 s[8:15], s[4:5], 0x0
	v_mov_b32_e32 v6, 0xff800000
	v_mov_b32_e32 v7, 0xff800000
	s_waitcnt lgkmcnt(0)
	s_lshr_b32 s0, s0, 16
	v_cmp_gt_i32_e64 s1, s14, v0
	v_mad_u64_u32 v[1:2], null, s6, s0, v[1:2]
	v_mad_u64_u32 v[2:3], null, v1, s13, v[0:1]
	v_sub_nc_u32_e32 v5, s12, v1
	v_cmp_lt_i32_e64 s7, 0, v5
	v_ashrrev_i32_e32 v3, 31, v2
	s_and_b32 s2, s7, s1
	v_lshlrev_b64 v[1:2], 2, v[2:3]
	v_add_co_u32 v3, vcc_lo, s10, v1
	v_add_co_ci_u32_e64 v4, null, s11, v2, vcc_lo
	s_and_saveexec_b32 s0, s2
	s_cbranch_execz .LBB52_2
; %bb.1:
	global_load_dword v7, v[3:4], off
.LBB52_2:
	s_or_b32 exec_lo, exec_lo, s0
	v_add_nc_u32_e32 v8, 32, v0
	v_cmp_gt_i32_e32 vcc_lo, s14, v8
	s_and_b32 s2, s7, vcc_lo
	s_and_saveexec_b32 s0, s2
	s_cbranch_execz .LBB52_4
; %bb.3:
	global_load_dword v6, v[3:4], off offset:128
.LBB52_4:
	s_or_b32 exec_lo, exec_lo, s0
	v_add_nc_u32_e32 v8, 64, v0
	v_mov_b32_e32 v9, 0xff800000
	v_cmp_gt_i32_e64 s0, s14, v8
	v_mov_b32_e32 v8, 0xff800000
	s_and_b32 s3, s7, s0
	s_and_saveexec_b32 s2, s3
	s_cbranch_execz .LBB52_6
; %bb.5:
	global_load_dword v9, v[3:4], off offset:256
.LBB52_6:
	s_or_b32 exec_lo, exec_lo, s2
	v_add_nc_u32_e32 v10, 0x60, v0
	v_cmp_gt_i32_e64 s2, s14, v10
	s_and_b32 s4, s7, s2
	s_and_saveexec_b32 s3, s4
	s_cbranch_execz .LBB52_8
; %bb.7:
	global_load_dword v8, v[3:4], off offset:384
.LBB52_8:
	s_or_b32 exec_lo, exec_lo, s3
	v_add_nc_u32_e32 v10, 0x80, v0
	v_mov_b32_e32 v11, 0xff800000
	v_cmp_gt_i32_e64 s3, s14, v10
	v_mov_b32_e32 v10, 0xff800000
	s_and_b32 s5, s7, s3
	s_and_saveexec_b32 s4, s5
	s_cbranch_execz .LBB52_10
; %bb.9:
	global_load_dword v11, v[3:4], off offset:512
.LBB52_10:
	s_or_b32 exec_lo, exec_lo, s4
	v_add_nc_u32_e32 v12, 0xa0, v0
	v_cmp_gt_i32_e64 s4, s14, v12
	s_and_b32 s6, s7, s4
	;; [unrolled: 20-line block ×3, first 2 shown]
	s_and_saveexec_b32 s7, s10
	s_cbranch_execz .LBB52_16
; %bb.15:
	global_load_dword v12, v[3:4], off offset:896
.LBB52_16:
	s_or_b32 exec_lo, exec_lo, s7
	s_waitcnt vmcnt(0)
	v_cmp_gt_f32_e64 s7, v7, v6
	v_mbcnt_lo_u32_b32 v3, -1, 0
	s_mov_b32 s10, exec_lo
	v_cndmask_b32_e64 v0, v6, v7, s7
	v_xor_b32_e32 v4, 16, v3
	v_xor_b32_e32 v16, 4, v3
	;; [unrolled: 1-line block ×4, first 2 shown]
	v_cmp_gt_f32_e64 s7, v0, v9
	v_cndmask_b32_e64 v0, v9, v0, s7
	v_cmp_gt_f32_e64 s7, v0, v8
	v_cndmask_b32_e64 v0, v8, v0, s7
	;; [unrolled: 2-line block ×4, first 2 shown]
	v_cmp_gt_i32_e64 s7, 32, v4
	v_cndmask_b32_e64 v4, v3, v4, s7
	v_cmp_gt_f32_e64 s7, v0, v13
	v_cndmask_b32_e64 v14, v13, v0, s7
	v_lshlrev_b32_e32 v0, 2, v4
	v_xor_b32_e32 v4, 8, v3
	v_cmp_gt_f32_e64 s7, v14, v12
	v_cndmask_b32_e64 v14, v12, v14, s7
	v_cmp_gt_i32_e64 s7, 32, v4
	ds_bpermute_b32 v15, v0, v14
	v_cndmask_b32_e64 v4, v3, v4, s7
	v_lshlrev_b32_e32 v4, 2, v4
	s_waitcnt lgkmcnt(0)
	v_cmp_lt_f32_e64 s7, v14, v15
	v_cndmask_b32_e64 v14, v14, v15, s7
	v_cmp_gt_i32_e64 s7, 32, v16
	ds_bpermute_b32 v15, v4, v14
	v_cndmask_b32_e64 v16, v3, v16, s7
	v_lshlrev_b32_e32 v16, 2, v16
	s_waitcnt lgkmcnt(0)
	v_cmp_lt_f32_e64 s7, v14, v15
	v_cndmask_b32_e64 v14, v14, v15, s7
	v_cmp_gt_i32_e64 s7, 32, v17
	ds_bpermute_b32 v15, v16, v14
	v_cndmask_b32_e64 v17, v3, v17, s7
	v_lshlrev_b32_e32 v17, 2, v17
	s_waitcnt lgkmcnt(0)
	v_cmp_lt_f32_e64 s7, v14, v15
	v_cndmask_b32_e64 v14, v14, v15, s7
	v_cmp_gt_i32_e64 s7, 32, v18
	ds_bpermute_b32 v15, v17, v14
	v_cndmask_b32_e64 v3, v3, v18, s7
	v_lshlrev_b32_e32 v18, 2, v3
	s_waitcnt lgkmcnt(0)
	v_cmp_lt_f32_e64 s7, v14, v15
	v_cndmask_b32_e64 v3, v14, v15, s7
	ds_bpermute_b32 v14, v18, v3
	s_waitcnt lgkmcnt(0)
	v_cmp_lt_f32_e64 s7, v3, v14
	v_cndmask_b32_e64 v14, v3, v14, s7
	v_sub_f32_e32 v3, v7, v14
	v_sub_f32_e32 v6, v6, v14
	v_sub_f32_e32 v7, v9, v14
	v_sub_f32_e32 v9, v11, v14
	v_sub_f32_e32 v11, v13, v14
	v_mul_f32_e32 v13, 0x3fb8aa3b, v3
	v_sub_f32_e32 v8, v8, v14
	v_sub_f32_e32 v10, v10, v14
	;; [unrolled: 1-line block ×3, first 2 shown]
	v_mul_f32_e32 v14, 0x3fb8aa3b, v6
	v_fma_f32 v24, 0x3fb8aa3b, v3, -v13
	v_rndne_f32_e32 v25, v13
	v_mul_f32_e32 v15, 0x3fb8aa3b, v7
	v_mul_f32_e32 v19, 0x3fb8aa3b, v8
	v_fma_f32 v26, 0x3fb8aa3b, v6, -v14
	v_rndne_f32_e32 v27, v14
	v_fmac_f32_e32 v24, 0x32a5705f, v3
	v_sub_f32_e32 v13, v13, v25
	v_fma_f32 v28, 0x3fb8aa3b, v7, -v15
	v_rndne_f32_e32 v29, v15
	v_fmac_f32_e32 v26, 0x32a5705f, v6
	v_sub_f32_e32 v14, v14, v27
	v_add_f32_e32 v13, v13, v24
	v_fmac_f32_e32 v28, 0x32a5705f, v7
	v_sub_f32_e32 v15, v15, v29
	v_cvt_i32_f32_e32 v25, v25
	v_add_f32_e32 v14, v14, v26
	v_exp_f32_e32 v13, v13
	v_fma_f32 v30, 0x3fb8aa3b, v8, -v19
	v_add_f32_e32 v15, v15, v28
	v_rndne_f32_e32 v31, v19
	v_exp_f32_e32 v14, v14
	v_cvt_i32_f32_e32 v27, v27
	v_cmp_ngt_f32_e64 s7, 0xc2ce8ed0, v3
	v_exp_f32_e32 v15, v15
	v_mul_f32_e32 v20, 0x3fb8aa3b, v9
	v_cvt_i32_f32_e32 v29, v29
	v_ldexp_f32 v13, v13, v25
	v_fmac_f32_e32 v30, 0x32a5705f, v8
	v_sub_f32_e32 v19, v19, v31
	v_fma_f32 v32, 0x3fb8aa3b, v9, -v20
	v_ldexp_f32 v14, v14, v27
	v_cndmask_b32_e64 v13, 0, v13, s7
	v_cmp_ngt_f32_e64 s7, 0xc2ce8ed0, v6
	v_rndne_f32_e32 v33, v20
	v_add_f32_e32 v19, v19, v30
	v_ldexp_f32 v15, v15, v29
	v_mul_f32_e32 v21, 0x3fb8aa3b, v10
	v_cndmask_b32_e64 v14, 0, v14, s7
	v_cmp_ngt_f32_e64 s7, 0xc2ce8ed0, v7
	v_fmac_f32_e32 v32, 0x32a5705f, v9
	v_sub_f32_e32 v20, v20, v33
	v_exp_f32_e32 v19, v19
	v_fma_f32 v34, 0x3fb8aa3b, v10, -v21
	v_cndmask_b32_e64 v15, 0, v15, s7
	v_cmp_nlt_f32_e64 s7, 0x42b17218, v3
	v_rndne_f32_e32 v35, v21
	v_cvt_i32_f32_e32 v31, v31
	v_add_f32_e32 v20, v20, v32
	v_mul_f32_e32 v22, 0x3fb8aa3b, v11
	v_cndmask_b32_e64 v13, 0x7f800000, v13, s7
	v_cmp_nlt_f32_e64 s7, 0x42b17218, v6
	v_fmac_f32_e32 v34, 0x32a5705f, v10
	v_sub_f32_e32 v21, v21, v35
	v_exp_f32_e32 v20, v20
	v_ldexp_f32 v19, v19, v31
	v_cndmask_b32_e64 v14, 0x7f800000, v14, s7
	v_cmp_ngt_f32_e64 s7, 0xc2ce8ed0, v8
	v_fma_f32 v36, 0x3fb8aa3b, v11, -v22
	v_rndne_f32_e32 v37, v22
	v_cvt_i32_f32_e32 v33, v33
	v_add_f32_e32 v21, v21, v34
	v_cndmask_b32_e64 v19, 0, v19, s7
	v_cmp_nlt_f32_e64 s7, 0x42b17218, v7
	v_fmac_f32_e32 v36, 0x32a5705f, v11
	v_sub_f32_e32 v22, v22, v37
	v_exp_f32_e32 v21, v21
	v_ldexp_f32 v20, v20, v33
	v_cndmask_b32_e64 v15, 0x7f800000, v15, s7
	v_cmp_ngt_f32_e64 s7, 0xc2ce8ed0, v9
	v_mul_f32_e32 v23, 0x3fb8aa3b, v12
	v_cvt_i32_f32_e32 v35, v35
	v_add_f32_e32 v22, v22, v36
	v_add_f32_e32 v13, v13, v14
	v_cndmask_b32_e64 v14, 0, v20, s7
	v_cmp_nlt_f32_e64 s7, 0x42b17218, v8
	v_fma_f32 v38, 0x3fb8aa3b, v12, -v23
	v_rndne_f32_e32 v39, v23
	v_exp_f32_e32 v22, v22
	v_ldexp_f32 v21, v21, v35
	v_cndmask_b32_e64 v19, 0x7f800000, v19, s7
	v_cmp_ngt_f32_e64 s7, 0xc2ce8ed0, v10
	v_fmac_f32_e32 v38, 0x32a5705f, v12
	v_sub_f32_e32 v23, v23, v39
	v_cvt_i32_f32_e32 v24, v37
	v_add_f32_e32 v13, v13, v15
	v_cndmask_b32_e64 v15, 0, v21, s7
	v_cmp_nlt_f32_e64 s7, 0x42b17218, v9
	v_add_f32_e32 v23, v23, v38
	v_ldexp_f32 v22, v22, v24
	v_add_f32_e32 v13, v13, v19
	v_cvt_i32_f32_e32 v26, v39
	v_cndmask_b32_e64 v14, 0x7f800000, v14, s7
	v_cmp_ngt_f32_e64 s7, 0xc2ce8ed0, v11
	v_exp_f32_e32 v23, v23
	v_add_f32_e32 v13, v13, v14
	v_cndmask_b32_e64 v19, 0, v22, s7
	v_cmp_nlt_f32_e64 s7, 0x42b17218, v10
	v_cndmask_b32_e64 v15, 0x7f800000, v15, s7
	v_cmp_nlt_f32_e64 s7, 0x42b17218, v11
	v_ldexp_f32 v14, v23, v26
	v_add_f32_e32 v13, v13, v15
	v_cndmask_b32_e64 v19, 0x7f800000, v19, s7
	v_cmp_ngt_f32_e64 s7, 0xc2ce8ed0, v12
	v_add_f32_e32 v13, v13, v19
	v_cndmask_b32_e64 v14, 0, v14, s7
	v_cmp_nlt_f32_e64 s7, 0x42b17218, v12
	v_cndmask_b32_e64 v14, 0x7f800000, v14, s7
	v_add_f32_e32 v13, v13, v14
	ds_bpermute_b32 v0, v0, v13
	s_waitcnt lgkmcnt(0)
	v_add_f32_e32 v0, v13, v0
	ds_bpermute_b32 v4, v4, v0
	s_waitcnt lgkmcnt(0)
	;; [unrolled: 3-line block ×4, first 2 shown]
	v_add_f32_e32 v0, v0, v4
	ds_bpermute_b32 v4, v18, v0
	v_cmpx_lt_i32_e32 0, v5
	s_cbranch_execz .LBB52_26
; %bb.17:
	s_and_b32 exec_lo, exec_lo, s1
	s_cbranch_execz .LBB52_26
; %bb.18:
	s_waitcnt lgkmcnt(0)
	v_add_f32_e32 v0, v0, v4
	v_cmp_gt_f32_e64 s1, 0x800000, v0
	v_cndmask_b32_e64 v4, 0, 32, s1
	v_ldexp_f32 v0, v0, v4
	v_log_f32_e32 v0, v0
	v_mul_f32_e32 v4, 0x3f317217, v0
	v_cmp_gt_f32_e64 s7, 0x7f800000, |v0|
	v_fma_f32 v4, 0x3f317217, v0, -v4
	v_fmamk_f32 v4, v0, 0x3377d1cf, v4
	v_fmac_f32_e32 v4, 0x3f317217, v0
	v_cndmask_b32_e64 v0, v0, v4, s7
	v_cndmask_b32_e64 v4, 0, 0x41b17218, s1
	v_sub_f32_e32 v4, v0, v4
	v_add_co_u32 v0, s1, s8, v1
	v_add_co_ci_u32_e64 v1, null, s9, v2, s1
	v_sub_f32_e32 v2, v3, v4
	global_store_dword v[0:1], v2, off
	s_and_b32 exec_lo, exec_lo, vcc_lo
	s_cbranch_execz .LBB52_26
; %bb.19:
	v_sub_f32_e32 v2, v6, v4
	global_store_dword v[0:1], v2, off offset:128
	s_and_b32 exec_lo, exec_lo, s0
	s_cbranch_execz .LBB52_26
; %bb.20:
	v_sub_f32_e32 v2, v7, v4
	global_store_dword v[0:1], v2, off offset:256
	s_and_b32 exec_lo, exec_lo, s2
	;; [unrolled: 5-line block ×6, first 2 shown]
	s_cbranch_execz .LBB52_26
; %bb.25:
	v_sub_f32_e32 v2, v12, v4
	global_store_dword v[0:1], v2, off offset:896
.LBB52_26:
	s_endpgm
	.section	.rodata,"a",@progbits
	.p2align	6, 0x0
	.amdhsa_kernel _ZN12_GLOBAL__N_120softmax_warp_forwardIfffLi8ELb1ELb0ELi32EEEvPT0_PKT_iiiPKbib
		.amdhsa_group_segment_fixed_size 0
		.amdhsa_private_segment_fixed_size 0
		.amdhsa_kernarg_size 304
		.amdhsa_user_sgpr_count 6
		.amdhsa_user_sgpr_private_segment_buffer 1
		.amdhsa_user_sgpr_dispatch_ptr 0
		.amdhsa_user_sgpr_queue_ptr 0
		.amdhsa_user_sgpr_kernarg_segment_ptr 1
		.amdhsa_user_sgpr_dispatch_id 0
		.amdhsa_user_sgpr_flat_scratch_init 0
		.amdhsa_user_sgpr_private_segment_size 0
		.amdhsa_wavefront_size32 1
		.amdhsa_uses_dynamic_stack 0
		.amdhsa_system_sgpr_private_segment_wavefront_offset 0
		.amdhsa_system_sgpr_workgroup_id_x 1
		.amdhsa_system_sgpr_workgroup_id_y 0
		.amdhsa_system_sgpr_workgroup_id_z 0
		.amdhsa_system_sgpr_workgroup_info 0
		.amdhsa_system_vgpr_workitem_id 1
		.amdhsa_next_free_vgpr 40
		.amdhsa_next_free_sgpr 16
		.amdhsa_reserve_vcc 1
		.amdhsa_reserve_flat_scratch 0
		.amdhsa_float_round_mode_32 0
		.amdhsa_float_round_mode_16_64 0
		.amdhsa_float_denorm_mode_32 3
		.amdhsa_float_denorm_mode_16_64 3
		.amdhsa_dx10_clamp 1
		.amdhsa_ieee_mode 1
		.amdhsa_fp16_overflow 0
		.amdhsa_workgroup_processor_mode 1
		.amdhsa_memory_ordered 1
		.amdhsa_forward_progress 1
		.amdhsa_shared_vgpr_count 0
		.amdhsa_exception_fp_ieee_invalid_op 0
		.amdhsa_exception_fp_denorm_src 0
		.amdhsa_exception_fp_ieee_div_zero 0
		.amdhsa_exception_fp_ieee_overflow 0
		.amdhsa_exception_fp_ieee_underflow 0
		.amdhsa_exception_fp_ieee_inexact 0
		.amdhsa_exception_int_div_zero 0
	.end_amdhsa_kernel
	.section	.text._ZN12_GLOBAL__N_120softmax_warp_forwardIfffLi8ELb1ELb0ELi32EEEvPT0_PKT_iiiPKbib,"axG",@progbits,_ZN12_GLOBAL__N_120softmax_warp_forwardIfffLi8ELb1ELb0ELi32EEEvPT0_PKT_iiiPKbib,comdat
.Lfunc_end52:
	.size	_ZN12_GLOBAL__N_120softmax_warp_forwardIfffLi8ELb1ELb0ELi32EEEvPT0_PKT_iiiPKbib, .Lfunc_end52-_ZN12_GLOBAL__N_120softmax_warp_forwardIfffLi8ELb1ELb0ELi32EEEvPT0_PKT_iiiPKbib
                                        ; -- End function
	.set _ZN12_GLOBAL__N_120softmax_warp_forwardIfffLi8ELb1ELb0ELi32EEEvPT0_PKT_iiiPKbib.num_vgpr, 40
	.set _ZN12_GLOBAL__N_120softmax_warp_forwardIfffLi8ELb1ELb0ELi32EEEvPT0_PKT_iiiPKbib.num_agpr, 0
	.set _ZN12_GLOBAL__N_120softmax_warp_forwardIfffLi8ELb1ELb0ELi32EEEvPT0_PKT_iiiPKbib.numbered_sgpr, 16
	.set _ZN12_GLOBAL__N_120softmax_warp_forwardIfffLi8ELb1ELb0ELi32EEEvPT0_PKT_iiiPKbib.num_named_barrier, 0
	.set _ZN12_GLOBAL__N_120softmax_warp_forwardIfffLi8ELb1ELb0ELi32EEEvPT0_PKT_iiiPKbib.private_seg_size, 0
	.set _ZN12_GLOBAL__N_120softmax_warp_forwardIfffLi8ELb1ELb0ELi32EEEvPT0_PKT_iiiPKbib.uses_vcc, 1
	.set _ZN12_GLOBAL__N_120softmax_warp_forwardIfffLi8ELb1ELb0ELi32EEEvPT0_PKT_iiiPKbib.uses_flat_scratch, 0
	.set _ZN12_GLOBAL__N_120softmax_warp_forwardIfffLi8ELb1ELb0ELi32EEEvPT0_PKT_iiiPKbib.has_dyn_sized_stack, 0
	.set _ZN12_GLOBAL__N_120softmax_warp_forwardIfffLi8ELb1ELb0ELi32EEEvPT0_PKT_iiiPKbib.has_recursion, 0
	.set _ZN12_GLOBAL__N_120softmax_warp_forwardIfffLi8ELb1ELb0ELi32EEEvPT0_PKT_iiiPKbib.has_indirect_call, 0
	.section	.AMDGPU.csdata,"",@progbits
; Kernel info:
; codeLenInByte = 2068
; TotalNumSgprs: 18
; NumVgprs: 40
; ScratchSize: 0
; MemoryBound: 0
; FloatMode: 240
; IeeeMode: 1
; LDSByteSize: 0 bytes/workgroup (compile time only)
; SGPRBlocks: 0
; VGPRBlocks: 4
; NumSGPRsForWavesPerEU: 18
; NumVGPRsForWavesPerEU: 40
; Occupancy: 16
; WaveLimiterHint : 0
; COMPUTE_PGM_RSRC2:SCRATCH_EN: 0
; COMPUTE_PGM_RSRC2:USER_SGPR: 6
; COMPUTE_PGM_RSRC2:TRAP_HANDLER: 0
; COMPUTE_PGM_RSRC2:TGID_X_EN: 1
; COMPUTE_PGM_RSRC2:TGID_Y_EN: 0
; COMPUTE_PGM_RSRC2:TGID_Z_EN: 0
; COMPUTE_PGM_RSRC2:TIDIG_COMP_CNT: 1
	.section	.text._ZN12_GLOBAL__N_120softmax_warp_forwardIfffLi9ELb1ELb0ELi64EEEvPT0_PKT_iiiPKbib,"axG",@progbits,_ZN12_GLOBAL__N_120softmax_warp_forwardIfffLi9ELb1ELb0ELi64EEEvPT0_PKT_iiiPKbib,comdat
	.globl	_ZN12_GLOBAL__N_120softmax_warp_forwardIfffLi9ELb1ELb0ELi64EEEvPT0_PKT_iiiPKbib ; -- Begin function _ZN12_GLOBAL__N_120softmax_warp_forwardIfffLi9ELb1ELb0ELi64EEEvPT0_PKT_iiiPKbib
	.p2align	8
	.type	_ZN12_GLOBAL__N_120softmax_warp_forwardIfffLi9ELb1ELb0ELi64EEEvPT0_PKT_iiiPKbib,@function
_ZN12_GLOBAL__N_120softmax_warp_forwardIfffLi9ELb1ELb0ELi64EEEvPT0_PKT_iiiPKbib: ; @_ZN12_GLOBAL__N_120softmax_warp_forwardIfffLi9ELb1ELb0ELi64EEEvPT0_PKT_iiiPKbib
; %bb.0:
	s_clause 0x1
	s_load_dword s0, s[4:5], 0x3c
	s_load_dwordx8 s[8:15], s[4:5], 0x0
	v_mov_b32_e32 v7, 0xff800000
	v_mov_b32_e32 v8, 0xff800000
	s_waitcnt lgkmcnt(0)
	s_lshr_b32 s0, s0, 16
	v_cmp_gt_i32_e64 s1, s14, v0
	v_mad_u64_u32 v[1:2], null, s6, s0, v[1:2]
	v_mad_u64_u32 v[2:3], null, v1, s13, v[0:1]
	v_sub_nc_u32_e32 v5, s12, v1
	v_cmp_lt_i32_e64 s7, 0, v5
	v_ashrrev_i32_e32 v3, 31, v2
	s_and_b32 s2, s7, s1
	v_lshlrev_b64 v[1:2], 2, v[2:3]
	v_add_co_u32 v3, vcc_lo, s10, v1
	v_add_co_ci_u32_e64 v4, null, s11, v2, vcc_lo
	s_and_saveexec_b32 s0, s2
	s_cbranch_execz .LBB53_2
; %bb.1:
	global_load_dword v8, v[3:4], off
.LBB53_2:
	s_or_b32 exec_lo, exec_lo, s0
	v_add_nc_u32_e32 v6, 64, v0
	v_cmp_gt_i32_e32 vcc_lo, s14, v6
	s_and_b32 s2, s7, vcc_lo
	s_and_saveexec_b32 s0, s2
	s_cbranch_execz .LBB53_4
; %bb.3:
	global_load_dword v7, v[3:4], off offset:256
.LBB53_4:
	s_or_b32 exec_lo, exec_lo, s0
	v_add_nc_u32_e32 v6, 0x80, v0
	v_mov_b32_e32 v9, 0xff800000
	v_mov_b32_e32 v10, 0xff800000
	v_cmp_gt_i32_e64 s0, s14, v6
	s_and_b32 s3, s7, s0
	s_and_saveexec_b32 s2, s3
	s_cbranch_execz .LBB53_6
; %bb.5:
	global_load_dword v10, v[3:4], off offset:512
.LBB53_6:
	s_or_b32 exec_lo, exec_lo, s2
	v_add_nc_u32_e32 v6, 0xc0, v0
	v_cmp_gt_i32_e64 s2, s14, v6
	s_and_b32 s4, s7, s2
	s_and_saveexec_b32 s3, s4
	s_cbranch_execz .LBB53_8
; %bb.7:
	global_load_dword v9, v[3:4], off offset:768
.LBB53_8:
	s_or_b32 exec_lo, exec_lo, s3
	v_add_nc_u32_e32 v6, 0x100, v0
	v_mov_b32_e32 v11, 0xff800000
	v_mov_b32_e32 v12, 0xff800000
	v_cmp_gt_i32_e64 s3, s14, v6
	s_and_b32 s5, s7, s3
	s_and_saveexec_b32 s4, s5
	s_cbranch_execz .LBB53_10
; %bb.9:
	global_load_dword v12, v[3:4], off offset:1024
.LBB53_10:
	s_or_b32 exec_lo, exec_lo, s4
	v_add_nc_u32_e32 v6, 0x140, v0
	v_cmp_gt_i32_e64 s4, s14, v6
	s_and_b32 s6, s7, s4
	;; [unrolled: 20-line block ×3, first 2 shown]
	s_and_saveexec_b32 s7, s10
	s_cbranch_execz .LBB53_16
; %bb.15:
	global_load_dword v13, v[3:4], off offset:1792
.LBB53_16:
	s_or_b32 exec_lo, exec_lo, s7
	s_waitcnt vmcnt(0)
	v_cmp_gt_f32_e64 s7, v8, v7
	v_mbcnt_lo_u32_b32 v4, -1, 0
	s_mov_b32 s10, exec_lo
	v_cndmask_b32_e64 v0, v7, v8, s7
	v_or_b32_e32 v3, 32, v4
	v_xor_b32_e32 v17, 4, v4
	v_xor_b32_e32 v18, 2, v4
	v_xor_b32_e32 v19, 1, v4
	v_cmp_gt_f32_e64 s7, v0, v10
	v_cndmask_b32_e64 v0, v10, v0, s7
	v_cmp_gt_f32_e64 s7, v0, v9
	v_cndmask_b32_e64 v0, v9, v0, s7
	;; [unrolled: 2-line block ×4, first 2 shown]
	v_cmp_gt_i32_e64 s7, 64, v3
	v_cndmask_b32_e64 v3, v4, v3, s7
	v_cmp_gt_f32_e64 s7, v0, v14
	v_cndmask_b32_e64 v6, v14, v0, s7
	v_lshlrev_b32_e32 v0, 2, v3
	v_xor_b32_e32 v3, 16, v4
	v_cmp_gt_f32_e64 s7, v6, v13
	v_cndmask_b32_e64 v6, v13, v6, s7
	v_cmp_gt_i32_e64 s7, 64, v3
	ds_bpermute_b32 v15, v0, v6
	v_cndmask_b32_e64 v3, v4, v3, s7
	v_lshlrev_b32_e32 v3, 2, v3
	s_waitcnt lgkmcnt(0)
	v_cmp_lt_f32_e64 s7, v6, v15
	v_cndmask_b32_e64 v15, v6, v15, s7
	v_xor_b32_e32 v6, 8, v4
	ds_bpermute_b32 v16, v3, v15
	v_cmp_gt_i32_e64 s7, 64, v6
	v_cndmask_b32_e64 v6, v4, v6, s7
	v_lshlrev_b32_e32 v6, 2, v6
	s_waitcnt lgkmcnt(0)
	v_cmp_lt_f32_e64 s7, v15, v16
	v_cndmask_b32_e64 v15, v15, v16, s7
	v_cmp_gt_i32_e64 s7, 64, v17
	ds_bpermute_b32 v16, v6, v15
	v_cndmask_b32_e64 v17, v4, v17, s7
	v_lshlrev_b32_e32 v17, 2, v17
	s_waitcnt lgkmcnt(0)
	v_cmp_lt_f32_e64 s7, v15, v16
	v_cndmask_b32_e64 v15, v15, v16, s7
	v_cmp_gt_i32_e64 s7, 64, v18
	ds_bpermute_b32 v16, v17, v15
	;; [unrolled: 7-line block ×3, first 2 shown]
	v_cndmask_b32_e64 v4, v4, v19, s7
	v_lshlrev_b32_e32 v19, 2, v4
	s_waitcnt lgkmcnt(0)
	v_cmp_lt_f32_e64 s7, v15, v16
	v_cndmask_b32_e64 v4, v15, v16, s7
	ds_bpermute_b32 v15, v19, v4
	s_waitcnt lgkmcnt(0)
	v_cmp_lt_f32_e64 s7, v4, v15
	v_cndmask_b32_e64 v15, v4, v15, s7
	v_sub_f32_e32 v4, v8, v15
	v_sub_f32_e32 v7, v7, v15
	;; [unrolled: 1-line block ×5, first 2 shown]
	v_mul_f32_e32 v14, 0x3fb8aa3b, v4
	v_sub_f32_e32 v9, v9, v15
	v_sub_f32_e32 v11, v11, v15
	;; [unrolled: 1-line block ×3, first 2 shown]
	v_mul_f32_e32 v15, 0x3fb8aa3b, v7
	v_fma_f32 v25, 0x3fb8aa3b, v4, -v14
	v_rndne_f32_e32 v26, v14
	v_mul_f32_e32 v16, 0x3fb8aa3b, v8
	v_mul_f32_e32 v20, 0x3fb8aa3b, v9
	v_fma_f32 v27, 0x3fb8aa3b, v7, -v15
	v_rndne_f32_e32 v28, v15
	v_fmac_f32_e32 v25, 0x32a5705f, v4
	v_sub_f32_e32 v14, v14, v26
	v_fma_f32 v29, 0x3fb8aa3b, v8, -v16
	v_rndne_f32_e32 v30, v16
	v_fmac_f32_e32 v27, 0x32a5705f, v7
	v_sub_f32_e32 v15, v15, v28
	v_add_f32_e32 v14, v14, v25
	v_fmac_f32_e32 v29, 0x32a5705f, v8
	v_sub_f32_e32 v16, v16, v30
	v_cvt_i32_f32_e32 v26, v26
	v_add_f32_e32 v15, v15, v27
	v_exp_f32_e32 v14, v14
	v_fma_f32 v31, 0x3fb8aa3b, v9, -v20
	v_add_f32_e32 v16, v16, v29
	v_rndne_f32_e32 v32, v20
	v_exp_f32_e32 v15, v15
	v_cvt_i32_f32_e32 v28, v28
	v_cmp_ngt_f32_e64 s7, 0xc2ce8ed0, v4
	v_exp_f32_e32 v16, v16
	v_mul_f32_e32 v21, 0x3fb8aa3b, v10
	v_cvt_i32_f32_e32 v30, v30
	v_ldexp_f32 v14, v14, v26
	v_fmac_f32_e32 v31, 0x32a5705f, v9
	v_sub_f32_e32 v20, v20, v32
	v_fma_f32 v33, 0x3fb8aa3b, v10, -v21
	v_ldexp_f32 v15, v15, v28
	v_cndmask_b32_e64 v14, 0, v14, s7
	v_cmp_ngt_f32_e64 s7, 0xc2ce8ed0, v7
	v_rndne_f32_e32 v34, v21
	v_add_f32_e32 v20, v20, v31
	v_ldexp_f32 v16, v16, v30
	v_mul_f32_e32 v22, 0x3fb8aa3b, v11
	v_cndmask_b32_e64 v15, 0, v15, s7
	v_cmp_ngt_f32_e64 s7, 0xc2ce8ed0, v8
	v_fmac_f32_e32 v33, 0x32a5705f, v10
	v_sub_f32_e32 v21, v21, v34
	v_exp_f32_e32 v20, v20
	v_fma_f32 v35, 0x3fb8aa3b, v11, -v22
	v_cndmask_b32_e64 v16, 0, v16, s7
	v_cmp_nlt_f32_e64 s7, 0x42b17218, v4
	v_rndne_f32_e32 v36, v22
	v_cvt_i32_f32_e32 v32, v32
	v_add_f32_e32 v21, v21, v33
	v_mul_f32_e32 v23, 0x3fb8aa3b, v12
	v_cndmask_b32_e64 v14, 0x7f800000, v14, s7
	v_cmp_nlt_f32_e64 s7, 0x42b17218, v7
	v_fmac_f32_e32 v35, 0x32a5705f, v11
	v_sub_f32_e32 v22, v22, v36
	v_exp_f32_e32 v21, v21
	v_ldexp_f32 v20, v20, v32
	v_cndmask_b32_e64 v15, 0x7f800000, v15, s7
	v_cmp_ngt_f32_e64 s7, 0xc2ce8ed0, v9
	v_fma_f32 v37, 0x3fb8aa3b, v12, -v23
	v_rndne_f32_e32 v38, v23
	v_cvt_i32_f32_e32 v34, v34
	v_add_f32_e32 v22, v22, v35
	v_cndmask_b32_e64 v20, 0, v20, s7
	v_cmp_nlt_f32_e64 s7, 0x42b17218, v8
	v_fmac_f32_e32 v37, 0x32a5705f, v12
	v_sub_f32_e32 v23, v23, v38
	v_exp_f32_e32 v22, v22
	v_ldexp_f32 v21, v21, v34
	v_cndmask_b32_e64 v16, 0x7f800000, v16, s7
	v_cmp_ngt_f32_e64 s7, 0xc2ce8ed0, v10
	v_mul_f32_e32 v24, 0x3fb8aa3b, v13
	v_cvt_i32_f32_e32 v36, v36
	v_add_f32_e32 v23, v23, v37
	v_add_f32_e32 v14, v14, v15
	v_cndmask_b32_e64 v15, 0, v21, s7
	v_cmp_nlt_f32_e64 s7, 0x42b17218, v9
	v_fma_f32 v39, 0x3fb8aa3b, v13, -v24
	v_rndne_f32_e32 v40, v24
	v_exp_f32_e32 v23, v23
	v_ldexp_f32 v22, v22, v36
	v_cndmask_b32_e64 v20, 0x7f800000, v20, s7
	v_cmp_ngt_f32_e64 s7, 0xc2ce8ed0, v11
	v_fmac_f32_e32 v39, 0x32a5705f, v13
	v_sub_f32_e32 v24, v24, v40
	v_cvt_i32_f32_e32 v25, v38
	v_add_f32_e32 v14, v14, v16
	v_cndmask_b32_e64 v16, 0, v22, s7
	v_cmp_nlt_f32_e64 s7, 0x42b17218, v10
	v_add_f32_e32 v24, v24, v39
	v_ldexp_f32 v23, v23, v25
	v_add_f32_e32 v14, v14, v20
	v_cvt_i32_f32_e32 v27, v40
	v_cndmask_b32_e64 v15, 0x7f800000, v15, s7
	v_cmp_ngt_f32_e64 s7, 0xc2ce8ed0, v12
	v_exp_f32_e32 v24, v24
	v_add_f32_e32 v14, v14, v15
	v_cndmask_b32_e64 v20, 0, v23, s7
	v_cmp_nlt_f32_e64 s7, 0x42b17218, v11
	v_cndmask_b32_e64 v16, 0x7f800000, v16, s7
	v_cmp_nlt_f32_e64 s7, 0x42b17218, v12
	v_ldexp_f32 v15, v24, v27
	v_add_f32_e32 v14, v14, v16
	v_cndmask_b32_e64 v20, 0x7f800000, v20, s7
	v_cmp_ngt_f32_e64 s7, 0xc2ce8ed0, v13
	v_add_f32_e32 v14, v14, v20
	v_cndmask_b32_e64 v15, 0, v15, s7
	v_cmp_nlt_f32_e64 s7, 0x42b17218, v13
	v_cndmask_b32_e64 v15, 0x7f800000, v15, s7
	v_add_f32_e32 v14, v14, v15
	ds_bpermute_b32 v0, v0, v14
	s_waitcnt lgkmcnt(0)
	v_add_f32_e32 v0, v14, v0
	ds_bpermute_b32 v3, v3, v0
	s_waitcnt lgkmcnt(0)
	;; [unrolled: 3-line block ×5, first 2 shown]
	v_add_f32_e32 v0, v0, v3
	ds_bpermute_b32 v3, v19, v0
	v_cmpx_lt_i32_e32 0, v5
	s_cbranch_execz .LBB53_26
; %bb.17:
	s_and_b32 exec_lo, exec_lo, s1
	s_cbranch_execz .LBB53_26
; %bb.18:
	s_waitcnt lgkmcnt(0)
	v_add_f32_e32 v0, v0, v3
	v_cmp_gt_f32_e64 s1, 0x800000, v0
	v_cndmask_b32_e64 v3, 0, 32, s1
	v_ldexp_f32 v0, v0, v3
	v_log_f32_e32 v0, v0
	v_mul_f32_e32 v3, 0x3f317217, v0
	v_cmp_gt_f32_e64 s7, 0x7f800000, |v0|
	v_fma_f32 v3, 0x3f317217, v0, -v3
	v_fmamk_f32 v3, v0, 0x3377d1cf, v3
	v_fmac_f32_e32 v3, 0x3f317217, v0
	v_cndmask_b32_e64 v0, v0, v3, s7
	v_cndmask_b32_e64 v3, 0, 0x41b17218, s1
	v_sub_f32_e32 v3, v0, v3
	v_add_co_u32 v0, s1, s8, v1
	v_add_co_ci_u32_e64 v1, null, s9, v2, s1
	v_sub_f32_e32 v2, v4, v3
	global_store_dword v[0:1], v2, off
	s_and_b32 exec_lo, exec_lo, vcc_lo
	s_cbranch_execz .LBB53_26
; %bb.19:
	v_sub_f32_e32 v2, v7, v3
	global_store_dword v[0:1], v2, off offset:256
	s_and_b32 exec_lo, exec_lo, s0
	s_cbranch_execz .LBB53_26
; %bb.20:
	v_sub_f32_e32 v2, v8, v3
	global_store_dword v[0:1], v2, off offset:512
	s_and_b32 exec_lo, exec_lo, s2
	;; [unrolled: 5-line block ×6, first 2 shown]
	s_cbranch_execz .LBB53_26
; %bb.25:
	v_sub_f32_e32 v2, v13, v3
	global_store_dword v[0:1], v2, off offset:1792
.LBB53_26:
	s_endpgm
	.section	.rodata,"a",@progbits
	.p2align	6, 0x0
	.amdhsa_kernel _ZN12_GLOBAL__N_120softmax_warp_forwardIfffLi9ELb1ELb0ELi64EEEvPT0_PKT_iiiPKbib
		.amdhsa_group_segment_fixed_size 0
		.amdhsa_private_segment_fixed_size 0
		.amdhsa_kernarg_size 304
		.amdhsa_user_sgpr_count 6
		.amdhsa_user_sgpr_private_segment_buffer 1
		.amdhsa_user_sgpr_dispatch_ptr 0
		.amdhsa_user_sgpr_queue_ptr 0
		.amdhsa_user_sgpr_kernarg_segment_ptr 1
		.amdhsa_user_sgpr_dispatch_id 0
		.amdhsa_user_sgpr_flat_scratch_init 0
		.amdhsa_user_sgpr_private_segment_size 0
		.amdhsa_wavefront_size32 1
		.amdhsa_uses_dynamic_stack 0
		.amdhsa_system_sgpr_private_segment_wavefront_offset 0
		.amdhsa_system_sgpr_workgroup_id_x 1
		.amdhsa_system_sgpr_workgroup_id_y 0
		.amdhsa_system_sgpr_workgroup_id_z 0
		.amdhsa_system_sgpr_workgroup_info 0
		.amdhsa_system_vgpr_workitem_id 1
		.amdhsa_next_free_vgpr 41
		.amdhsa_next_free_sgpr 16
		.amdhsa_reserve_vcc 1
		.amdhsa_reserve_flat_scratch 0
		.amdhsa_float_round_mode_32 0
		.amdhsa_float_round_mode_16_64 0
		.amdhsa_float_denorm_mode_32 3
		.amdhsa_float_denorm_mode_16_64 3
		.amdhsa_dx10_clamp 1
		.amdhsa_ieee_mode 1
		.amdhsa_fp16_overflow 0
		.amdhsa_workgroup_processor_mode 1
		.amdhsa_memory_ordered 1
		.amdhsa_forward_progress 1
		.amdhsa_shared_vgpr_count 0
		.amdhsa_exception_fp_ieee_invalid_op 0
		.amdhsa_exception_fp_denorm_src 0
		.amdhsa_exception_fp_ieee_div_zero 0
		.amdhsa_exception_fp_ieee_overflow 0
		.amdhsa_exception_fp_ieee_underflow 0
		.amdhsa_exception_fp_ieee_inexact 0
		.amdhsa_exception_int_div_zero 0
	.end_amdhsa_kernel
	.section	.text._ZN12_GLOBAL__N_120softmax_warp_forwardIfffLi9ELb1ELb0ELi64EEEvPT0_PKT_iiiPKbib,"axG",@progbits,_ZN12_GLOBAL__N_120softmax_warp_forwardIfffLi9ELb1ELb0ELi64EEEvPT0_PKT_iiiPKbib,comdat
.Lfunc_end53:
	.size	_ZN12_GLOBAL__N_120softmax_warp_forwardIfffLi9ELb1ELb0ELi64EEEvPT0_PKT_iiiPKbib, .Lfunc_end53-_ZN12_GLOBAL__N_120softmax_warp_forwardIfffLi9ELb1ELb0ELi64EEEvPT0_PKT_iiiPKbib
                                        ; -- End function
	.set _ZN12_GLOBAL__N_120softmax_warp_forwardIfffLi9ELb1ELb0ELi64EEEvPT0_PKT_iiiPKbib.num_vgpr, 41
	.set _ZN12_GLOBAL__N_120softmax_warp_forwardIfffLi9ELb1ELb0ELi64EEEvPT0_PKT_iiiPKbib.num_agpr, 0
	.set _ZN12_GLOBAL__N_120softmax_warp_forwardIfffLi9ELb1ELb0ELi64EEEvPT0_PKT_iiiPKbib.numbered_sgpr, 16
	.set _ZN12_GLOBAL__N_120softmax_warp_forwardIfffLi9ELb1ELb0ELi64EEEvPT0_PKT_iiiPKbib.num_named_barrier, 0
	.set _ZN12_GLOBAL__N_120softmax_warp_forwardIfffLi9ELb1ELb0ELi64EEEvPT0_PKT_iiiPKbib.private_seg_size, 0
	.set _ZN12_GLOBAL__N_120softmax_warp_forwardIfffLi9ELb1ELb0ELi64EEEvPT0_PKT_iiiPKbib.uses_vcc, 1
	.set _ZN12_GLOBAL__N_120softmax_warp_forwardIfffLi9ELb1ELb0ELi64EEEvPT0_PKT_iiiPKbib.uses_flat_scratch, 0
	.set _ZN12_GLOBAL__N_120softmax_warp_forwardIfffLi9ELb1ELb0ELi64EEEvPT0_PKT_iiiPKbib.has_dyn_sized_stack, 0
	.set _ZN12_GLOBAL__N_120softmax_warp_forwardIfffLi9ELb1ELb0ELi64EEEvPT0_PKT_iiiPKbib.has_recursion, 0
	.set _ZN12_GLOBAL__N_120softmax_warp_forwardIfffLi9ELb1ELb0ELi64EEEvPT0_PKT_iiiPKbib.has_indirect_call, 0
	.section	.AMDGPU.csdata,"",@progbits
; Kernel info:
; codeLenInByte = 2140
; TotalNumSgprs: 18
; NumVgprs: 41
; ScratchSize: 0
; MemoryBound: 0
; FloatMode: 240
; IeeeMode: 1
; LDSByteSize: 0 bytes/workgroup (compile time only)
; SGPRBlocks: 0
; VGPRBlocks: 5
; NumSGPRsForWavesPerEU: 18
; NumVGPRsForWavesPerEU: 41
; Occupancy: 16
; WaveLimiterHint : 0
; COMPUTE_PGM_RSRC2:SCRATCH_EN: 0
; COMPUTE_PGM_RSRC2:USER_SGPR: 6
; COMPUTE_PGM_RSRC2:TRAP_HANDLER: 0
; COMPUTE_PGM_RSRC2:TGID_X_EN: 1
; COMPUTE_PGM_RSRC2:TGID_Y_EN: 0
; COMPUTE_PGM_RSRC2:TGID_Z_EN: 0
; COMPUTE_PGM_RSRC2:TIDIG_COMP_CNT: 1
	.section	.text._ZN12_GLOBAL__N_120softmax_warp_forwardIfffLi9ELb1ELb0ELi32EEEvPT0_PKT_iiiPKbib,"axG",@progbits,_ZN12_GLOBAL__N_120softmax_warp_forwardIfffLi9ELb1ELb0ELi32EEEvPT0_PKT_iiiPKbib,comdat
	.globl	_ZN12_GLOBAL__N_120softmax_warp_forwardIfffLi9ELb1ELb0ELi32EEEvPT0_PKT_iiiPKbib ; -- Begin function _ZN12_GLOBAL__N_120softmax_warp_forwardIfffLi9ELb1ELb0ELi32EEEvPT0_PKT_iiiPKbib
	.p2align	8
	.type	_ZN12_GLOBAL__N_120softmax_warp_forwardIfffLi9ELb1ELb0ELi32EEEvPT0_PKT_iiiPKbib,@function
_ZN12_GLOBAL__N_120softmax_warp_forwardIfffLi9ELb1ELb0ELi32EEEvPT0_PKT_iiiPKbib: ; @_ZN12_GLOBAL__N_120softmax_warp_forwardIfffLi9ELb1ELb0ELi32EEEvPT0_PKT_iiiPKbib
; %bb.0:
	s_clause 0x1
	s_load_dword s0, s[4:5], 0x3c
	s_load_dwordx8 s[16:23], s[4:5], 0x0
	v_mov_b32_e32 v6, 0xff800000
	v_mov_b32_e32 v8, 0xff800000
	s_waitcnt lgkmcnt(0)
	s_lshr_b32 s0, s0, 16
	v_cmp_gt_i32_e64 s1, s22, v0
	v_mad_u64_u32 v[1:2], null, s6, s0, v[1:2]
	v_mad_u64_u32 v[2:3], null, v1, s21, v[0:1]
	v_sub_nc_u32_e32 v5, s20, v1
	v_cmp_lt_i32_e64 s15, 0, v5
	v_ashrrev_i32_e32 v3, 31, v2
	s_and_b32 s2, s15, s1
	v_lshlrev_b64 v[1:2], 2, v[2:3]
	v_add_co_u32 v3, vcc_lo, s18, v1
	v_add_co_ci_u32_e64 v4, null, s19, v2, vcc_lo
	s_and_saveexec_b32 s0, s2
	s_cbranch_execz .LBB54_2
; %bb.1:
	global_load_dword v8, v[3:4], off
.LBB54_2:
	s_or_b32 exec_lo, exec_lo, s0
	v_add_nc_u32_e32 v7, 32, v0
	v_cmp_gt_i32_e32 vcc_lo, s22, v7
	s_and_b32 s2, s15, vcc_lo
	s_and_saveexec_b32 s0, s2
	s_cbranch_execz .LBB54_4
; %bb.3:
	global_load_dword v6, v[3:4], off offset:128
.LBB54_4:
	s_or_b32 exec_lo, exec_lo, s0
	v_add_nc_u32_e32 v7, 64, v0
	v_mov_b32_e32 v10, 0xff800000
	v_mov_b32_e32 v12, 0xff800000
	v_cmp_gt_i32_e64 s0, s22, v7
	s_and_b32 s3, s15, s0
	s_and_saveexec_b32 s2, s3
	s_cbranch_execz .LBB54_6
; %bb.5:
	global_load_dword v12, v[3:4], off offset:256
.LBB54_6:
	s_or_b32 exec_lo, exec_lo, s2
	v_add_nc_u32_e32 v7, 0x60, v0
	v_cmp_gt_i32_e64 s2, s22, v7
	s_and_b32 s4, s15, s2
	s_and_saveexec_b32 s3, s4
	s_cbranch_execz .LBB54_8
; %bb.7:
	global_load_dword v10, v[3:4], off offset:384
.LBB54_8:
	s_or_b32 exec_lo, exec_lo, s3
	v_add_nc_u32_e32 v7, 0x80, v0
	v_mov_b32_e32 v13, 0xff800000
	v_mov_b32_e32 v14, 0xff800000
	v_cmp_gt_i32_e64 s3, s22, v7
	s_and_b32 s5, s15, s3
	s_and_saveexec_b32 s4, s5
	s_cbranch_execz .LBB54_10
; %bb.9:
	global_load_dword v14, v[3:4], off offset:512
.LBB54_10:
	s_or_b32 exec_lo, exec_lo, s4
	v_add_nc_u32_e32 v7, 0xa0, v0
	v_cmp_gt_i32_e64 s4, s22, v7
	s_and_b32 s6, s15, s4
	;; [unrolled: 20-line block ×7, first 2 shown]
	s_and_saveexec_b32 s15, s18
	s_cbranch_execz .LBB54_32
; %bb.31:
	global_load_dword v23, v[3:4], off offset:1920
.LBB54_32:
	s_or_b32 exec_lo, exec_lo, s15
	s_waitcnt vmcnt(0)
	v_cmp_gt_f32_e64 s15, v8, v6
	v_mbcnt_lo_u32_b32 v3, -1, 0
	s_mov_b32 s18, exec_lo
	v_cndmask_b32_e64 v0, v6, v8, s15
	v_xor_b32_e32 v4, 16, v3
	v_cmp_gt_f32_e64 s15, v0, v12
	v_cndmask_b32_e64 v0, v12, v0, s15
	v_cmp_gt_f32_e64 s15, v0, v10
	v_cndmask_b32_e64 v0, v10, v0, s15
	;; [unrolled: 2-line block ×12, first 2 shown]
	v_cmp_gt_i32_e64 s15, 32, v4
	v_cndmask_b32_e64 v4, v3, v4, s15
	v_cmp_gt_f32_e64 s15, v0, v24
	v_cndmask_b32_e64 v7, v24, v0, s15
	v_lshlrev_b32_e32 v0, 2, v4
	v_xor_b32_e32 v4, 8, v3
	v_cmp_gt_f32_e64 s15, v7, v23
	v_cndmask_b32_e64 v7, v23, v7, s15
	v_cmp_gt_i32_e64 s15, 32, v4
	ds_bpermute_b32 v9, v0, v7
	v_cndmask_b32_e64 v4, v3, v4, s15
	v_lshlrev_b32_e32 v4, 2, v4
	s_waitcnt lgkmcnt(0)
	v_cmp_lt_f32_e64 s15, v7, v9
	v_cndmask_b32_e64 v9, v7, v9, s15
	v_xor_b32_e32 v7, 4, v3
	ds_bpermute_b32 v11, v4, v9
	v_cmp_gt_i32_e64 s15, 32, v7
	v_cndmask_b32_e64 v7, v3, v7, s15
	v_lshlrev_b32_e32 v7, 2, v7
	s_waitcnt lgkmcnt(0)
	v_cmp_lt_f32_e64 s15, v9, v11
	v_cndmask_b32_e64 v11, v9, v11, s15
	v_xor_b32_e32 v9, 2, v3
	ds_bpermute_b32 v25, v7, v11
	v_cmp_gt_i32_e64 s15, 32, v9
	v_cndmask_b32_e64 v9, v3, v9, s15
	v_lshlrev_b32_e32 v9, 2, v9
	s_waitcnt lgkmcnt(0)
	v_cmp_lt_f32_e64 s15, v11, v25
	v_cndmask_b32_e64 v25, v11, v25, s15
	v_xor_b32_e32 v11, 1, v3
	ds_bpermute_b32 v26, v9, v25
	v_cmp_gt_i32_e64 s15, 32, v11
	v_cndmask_b32_e64 v3, v3, v11, s15
	v_lshlrev_b32_e32 v11, 2, v3
	s_waitcnt lgkmcnt(0)
	v_cmp_lt_f32_e64 s15, v25, v26
	v_cndmask_b32_e64 v3, v25, v26, s15
	ds_bpermute_b32 v25, v11, v3
	s_waitcnt lgkmcnt(0)
	v_cmp_lt_f32_e64 s15, v3, v25
	v_cndmask_b32_e64 v25, v3, v25, s15
	v_sub_f32_e32 v3, v8, v25
	v_sub_f32_e32 v6, v6, v25
	;; [unrolled: 1-line block ×9, first 2 shown]
	v_mul_f32_e32 v24, 0x3fb8aa3b, v3
	v_sub_f32_e32 v10, v10, v25
	v_sub_f32_e32 v13, v13, v25
	;; [unrolled: 1-line block ×7, first 2 shown]
	v_mul_f32_e32 v25, 0x3fb8aa3b, v6
	v_fma_f32 v40, 0x3fb8aa3b, v3, -v24
	v_rndne_f32_e32 v41, v24
	v_mul_f32_e32 v26, 0x3fb8aa3b, v8
	v_mul_f32_e32 v27, 0x3fb8aa3b, v10
	v_fma_f32 v42, 0x3fb8aa3b, v6, -v25
	v_rndne_f32_e32 v43, v25
	v_fmac_f32_e32 v40, 0x32a5705f, v3
	v_sub_f32_e32 v24, v24, v41
	v_fma_f32 v44, 0x3fb8aa3b, v8, -v26
	v_rndne_f32_e32 v45, v26
	v_fmac_f32_e32 v42, 0x32a5705f, v6
	v_sub_f32_e32 v25, v25, v43
	v_add_f32_e32 v24, v24, v40
	v_fmac_f32_e32 v44, 0x32a5705f, v8
	v_sub_f32_e32 v26, v26, v45
	v_cvt_i32_f32_e32 v41, v41
	v_add_f32_e32 v25, v25, v42
	v_exp_f32_e32 v24, v24
	v_fma_f32 v46, 0x3fb8aa3b, v10, -v27
	v_add_f32_e32 v26, v26, v44
	v_rndne_f32_e32 v47, v27
	v_exp_f32_e32 v25, v25
	v_cvt_i32_f32_e32 v43, v43
	v_cmp_ngt_f32_e64 s15, 0xc2ce8ed0, v3
	v_exp_f32_e32 v26, v26
	v_mul_f32_e32 v28, 0x3fb8aa3b, v12
	v_fmac_f32_e32 v46, 0x32a5705f, v10
	v_ldexp_f32 v24, v24, v41
	v_sub_f32_e32 v27, v27, v47
	v_cvt_i32_f32_e32 v45, v45
	v_fma_f32 v48, 0x3fb8aa3b, v12, -v28
	v_ldexp_f32 v25, v25, v43
	v_cndmask_b32_e64 v24, 0, v24, s15
	v_cmp_ngt_f32_e64 s15, 0xc2ce8ed0, v6
	v_rndne_f32_e32 v49, v28
	v_add_f32_e32 v27, v27, v46
	v_ldexp_f32 v26, v26, v45
	v_mul_f32_e32 v29, 0x3fb8aa3b, v13
	v_cndmask_b32_e64 v25, 0, v25, s15
	v_cmp_ngt_f32_e64 s15, 0xc2ce8ed0, v8
	v_fmac_f32_e32 v48, 0x32a5705f, v12
	v_sub_f32_e32 v28, v28, v49
	v_exp_f32_e32 v27, v27
	v_fma_f32 v50, 0x3fb8aa3b, v13, -v29
	v_cndmask_b32_e64 v26, 0, v26, s15
	v_cmp_nlt_f32_e64 s15, 0x42b17218, v3
	v_rndne_f32_e32 v51, v29
	v_add_f32_e32 v28, v28, v48
	v_cvt_i32_f32_e32 v47, v47
	v_mul_f32_e32 v30, 0x3fb8aa3b, v14
	v_cndmask_b32_e64 v24, 0x7f800000, v24, s15
	v_cmp_nlt_f32_e64 s15, 0x42b17218, v6
	v_fmac_f32_e32 v50, 0x32a5705f, v13
	v_sub_f32_e32 v29, v29, v51
	v_exp_f32_e32 v28, v28
	v_ldexp_f32 v27, v27, v47
	v_cndmask_b32_e64 v25, 0x7f800000, v25, s15
	v_cmp_ngt_f32_e64 s15, 0xc2ce8ed0, v10
	v_fma_f32 v52, 0x3fb8aa3b, v14, -v30
	v_rndne_f32_e32 v53, v30
	v_add_f32_e32 v29, v29, v50
	v_cvt_i32_f32_e32 v49, v49
	v_cndmask_b32_e64 v27, 0, v27, s15
	v_cmp_nlt_f32_e64 s15, 0x42b17218, v8
	v_mul_f32_e32 v31, 0x3fb8aa3b, v15
	v_fmac_f32_e32 v52, 0x32a5705f, v14
	v_sub_f32_e32 v30, v30, v53
	v_exp_f32_e32 v29, v29
	v_ldexp_f32 v28, v28, v49
	v_cndmask_b32_e64 v26, 0x7f800000, v26, s15
	v_cmp_ngt_f32_e64 s15, 0xc2ce8ed0, v12
	v_fma_f32 v54, 0x3fb8aa3b, v15, -v31
	v_rndne_f32_e32 v55, v31
	v_add_f32_e32 v30, v30, v52
	v_cvt_i32_f32_e32 v51, v51
	v_add_f32_e32 v24, v24, v25
	v_cndmask_b32_e64 v25, 0, v28, s15
	v_cmp_nlt_f32_e64 s15, 0x42b17218, v10
	v_mul_f32_e32 v32, 0x3fb8aa3b, v16
	v_fmac_f32_e32 v54, 0x32a5705f, v15
	v_sub_f32_e32 v31, v31, v55
	v_exp_f32_e32 v30, v30
	v_ldexp_f32 v29, v29, v51
	v_cndmask_b32_e64 v27, 0x7f800000, v27, s15
	v_cmp_ngt_f32_e64 s15, 0xc2ce8ed0, v13
	v_fma_f32 v56, 0x3fb8aa3b, v16, -v32
	v_rndne_f32_e32 v57, v32
	v_add_f32_e32 v31, v31, v54
	v_cvt_i32_f32_e32 v53, v53
	v_add_f32_e32 v24, v24, v26
	;; [unrolled: 14-line block ×4, first 2 shown]
	v_cndmask_b32_e64 v25, 0, v31, s15
	v_cmp_nlt_f32_e64 s15, 0x42b17218, v14
	v_mul_f32_e32 v35, 0x3fb8aa3b, v19
	v_fmac_f32_e32 v60, 0x32a5705f, v18
	v_sub_f32_e32 v34, v34, v61
	v_exp_f32_e32 v33, v33
	v_ldexp_f32 v32, v32, v57
	v_cndmask_b32_e64 v27, 0x7f800000, v27, s15
	v_cmp_ngt_f32_e64 s15, 0xc2ce8ed0, v16
	v_fma_f32 v40, 0x3fb8aa3b, v19, -v35
	v_rndne_f32_e32 v42, v35
	v_cvt_i32_f32_e32 v59, v59
	v_add_f32_e32 v34, v34, v60
	v_add_f32_e32 v24, v24, v26
	v_cndmask_b32_e64 v26, 0, v32, s15
	v_cmp_nlt_f32_e64 s15, 0x42b17218, v15
	v_mul_f32_e32 v36, 0x3fb8aa3b, v20
	v_fmac_f32_e32 v40, 0x32a5705f, v19
	v_sub_f32_e32 v35, v35, v42
	v_exp_f32_e32 v34, v34
	v_ldexp_f32 v33, v33, v59
	v_cndmask_b32_e64 v25, 0x7f800000, v25, s15
	v_cmp_ngt_f32_e64 s15, 0xc2ce8ed0, v17
	v_fma_f32 v44, 0x3fb8aa3b, v20, -v36
	v_rndne_f32_e32 v46, v36
	v_cvt_i32_f32_e32 v61, v61
	v_add_f32_e32 v35, v35, v40
	v_add_f32_e32 v24, v24, v27
	;; [unrolled: 14-line block ×4, first 2 shown]
	v_cndmask_b32_e64 v26, 0, v35, s15
	v_cmp_nlt_f32_e64 s15, 0x42b17218, v18
	v_fmac_f32_e32 v52, 0x32a5705f, v22
	v_sub_f32_e32 v38, v38, v54
	v_exp_f32_e32 v37, v37
	v_ldexp_f32 v36, v36, v46
	v_cndmask_b32_e64 v25, 0x7f800000, v25, s15
	v_cmp_ngt_f32_e64 s15, 0xc2ce8ed0, v20
	v_mul_f32_e32 v39, 0x3fb8aa3b, v23
	v_cvt_i32_f32_e32 v50, v50
	v_add_f32_e32 v38, v38, v52
	v_add_f32_e32 v24, v24, v27
	v_cndmask_b32_e64 v27, 0, v36, s15
	v_cmp_nlt_f32_e64 s15, 0x42b17218, v19
	v_fma_f32 v56, 0x3fb8aa3b, v23, -v39
	v_rndne_f32_e32 v58, v39
	v_exp_f32_e32 v38, v38
	v_ldexp_f32 v37, v37, v50
	v_cndmask_b32_e64 v26, 0x7f800000, v26, s15
	v_cmp_ngt_f32_e64 s15, 0xc2ce8ed0, v21
	v_cvt_i32_f32_e32 v54, v54
	v_fmac_f32_e32 v56, 0x32a5705f, v23
	v_sub_f32_e32 v39, v39, v58
	v_add_f32_e32 v24, v24, v25
	v_cndmask_b32_e64 v25, 0, v37, s15
	v_cmp_nlt_f32_e64 s15, 0x42b17218, v20
	v_ldexp_f32 v38, v38, v54
	v_add_f32_e32 v39, v39, v56
	v_add_f32_e32 v24, v24, v26
	v_cvt_i32_f32_e32 v58, v58
	v_cndmask_b32_e64 v27, 0x7f800000, v27, s15
	v_cmp_ngt_f32_e64 s15, 0xc2ce8ed0, v22
	v_exp_f32_e32 v39, v39
	v_add_f32_e32 v24, v24, v27
	v_cndmask_b32_e64 v26, 0, v38, s15
	v_cmp_nlt_f32_e64 s15, 0x42b17218, v21
	v_cndmask_b32_e64 v25, 0x7f800000, v25, s15
	v_cmp_nlt_f32_e64 s15, 0x42b17218, v22
	v_ldexp_f32 v27, v39, v58
	v_add_f32_e32 v24, v24, v25
	v_cndmask_b32_e64 v26, 0x7f800000, v26, s15
	v_cmp_ngt_f32_e64 s15, 0xc2ce8ed0, v23
	v_add_f32_e32 v24, v24, v26
	v_cndmask_b32_e64 v25, 0, v27, s15
	v_cmp_nlt_f32_e64 s15, 0x42b17218, v23
	v_cndmask_b32_e64 v25, 0x7f800000, v25, s15
	v_add_f32_e32 v24, v24, v25
	ds_bpermute_b32 v0, v0, v24
	s_waitcnt lgkmcnt(0)
	v_add_f32_e32 v0, v24, v0
	ds_bpermute_b32 v4, v4, v0
	s_waitcnt lgkmcnt(0)
	;; [unrolled: 3-line block ×4, first 2 shown]
	v_add_f32_e32 v0, v0, v4
	ds_bpermute_b32 v4, v11, v0
	v_cmpx_lt_i32_e32 0, v5
	s_cbranch_execz .LBB54_50
; %bb.33:
	s_and_b32 exec_lo, exec_lo, s1
	s_cbranch_execz .LBB54_50
; %bb.34:
	s_waitcnt lgkmcnt(0)
	v_add_f32_e32 v0, v0, v4
	v_cmp_gt_f32_e64 s1, 0x800000, v0
	v_cndmask_b32_e64 v4, 0, 32, s1
	v_ldexp_f32 v0, v0, v4
	v_log_f32_e32 v0, v0
	v_mul_f32_e32 v4, 0x3f317217, v0
	v_cmp_gt_f32_e64 s15, 0x7f800000, |v0|
	v_fma_f32 v4, 0x3f317217, v0, -v4
	v_fmamk_f32 v4, v0, 0x3377d1cf, v4
	v_fmac_f32_e32 v4, 0x3f317217, v0
	v_cndmask_b32_e64 v0, v0, v4, s15
	v_cndmask_b32_e64 v4, 0, 0x41b17218, s1
	v_sub_f32_e32 v4, v0, v4
	v_add_co_u32 v0, s1, s16, v1
	v_add_co_ci_u32_e64 v1, null, s17, v2, s1
	v_sub_f32_e32 v2, v3, v4
	global_store_dword v[0:1], v2, off
	s_and_b32 exec_lo, exec_lo, vcc_lo
	s_cbranch_execz .LBB54_50
; %bb.35:
	v_sub_f32_e32 v2, v6, v4
	global_store_dword v[0:1], v2, off offset:128
	s_and_b32 exec_lo, exec_lo, s0
	s_cbranch_execz .LBB54_50
; %bb.36:
	v_sub_f32_e32 v2, v8, v4
	global_store_dword v[0:1], v2, off offset:256
	s_and_b32 exec_lo, exec_lo, s2
	;; [unrolled: 5-line block ×14, first 2 shown]
	s_cbranch_execz .LBB54_50
; %bb.49:
	v_sub_f32_e32 v2, v23, v4
	global_store_dword v[0:1], v2, off offset:1920
.LBB54_50:
	s_endpgm
	.section	.rodata,"a",@progbits
	.p2align	6, 0x0
	.amdhsa_kernel _ZN12_GLOBAL__N_120softmax_warp_forwardIfffLi9ELb1ELb0ELi32EEEvPT0_PKT_iiiPKbib
		.amdhsa_group_segment_fixed_size 0
		.amdhsa_private_segment_fixed_size 0
		.amdhsa_kernarg_size 304
		.amdhsa_user_sgpr_count 6
		.amdhsa_user_sgpr_private_segment_buffer 1
		.amdhsa_user_sgpr_dispatch_ptr 0
		.amdhsa_user_sgpr_queue_ptr 0
		.amdhsa_user_sgpr_kernarg_segment_ptr 1
		.amdhsa_user_sgpr_dispatch_id 0
		.amdhsa_user_sgpr_flat_scratch_init 0
		.amdhsa_user_sgpr_private_segment_size 0
		.amdhsa_wavefront_size32 1
		.amdhsa_uses_dynamic_stack 0
		.amdhsa_system_sgpr_private_segment_wavefront_offset 0
		.amdhsa_system_sgpr_workgroup_id_x 1
		.amdhsa_system_sgpr_workgroup_id_y 0
		.amdhsa_system_sgpr_workgroup_id_z 0
		.amdhsa_system_sgpr_workgroup_info 0
		.amdhsa_system_vgpr_workitem_id 1
		.amdhsa_next_free_vgpr 62
		.amdhsa_next_free_sgpr 24
		.amdhsa_reserve_vcc 1
		.amdhsa_reserve_flat_scratch 0
		.amdhsa_float_round_mode_32 0
		.amdhsa_float_round_mode_16_64 0
		.amdhsa_float_denorm_mode_32 3
		.amdhsa_float_denorm_mode_16_64 3
		.amdhsa_dx10_clamp 1
		.amdhsa_ieee_mode 1
		.amdhsa_fp16_overflow 0
		.amdhsa_workgroup_processor_mode 1
		.amdhsa_memory_ordered 1
		.amdhsa_forward_progress 1
		.amdhsa_shared_vgpr_count 0
		.amdhsa_exception_fp_ieee_invalid_op 0
		.amdhsa_exception_fp_denorm_src 0
		.amdhsa_exception_fp_ieee_div_zero 0
		.amdhsa_exception_fp_ieee_overflow 0
		.amdhsa_exception_fp_ieee_underflow 0
		.amdhsa_exception_fp_ieee_inexact 0
		.amdhsa_exception_int_div_zero 0
	.end_amdhsa_kernel
	.section	.text._ZN12_GLOBAL__N_120softmax_warp_forwardIfffLi9ELb1ELb0ELi32EEEvPT0_PKT_iiiPKbib,"axG",@progbits,_ZN12_GLOBAL__N_120softmax_warp_forwardIfffLi9ELb1ELb0ELi32EEEvPT0_PKT_iiiPKbib,comdat
.Lfunc_end54:
	.size	_ZN12_GLOBAL__N_120softmax_warp_forwardIfffLi9ELb1ELb0ELi32EEEvPT0_PKT_iiiPKbib, .Lfunc_end54-_ZN12_GLOBAL__N_120softmax_warp_forwardIfffLi9ELb1ELb0ELi32EEEvPT0_PKT_iiiPKbib
                                        ; -- End function
	.set _ZN12_GLOBAL__N_120softmax_warp_forwardIfffLi9ELb1ELb0ELi32EEEvPT0_PKT_iiiPKbib.num_vgpr, 62
	.set _ZN12_GLOBAL__N_120softmax_warp_forwardIfffLi9ELb1ELb0ELi32EEEvPT0_PKT_iiiPKbib.num_agpr, 0
	.set _ZN12_GLOBAL__N_120softmax_warp_forwardIfffLi9ELb1ELb0ELi32EEEvPT0_PKT_iiiPKbib.numbered_sgpr, 24
	.set _ZN12_GLOBAL__N_120softmax_warp_forwardIfffLi9ELb1ELb0ELi32EEEvPT0_PKT_iiiPKbib.num_named_barrier, 0
	.set _ZN12_GLOBAL__N_120softmax_warp_forwardIfffLi9ELb1ELb0ELi32EEEvPT0_PKT_iiiPKbib.private_seg_size, 0
	.set _ZN12_GLOBAL__N_120softmax_warp_forwardIfffLi9ELb1ELb0ELi32EEEvPT0_PKT_iiiPKbib.uses_vcc, 1
	.set _ZN12_GLOBAL__N_120softmax_warp_forwardIfffLi9ELb1ELb0ELi32EEEvPT0_PKT_iiiPKbib.uses_flat_scratch, 0
	.set _ZN12_GLOBAL__N_120softmax_warp_forwardIfffLi9ELb1ELb0ELi32EEEvPT0_PKT_iiiPKbib.has_dyn_sized_stack, 0
	.set _ZN12_GLOBAL__N_120softmax_warp_forwardIfffLi9ELb1ELb0ELi32EEEvPT0_PKT_iiiPKbib.has_recursion, 0
	.set _ZN12_GLOBAL__N_120softmax_warp_forwardIfffLi9ELb1ELb0ELi32EEEvPT0_PKT_iiiPKbib.has_indirect_call, 0
	.section	.AMDGPU.csdata,"",@progbits
; Kernel info:
; codeLenInByte = 3604
; TotalNumSgprs: 26
; NumVgprs: 62
; ScratchSize: 0
; MemoryBound: 0
; FloatMode: 240
; IeeeMode: 1
; LDSByteSize: 0 bytes/workgroup (compile time only)
; SGPRBlocks: 0
; VGPRBlocks: 7
; NumSGPRsForWavesPerEU: 26
; NumVGPRsForWavesPerEU: 62
; Occupancy: 16
; WaveLimiterHint : 0
; COMPUTE_PGM_RSRC2:SCRATCH_EN: 0
; COMPUTE_PGM_RSRC2:USER_SGPR: 6
; COMPUTE_PGM_RSRC2:TRAP_HANDLER: 0
; COMPUTE_PGM_RSRC2:TGID_X_EN: 1
; COMPUTE_PGM_RSRC2:TGID_Y_EN: 0
; COMPUTE_PGM_RSRC2:TGID_Z_EN: 0
; COMPUTE_PGM_RSRC2:TIDIG_COMP_CNT: 1
	.section	.text._ZN12_GLOBAL__N_120softmax_warp_forwardIfffLi10ELb1ELb0ELi64EEEvPT0_PKT_iiiPKbib,"axG",@progbits,_ZN12_GLOBAL__N_120softmax_warp_forwardIfffLi10ELb1ELb0ELi64EEEvPT0_PKT_iiiPKbib,comdat
	.globl	_ZN12_GLOBAL__N_120softmax_warp_forwardIfffLi10ELb1ELb0ELi64EEEvPT0_PKT_iiiPKbib ; -- Begin function _ZN12_GLOBAL__N_120softmax_warp_forwardIfffLi10ELb1ELb0ELi64EEEvPT0_PKT_iiiPKbib
	.p2align	8
	.type	_ZN12_GLOBAL__N_120softmax_warp_forwardIfffLi10ELb1ELb0ELi64EEEvPT0_PKT_iiiPKbib,@function
_ZN12_GLOBAL__N_120softmax_warp_forwardIfffLi10ELb1ELb0ELi64EEEvPT0_PKT_iiiPKbib: ; @_ZN12_GLOBAL__N_120softmax_warp_forwardIfffLi10ELb1ELb0ELi64EEEvPT0_PKT_iiiPKbib
; %bb.0:
	s_clause 0x1
	s_load_dword s0, s[4:5], 0x3c
	s_load_dwordx8 s[16:23], s[4:5], 0x0
	v_mov_b32_e32 v7, 0xff800000
	v_mov_b32_e32 v9, 0xff800000
	s_waitcnt lgkmcnt(0)
	s_lshr_b32 s0, s0, 16
	v_cmp_gt_i32_e64 s1, s22, v0
	v_mad_u64_u32 v[1:2], null, s6, s0, v[1:2]
	v_mad_u64_u32 v[2:3], null, v1, s21, v[0:1]
	v_sub_nc_u32_e32 v5, s20, v1
	v_cmp_lt_i32_e64 s15, 0, v5
	v_ashrrev_i32_e32 v3, 31, v2
	s_and_b32 s2, s15, s1
	v_lshlrev_b64 v[1:2], 2, v[2:3]
	v_add_co_u32 v3, vcc_lo, s18, v1
	v_add_co_ci_u32_e64 v4, null, s19, v2, vcc_lo
	s_and_saveexec_b32 s0, s2
	s_cbranch_execz .LBB55_2
; %bb.1:
	global_load_dword v9, v[3:4], off
.LBB55_2:
	s_or_b32 exec_lo, exec_lo, s0
	v_add_nc_u32_e32 v6, 64, v0
	v_cmp_gt_i32_e32 vcc_lo, s22, v6
	s_and_b32 s2, s15, vcc_lo
	s_and_saveexec_b32 s0, s2
	s_cbranch_execz .LBB55_4
; %bb.3:
	global_load_dword v7, v[3:4], off offset:256
.LBB55_4:
	s_or_b32 exec_lo, exec_lo, s0
	v_add_nc_u32_e32 v6, 0x80, v0
	v_mov_b32_e32 v11, 0xff800000
	v_mov_b32_e32 v13, 0xff800000
	v_cmp_gt_i32_e64 s0, s22, v6
	s_and_b32 s3, s15, s0
	s_and_saveexec_b32 s2, s3
	s_cbranch_execz .LBB55_6
; %bb.5:
	global_load_dword v13, v[3:4], off offset:512
.LBB55_6:
	s_or_b32 exec_lo, exec_lo, s2
	v_add_nc_u32_e32 v6, 0xc0, v0
	v_cmp_gt_i32_e64 s2, s22, v6
	s_and_b32 s4, s15, s2
	s_and_saveexec_b32 s3, s4
	s_cbranch_execz .LBB55_8
; %bb.7:
	global_load_dword v11, v[3:4], off offset:768
.LBB55_8:
	s_or_b32 exec_lo, exec_lo, s3
	v_add_nc_u32_e32 v6, 0x100, v0
	v_mov_b32_e32 v14, 0xff800000
	v_mov_b32_e32 v15, 0xff800000
	v_cmp_gt_i32_e64 s3, s22, v6
	s_and_b32 s5, s15, s3
	s_and_saveexec_b32 s4, s5
	s_cbranch_execz .LBB55_10
; %bb.9:
	global_load_dword v15, v[3:4], off offset:1024
.LBB55_10:
	s_or_b32 exec_lo, exec_lo, s4
	v_add_nc_u32_e32 v6, 0x140, v0
	v_cmp_gt_i32_e64 s4, s22, v6
	s_and_b32 s6, s15, s4
	;; [unrolled: 20-line block ×3, first 2 shown]
	s_and_saveexec_b32 s7, s8
	s_cbranch_execz .LBB55_16
; %bb.15:
	global_load_dword v16, v[3:4], off offset:1792
.LBB55_16:
	s_or_b32 exec_lo, exec_lo, s7
	v_add_nc_u32_e32 v6, 0x200, v0
	v_mov_b32_e32 v18, 0xff800000
	v_mov_b32_e32 v19, 0xff800000
	v_cmp_gt_i32_e64 s7, s22, v6
	s_and_b32 s8, s15, s7
	s_and_saveexec_b32 s9, s8
	s_cbranch_execz .LBB55_18
; %bb.17:
	v_add_co_u32 v19, s8, 0x800, v3
	v_add_co_ci_u32_e64 v20, null, 0, v4, s8
	global_load_dword v19, v[19:20], off
.LBB55_18:
	s_or_b32 exec_lo, exec_lo, s9
	v_add_nc_u32_e32 v6, 0x240, v0
	v_cmp_gt_i32_e64 s8, s22, v6
	s_and_b32 s9, s15, s8
	s_and_saveexec_b32 s10, s9
	s_cbranch_execz .LBB55_20
; %bb.19:
	v_add_co_u32 v20, s9, 0x800, v3
	v_add_co_ci_u32_e64 v21, null, 0, v4, s9
	global_load_dword v18, v[20:21], off offset:256
.LBB55_20:
	s_or_b32 exec_lo, exec_lo, s10
	v_add_nc_u32_e32 v6, 0x280, v0
	v_mov_b32_e32 v20, 0xff800000
	v_mov_b32_e32 v21, 0xff800000
	v_cmp_gt_i32_e64 s9, s22, v6
	s_and_b32 s10, s15, s9
	s_and_saveexec_b32 s11, s10
	s_cbranch_execz .LBB55_22
; %bb.21:
	v_add_co_u32 v21, s10, 0x800, v3
	v_add_co_ci_u32_e64 v22, null, 0, v4, s10
	global_load_dword v21, v[21:22], off offset:512
.LBB55_22:
	s_or_b32 exec_lo, exec_lo, s11
	v_add_nc_u32_e32 v6, 0x2c0, v0
	v_cmp_gt_i32_e64 s10, s22, v6
	s_and_b32 s11, s15, s10
	s_and_saveexec_b32 s12, s11
	s_cbranch_execz .LBB55_24
; %bb.23:
	v_add_co_u32 v22, s11, 0x800, v3
	v_add_co_ci_u32_e64 v23, null, 0, v4, s11
	global_load_dword v20, v[22:23], off offset:768
.LBB55_24:
	s_or_b32 exec_lo, exec_lo, s12
	v_add_nc_u32_e32 v6, 0x300, v0
	v_mov_b32_e32 v22, 0xff800000
	v_mov_b32_e32 v23, 0xff800000
	v_cmp_gt_i32_e64 s11, s22, v6
	s_and_b32 s12, s15, s11
	s_and_saveexec_b32 s13, s12
	s_cbranch_execz .LBB55_26
; %bb.25:
	v_add_co_u32 v23, s12, 0x800, v3
	v_add_co_ci_u32_e64 v24, null, 0, v4, s12
	global_load_dword v23, v[23:24], off offset:1024
.LBB55_26:
	s_or_b32 exec_lo, exec_lo, s13
	v_add_nc_u32_e32 v6, 0x340, v0
	v_cmp_gt_i32_e64 s12, s22, v6
	s_and_b32 s13, s15, s12
	s_and_saveexec_b32 s14, s13
	s_cbranch_execz .LBB55_28
; %bb.27:
	v_add_co_u32 v24, s13, 0x800, v3
	v_add_co_ci_u32_e64 v25, null, 0, v4, s13
	global_load_dword v22, v[24:25], off offset:1280
.LBB55_28:
	s_or_b32 exec_lo, exec_lo, s14
	v_add_nc_u32_e32 v6, 0x380, v0
	v_mov_b32_e32 v24, 0xff800000
	v_mov_b32_e32 v25, 0xff800000
	v_cmp_gt_i32_e64 s13, s22, v6
	s_and_b32 s14, s15, s13
	s_and_saveexec_b32 s18, s14
	s_cbranch_execz .LBB55_30
; %bb.29:
	v_add_co_u32 v25, s14, 0x800, v3
	v_add_co_ci_u32_e64 v26, null, 0, v4, s14
	global_load_dword v25, v[25:26], off offset:1536
.LBB55_30:
	s_or_b32 exec_lo, exec_lo, s18
	v_add_nc_u32_e32 v0, 0x3c0, v0
	v_cmp_gt_i32_e64 s14, s22, v0
	s_and_b32 s15, s15, s14
	s_and_saveexec_b32 s18, s15
	s_cbranch_execz .LBB55_32
; %bb.31:
	v_add_co_u32 v3, s15, 0x800, v3
	v_add_co_ci_u32_e64 v4, null, 0, v4, s15
	global_load_dword v24, v[3:4], off offset:1792
.LBB55_32:
	s_or_b32 exec_lo, exec_lo, s18
	s_waitcnt vmcnt(0)
	v_cmp_gt_f32_e64 s15, v9, v7
	v_mbcnt_lo_u32_b32 v4, -1, 0
	s_mov_b32 s18, exec_lo
	v_cndmask_b32_e64 v0, v7, v9, s15
	v_or_b32_e32 v3, 32, v4
	v_cmp_gt_f32_e64 s15, v0, v13
	v_cndmask_b32_e64 v0, v13, v0, s15
	v_cmp_gt_f32_e64 s15, v0, v11
	v_cndmask_b32_e64 v0, v11, v0, s15
	;; [unrolled: 2-line block ×12, first 2 shown]
	v_cmp_gt_i32_e64 s15, 64, v3
	v_cndmask_b32_e64 v3, v4, v3, s15
	v_cmp_gt_f32_e64 s15, v0, v25
	v_cndmask_b32_e64 v6, v25, v0, s15
	v_lshlrev_b32_e32 v0, 2, v3
	v_xor_b32_e32 v3, 16, v4
	v_cmp_gt_f32_e64 s15, v6, v24
	v_cndmask_b32_e64 v6, v24, v6, s15
	v_cmp_gt_i32_e64 s15, 64, v3
	ds_bpermute_b32 v8, v0, v6
	v_cndmask_b32_e64 v3, v4, v3, s15
	v_lshlrev_b32_e32 v3, 2, v3
	s_waitcnt lgkmcnt(0)
	v_cmp_lt_f32_e64 s15, v6, v8
	v_cndmask_b32_e64 v8, v6, v8, s15
	v_xor_b32_e32 v6, 8, v4
	ds_bpermute_b32 v10, v3, v8
	v_cmp_gt_i32_e64 s15, 64, v6
	v_cndmask_b32_e64 v6, v4, v6, s15
	v_lshlrev_b32_e32 v6, 2, v6
	s_waitcnt lgkmcnt(0)
	v_cmp_lt_f32_e64 s15, v8, v10
	v_cndmask_b32_e64 v10, v8, v10, s15
	v_xor_b32_e32 v8, 4, v4
	ds_bpermute_b32 v12, v6, v10
	v_cmp_gt_i32_e64 s15, 64, v8
	;; [unrolled: 8-line block ×4, first 2 shown]
	v_cndmask_b32_e64 v4, v4, v12, s15
	v_lshlrev_b32_e32 v12, 2, v4
	s_waitcnt lgkmcnt(0)
	v_cmp_lt_f32_e64 s15, v26, v27
	v_cndmask_b32_e64 v4, v26, v27, s15
	ds_bpermute_b32 v26, v12, v4
	s_waitcnt lgkmcnt(0)
	v_cmp_lt_f32_e64 s15, v4, v26
	v_cndmask_b32_e64 v26, v4, v26, s15
	v_sub_f32_e32 v4, v9, v26
	v_sub_f32_e32 v7, v7, v26
	;; [unrolled: 1-line block ×9, first 2 shown]
	v_mul_f32_e32 v25, 0x3fb8aa3b, v4
	v_sub_f32_e32 v11, v11, v26
	v_sub_f32_e32 v14, v14, v26
	;; [unrolled: 1-line block ×7, first 2 shown]
	v_mul_f32_e32 v26, 0x3fb8aa3b, v7
	v_fma_f32 v41, 0x3fb8aa3b, v4, -v25
	v_rndne_f32_e32 v42, v25
	v_mul_f32_e32 v27, 0x3fb8aa3b, v9
	v_mul_f32_e32 v28, 0x3fb8aa3b, v11
	v_fma_f32 v43, 0x3fb8aa3b, v7, -v26
	v_rndne_f32_e32 v44, v26
	v_fmac_f32_e32 v41, 0x32a5705f, v4
	v_sub_f32_e32 v25, v25, v42
	v_fma_f32 v45, 0x3fb8aa3b, v9, -v27
	v_rndne_f32_e32 v46, v27
	v_fmac_f32_e32 v43, 0x32a5705f, v7
	v_sub_f32_e32 v26, v26, v44
	v_add_f32_e32 v25, v25, v41
	v_fmac_f32_e32 v45, 0x32a5705f, v9
	v_sub_f32_e32 v27, v27, v46
	v_cvt_i32_f32_e32 v42, v42
	v_add_f32_e32 v26, v26, v43
	v_exp_f32_e32 v25, v25
	v_fma_f32 v47, 0x3fb8aa3b, v11, -v28
	v_add_f32_e32 v27, v27, v45
	v_rndne_f32_e32 v48, v28
	v_exp_f32_e32 v26, v26
	v_cvt_i32_f32_e32 v44, v44
	v_cmp_ngt_f32_e64 s15, 0xc2ce8ed0, v4
	v_exp_f32_e32 v27, v27
	v_mul_f32_e32 v29, 0x3fb8aa3b, v13
	v_fmac_f32_e32 v47, 0x32a5705f, v11
	v_ldexp_f32 v25, v25, v42
	v_sub_f32_e32 v28, v28, v48
	v_cvt_i32_f32_e32 v46, v46
	v_fma_f32 v49, 0x3fb8aa3b, v13, -v29
	v_ldexp_f32 v26, v26, v44
	v_cndmask_b32_e64 v25, 0, v25, s15
	v_cmp_ngt_f32_e64 s15, 0xc2ce8ed0, v7
	v_rndne_f32_e32 v50, v29
	v_add_f32_e32 v28, v28, v47
	v_ldexp_f32 v27, v27, v46
	v_mul_f32_e32 v30, 0x3fb8aa3b, v14
	v_cndmask_b32_e64 v26, 0, v26, s15
	v_cmp_ngt_f32_e64 s15, 0xc2ce8ed0, v9
	v_fmac_f32_e32 v49, 0x32a5705f, v13
	v_sub_f32_e32 v29, v29, v50
	v_exp_f32_e32 v28, v28
	v_fma_f32 v51, 0x3fb8aa3b, v14, -v30
	v_cndmask_b32_e64 v27, 0, v27, s15
	v_cmp_nlt_f32_e64 s15, 0x42b17218, v4
	v_rndne_f32_e32 v52, v30
	v_add_f32_e32 v29, v29, v49
	v_cvt_i32_f32_e32 v48, v48
	v_mul_f32_e32 v31, 0x3fb8aa3b, v15
	v_cndmask_b32_e64 v25, 0x7f800000, v25, s15
	v_cmp_nlt_f32_e64 s15, 0x42b17218, v7
	v_fmac_f32_e32 v51, 0x32a5705f, v14
	v_sub_f32_e32 v30, v30, v52
	v_exp_f32_e32 v29, v29
	v_ldexp_f32 v28, v28, v48
	v_cndmask_b32_e64 v26, 0x7f800000, v26, s15
	v_cmp_ngt_f32_e64 s15, 0xc2ce8ed0, v11
	v_fma_f32 v53, 0x3fb8aa3b, v15, -v31
	v_rndne_f32_e32 v54, v31
	v_add_f32_e32 v30, v30, v51
	v_cvt_i32_f32_e32 v50, v50
	v_cndmask_b32_e64 v28, 0, v28, s15
	v_cmp_nlt_f32_e64 s15, 0x42b17218, v9
	v_mul_f32_e32 v32, 0x3fb8aa3b, v16
	v_fmac_f32_e32 v53, 0x32a5705f, v15
	v_sub_f32_e32 v31, v31, v54
	v_exp_f32_e32 v30, v30
	v_ldexp_f32 v29, v29, v50
	v_cndmask_b32_e64 v27, 0x7f800000, v27, s15
	v_cmp_ngt_f32_e64 s15, 0xc2ce8ed0, v13
	v_fma_f32 v55, 0x3fb8aa3b, v16, -v32
	v_rndne_f32_e32 v56, v32
	v_add_f32_e32 v31, v31, v53
	v_cvt_i32_f32_e32 v52, v52
	v_add_f32_e32 v25, v25, v26
	v_cndmask_b32_e64 v26, 0, v29, s15
	v_cmp_nlt_f32_e64 s15, 0x42b17218, v11
	v_mul_f32_e32 v33, 0x3fb8aa3b, v17
	v_fmac_f32_e32 v55, 0x32a5705f, v16
	v_sub_f32_e32 v32, v32, v56
	v_exp_f32_e32 v31, v31
	v_ldexp_f32 v30, v30, v52
	v_cndmask_b32_e64 v28, 0x7f800000, v28, s15
	v_cmp_ngt_f32_e64 s15, 0xc2ce8ed0, v14
	v_fma_f32 v57, 0x3fb8aa3b, v17, -v33
	v_rndne_f32_e32 v58, v33
	v_add_f32_e32 v32, v32, v55
	v_cvt_i32_f32_e32 v54, v54
	v_add_f32_e32 v25, v25, v27
	;; [unrolled: 14-line block ×5, first 2 shown]
	v_cndmask_b32_e64 v27, 0, v33, s15
	v_cmp_nlt_f32_e64 s15, 0x42b17218, v16
	v_mul_f32_e32 v37, 0x3fb8aa3b, v21
	v_fmac_f32_e32 v43, 0x32a5705f, v20
	v_sub_f32_e32 v36, v36, v45
	v_exp_f32_e32 v35, v35
	v_ldexp_f32 v34, v34, v60
	v_cndmask_b32_e64 v26, 0x7f800000, v26, s15
	v_cmp_ngt_f32_e64 s15, 0xc2ce8ed0, v18
	v_fma_f32 v47, 0x3fb8aa3b, v21, -v37
	v_rndne_f32_e32 v49, v37
	v_cvt_i32_f32_e32 v41, v41
	v_add_f32_e32 v36, v36, v43
	v_add_f32_e32 v25, v25, v28
	v_cndmask_b32_e64 v28, 0, v34, s15
	v_cmp_nlt_f32_e64 s15, 0x42b17218, v17
	v_mul_f32_e32 v38, 0x3fb8aa3b, v22
	v_fmac_f32_e32 v47, 0x32a5705f, v21
	v_sub_f32_e32 v37, v37, v49
	v_exp_f32_e32 v36, v36
	v_ldexp_f32 v35, v35, v41
	v_cndmask_b32_e64 v27, 0x7f800000, v27, s15
	v_cmp_ngt_f32_e64 s15, 0xc2ce8ed0, v19
	v_fma_f32 v51, 0x3fb8aa3b, v22, -v38
	v_rndne_f32_e32 v53, v38
	v_cvt_i32_f32_e32 v45, v45
	v_add_f32_e32 v37, v37, v47
	v_add_f32_e32 v25, v25, v26
	;; [unrolled: 14-line block ×3, first 2 shown]
	v_cndmask_b32_e64 v27, 0, v36, s15
	v_cmp_nlt_f32_e64 s15, 0x42b17218, v19
	v_fmac_f32_e32 v55, 0x32a5705f, v23
	v_sub_f32_e32 v39, v39, v57
	v_exp_f32_e32 v38, v38
	v_ldexp_f32 v37, v37, v49
	v_cndmask_b32_e64 v26, 0x7f800000, v26, s15
	v_cmp_ngt_f32_e64 s15, 0xc2ce8ed0, v21
	v_mul_f32_e32 v40, 0x3fb8aa3b, v24
	v_cvt_i32_f32_e32 v53, v53
	v_add_f32_e32 v39, v39, v55
	v_add_f32_e32 v25, v25, v28
	v_cndmask_b32_e64 v28, 0, v37, s15
	v_cmp_nlt_f32_e64 s15, 0x42b17218, v20
	v_fma_f32 v59, 0x3fb8aa3b, v24, -v40
	v_rndne_f32_e32 v61, v40
	v_exp_f32_e32 v39, v39
	v_ldexp_f32 v38, v38, v53
	v_cndmask_b32_e64 v27, 0x7f800000, v27, s15
	v_cmp_ngt_f32_e64 s15, 0xc2ce8ed0, v22
	v_cvt_i32_f32_e32 v57, v57
	v_fmac_f32_e32 v59, 0x32a5705f, v24
	v_sub_f32_e32 v40, v40, v61
	v_add_f32_e32 v25, v25, v26
	v_cndmask_b32_e64 v26, 0, v38, s15
	v_cmp_nlt_f32_e64 s15, 0x42b17218, v21
	v_ldexp_f32 v39, v39, v57
	v_add_f32_e32 v40, v40, v59
	v_add_f32_e32 v25, v25, v27
	v_cvt_i32_f32_e32 v61, v61
	v_cndmask_b32_e64 v28, 0x7f800000, v28, s15
	v_cmp_ngt_f32_e64 s15, 0xc2ce8ed0, v23
	v_exp_f32_e32 v40, v40
	v_add_f32_e32 v25, v25, v28
	v_cndmask_b32_e64 v27, 0, v39, s15
	v_cmp_nlt_f32_e64 s15, 0x42b17218, v22
	v_cndmask_b32_e64 v26, 0x7f800000, v26, s15
	v_cmp_nlt_f32_e64 s15, 0x42b17218, v23
	v_ldexp_f32 v28, v40, v61
	v_add_f32_e32 v25, v25, v26
	v_cndmask_b32_e64 v27, 0x7f800000, v27, s15
	v_cmp_ngt_f32_e64 s15, 0xc2ce8ed0, v24
	v_add_f32_e32 v25, v25, v27
	v_cndmask_b32_e64 v26, 0, v28, s15
	v_cmp_nlt_f32_e64 s15, 0x42b17218, v24
	v_cndmask_b32_e64 v26, 0x7f800000, v26, s15
	v_add_f32_e32 v25, v25, v26
	ds_bpermute_b32 v0, v0, v25
	s_waitcnt lgkmcnt(0)
	v_add_f32_e32 v0, v25, v0
	ds_bpermute_b32 v3, v3, v0
	s_waitcnt lgkmcnt(0)
	;; [unrolled: 3-line block ×5, first 2 shown]
	v_add_f32_e32 v0, v0, v3
	ds_bpermute_b32 v3, v12, v0
	v_cmpx_lt_i32_e32 0, v5
	s_cbranch_execz .LBB55_50
; %bb.33:
	s_and_b32 exec_lo, exec_lo, s1
	s_cbranch_execz .LBB55_50
; %bb.34:
	s_waitcnt lgkmcnt(0)
	v_add_f32_e32 v0, v0, v3
	v_cmp_gt_f32_e64 s1, 0x800000, v0
	v_cndmask_b32_e64 v3, 0, 32, s1
	v_ldexp_f32 v0, v0, v3
	v_log_f32_e32 v0, v0
	v_mul_f32_e32 v3, 0x3f317217, v0
	v_cmp_gt_f32_e64 s15, 0x7f800000, |v0|
	v_fma_f32 v3, 0x3f317217, v0, -v3
	v_fmamk_f32 v3, v0, 0x3377d1cf, v3
	v_fmac_f32_e32 v3, 0x3f317217, v0
	v_cndmask_b32_e64 v0, v0, v3, s15
	v_cndmask_b32_e64 v3, 0, 0x41b17218, s1
	v_sub_f32_e32 v3, v0, v3
	v_add_co_u32 v0, s1, s16, v1
	v_add_co_ci_u32_e64 v1, null, s17, v2, s1
	v_sub_f32_e32 v2, v4, v3
	global_store_dword v[0:1], v2, off
	s_and_b32 exec_lo, exec_lo, vcc_lo
	s_cbranch_execz .LBB55_50
; %bb.35:
	v_sub_f32_e32 v2, v7, v3
	global_store_dword v[0:1], v2, off offset:256
	s_and_b32 exec_lo, exec_lo, s0
	s_cbranch_execz .LBB55_50
; %bb.36:
	v_sub_f32_e32 v2, v9, v3
	global_store_dword v[0:1], v2, off offset:512
	s_and_b32 exec_lo, exec_lo, s2
	;; [unrolled: 5-line block ×7, first 2 shown]
	s_cbranch_execz .LBB55_50
; %bb.42:
	v_add_co_u32 v0, vcc_lo, 0x800, v0
	v_sub_f32_e32 v2, v17, v3
	v_add_co_ci_u32_e64 v1, null, 0, v1, vcc_lo
	global_store_dword v[0:1], v2, off
	s_and_b32 exec_lo, exec_lo, s8
	s_cbranch_execz .LBB55_50
; %bb.43:
	v_sub_f32_e32 v2, v18, v3
	global_store_dword v[0:1], v2, off offset:256
	s_and_b32 exec_lo, exec_lo, s9
	s_cbranch_execz .LBB55_50
; %bb.44:
	v_sub_f32_e32 v2, v19, v3
	global_store_dword v[0:1], v2, off offset:512
	;; [unrolled: 5-line block ×7, first 2 shown]
.LBB55_50:
	s_endpgm
	.section	.rodata,"a",@progbits
	.p2align	6, 0x0
	.amdhsa_kernel _ZN12_GLOBAL__N_120softmax_warp_forwardIfffLi10ELb1ELb0ELi64EEEvPT0_PKT_iiiPKbib
		.amdhsa_group_segment_fixed_size 0
		.amdhsa_private_segment_fixed_size 0
		.amdhsa_kernarg_size 304
		.amdhsa_user_sgpr_count 6
		.amdhsa_user_sgpr_private_segment_buffer 1
		.amdhsa_user_sgpr_dispatch_ptr 0
		.amdhsa_user_sgpr_queue_ptr 0
		.amdhsa_user_sgpr_kernarg_segment_ptr 1
		.amdhsa_user_sgpr_dispatch_id 0
		.amdhsa_user_sgpr_flat_scratch_init 0
		.amdhsa_user_sgpr_private_segment_size 0
		.amdhsa_wavefront_size32 1
		.amdhsa_uses_dynamic_stack 0
		.amdhsa_system_sgpr_private_segment_wavefront_offset 0
		.amdhsa_system_sgpr_workgroup_id_x 1
		.amdhsa_system_sgpr_workgroup_id_y 0
		.amdhsa_system_sgpr_workgroup_id_z 0
		.amdhsa_system_sgpr_workgroup_info 0
		.amdhsa_system_vgpr_workitem_id 1
		.amdhsa_next_free_vgpr 62
		.amdhsa_next_free_sgpr 24
		.amdhsa_reserve_vcc 1
		.amdhsa_reserve_flat_scratch 0
		.amdhsa_float_round_mode_32 0
		.amdhsa_float_round_mode_16_64 0
		.amdhsa_float_denorm_mode_32 3
		.amdhsa_float_denorm_mode_16_64 3
		.amdhsa_dx10_clamp 1
		.amdhsa_ieee_mode 1
		.amdhsa_fp16_overflow 0
		.amdhsa_workgroup_processor_mode 1
		.amdhsa_memory_ordered 1
		.amdhsa_forward_progress 1
		.amdhsa_shared_vgpr_count 0
		.amdhsa_exception_fp_ieee_invalid_op 0
		.amdhsa_exception_fp_denorm_src 0
		.amdhsa_exception_fp_ieee_div_zero 0
		.amdhsa_exception_fp_ieee_overflow 0
		.amdhsa_exception_fp_ieee_underflow 0
		.amdhsa_exception_fp_ieee_inexact 0
		.amdhsa_exception_int_div_zero 0
	.end_amdhsa_kernel
	.section	.text._ZN12_GLOBAL__N_120softmax_warp_forwardIfffLi10ELb1ELb0ELi64EEEvPT0_PKT_iiiPKbib,"axG",@progbits,_ZN12_GLOBAL__N_120softmax_warp_forwardIfffLi10ELb1ELb0ELi64EEEvPT0_PKT_iiiPKbib,comdat
.Lfunc_end55:
	.size	_ZN12_GLOBAL__N_120softmax_warp_forwardIfffLi10ELb1ELb0ELi64EEEvPT0_PKT_iiiPKbib, .Lfunc_end55-_ZN12_GLOBAL__N_120softmax_warp_forwardIfffLi10ELb1ELb0ELi64EEEvPT0_PKT_iiiPKbib
                                        ; -- End function
	.set _ZN12_GLOBAL__N_120softmax_warp_forwardIfffLi10ELb1ELb0ELi64EEEvPT0_PKT_iiiPKbib.num_vgpr, 62
	.set _ZN12_GLOBAL__N_120softmax_warp_forwardIfffLi10ELb1ELb0ELi64EEEvPT0_PKT_iiiPKbib.num_agpr, 0
	.set _ZN12_GLOBAL__N_120softmax_warp_forwardIfffLi10ELb1ELb0ELi64EEEvPT0_PKT_iiiPKbib.numbered_sgpr, 24
	.set _ZN12_GLOBAL__N_120softmax_warp_forwardIfffLi10ELb1ELb0ELi64EEEvPT0_PKT_iiiPKbib.num_named_barrier, 0
	.set _ZN12_GLOBAL__N_120softmax_warp_forwardIfffLi10ELb1ELb0ELi64EEEvPT0_PKT_iiiPKbib.private_seg_size, 0
	.set _ZN12_GLOBAL__N_120softmax_warp_forwardIfffLi10ELb1ELb0ELi64EEEvPT0_PKT_iiiPKbib.uses_vcc, 1
	.set _ZN12_GLOBAL__N_120softmax_warp_forwardIfffLi10ELb1ELb0ELi64EEEvPT0_PKT_iiiPKbib.uses_flat_scratch, 0
	.set _ZN12_GLOBAL__N_120softmax_warp_forwardIfffLi10ELb1ELb0ELi64EEEvPT0_PKT_iiiPKbib.has_dyn_sized_stack, 0
	.set _ZN12_GLOBAL__N_120softmax_warp_forwardIfffLi10ELb1ELb0ELi64EEEvPT0_PKT_iiiPKbib.has_recursion, 0
	.set _ZN12_GLOBAL__N_120softmax_warp_forwardIfffLi10ELb1ELb0ELi64EEEvPT0_PKT_iiiPKbib.has_indirect_call, 0
	.section	.AMDGPU.csdata,"",@progbits
; Kernel info:
; codeLenInByte = 3856
; TotalNumSgprs: 26
; NumVgprs: 62
; ScratchSize: 0
; MemoryBound: 0
; FloatMode: 240
; IeeeMode: 1
; LDSByteSize: 0 bytes/workgroup (compile time only)
; SGPRBlocks: 0
; VGPRBlocks: 7
; NumSGPRsForWavesPerEU: 26
; NumVGPRsForWavesPerEU: 62
; Occupancy: 16
; WaveLimiterHint : 0
; COMPUTE_PGM_RSRC2:SCRATCH_EN: 0
; COMPUTE_PGM_RSRC2:USER_SGPR: 6
; COMPUTE_PGM_RSRC2:TRAP_HANDLER: 0
; COMPUTE_PGM_RSRC2:TGID_X_EN: 1
; COMPUTE_PGM_RSRC2:TGID_Y_EN: 0
; COMPUTE_PGM_RSRC2:TGID_Z_EN: 0
; COMPUTE_PGM_RSRC2:TIDIG_COMP_CNT: 1
	.section	.text._ZN12_GLOBAL__N_120softmax_warp_forwardIfffLi10ELb1ELb0ELi32EEEvPT0_PKT_iiiPKbib,"axG",@progbits,_ZN12_GLOBAL__N_120softmax_warp_forwardIfffLi10ELb1ELb0ELi32EEEvPT0_PKT_iiiPKbib,comdat
	.globl	_ZN12_GLOBAL__N_120softmax_warp_forwardIfffLi10ELb1ELb0ELi32EEEvPT0_PKT_iiiPKbib ; -- Begin function _ZN12_GLOBAL__N_120softmax_warp_forwardIfffLi10ELb1ELb0ELi32EEEvPT0_PKT_iiiPKbib
	.p2align	8
	.type	_ZN12_GLOBAL__N_120softmax_warp_forwardIfffLi10ELb1ELb0ELi32EEEvPT0_PKT_iiiPKbib,@function
_ZN12_GLOBAL__N_120softmax_warp_forwardIfffLi10ELb1ELb0ELi32EEEvPT0_PKT_iiiPKbib: ; @_ZN12_GLOBAL__N_120softmax_warp_forwardIfffLi10ELb1ELb0ELi32EEEvPT0_PKT_iiiPKbib
; %bb.0:
	s_clause 0x1
	s_load_dword s0, s[4:5], 0x3c
	s_load_dwordx8 s[36:43], s[4:5], 0x0
	v_mov_b32_e32 v13, 0xff800000
	v_mov_b32_e32 v41, 0xff800000
	s_waitcnt lgkmcnt(0)
	s_lshr_b32 s0, s0, 16
	v_cmp_gt_i32_e64 s1, s42, v0
	v_mad_u64_u32 v[1:2], null, s6, s0, v[1:2]
	v_mad_u64_u32 v[2:3], null, v1, s41, v[0:1]
	v_sub_nc_u32_e32 v5, s40, v1
	v_cmp_lt_i32_e64 s31, 0, v5
	v_ashrrev_i32_e32 v3, 31, v2
	s_and_b32 s2, s31, s1
	v_lshlrev_b64 v[1:2], 2, v[2:3]
	v_add_co_u32 v3, vcc_lo, s38, v1
	v_add_co_ci_u32_e64 v4, null, s39, v2, vcc_lo
	s_and_saveexec_b32 s0, s2
	s_cbranch_execz .LBB56_2
; %bb.1:
	global_load_dword v41, v[3:4], off
.LBB56_2:
	s_or_b32 exec_lo, exec_lo, s0
	v_add_nc_u32_e32 v6, 32, v0
	v_cmp_gt_i32_e32 vcc_lo, s42, v6
	s_and_b32 s2, s31, vcc_lo
	s_and_saveexec_b32 s0, s2
	s_cbranch_execz .LBB56_4
; %bb.3:
	global_load_dword v13, v[3:4], off offset:128
.LBB56_4:
	s_or_b32 exec_lo, exec_lo, s0
	v_add_nc_u32_e32 v6, 64, v0
	v_mov_b32_e32 v20, 0xff800000
	v_mov_b32_e32 v17, 0xff800000
	v_cmp_gt_i32_e64 s0, s42, v6
	s_and_b32 s3, s31, s0
	s_and_saveexec_b32 s2, s3
	s_cbranch_execz .LBB56_6
; %bb.5:
	global_load_dword v17, v[3:4], off offset:256
.LBB56_6:
	s_or_b32 exec_lo, exec_lo, s2
	v_add_nc_u32_e32 v6, 0x60, v0
	v_cmp_gt_i32_e64 s2, s42, v6
	s_and_b32 s4, s31, s2
	s_and_saveexec_b32 s3, s4
	s_cbranch_execz .LBB56_8
; %bb.7:
	global_load_dword v20, v[3:4], off offset:384
.LBB56_8:
	s_or_b32 exec_lo, exec_lo, s3
	v_add_nc_u32_e32 v6, 0x80, v0
	v_mov_b32_e32 v23, 0xff800000
	v_mov_b32_e32 v21, 0xff800000
	v_cmp_gt_i32_e64 s3, s42, v6
	s_and_b32 s5, s31, s3
	s_and_saveexec_b32 s4, s5
	s_cbranch_execz .LBB56_10
; %bb.9:
	global_load_dword v21, v[3:4], off offset:512
.LBB56_10:
	s_or_b32 exec_lo, exec_lo, s4
	v_add_nc_u32_e32 v6, 0xa0, v0
	v_cmp_gt_i32_e64 s4, s42, v6
	s_and_b32 s6, s31, s4
	;; [unrolled: 20-line block ×7, first 2 shown]
	s_and_saveexec_b32 s15, s16
	s_cbranch_execz .LBB56_32
; %bb.31:
	global_load_dword v34, v[3:4], off offset:1920
.LBB56_32:
	s_or_b32 exec_lo, exec_lo, s15
	v_add_nc_u32_e32 v6, 0x200, v0
	v_mov_b32_e32 v31, 0xff800000
	v_mov_b32_e32 v37, 0xff800000
	v_cmp_gt_i32_e64 s15, s42, v6
	s_and_b32 s16, s31, s15
	s_and_saveexec_b32 s17, s16
	s_cbranch_execz .LBB56_34
; %bb.33:
	v_add_co_u32 v6, s16, 0x800, v3
	v_add_co_ci_u32_e64 v7, null, 0, v4, s16
	global_load_dword v37, v[6:7], off
.LBB56_34:
	s_or_b32 exec_lo, exec_lo, s17
	v_add_nc_u32_e32 v6, 0x220, v0
	v_cmp_gt_i32_e64 s16, s42, v6
	s_and_b32 s17, s31, s16
	s_and_saveexec_b32 s18, s17
	s_cbranch_execz .LBB56_36
; %bb.35:
	v_add_co_u32 v6, s17, 0x800, v3
	v_add_co_ci_u32_e64 v7, null, 0, v4, s17
	global_load_dword v31, v[6:7], off offset:128
.LBB56_36:
	s_or_b32 exec_lo, exec_lo, s18
	v_add_nc_u32_e32 v6, 0x240, v0
	v_mov_b32_e32 v30, 0xff800000
	v_mov_b32_e32 v35, 0xff800000
	v_cmp_gt_i32_e64 s17, s42, v6
	s_and_b32 s18, s31, s17
	s_and_saveexec_b32 s19, s18
	s_cbranch_execz .LBB56_38
; %bb.37:
	v_add_co_u32 v6, s18, 0x800, v3
	v_add_co_ci_u32_e64 v7, null, 0, v4, s18
	global_load_dword v35, v[6:7], off offset:256
.LBB56_38:
	s_or_b32 exec_lo, exec_lo, s19
	v_add_nc_u32_e32 v6, 0x260, v0
	v_cmp_gt_i32_e64 s18, s42, v6
	s_and_b32 s19, s31, s18
	s_and_saveexec_b32 s20, s19
	s_cbranch_execz .LBB56_40
; %bb.39:
	v_add_co_u32 v6, s19, 0x800, v3
	v_add_co_ci_u32_e64 v7, null, 0, v4, s19
	global_load_dword v30, v[6:7], off offset:384
.LBB56_40:
	s_or_b32 exec_lo, exec_lo, s20
	v_add_nc_u32_e32 v6, 0x280, v0
	v_mov_b32_e32 v26, 0xff800000
	v_mov_b32_e32 v33, 0xff800000
	v_cmp_gt_i32_e64 s19, s42, v6
	s_and_b32 s20, s31, s19
	s_and_saveexec_b32 s21, s20
	s_cbranch_execz .LBB56_42
; %bb.41:
	v_add_co_u32 v6, s20, 0x800, v3
	v_add_co_ci_u32_e64 v7, null, 0, v4, s20
	global_load_dword v33, v[6:7], off offset:512
.LBB56_42:
	;; [unrolled: 24-line block ×6, first 2 shown]
	s_or_b32 exec_lo, exec_lo, s29
	v_add_nc_u32_e32 v6, 0x3a0, v0
	v_cmp_gt_i32_e64 s28, s42, v6
	s_and_b32 s29, s31, s28
	s_and_saveexec_b32 s30, s29
	s_cbranch_execz .LBB56_60
; %bb.59:
	v_add_co_u32 v6, s29, 0x800, v3
	v_add_co_ci_u32_e64 v7, null, 0, v4, s29
	global_load_dword v7, v[6:7], off offset:1664
.LBB56_60:
	s_or_b32 exec_lo, exec_lo, s30
	v_add_nc_u32_e32 v6, 0x3c0, v0
	v_mov_b32_e32 v8, 0xff800000
	v_cmp_gt_i32_e64 s29, s42, v6
	v_mov_b32_e32 v6, 0xff800000
	s_and_b32 s30, s31, s29
	s_and_saveexec_b32 s33, s30
	s_cbranch_execz .LBB56_62
; %bb.61:
	v_add_co_u32 v11, s30, 0x800, v3
	v_add_co_ci_u32_e64 v12, null, 0, v4, s30
	global_load_dword v8, v[11:12], off offset:1792
.LBB56_62:
	s_or_b32 exec_lo, exec_lo, s33
	v_add_nc_u32_e32 v0, 0x3e0, v0
	v_cmp_gt_i32_e64 s30, s42, v0
	s_and_b32 s31, s31, s30
	s_and_saveexec_b32 s33, s31
	s_cbranch_execz .LBB56_64
; %bb.63:
	v_add_co_u32 v3, s31, 0x800, v3
	v_add_co_ci_u32_e64 v4, null, 0, v4, s31
	global_load_dword v6, v[3:4], off offset:1920
.LBB56_64:
	s_or_b32 exec_lo, exec_lo, s33
	s_waitcnt vmcnt(0)
	v_cmp_gt_f32_e64 s31, v41, v13
	v_mbcnt_lo_u32_b32 v4, -1, 0
	s_mov_b32 s33, exec_lo
	v_cndmask_b32_e64 v0, v13, v41, s31
	v_cmp_gt_f32_e64 s31, v0, v17
	v_cndmask_b32_e64 v0, v17, v0, s31
	v_cmp_gt_f32_e64 s31, v0, v20
	;; [unrolled: 2-line block ×30, first 2 shown]
	v_cndmask_b32_e64 v3, v6, v0, s31
	v_xor_b32_e32 v0, 16, v4
	v_cmp_gt_i32_e64 s31, 32, v0
	v_cndmask_b32_e64 v0, v4, v0, s31
	v_lshlrev_b32_e32 v0, 2, v0
	ds_bpermute_b32 v11, v0, v3
	s_waitcnt lgkmcnt(0)
	v_cmp_lt_f32_e64 s31, v3, v11
	v_cndmask_b32_e64 v11, v3, v11, s31
	v_xor_b32_e32 v3, 8, v4
	v_cmp_gt_i32_e64 s31, 32, v3
	v_cndmask_b32_e64 v3, v4, v3, s31
	v_lshlrev_b32_e32 v3, 2, v3
	ds_bpermute_b32 v12, v3, v11
	s_waitcnt lgkmcnt(0)
	v_cmp_lt_f32_e64 s31, v11, v12
	;; [unrolled: 8-line block ×5, first 2 shown]
	v_cndmask_b32_e64 v22, v22, v4, s31
	v_sub_f32_e32 v4, v41, v22
	v_sub_f32_e32 v13, v13, v22
	;; [unrolled: 1-line block ×5, first 2 shown]
	v_mul_f32_e32 v41, 0x3fb8aa3b, v4
	v_cmp_ngt_f32_e64 s31, 0xc2ce8ed0, v4
	v_sub_f32_e32 v23, v23, v22
	v_sub_f32_e32 v24, v24, v22
	v_sub_f32_e32 v25, v25, v22
	v_fma_f32 v42, 0x3fb8aa3b, v4, -v41
	v_rndne_f32_e32 v43, v41
	v_sub_f32_e32 v27, v27, v22
	v_sub_f32_e32 v29, v29, v22
	;; [unrolled: 1-line block ×3, first 2 shown]
	v_fmac_f32_e32 v42, 0x32a5705f, v4
	v_sub_f32_e32 v41, v41, v43
	v_sub_f32_e32 v36, v36, v22
	;; [unrolled: 1-line block ×5, first 2 shown]
	v_add_f32_e32 v41, v41, v42
	v_cvt_i32_f32_e32 v42, v43
	v_sub_f32_e32 v34, v34, v22
	v_sub_f32_e32 v37, v37, v22
	;; [unrolled: 1-line block ×3, first 2 shown]
	v_exp_f32_e32 v41, v41
	v_sub_f32_e32 v35, v35, v22
	v_sub_f32_e32 v30, v30, v22
	;; [unrolled: 1-line block ×9, first 2 shown]
	v_ldexp_f32 v41, v41, v42
	v_mul_f32_e32 v42, 0x3fb8aa3b, v13
	v_sub_f32_e32 v10, v10, v22
	v_sub_f32_e32 v9, v9, v22
	;; [unrolled: 1-line block ×3, first 2 shown]
	v_cndmask_b32_e64 v41, 0, v41, s31
	v_fma_f32 v43, 0x3fb8aa3b, v13, -v42
	v_rndne_f32_e32 v44, v42
	v_cmp_nlt_f32_e64 s31, 0x42b17218, v4
	v_sub_f32_e32 v8, v8, v22
	v_sub_f32_e32 v6, v6, v22
	v_fmac_f32_e32 v43, 0x32a5705f, v13
	v_sub_f32_e32 v42, v42, v44
	v_cndmask_b32_e64 v41, 0x7f800000, v41, s31
	v_cmp_ngt_f32_e64 s31, 0xc2ce8ed0, v13
	v_mul_f32_e32 v22, 0x3fb8aa3b, v6
	v_add_f32_e32 v42, v42, v43
	v_cvt_i32_f32_e32 v43, v44
	v_exp_f32_e32 v42, v42
	v_ldexp_f32 v42, v42, v43
	v_cndmask_b32_e64 v42, 0, v42, s31
	v_cmp_nlt_f32_e64 s31, 0x42b17218, v13
	v_cndmask_b32_e64 v42, 0x7f800000, v42, s31
	v_cmp_ngt_f32_e64 s31, 0xc2ce8ed0, v17
	v_add_f32_e32 v41, v41, v42
	v_mul_f32_e32 v42, 0x3fb8aa3b, v17
	v_fma_f32 v43, 0x3fb8aa3b, v17, -v42
	v_rndne_f32_e32 v44, v42
	v_fmac_f32_e32 v43, 0x32a5705f, v17
	v_sub_f32_e32 v42, v42, v44
	v_add_f32_e32 v42, v42, v43
	v_cvt_i32_f32_e32 v43, v44
	v_exp_f32_e32 v42, v42
	v_ldexp_f32 v42, v42, v43
	v_cndmask_b32_e64 v42, 0, v42, s31
	v_cmp_nlt_f32_e64 s31, 0x42b17218, v17
	v_cndmask_b32_e64 v42, 0x7f800000, v42, s31
	v_cmp_ngt_f32_e64 s31, 0xc2ce8ed0, v20
	v_add_f32_e32 v41, v41, v42
	v_mul_f32_e32 v42, 0x3fb8aa3b, v20
	v_fma_f32 v43, 0x3fb8aa3b, v20, -v42
	v_rndne_f32_e32 v44, v42
	v_fmac_f32_e32 v43, 0x32a5705f, v20
	v_sub_f32_e32 v42, v42, v44
	;; [unrolled: 14-line block ×29, first 2 shown]
	v_add_f32_e32 v42, v42, v43
	v_cvt_i32_f32_e32 v43, v44
	v_exp_f32_e32 v42, v42
	v_ldexp_f32 v42, v42, v43
	v_rndne_f32_e32 v43, v22
	v_cndmask_b32_e64 v42, 0, v42, s31
	v_cmp_nlt_f32_e64 s31, 0x42b17218, v8
	v_cndmask_b32_e64 v42, 0x7f800000, v42, s31
	v_cmp_ngt_f32_e64 s31, 0xc2ce8ed0, v6
	v_add_f32_e32 v41, v41, v42
	v_fma_f32 v42, 0x3fb8aa3b, v6, -v22
	v_sub_f32_e32 v22, v22, v43
	v_fmac_f32_e32 v42, 0x32a5705f, v6
	v_add_f32_e32 v22, v22, v42
	v_cvt_i32_f32_e32 v42, v43
	v_exp_f32_e32 v22, v22
	v_ldexp_f32 v22, v22, v42
	v_cndmask_b32_e64 v22, 0, v22, s31
	v_cmp_nlt_f32_e64 s31, 0x42b17218, v6
	v_cndmask_b32_e64 v22, 0x7f800000, v22, s31
	v_add_f32_e32 v22, v41, v22
	ds_bpermute_b32 v0, v0, v22
	s_waitcnt lgkmcnt(0)
	v_add_f32_e32 v0, v22, v0
	ds_bpermute_b32 v3, v3, v0
	s_waitcnt lgkmcnt(0)
	;; [unrolled: 3-line block ×4, first 2 shown]
	v_add_f32_e32 v0, v0, v3
	ds_bpermute_b32 v3, v14, v0
	v_cmpx_lt_i32_e32 0, v5
	s_cbranch_execz .LBB56_98
; %bb.65:
	s_and_b32 exec_lo, exec_lo, s1
	s_cbranch_execz .LBB56_98
; %bb.66:
	s_waitcnt lgkmcnt(0)
	v_add_f32_e32 v0, v0, v3
	v_cmp_gt_f32_e64 s1, 0x800000, v0
	v_cndmask_b32_e64 v3, 0, 32, s1
	v_ldexp_f32 v0, v0, v3
	v_log_f32_e32 v0, v0
	v_mul_f32_e32 v3, 0x3f317217, v0
	v_cmp_gt_f32_e64 s31, 0x7f800000, |v0|
	v_fma_f32 v3, 0x3f317217, v0, -v3
	v_fmamk_f32 v3, v0, 0x3377d1cf, v3
	v_fmac_f32_e32 v3, 0x3f317217, v0
	v_cndmask_b32_e64 v0, v0, v3, s31
	v_cndmask_b32_e64 v3, 0, 0x41b17218, s1
	v_sub_f32_e32 v3, v0, v3
	v_add_co_u32 v0, s1, s36, v1
	v_add_co_ci_u32_e64 v1, null, s37, v2, s1
	v_sub_f32_e32 v2, v4, v3
	global_store_dword v[0:1], v2, off
	s_and_b32 exec_lo, exec_lo, vcc_lo
	s_cbranch_execz .LBB56_98
; %bb.67:
	v_sub_f32_e32 v2, v13, v3
	global_store_dword v[0:1], v2, off offset:128
	s_and_b32 exec_lo, exec_lo, s0
	s_cbranch_execz .LBB56_98
; %bb.68:
	v_sub_f32_e32 v2, v17, v3
	global_store_dword v[0:1], v2, off offset:256
	s_and_b32 exec_lo, exec_lo, s2
	;; [unrolled: 5-line block ×15, first 2 shown]
	s_cbranch_execz .LBB56_98
; %bb.82:
	v_add_co_u32 v0, vcc_lo, 0x800, v0
	v_sub_f32_e32 v2, v37, v3
	v_add_co_ci_u32_e64 v1, null, 0, v1, vcc_lo
	global_store_dword v[0:1], v2, off
	s_and_b32 exec_lo, exec_lo, s16
	s_cbranch_execz .LBB56_98
; %bb.83:
	v_sub_f32_e32 v2, v31, v3
	global_store_dword v[0:1], v2, off offset:128
	s_and_b32 exec_lo, exec_lo, s17
	s_cbranch_execz .LBB56_98
; %bb.84:
	v_sub_f32_e32 v2, v35, v3
	global_store_dword v[0:1], v2, off offset:256
	;; [unrolled: 5-line block ×15, first 2 shown]
.LBB56_98:
	s_endpgm
	.section	.rodata,"a",@progbits
	.p2align	6, 0x0
	.amdhsa_kernel _ZN12_GLOBAL__N_120softmax_warp_forwardIfffLi10ELb1ELb0ELi32EEEvPT0_PKT_iiiPKbib
		.amdhsa_group_segment_fixed_size 0
		.amdhsa_private_segment_fixed_size 0
		.amdhsa_kernarg_size 304
		.amdhsa_user_sgpr_count 6
		.amdhsa_user_sgpr_private_segment_buffer 1
		.amdhsa_user_sgpr_dispatch_ptr 0
		.amdhsa_user_sgpr_queue_ptr 0
		.amdhsa_user_sgpr_kernarg_segment_ptr 1
		.amdhsa_user_sgpr_dispatch_id 0
		.amdhsa_user_sgpr_flat_scratch_init 0
		.amdhsa_user_sgpr_private_segment_size 0
		.amdhsa_wavefront_size32 1
		.amdhsa_uses_dynamic_stack 0
		.amdhsa_system_sgpr_private_segment_wavefront_offset 0
		.amdhsa_system_sgpr_workgroup_id_x 1
		.amdhsa_system_sgpr_workgroup_id_y 0
		.amdhsa_system_sgpr_workgroup_id_z 0
		.amdhsa_system_sgpr_workgroup_info 0
		.amdhsa_system_vgpr_workitem_id 1
		.amdhsa_next_free_vgpr 45
		.amdhsa_next_free_sgpr 44
		.amdhsa_reserve_vcc 1
		.amdhsa_reserve_flat_scratch 0
		.amdhsa_float_round_mode_32 0
		.amdhsa_float_round_mode_16_64 0
		.amdhsa_float_denorm_mode_32 3
		.amdhsa_float_denorm_mode_16_64 3
		.amdhsa_dx10_clamp 1
		.amdhsa_ieee_mode 1
		.amdhsa_fp16_overflow 0
		.amdhsa_workgroup_processor_mode 1
		.amdhsa_memory_ordered 1
		.amdhsa_forward_progress 1
		.amdhsa_shared_vgpr_count 0
		.amdhsa_exception_fp_ieee_invalid_op 0
		.amdhsa_exception_fp_denorm_src 0
		.amdhsa_exception_fp_ieee_div_zero 0
		.amdhsa_exception_fp_ieee_overflow 0
		.amdhsa_exception_fp_ieee_underflow 0
		.amdhsa_exception_fp_ieee_inexact 0
		.amdhsa_exception_int_div_zero 0
	.end_amdhsa_kernel
	.section	.text._ZN12_GLOBAL__N_120softmax_warp_forwardIfffLi10ELb1ELb0ELi32EEEvPT0_PKT_iiiPKbib,"axG",@progbits,_ZN12_GLOBAL__N_120softmax_warp_forwardIfffLi10ELb1ELb0ELi32EEEvPT0_PKT_iiiPKbib,comdat
.Lfunc_end56:
	.size	_ZN12_GLOBAL__N_120softmax_warp_forwardIfffLi10ELb1ELb0ELi32EEEvPT0_PKT_iiiPKbib, .Lfunc_end56-_ZN12_GLOBAL__N_120softmax_warp_forwardIfffLi10ELb1ELb0ELi32EEEvPT0_PKT_iiiPKbib
                                        ; -- End function
	.set _ZN12_GLOBAL__N_120softmax_warp_forwardIfffLi10ELb1ELb0ELi32EEEvPT0_PKT_iiiPKbib.num_vgpr, 45
	.set _ZN12_GLOBAL__N_120softmax_warp_forwardIfffLi10ELb1ELb0ELi32EEEvPT0_PKT_iiiPKbib.num_agpr, 0
	.set _ZN12_GLOBAL__N_120softmax_warp_forwardIfffLi10ELb1ELb0ELi32EEEvPT0_PKT_iiiPKbib.numbered_sgpr, 44
	.set _ZN12_GLOBAL__N_120softmax_warp_forwardIfffLi10ELb1ELb0ELi32EEEvPT0_PKT_iiiPKbib.num_named_barrier, 0
	.set _ZN12_GLOBAL__N_120softmax_warp_forwardIfffLi10ELb1ELb0ELi32EEEvPT0_PKT_iiiPKbib.private_seg_size, 0
	.set _ZN12_GLOBAL__N_120softmax_warp_forwardIfffLi10ELb1ELb0ELi32EEEvPT0_PKT_iiiPKbib.uses_vcc, 1
	.set _ZN12_GLOBAL__N_120softmax_warp_forwardIfffLi10ELb1ELb0ELi32EEEvPT0_PKT_iiiPKbib.uses_flat_scratch, 0
	.set _ZN12_GLOBAL__N_120softmax_warp_forwardIfffLi10ELb1ELb0ELi32EEEvPT0_PKT_iiiPKbib.has_dyn_sized_stack, 0
	.set _ZN12_GLOBAL__N_120softmax_warp_forwardIfffLi10ELb1ELb0ELi32EEEvPT0_PKT_iiiPKbib.has_recursion, 0
	.set _ZN12_GLOBAL__N_120softmax_warp_forwardIfffLi10ELb1ELb0ELi32EEEvPT0_PKT_iiiPKbib.has_indirect_call, 0
	.section	.AMDGPU.csdata,"",@progbits
; Kernel info:
; codeLenInByte = 7016
; TotalNumSgprs: 46
; NumVgprs: 45
; ScratchSize: 0
; MemoryBound: 0
; FloatMode: 240
; IeeeMode: 1
; LDSByteSize: 0 bytes/workgroup (compile time only)
; SGPRBlocks: 0
; VGPRBlocks: 5
; NumSGPRsForWavesPerEU: 46
; NumVGPRsForWavesPerEU: 45
; Occupancy: 16
; WaveLimiterHint : 0
; COMPUTE_PGM_RSRC2:SCRATCH_EN: 0
; COMPUTE_PGM_RSRC2:USER_SGPR: 6
; COMPUTE_PGM_RSRC2:TRAP_HANDLER: 0
; COMPUTE_PGM_RSRC2:TGID_X_EN: 1
; COMPUTE_PGM_RSRC2:TGID_Y_EN: 0
; COMPUTE_PGM_RSRC2:TGID_Z_EN: 0
; COMPUTE_PGM_RSRC2:TIDIG_COMP_CNT: 1
	.section	.text._ZN12_GLOBAL__N_120softmax_warp_forwardIfffLi11ELb1ELb0ELi64EEEvPT0_PKT_iiiPKbib,"axG",@progbits,_ZN12_GLOBAL__N_120softmax_warp_forwardIfffLi11ELb1ELb0ELi64EEEvPT0_PKT_iiiPKbib,comdat
	.globl	_ZN12_GLOBAL__N_120softmax_warp_forwardIfffLi11ELb1ELb0ELi64EEEvPT0_PKT_iiiPKbib ; -- Begin function _ZN12_GLOBAL__N_120softmax_warp_forwardIfffLi11ELb1ELb0ELi64EEEvPT0_PKT_iiiPKbib
	.p2align	8
	.type	_ZN12_GLOBAL__N_120softmax_warp_forwardIfffLi11ELb1ELb0ELi64EEEvPT0_PKT_iiiPKbib,@function
_ZN12_GLOBAL__N_120softmax_warp_forwardIfffLi11ELb1ELb0ELi64EEEvPT0_PKT_iiiPKbib: ; @_ZN12_GLOBAL__N_120softmax_warp_forwardIfffLi11ELb1ELb0ELi64EEEvPT0_PKT_iiiPKbib
; %bb.0:
	s_clause 0x1
	s_load_dword s0, s[4:5], 0x3c
	s_load_dwordx8 s[36:43], s[4:5], 0x0
	v_mov_b32_e32 v14, 0xff800000
	v_mov_b32_e32 v11, 0xff800000
	s_waitcnt lgkmcnt(0)
	s_lshr_b32 s0, s0, 16
	v_cmp_gt_i32_e64 s1, s42, v0
	v_mad_u64_u32 v[1:2], null, s6, s0, v[1:2]
	v_mad_u64_u32 v[2:3], null, v1, s41, v[0:1]
	v_sub_nc_u32_e32 v5, s40, v1
	v_cmp_lt_i32_e64 s31, 0, v5
	v_ashrrev_i32_e32 v3, 31, v2
	s_and_b32 s2, s31, s1
	v_lshlrev_b64 v[1:2], 2, v[2:3]
	v_add_co_u32 v3, vcc_lo, s38, v1
	v_add_co_ci_u32_e64 v4, null, s39, v2, vcc_lo
	s_and_saveexec_b32 s0, s2
	s_cbranch_execz .LBB57_2
; %bb.1:
	global_load_dword v11, v[3:4], off
.LBB57_2:
	s_or_b32 exec_lo, exec_lo, s0
	v_add_nc_u32_e32 v6, 64, v0
	v_cmp_gt_i32_e32 vcc_lo, s42, v6
	s_and_b32 s2, s31, vcc_lo
	s_and_saveexec_b32 s0, s2
	s_cbranch_execz .LBB57_4
; %bb.3:
	global_load_dword v14, v[3:4], off offset:256
.LBB57_4:
	s_or_b32 exec_lo, exec_lo, s0
	v_add_nc_u32_e32 v6, 0x80, v0
	v_mov_b32_e32 v19, 0xff800000
	v_mov_b32_e32 v18, 0xff800000
	v_cmp_gt_i32_e64 s0, s42, v6
	s_and_b32 s3, s31, s0
	s_and_saveexec_b32 s2, s3
	s_cbranch_execz .LBB57_6
; %bb.5:
	global_load_dword v18, v[3:4], off offset:512
.LBB57_6:
	s_or_b32 exec_lo, exec_lo, s2
	v_add_nc_u32_e32 v6, 0xc0, v0
	v_cmp_gt_i32_e64 s2, s42, v6
	s_and_b32 s4, s31, s2
	s_and_saveexec_b32 s3, s4
	s_cbranch_execz .LBB57_8
; %bb.7:
	global_load_dword v19, v[3:4], off offset:768
.LBB57_8:
	s_or_b32 exec_lo, exec_lo, s3
	v_add_nc_u32_e32 v6, 0x100, v0
	v_mov_b32_e32 v22, 0xff800000
	v_mov_b32_e32 v20, 0xff800000
	v_cmp_gt_i32_e64 s3, s42, v6
	s_and_b32 s5, s31, s3
	s_and_saveexec_b32 s4, s5
	s_cbranch_execz .LBB57_10
; %bb.9:
	global_load_dword v20, v[3:4], off offset:1024
.LBB57_10:
	s_or_b32 exec_lo, exec_lo, s4
	v_add_nc_u32_e32 v6, 0x140, v0
	v_cmp_gt_i32_e64 s4, s42, v6
	s_and_b32 s6, s31, s4
	;; [unrolled: 20-line block ×3, first 2 shown]
	s_and_saveexec_b32 s7, s8
	s_cbranch_execz .LBB57_16
; %bb.15:
	global_load_dword v26, v[3:4], off offset:1792
.LBB57_16:
	s_or_b32 exec_lo, exec_lo, s7
	v_add_nc_u32_e32 v6, 0x200, v0
	v_mov_b32_e32 v29, 0xff800000
	v_mov_b32_e32 v27, 0xff800000
	v_cmp_gt_i32_e64 s7, s42, v6
	s_and_b32 s8, s31, s7
	s_and_saveexec_b32 s9, s8
	s_cbranch_execz .LBB57_18
; %bb.17:
	v_add_co_u32 v6, s8, 0x800, v3
	v_add_co_ci_u32_e64 v7, null, 0, v4, s8
	global_load_dword v27, v[6:7], off
.LBB57_18:
	s_or_b32 exec_lo, exec_lo, s9
	v_add_nc_u32_e32 v6, 0x240, v0
	v_cmp_gt_i32_e64 s8, s42, v6
	s_and_b32 s9, s31, s8
	s_and_saveexec_b32 s10, s9
	s_cbranch_execz .LBB57_20
; %bb.19:
	v_add_co_u32 v6, s9, 0x800, v3
	v_add_co_ci_u32_e64 v7, null, 0, v4, s9
	global_load_dword v29, v[6:7], off offset:256
.LBB57_20:
	s_or_b32 exec_lo, exec_lo, s10
	v_add_nc_u32_e32 v6, 0x280, v0
	v_mov_b32_e32 v38, 0xff800000
	v_mov_b32_e32 v35, 0xff800000
	v_cmp_gt_i32_e64 s9, s42, v6
	s_and_b32 s10, s31, s9
	s_and_saveexec_b32 s11, s10
	s_cbranch_execz .LBB57_22
; %bb.21:
	v_add_co_u32 v6, s10, 0x800, v3
	v_add_co_ci_u32_e64 v7, null, 0, v4, s10
	global_load_dword v35, v[6:7], off offset:512
.LBB57_22:
	s_or_b32 exec_lo, exec_lo, s11
	v_add_nc_u32_e32 v6, 0x2c0, v0
	v_cmp_gt_i32_e64 s10, s42, v6
	s_and_b32 s11, s31, s10
	s_and_saveexec_b32 s12, s11
	s_cbranch_execz .LBB57_24
; %bb.23:
	v_add_co_u32 v6, s11, 0x800, v3
	v_add_co_ci_u32_e64 v7, null, 0, v4, s11
	global_load_dword v38, v[6:7], off offset:768
.LBB57_24:
	s_or_b32 exec_lo, exec_lo, s12
	v_add_nc_u32_e32 v6, 0x300, v0
	v_mov_b32_e32 v36, 0xff800000
	v_mov_b32_e32 v41, 0xff800000
	v_cmp_gt_i32_e64 s11, s42, v6
	s_and_b32 s12, s31, s11
	s_and_saveexec_b32 s13, s12
	s_cbranch_execz .LBB57_26
; %bb.25:
	v_add_co_u32 v6, s12, 0x800, v3
	v_add_co_ci_u32_e64 v7, null, 0, v4, s12
	global_load_dword v41, v[6:7], off offset:1024
.LBB57_26:
	;; [unrolled: 24-line block ×3, first 2 shown]
	s_or_b32 exec_lo, exec_lo, s15
	v_add_nc_u32_e32 v6, 0x3c0, v0
	v_cmp_gt_i32_e64 s14, s42, v6
	s_and_b32 s15, s31, s14
	s_and_saveexec_b32 s16, s15
	s_cbranch_execz .LBB57_32
; %bb.31:
	v_add_co_u32 v6, s15, 0x800, v3
	v_add_co_ci_u32_e64 v7, null, 0, v4, s15
	global_load_dword v33, v[6:7], off offset:1792
.LBB57_32:
	s_or_b32 exec_lo, exec_lo, s16
	v_or_b32_e32 v6, 0x400, v0
	v_mov_b32_e32 v31, 0xff800000
	v_mov_b32_e32 v39, 0xff800000
	v_cmp_gt_i32_e64 s15, s42, v6
	s_and_b32 s16, s31, s15
	s_and_saveexec_b32 s17, s16
	s_cbranch_execz .LBB57_34
; %bb.33:
	v_add_co_u32 v6, s16, 0x1000, v3
	v_add_co_ci_u32_e64 v7, null, 0, v4, s16
	global_load_dword v39, v[6:7], off
.LBB57_34:
	s_or_b32 exec_lo, exec_lo, s17
	v_add_nc_u32_e32 v6, 0x440, v0
	v_cmp_gt_i32_e64 s16, s42, v6
	s_and_b32 s17, s31, s16
	s_and_saveexec_b32 s18, s17
	s_cbranch_execz .LBB57_36
; %bb.35:
	v_add_co_u32 v6, s17, 0x1000, v3
	v_add_co_ci_u32_e64 v7, null, 0, v4, s17
	global_load_dword v31, v[6:7], off offset:256
.LBB57_36:
	s_or_b32 exec_lo, exec_lo, s18
	v_add_nc_u32_e32 v6, 0x480, v0
	v_mov_b32_e32 v30, 0xff800000
	v_mov_b32_e32 v37, 0xff800000
	v_cmp_gt_i32_e64 s17, s42, v6
	s_and_b32 s18, s31, s17
	s_and_saveexec_b32 s19, s18
	s_cbranch_execz .LBB57_38
; %bb.37:
	v_add_co_u32 v6, s18, 0x1000, v3
	v_add_co_ci_u32_e64 v7, null, 0, v4, s18
	global_load_dword v37, v[6:7], off offset:512
.LBB57_38:
	s_or_b32 exec_lo, exec_lo, s19
	v_add_nc_u32_e32 v6, 0x4c0, v0
	v_cmp_gt_i32_e64 s18, s42, v6
	s_and_b32 s19, s31, s18
	s_and_saveexec_b32 s20, s19
	s_cbranch_execz .LBB57_40
; %bb.39:
	v_add_co_u32 v6, s19, 0x1000, v3
	v_add_co_ci_u32_e64 v7, null, 0, v4, s19
	global_load_dword v30, v[6:7], off offset:768
.LBB57_40:
	s_or_b32 exec_lo, exec_lo, s20
	v_add_nc_u32_e32 v6, 0x500, v0
	v_mov_b32_e32 v28, 0xff800000
	v_mov_b32_e32 v34, 0xff800000
	v_cmp_gt_i32_e64 s19, s42, v6
	s_and_b32 s20, s31, s19
	s_and_saveexec_b32 s21, s20
	s_cbranch_execz .LBB57_42
; %bb.41:
	v_add_co_u32 v6, s20, 0x1000, v3
	v_add_co_ci_u32_e64 v7, null, 0, v4, s20
	global_load_dword v34, v[6:7], off offset:1024
.LBB57_42:
	;; [unrolled: 24-line block ×3, first 2 shown]
	s_or_b32 exec_lo, exec_lo, s23
	v_add_nc_u32_e32 v6, 0x5c0, v0
	v_cmp_gt_i32_e64 s22, s42, v6
	s_and_b32 s23, s31, s22
	s_and_saveexec_b32 s24, s23
	s_cbranch_execz .LBB57_48
; %bb.47:
	v_add_co_u32 v6, s23, 0x1000, v3
	v_add_co_ci_u32_e64 v7, null, 0, v4, s23
	global_load_dword v23, v[6:7], off offset:1792
.LBB57_48:
	s_or_b32 exec_lo, exec_lo, s24
	v_add_nc_u32_e32 v6, 0x600, v0
	v_mov_b32_e32 v15, 0xff800000
	v_mov_b32_e32 v24, 0xff800000
	v_cmp_gt_i32_e64 s23, s42, v6
	s_and_b32 s24, s31, s23
	s_and_saveexec_b32 s25, s24
	s_cbranch_execz .LBB57_50
; %bb.49:
	v_add_co_u32 v6, s24, 0x1800, v3
	v_add_co_ci_u32_e64 v7, null, 0, v4, s24
	global_load_dword v24, v[6:7], off
.LBB57_50:
	s_or_b32 exec_lo, exec_lo, s25
	v_add_nc_u32_e32 v6, 0x640, v0
	v_cmp_gt_i32_e64 s24, s42, v6
	s_and_b32 s25, s31, s24
	s_and_saveexec_b32 s26, s25
	s_cbranch_execz .LBB57_52
; %bb.51:
	v_add_co_u32 v6, s25, 0x1800, v3
	v_add_co_ci_u32_e64 v7, null, 0, v4, s25
	global_load_dword v15, v[6:7], off offset:256
.LBB57_52:
	s_or_b32 exec_lo, exec_lo, s26
	v_add_nc_u32_e32 v6, 0x680, v0
	v_mov_b32_e32 v10, 0xff800000
	v_mov_b32_e32 v16, 0xff800000
	v_cmp_gt_i32_e64 s25, s42, v6
	s_and_b32 s26, s31, s25
	s_and_saveexec_b32 s27, s26
	s_cbranch_execz .LBB57_54
; %bb.53:
	v_add_co_u32 v6, s26, 0x1800, v3
	v_add_co_ci_u32_e64 v7, null, 0, v4, s26
	global_load_dword v16, v[6:7], off offset:512
.LBB57_54:
	s_or_b32 exec_lo, exec_lo, s27
	v_add_nc_u32_e32 v6, 0x6c0, v0
	v_cmp_gt_i32_e64 s26, s42, v6
	s_and_b32 s27, s31, s26
	s_and_saveexec_b32 s28, s27
	s_cbranch_execz .LBB57_56
; %bb.55:
	v_add_co_u32 v6, s27, 0x1800, v3
	v_add_co_ci_u32_e64 v7, null, 0, v4, s27
	global_load_dword v10, v[6:7], off offset:768
.LBB57_56:
	s_or_b32 exec_lo, exec_lo, s28
	v_add_nc_u32_e32 v6, 0x700, v0
	v_mov_b32_e32 v7, 0xff800000
	v_mov_b32_e32 v9, 0xff800000
	v_cmp_gt_i32_e64 s27, s42, v6
	s_and_b32 s28, s31, s27
	s_and_saveexec_b32 s29, s28
	s_cbranch_execz .LBB57_58
; %bb.57:
	v_add_co_u32 v8, s28, 0x1800, v3
	v_add_co_ci_u32_e64 v9, null, 0, v4, s28
	global_load_dword v9, v[8:9], off offset:1024
.LBB57_58:
	s_or_b32 exec_lo, exec_lo, s29
	v_add_nc_u32_e32 v6, 0x740, v0
	v_cmp_gt_i32_e64 s28, s42, v6
	s_and_b32 s29, s31, s28
	s_and_saveexec_b32 s30, s29
	s_cbranch_execz .LBB57_60
; %bb.59:
	v_add_co_u32 v6, s29, 0x1800, v3
	v_add_co_ci_u32_e64 v7, null, 0, v4, s29
	global_load_dword v7, v[6:7], off offset:1280
.LBB57_60:
	s_or_b32 exec_lo, exec_lo, s30
	v_add_nc_u32_e32 v6, 0x780, v0
	v_mov_b32_e32 v8, 0xff800000
	v_cmp_gt_i32_e64 s29, s42, v6
	v_mov_b32_e32 v6, 0xff800000
	s_and_b32 s30, s31, s29
	s_and_saveexec_b32 s33, s30
	s_cbranch_execz .LBB57_62
; %bb.61:
	v_add_co_u32 v12, s30, 0x1800, v3
	v_add_co_ci_u32_e64 v13, null, 0, v4, s30
	global_load_dword v8, v[12:13], off offset:1536
.LBB57_62:
	s_or_b32 exec_lo, exec_lo, s33
	v_add_nc_u32_e32 v0, 0x7c0, v0
	v_cmp_gt_i32_e64 s30, s42, v0
	s_and_b32 s31, s31, s30
	s_and_saveexec_b32 s33, s31
	s_cbranch_execz .LBB57_64
; %bb.63:
	v_add_co_u32 v3, s31, 0x1800, v3
	v_add_co_ci_u32_e64 v4, null, 0, v4, s31
	global_load_dword v6, v[3:4], off offset:1792
.LBB57_64:
	s_or_b32 exec_lo, exec_lo, s33
	s_waitcnt vmcnt(0)
	v_cmp_gt_f32_e64 s31, v11, v14
	v_mbcnt_lo_u32_b32 v17, -1, 0
	s_mov_b32 s33, exec_lo
	v_cndmask_b32_e64 v0, v14, v11, s31
	v_cmp_gt_f32_e64 s31, v0, v18
	v_cndmask_b32_e64 v0, v18, v0, s31
	v_cmp_gt_f32_e64 s31, v0, v19
	v_cndmask_b32_e64 v0, v19, v0, s31
	v_cmp_gt_f32_e64 s31, v0, v20
	v_cndmask_b32_e64 v0, v20, v0, s31
	v_cmp_gt_f32_e64 s31, v0, v22
	v_cndmask_b32_e64 v0, v22, v0, s31
	v_cmp_gt_f32_e64 s31, v0, v25
	v_cndmask_b32_e64 v0, v25, v0, s31
	v_cmp_gt_f32_e64 s31, v0, v26
	v_cndmask_b32_e64 v0, v26, v0, s31
	v_cmp_gt_f32_e64 s31, v0, v27
	v_cndmask_b32_e64 v0, v27, v0, s31
	v_cmp_gt_f32_e64 s31, v0, v29
	v_cndmask_b32_e64 v0, v29, v0, s31
	v_cmp_gt_f32_e64 s31, v0, v35
	v_cndmask_b32_e64 v0, v35, v0, s31
	v_cmp_gt_f32_e64 s31, v0, v38
	v_cndmask_b32_e64 v0, v38, v0, s31
	v_cmp_gt_f32_e64 s31, v0, v41
	v_cndmask_b32_e64 v0, v41, v0, s31
	v_cmp_gt_f32_e64 s31, v0, v36
	v_cndmask_b32_e64 v0, v36, v0, s31
	v_cmp_gt_f32_e64 s31, v0, v40
	v_cndmask_b32_e64 v0, v40, v0, s31
	v_cmp_gt_f32_e64 s31, v0, v33
	v_cndmask_b32_e64 v0, v33, v0, s31
	v_cmp_gt_f32_e64 s31, v0, v39
	v_cndmask_b32_e64 v0, v39, v0, s31
	v_cmp_gt_f32_e64 s31, v0, v31
	v_cndmask_b32_e64 v0, v31, v0, s31
	v_cmp_gt_f32_e64 s31, v0, v37
	v_cndmask_b32_e64 v0, v37, v0, s31
	v_cmp_gt_f32_e64 s31, v0, v30
	v_cndmask_b32_e64 v0, v30, v0, s31
	v_cmp_gt_f32_e64 s31, v0, v34
	v_cndmask_b32_e64 v0, v34, v0, s31
	v_cmp_gt_f32_e64 s31, v0, v28
	v_cndmask_b32_e64 v0, v28, v0, s31
	v_cmp_gt_f32_e64 s31, v0, v32
	v_cndmask_b32_e64 v0, v32, v0, s31
	v_cmp_gt_f32_e64 s31, v0, v23
	v_cndmask_b32_e64 v0, v23, v0, s31
	v_cmp_gt_f32_e64 s31, v0, v24
	v_cndmask_b32_e64 v0, v24, v0, s31
	v_cmp_gt_f32_e64 s31, v0, v15
	v_cndmask_b32_e64 v0, v15, v0, s31
	v_cmp_gt_f32_e64 s31, v0, v16
	v_cndmask_b32_e64 v0, v16, v0, s31
	v_cmp_gt_f32_e64 s31, v0, v10
	v_cndmask_b32_e64 v0, v10, v0, s31
	v_cmp_gt_f32_e64 s31, v0, v9
	v_cndmask_b32_e64 v0, v9, v0, s31
	v_cmp_gt_f32_e64 s31, v0, v7
	v_cndmask_b32_e64 v0, v7, v0, s31
	v_cmp_gt_f32_e64 s31, v0, v8
	v_cndmask_b32_e64 v0, v8, v0, s31
	v_cmp_gt_f32_e64 s31, v0, v6
	v_cndmask_b32_e64 v3, v6, v0, s31
	v_or_b32_e32 v0, 32, v17
	v_cmp_gt_i32_e64 s31, 64, v0
	v_cndmask_b32_e64 v0, v17, v0, s31
	v_lshlrev_b32_e32 v0, 2, v0
	ds_bpermute_b32 v4, v0, v3
	s_waitcnt lgkmcnt(0)
	v_cmp_lt_f32_e64 s31, v3, v4
	v_cndmask_b32_e64 v4, v3, v4, s31
	v_xor_b32_e32 v3, 16, v17
	v_cmp_gt_i32_e64 s31, 64, v3
	v_cndmask_b32_e64 v3, v17, v3, s31
	v_lshlrev_b32_e32 v3, 2, v3
	ds_bpermute_b32 v12, v3, v4
	s_waitcnt lgkmcnt(0)
	v_cmp_lt_f32_e64 s31, v4, v12
	v_cndmask_b32_e64 v12, v4, v12, s31
	v_xor_b32_e32 v4, 8, v17
	;; [unrolled: 8-line block ×5, first 2 shown]
	v_cmp_gt_i32_e64 s31, 64, v42
	v_cndmask_b32_e64 v17, v17, v42, s31
	v_lshlrev_b32_e32 v17, 2, v17
	ds_bpermute_b32 v42, v17, v21
	s_waitcnt lgkmcnt(0)
	v_cmp_lt_f32_e64 s31, v21, v42
	v_cndmask_b32_e64 v21, v21, v42, s31
	v_sub_f32_e32 v11, v11, v21
	v_sub_f32_e32 v14, v14, v21
	;; [unrolled: 1-line block ×5, first 2 shown]
	v_mul_f32_e32 v42, 0x3fb8aa3b, v11
	v_cmp_ngt_f32_e64 s31, 0xc2ce8ed0, v11
	v_sub_f32_e32 v22, v22, v21
	v_sub_f32_e32 v25, v25, v21
	;; [unrolled: 1-line block ×3, first 2 shown]
	v_fma_f32 v43, 0x3fb8aa3b, v11, -v42
	v_rndne_f32_e32 v44, v42
	v_sub_f32_e32 v27, v27, v21
	v_sub_f32_e32 v29, v29, v21
	;; [unrolled: 1-line block ×3, first 2 shown]
	v_fmac_f32_e32 v43, 0x32a5705f, v11
	v_sub_f32_e32 v42, v42, v44
	v_sub_f32_e32 v38, v38, v21
	;; [unrolled: 1-line block ×5, first 2 shown]
	v_add_f32_e32 v42, v42, v43
	v_cvt_i32_f32_e32 v43, v44
	v_sub_f32_e32 v33, v33, v21
	v_sub_f32_e32 v39, v39, v21
	;; [unrolled: 1-line block ×3, first 2 shown]
	v_exp_f32_e32 v42, v42
	v_sub_f32_e32 v37, v37, v21
	v_sub_f32_e32 v30, v30, v21
	v_sub_f32_e32 v34, v34, v21
	v_sub_f32_e32 v28, v28, v21
	v_sub_f32_e32 v32, v32, v21
	v_sub_f32_e32 v23, v23, v21
	v_sub_f32_e32 v24, v24, v21
	v_sub_f32_e32 v15, v15, v21
	v_sub_f32_e32 v16, v16, v21
	v_ldexp_f32 v42, v42, v43
	v_mul_f32_e32 v43, 0x3fb8aa3b, v14
	v_sub_f32_e32 v10, v10, v21
	v_sub_f32_e32 v9, v9, v21
	;; [unrolled: 1-line block ×3, first 2 shown]
	v_cndmask_b32_e64 v42, 0, v42, s31
	v_fma_f32 v44, 0x3fb8aa3b, v14, -v43
	v_rndne_f32_e32 v45, v43
	v_cmp_nlt_f32_e64 s31, 0x42b17218, v11
	v_sub_f32_e32 v8, v8, v21
	v_sub_f32_e32 v6, v6, v21
	v_fmac_f32_e32 v44, 0x32a5705f, v14
	v_sub_f32_e32 v43, v43, v45
	v_cndmask_b32_e64 v42, 0x7f800000, v42, s31
	v_cmp_ngt_f32_e64 s31, 0xc2ce8ed0, v14
	v_mul_f32_e32 v21, 0x3fb8aa3b, v6
	v_add_f32_e32 v43, v43, v44
	v_cvt_i32_f32_e32 v44, v45
	v_exp_f32_e32 v43, v43
	v_ldexp_f32 v43, v43, v44
	v_cndmask_b32_e64 v43, 0, v43, s31
	v_cmp_nlt_f32_e64 s31, 0x42b17218, v14
	v_cndmask_b32_e64 v43, 0x7f800000, v43, s31
	v_cmp_ngt_f32_e64 s31, 0xc2ce8ed0, v18
	v_add_f32_e32 v42, v42, v43
	v_mul_f32_e32 v43, 0x3fb8aa3b, v18
	v_fma_f32 v44, 0x3fb8aa3b, v18, -v43
	v_rndne_f32_e32 v45, v43
	v_fmac_f32_e32 v44, 0x32a5705f, v18
	v_sub_f32_e32 v43, v43, v45
	v_add_f32_e32 v43, v43, v44
	v_cvt_i32_f32_e32 v44, v45
	v_exp_f32_e32 v43, v43
	v_ldexp_f32 v43, v43, v44
	v_cndmask_b32_e64 v43, 0, v43, s31
	v_cmp_nlt_f32_e64 s31, 0x42b17218, v18
	v_cndmask_b32_e64 v43, 0x7f800000, v43, s31
	v_cmp_ngt_f32_e64 s31, 0xc2ce8ed0, v19
	v_add_f32_e32 v42, v42, v43
	v_mul_f32_e32 v43, 0x3fb8aa3b, v19
	v_fma_f32 v44, 0x3fb8aa3b, v19, -v43
	v_rndne_f32_e32 v45, v43
	v_fmac_f32_e32 v44, 0x32a5705f, v19
	v_sub_f32_e32 v43, v43, v45
	;; [unrolled: 14-line block ×29, first 2 shown]
	v_add_f32_e32 v43, v43, v44
	v_cvt_i32_f32_e32 v44, v45
	v_exp_f32_e32 v43, v43
	v_ldexp_f32 v43, v43, v44
	v_rndne_f32_e32 v44, v21
	v_cndmask_b32_e64 v43, 0, v43, s31
	v_cmp_nlt_f32_e64 s31, 0x42b17218, v8
	v_cndmask_b32_e64 v43, 0x7f800000, v43, s31
	v_cmp_ngt_f32_e64 s31, 0xc2ce8ed0, v6
	v_add_f32_e32 v42, v42, v43
	v_fma_f32 v43, 0x3fb8aa3b, v6, -v21
	v_sub_f32_e32 v21, v21, v44
	v_fmac_f32_e32 v43, 0x32a5705f, v6
	v_add_f32_e32 v21, v21, v43
	v_cvt_i32_f32_e32 v43, v44
	v_exp_f32_e32 v21, v21
	v_ldexp_f32 v21, v21, v43
	v_cndmask_b32_e64 v21, 0, v21, s31
	v_cmp_nlt_f32_e64 s31, 0x42b17218, v6
	v_cndmask_b32_e64 v21, 0x7f800000, v21, s31
	v_add_f32_e32 v21, v42, v21
	ds_bpermute_b32 v0, v0, v21
	s_waitcnt lgkmcnt(0)
	v_add_f32_e32 v0, v21, v0
	ds_bpermute_b32 v3, v3, v0
	s_waitcnt lgkmcnt(0)
	;; [unrolled: 3-line block ×5, first 2 shown]
	v_add_f32_e32 v0, v0, v3
	ds_bpermute_b32 v3, v17, v0
	v_cmpx_lt_i32_e32 0, v5
	s_cbranch_execz .LBB57_98
; %bb.65:
	s_and_b32 exec_lo, exec_lo, s1
	s_cbranch_execz .LBB57_98
; %bb.66:
	s_waitcnt lgkmcnt(0)
	v_add_f32_e32 v0, v0, v3
	v_cmp_gt_f32_e64 s1, 0x800000, v0
	v_cndmask_b32_e64 v3, 0, 32, s1
	v_ldexp_f32 v0, v0, v3
	v_log_f32_e32 v0, v0
	v_mul_f32_e32 v3, 0x3f317217, v0
	v_cmp_gt_f32_e64 s31, 0x7f800000, |v0|
	v_fma_f32 v3, 0x3f317217, v0, -v3
	v_fmamk_f32 v3, v0, 0x3377d1cf, v3
	v_fmac_f32_e32 v3, 0x3f317217, v0
	v_cndmask_b32_e64 v0, v0, v3, s31
	v_cndmask_b32_e64 v3, 0, 0x41b17218, s1
	v_sub_f32_e32 v4, v0, v3
	v_add_co_u32 v0, s1, s36, v1
	v_add_co_ci_u32_e64 v1, null, s37, v2, s1
	v_sub_f32_e32 v2, v11, v4
	global_store_dword v[0:1], v2, off
	s_and_b32 exec_lo, exec_lo, vcc_lo
	s_cbranch_execz .LBB57_98
; %bb.67:
	v_sub_f32_e32 v2, v14, v4
	global_store_dword v[0:1], v2, off offset:256
	s_and_b32 exec_lo, exec_lo, s0
	s_cbranch_execz .LBB57_98
; %bb.68:
	v_sub_f32_e32 v2, v18, v4
	global_store_dword v[0:1], v2, off offset:512
	s_and_b32 exec_lo, exec_lo, s2
	s_cbranch_execz .LBB57_98
; %bb.69:
	v_sub_f32_e32 v2, v19, v4
	global_store_dword v[0:1], v2, off offset:768
	s_and_b32 exec_lo, exec_lo, s3
	s_cbranch_execz .LBB57_98
; %bb.70:
	v_sub_f32_e32 v2, v20, v4
	global_store_dword v[0:1], v2, off offset:1024
	s_and_b32 exec_lo, exec_lo, s4
	s_cbranch_execz .LBB57_98
; %bb.71:
	v_sub_f32_e32 v2, v22, v4
	global_store_dword v[0:1], v2, off offset:1280
	s_and_b32 exec_lo, exec_lo, s5
	s_cbranch_execz .LBB57_98
; %bb.72:
	v_sub_f32_e32 v2, v25, v4
	global_store_dword v[0:1], v2, off offset:1536
	s_and_b32 exec_lo, exec_lo, s6
	s_cbranch_execz .LBB57_98
; %bb.73:
	v_sub_f32_e32 v2, v26, v4
	global_store_dword v[0:1], v2, off offset:1792
	s_and_b32 exec_lo, exec_lo, s7
	s_cbranch_execz .LBB57_98
; %bb.74:
	v_add_co_u32 v2, vcc_lo, 0x800, v0
	v_sub_f32_e32 v5, v27, v4
	v_add_co_ci_u32_e64 v3, null, 0, v1, vcc_lo
	global_store_dword v[2:3], v5, off
	s_and_b32 exec_lo, exec_lo, s8
	s_cbranch_execz .LBB57_98
; %bb.75:
	v_sub_f32_e32 v5, v29, v4
	global_store_dword v[2:3], v5, off offset:256
	s_and_b32 exec_lo, exec_lo, s9
	s_cbranch_execz .LBB57_98
; %bb.76:
	v_sub_f32_e32 v5, v35, v4
	global_store_dword v[2:3], v5, off offset:512
	s_and_b32 exec_lo, exec_lo, s10
	s_cbranch_execz .LBB57_98
; %bb.77:
	v_sub_f32_e32 v5, v38, v4
	global_store_dword v[2:3], v5, off offset:768
	s_and_b32 exec_lo, exec_lo, s11
	s_cbranch_execz .LBB57_98
; %bb.78:
	v_sub_f32_e32 v5, v41, v4
	global_store_dword v[2:3], v5, off offset:1024
	s_and_b32 exec_lo, exec_lo, s12
	s_cbranch_execz .LBB57_98
; %bb.79:
	v_sub_f32_e32 v5, v36, v4
	global_store_dword v[2:3], v5, off offset:1280
	s_and_b32 exec_lo, exec_lo, s13
	s_cbranch_execz .LBB57_98
; %bb.80:
	v_sub_f32_e32 v5, v40, v4
	global_store_dword v[2:3], v5, off offset:1536
	s_and_b32 exec_lo, exec_lo, s14
	s_cbranch_execz .LBB57_98
; %bb.81:
	v_sub_f32_e32 v5, v33, v4
	global_store_dword v[2:3], v5, off offset:1792
	s_and_b32 exec_lo, exec_lo, s15
	s_cbranch_execz .LBB57_98
; %bb.82:
	v_add_co_u32 v2, vcc_lo, 0x1000, v0
	v_sub_f32_e32 v5, v39, v4
	v_add_co_ci_u32_e64 v3, null, 0, v1, vcc_lo
	global_store_dword v[2:3], v5, off
	s_and_b32 exec_lo, exec_lo, s16
	;; [unrolled: 42-line block ×3, first 2 shown]
	s_cbranch_execz .LBB57_98
; %bb.91:
	v_sub_f32_e32 v2, v15, v4
	global_store_dword v[0:1], v2, off offset:256
	s_and_b32 exec_lo, exec_lo, s25
	s_cbranch_execz .LBB57_98
; %bb.92:
	v_sub_f32_e32 v2, v16, v4
	global_store_dword v[0:1], v2, off offset:512
	s_and_b32 exec_lo, exec_lo, s26
	;; [unrolled: 5-line block ×6, first 2 shown]
	s_cbranch_execz .LBB57_98
; %bb.97:
	v_sub_f32_e32 v2, v6, v4
	global_store_dword v[0:1], v2, off offset:1792
.LBB57_98:
	s_endpgm
	.section	.rodata,"a",@progbits
	.p2align	6, 0x0
	.amdhsa_kernel _ZN12_GLOBAL__N_120softmax_warp_forwardIfffLi11ELb1ELb0ELi64EEEvPT0_PKT_iiiPKbib
		.amdhsa_group_segment_fixed_size 0
		.amdhsa_private_segment_fixed_size 0
		.amdhsa_kernarg_size 304
		.amdhsa_user_sgpr_count 6
		.amdhsa_user_sgpr_private_segment_buffer 1
		.amdhsa_user_sgpr_dispatch_ptr 0
		.amdhsa_user_sgpr_queue_ptr 0
		.amdhsa_user_sgpr_kernarg_segment_ptr 1
		.amdhsa_user_sgpr_dispatch_id 0
		.amdhsa_user_sgpr_flat_scratch_init 0
		.amdhsa_user_sgpr_private_segment_size 0
		.amdhsa_wavefront_size32 1
		.amdhsa_uses_dynamic_stack 0
		.amdhsa_system_sgpr_private_segment_wavefront_offset 0
		.amdhsa_system_sgpr_workgroup_id_x 1
		.amdhsa_system_sgpr_workgroup_id_y 0
		.amdhsa_system_sgpr_workgroup_id_z 0
		.amdhsa_system_sgpr_workgroup_info 0
		.amdhsa_system_vgpr_workitem_id 1
		.amdhsa_next_free_vgpr 46
		.amdhsa_next_free_sgpr 44
		.amdhsa_reserve_vcc 1
		.amdhsa_reserve_flat_scratch 0
		.amdhsa_float_round_mode_32 0
		.amdhsa_float_round_mode_16_64 0
		.amdhsa_float_denorm_mode_32 3
		.amdhsa_float_denorm_mode_16_64 3
		.amdhsa_dx10_clamp 1
		.amdhsa_ieee_mode 1
		.amdhsa_fp16_overflow 0
		.amdhsa_workgroup_processor_mode 1
		.amdhsa_memory_ordered 1
		.amdhsa_forward_progress 1
		.amdhsa_shared_vgpr_count 0
		.amdhsa_exception_fp_ieee_invalid_op 0
		.amdhsa_exception_fp_denorm_src 0
		.amdhsa_exception_fp_ieee_div_zero 0
		.amdhsa_exception_fp_ieee_overflow 0
		.amdhsa_exception_fp_ieee_underflow 0
		.amdhsa_exception_fp_ieee_inexact 0
		.amdhsa_exception_int_div_zero 0
	.end_amdhsa_kernel
	.section	.text._ZN12_GLOBAL__N_120softmax_warp_forwardIfffLi11ELb1ELb0ELi64EEEvPT0_PKT_iiiPKbib,"axG",@progbits,_ZN12_GLOBAL__N_120softmax_warp_forwardIfffLi11ELb1ELb0ELi64EEEvPT0_PKT_iiiPKbib,comdat
.Lfunc_end57:
	.size	_ZN12_GLOBAL__N_120softmax_warp_forwardIfffLi11ELb1ELb0ELi64EEEvPT0_PKT_iiiPKbib, .Lfunc_end57-_ZN12_GLOBAL__N_120softmax_warp_forwardIfffLi11ELb1ELb0ELi64EEEvPT0_PKT_iiiPKbib
                                        ; -- End function
	.set _ZN12_GLOBAL__N_120softmax_warp_forwardIfffLi11ELb1ELb0ELi64EEEvPT0_PKT_iiiPKbib.num_vgpr, 46
	.set _ZN12_GLOBAL__N_120softmax_warp_forwardIfffLi11ELb1ELb0ELi64EEEvPT0_PKT_iiiPKbib.num_agpr, 0
	.set _ZN12_GLOBAL__N_120softmax_warp_forwardIfffLi11ELb1ELb0ELi64EEEvPT0_PKT_iiiPKbib.numbered_sgpr, 44
	.set _ZN12_GLOBAL__N_120softmax_warp_forwardIfffLi11ELb1ELb0ELi64EEEvPT0_PKT_iiiPKbib.num_named_barrier, 0
	.set _ZN12_GLOBAL__N_120softmax_warp_forwardIfffLi11ELb1ELb0ELi64EEEvPT0_PKT_iiiPKbib.private_seg_size, 0
	.set _ZN12_GLOBAL__N_120softmax_warp_forwardIfffLi11ELb1ELb0ELi64EEEvPT0_PKT_iiiPKbib.uses_vcc, 1
	.set _ZN12_GLOBAL__N_120softmax_warp_forwardIfffLi11ELb1ELb0ELi64EEEvPT0_PKT_iiiPKbib.uses_flat_scratch, 0
	.set _ZN12_GLOBAL__N_120softmax_warp_forwardIfffLi11ELb1ELb0ELi64EEEvPT0_PKT_iiiPKbib.has_dyn_sized_stack, 0
	.set _ZN12_GLOBAL__N_120softmax_warp_forwardIfffLi11ELb1ELb0ELi64EEEvPT0_PKT_iiiPKbib.has_recursion, 0
	.set _ZN12_GLOBAL__N_120softmax_warp_forwardIfffLi11ELb1ELb0ELi64EEEvPT0_PKT_iiiPKbib.has_indirect_call, 0
	.section	.AMDGPU.csdata,"",@progbits
; Kernel info:
; codeLenInByte = 7288
; TotalNumSgprs: 46
; NumVgprs: 46
; ScratchSize: 0
; MemoryBound: 0
; FloatMode: 240
; IeeeMode: 1
; LDSByteSize: 0 bytes/workgroup (compile time only)
; SGPRBlocks: 0
; VGPRBlocks: 5
; NumSGPRsForWavesPerEU: 46
; NumVGPRsForWavesPerEU: 46
; Occupancy: 16
; WaveLimiterHint : 0
; COMPUTE_PGM_RSRC2:SCRATCH_EN: 0
; COMPUTE_PGM_RSRC2:USER_SGPR: 6
; COMPUTE_PGM_RSRC2:TRAP_HANDLER: 0
; COMPUTE_PGM_RSRC2:TGID_X_EN: 1
; COMPUTE_PGM_RSRC2:TGID_Y_EN: 0
; COMPUTE_PGM_RSRC2:TGID_Z_EN: 0
; COMPUTE_PGM_RSRC2:TIDIG_COMP_CNT: 1
	.section	.text._ZN12_GLOBAL__N_120softmax_warp_forwardIfffLi11ELb1ELb0ELi32EEEvPT0_PKT_iiiPKbib,"axG",@progbits,_ZN12_GLOBAL__N_120softmax_warp_forwardIfffLi11ELb1ELb0ELi32EEEvPT0_PKT_iiiPKbib,comdat
	.globl	_ZN12_GLOBAL__N_120softmax_warp_forwardIfffLi11ELb1ELb0ELi32EEEvPT0_PKT_iiiPKbib ; -- Begin function _ZN12_GLOBAL__N_120softmax_warp_forwardIfffLi11ELb1ELb0ELi32EEEvPT0_PKT_iiiPKbib
	.p2align	8
	.type	_ZN12_GLOBAL__N_120softmax_warp_forwardIfffLi11ELb1ELb0ELi32EEEvPT0_PKT_iiiPKbib,@function
_ZN12_GLOBAL__N_120softmax_warp_forwardIfffLi11ELb1ELb0ELi32EEEvPT0_PKT_iiiPKbib: ; @_ZN12_GLOBAL__N_120softmax_warp_forwardIfffLi11ELb1ELb0ELi32EEEvPT0_PKT_iiiPKbib
; %bb.0:
	s_clause 0x1
	s_load_dword s0, s[4:5], 0x3c
	s_load_dwordx8 s[68:75], s[4:5], 0x0
	v_mov_b32_e32 v9, 0xff800000
	v_mov_b32_e32 v7, 0xff800000
	s_waitcnt lgkmcnt(0)
	s_lshr_b32 s0, s0, 16
	v_cmp_gt_i32_e64 s1, s74, v0
	v_mad_u64_u32 v[1:2], null, s6, s0, v[1:2]
	v_mad_u64_u32 v[2:3], null, v1, s73, v[0:1]
	v_sub_nc_u32_e32 v5, s72, v1
	v_cmp_lt_i32_e64 s64, 0, v5
	v_ashrrev_i32_e32 v3, 31, v2
	s_and_b32 s2, s64, s1
	v_lshlrev_b64 v[1:2], 2, v[2:3]
	v_add_co_u32 v3, vcc_lo, s70, v1
	v_add_co_ci_u32_e64 v4, null, s71, v2, vcc_lo
	s_and_saveexec_b32 s0, s2
	s_cbranch_execz .LBB58_2
; %bb.1:
	global_load_dword v7, v[3:4], off
.LBB58_2:
	s_or_b32 exec_lo, exec_lo, s0
	v_add_nc_u32_e32 v6, 32, v0
	v_cmp_gt_i32_e32 vcc_lo, s74, v6
	s_and_b32 s2, s64, vcc_lo
	s_and_saveexec_b32 s0, s2
	s_cbranch_execz .LBB58_4
; %bb.3:
	global_load_dword v9, v[3:4], off offset:128
.LBB58_4:
	s_or_b32 exec_lo, exec_lo, s0
	v_add_nc_u32_e32 v6, 64, v0
	v_mov_b32_e32 v11, 0xff800000
	v_mov_b32_e32 v10, 0xff800000
	v_cmp_gt_i32_e64 s0, s74, v6
	s_and_b32 s3, s64, s0
	s_and_saveexec_b32 s2, s3
	s_cbranch_execz .LBB58_6
; %bb.5:
	global_load_dword v10, v[3:4], off offset:256
.LBB58_6:
	s_or_b32 exec_lo, exec_lo, s2
	v_add_nc_u32_e32 v6, 0x60, v0
	v_cmp_gt_i32_e64 s2, s74, v6
	s_and_b32 s4, s64, s2
	s_and_saveexec_b32 s3, s4
	s_cbranch_execz .LBB58_8
; %bb.7:
	global_load_dword v11, v[3:4], off offset:384
.LBB58_8:
	s_or_b32 exec_lo, exec_lo, s3
	v_add_nc_u32_e32 v6, 0x80, v0
	v_mov_b32_e32 v14, 0xff800000
	v_mov_b32_e32 v12, 0xff800000
	v_cmp_gt_i32_e64 s3, s74, v6
	s_and_b32 s5, s64, s3
	s_and_saveexec_b32 s4, s5
	s_cbranch_execz .LBB58_10
; %bb.9:
	global_load_dword v12, v[3:4], off offset:512
.LBB58_10:
	s_or_b32 exec_lo, exec_lo, s4
	v_add_nc_u32_e32 v6, 0xa0, v0
	v_cmp_gt_i32_e64 s4, s74, v6
	s_and_b32 s6, s64, s4
	;; [unrolled: 20-line block ×7, first 2 shown]
	s_and_saveexec_b32 s15, s16
	s_cbranch_execz .LBB58_32
; %bb.31:
	global_load_dword v35, v[3:4], off offset:1920
.LBB58_32:
	s_or_b32 exec_lo, exec_lo, s15
	v_add_nc_u32_e32 v6, 0x200, v0
	v_mov_b32_e32 v39, 0xff800000
	v_mov_b32_e32 v37, 0xff800000
	v_cmp_gt_i32_e64 s15, s74, v6
	s_and_b32 s16, s64, s15
	s_and_saveexec_b32 s17, s16
	s_cbranch_execz .LBB58_34
; %bb.33:
	v_add_co_u32 v23, s16, 0x800, v3
	v_add_co_ci_u32_e64 v24, null, 0, v4, s16
	global_load_dword v37, v[23:24], off
.LBB58_34:
	s_or_b32 exec_lo, exec_lo, s17
	v_add_nc_u32_e32 v6, 0x220, v0
	v_cmp_gt_i32_e64 s16, s74, v6
	s_and_b32 s17, s64, s16
	s_and_saveexec_b32 s18, s17
	s_cbranch_execz .LBB58_36
; %bb.35:
	v_add_co_u32 v23, s17, 0x800, v3
	v_add_co_ci_u32_e64 v24, null, 0, v4, s17
	global_load_dword v39, v[23:24], off offset:128
.LBB58_36:
	s_or_b32 exec_lo, exec_lo, s18
	v_add_nc_u32_e32 v6, 0x240, v0
	v_mov_b32_e32 v43, 0xff800000
	v_mov_b32_e32 v41, 0xff800000
	v_cmp_gt_i32_e64 s17, s74, v6
	s_and_b32 s18, s64, s17
	s_and_saveexec_b32 s19, s18
	s_cbranch_execz .LBB58_38
; %bb.37:
	v_add_co_u32 v23, s18, 0x800, v3
	v_add_co_ci_u32_e64 v24, null, 0, v4, s18
	global_load_dword v41, v[23:24], off offset:256
.LBB58_38:
	s_or_b32 exec_lo, exec_lo, s19
	v_add_nc_u32_e32 v6, 0x260, v0
	v_cmp_gt_i32_e64 s18, s74, v6
	s_and_b32 s19, s64, s18
	s_and_saveexec_b32 s20, s19
	s_cbranch_execz .LBB58_40
; %bb.39:
	v_add_co_u32 v23, s19, 0x800, v3
	v_add_co_ci_u32_e64 v24, null, 0, v4, s19
	global_load_dword v43, v[23:24], off offset:384
.LBB58_40:
	s_or_b32 exec_lo, exec_lo, s20
	v_add_nc_u32_e32 v6, 0x280, v0
	v_mov_b32_e32 v48, 0xff800000
	v_mov_b32_e32 v45, 0xff800000
	v_cmp_gt_i32_e64 s19, s74, v6
	s_and_b32 s20, s64, s19
	s_and_saveexec_b32 s21, s20
	s_cbranch_execz .LBB58_42
; %bb.41:
	v_add_co_u32 v23, s20, 0x800, v3
	v_add_co_ci_u32_e64 v24, null, 0, v4, s20
	global_load_dword v45, v[23:24], off offset:512
.LBB58_42:
	;; [unrolled: 24-line block ×7, first 2 shown]
	s_or_b32 exec_lo, exec_lo, s31
	v_add_nc_u32_e32 v6, 0x3e0, v0
	v_cmp_gt_i32_e64 s30, s74, v6
	s_and_b32 s31, s64, s30
	s_and_saveexec_b32 s33, s31
	s_cbranch_execz .LBB58_64
; %bb.63:
	v_add_co_u32 v23, s31, 0x800, v3
	v_add_co_ci_u32_e64 v24, null, 0, v4, s31
	global_load_dword v69, v[23:24], off offset:1920
.LBB58_64:
	s_or_b32 exec_lo, exec_lo, s33
	v_or_b32_e32 v6, 0x400, v0
	v_mov_b32_e32 v71, 0xff800000
	v_mov_b32_e32 v72, 0xff800000
	v_cmp_gt_i32_e64 s31, s74, v6
	s_and_b32 s33, s64, s31
	s_and_saveexec_b32 s34, s33
	s_cbranch_execz .LBB58_66
; %bb.65:
	v_add_co_u32 v23, s33, 0x1000, v3
	v_add_co_ci_u32_e64 v24, null, 0, v4, s33
	global_load_dword v72, v[23:24], off
.LBB58_66:
	s_or_b32 exec_lo, exec_lo, s34
	v_add_nc_u32_e32 v6, 0x420, v0
	v_cmp_gt_i32_e64 s33, s74, v6
	s_and_b32 s34, s64, s33
	s_and_saveexec_b32 s35, s34
	s_cbranch_execz .LBB58_68
; %bb.67:
	v_add_co_u32 v23, s34, 0x1000, v3
	v_add_co_ci_u32_e64 v24, null, 0, v4, s34
	global_load_dword v71, v[23:24], off offset:128
.LBB58_68:
	s_or_b32 exec_lo, exec_lo, s35
	v_add_nc_u32_e32 v6, 0x440, v0
	v_mov_b32_e32 v67, 0xff800000
	v_mov_b32_e32 v70, 0xff800000
	v_cmp_gt_i32_e64 s34, s74, v6
	s_and_b32 s35, s64, s34
	s_and_saveexec_b32 s36, s35
	s_cbranch_execz .LBB58_70
; %bb.69:
	v_add_co_u32 v23, s35, 0x1000, v3
	v_add_co_ci_u32_e64 v24, null, 0, v4, s35
	global_load_dword v70, v[23:24], off offset:256
.LBB58_70:
	s_or_b32 exec_lo, exec_lo, s36
	v_add_nc_u32_e32 v6, 0x460, v0
	v_cmp_gt_i32_e64 s35, s74, v6
	s_and_b32 s36, s64, s35
	s_and_saveexec_b32 s37, s36
	s_cbranch_execz .LBB58_72
; %bb.71:
	v_add_co_u32 v23, s36, 0x1000, v3
	v_add_co_ci_u32_e64 v24, null, 0, v4, s36
	global_load_dword v67, v[23:24], off offset:384
.LBB58_72:
	s_or_b32 exec_lo, exec_lo, s37
	v_add_nc_u32_e32 v6, 0x480, v0
	v_mov_b32_e32 v64, 0xff800000
	v_mov_b32_e32 v66, 0xff800000
	v_cmp_gt_i32_e64 s36, s74, v6
	s_and_b32 s37, s64, s36
	s_and_saveexec_b32 s38, s37
	s_cbranch_execz .LBB58_74
; %bb.73:
	v_add_co_u32 v23, s37, 0x1000, v3
	v_add_co_ci_u32_e64 v24, null, 0, v4, s37
	global_load_dword v66, v[23:24], off offset:512
.LBB58_74:
	;; [unrolled: 24-line block ×7, first 2 shown]
	s_or_b32 exec_lo, exec_lo, s48
	v_add_nc_u32_e32 v6, 0x5e0, v0
	v_cmp_gt_i32_e64 s47, s74, v6
	s_and_b32 s48, s64, s47
	s_and_saveexec_b32 s49, s48
	s_cbranch_execz .LBB58_96
; %bb.95:
	v_add_co_u32 v23, s48, 0x1000, v3
	v_add_co_ci_u32_e64 v24, null, 0, v4, s48
	global_load_dword v44, v[23:24], off offset:1920
.LBB58_96:
	s_or_b32 exec_lo, exec_lo, s49
	v_add_nc_u32_e32 v6, 0x600, v0
	v_mov_b32_e32 v40, 0xff800000
	v_mov_b32_e32 v42, 0xff800000
	v_cmp_gt_i32_e64 s48, s74, v6
	s_and_b32 s49, s64, s48
	s_and_saveexec_b32 s50, s49
	s_cbranch_execz .LBB58_98
; %bb.97:
	v_add_co_u32 v23, s49, 0x1800, v3
	v_add_co_ci_u32_e64 v24, null, 0, v4, s49
	global_load_dword v42, v[23:24], off
.LBB58_98:
	s_or_b32 exec_lo, exec_lo, s50
	v_add_nc_u32_e32 v6, 0x620, v0
	v_cmp_gt_i32_e64 s49, s74, v6
	s_and_b32 s50, s64, s49
	s_and_saveexec_b32 s51, s50
	s_cbranch_execz .LBB58_100
; %bb.99:
	v_add_co_u32 v23, s50, 0x1800, v3
	v_add_co_ci_u32_e64 v24, null, 0, v4, s50
	global_load_dword v40, v[23:24], off offset:128
.LBB58_100:
	s_or_b32 exec_lo, exec_lo, s51
	v_add_nc_u32_e32 v6, 0x640, v0
	v_mov_b32_e32 v36, 0xff800000
	v_mov_b32_e32 v38, 0xff800000
	v_cmp_gt_i32_e64 s50, s74, v6
	s_and_b32 s51, s64, s50
	s_and_saveexec_b32 s52, s51
	s_cbranch_execz .LBB58_102
; %bb.101:
	v_add_co_u32 v23, s51, 0x1800, v3
	v_add_co_ci_u32_e64 v24, null, 0, v4, s51
	global_load_dword v38, v[23:24], off offset:256
.LBB58_102:
	s_or_b32 exec_lo, exec_lo, s52
	v_add_nc_u32_e32 v6, 0x660, v0
	v_cmp_gt_i32_e64 s51, s74, v6
	s_and_b32 s52, s64, s51
	s_and_saveexec_b32 s53, s52
	s_cbranch_execz .LBB58_104
; %bb.103:
	v_add_co_u32 v23, s52, 0x1800, v3
	v_add_co_ci_u32_e64 v24, null, 0, v4, s52
	global_load_dword v36, v[23:24], off offset:384
.LBB58_104:
	s_or_b32 exec_lo, exec_lo, s53
	v_add_nc_u32_e32 v6, 0x680, v0
	v_mov_b32_e32 v32, 0xff800000
	v_mov_b32_e32 v34, 0xff800000
	v_cmp_gt_i32_e64 s52, s74, v6
	s_and_b32 s53, s64, s52
	s_and_saveexec_b32 s54, s53
	s_cbranch_execz .LBB58_106
; %bb.105:
	v_add_co_u32 v23, s53, 0x1800, v3
	v_add_co_ci_u32_e64 v24, null, 0, v4, s53
	global_load_dword v34, v[23:24], off offset:512
.LBB58_106:
	;; [unrolled: 24-line block ×7, first 2 shown]
	s_or_b32 exec_lo, exec_lo, s65
	v_add_nc_u32_e32 v0, 0x7e0, v0
	v_cmp_gt_i32_e64 s63, s74, v0
	s_and_b32 s64, s64, s63
	s_and_saveexec_b32 s65, s64
	s_cbranch_execz .LBB58_128
; %bb.127:
	v_add_co_u32 v3, s64, 0x1800, v3
	v_add_co_ci_u32_e64 v4, null, 0, v4, s64
	global_load_dword v13, v[3:4], off offset:1920
.LBB58_128:
	s_or_b32 exec_lo, exec_lo, s65
	s_waitcnt vmcnt(0)
	v_cmp_gt_f32_e64 s64, v7, v9
	v_mbcnt_lo_u32_b32 v8, -1, 0
	s_mov_b32 s65, exec_lo
	v_cndmask_b32_e64 v0, v9, v7, s64
	v_cmp_gt_f32_e64 s64, v0, v10
	v_cndmask_b32_e64 v0, v10, v0, s64
	v_cmp_gt_f32_e64 s64, v0, v11
	;; [unrolled: 2-line block ×62, first 2 shown]
	v_cndmask_b32_e64 v3, v13, v0, s64
	v_xor_b32_e32 v0, 16, v8
	v_cmp_gt_i32_e64 s64, 32, v0
	v_cndmask_b32_e64 v0, v8, v0, s64
	v_lshlrev_b32_e32 v0, 2, v0
	ds_bpermute_b32 v4, v0, v3
	s_waitcnt lgkmcnt(0)
	v_cmp_lt_f32_e64 s64, v3, v4
	v_cndmask_b32_e64 v4, v3, v4, s64
	v_xor_b32_e32 v3, 8, v8
	v_cmp_gt_i32_e64 s64, 32, v3
	v_cndmask_b32_e64 v3, v8, v3, s64
	v_lshlrev_b32_e32 v3, 2, v3
	ds_bpermute_b32 v6, v3, v4
	s_waitcnt lgkmcnt(0)
	v_cmp_lt_f32_e64 s64, v4, v6
	;; [unrolled: 8-line block ×5, first 2 shown]
	v_cndmask_b32_e64 v57, v57, v73, s64
	v_sub_f32_e32 v7, v7, v57
	v_sub_f32_e32 v9, v9, v57
	;; [unrolled: 1-line block ×5, first 2 shown]
	v_mul_f32_e32 v73, 0x3fb8aa3b, v7
	v_cmp_ngt_f32_e64 s64, 0xc2ce8ed0, v7
	v_sub_f32_e32 v14, v14, v57
	v_sub_f32_e32 v16, v16, v57
	;; [unrolled: 1-line block ×3, first 2 shown]
	v_fma_f32 v74, 0x3fb8aa3b, v7, -v73
	v_rndne_f32_e32 v75, v73
	v_sub_f32_e32 v20, v20, v57
	v_sub_f32_e32 v22, v22, v57
	;; [unrolled: 1-line block ×3, first 2 shown]
	v_fmac_f32_e32 v74, 0x32a5705f, v7
	v_sub_f32_e32 v73, v73, v75
	v_sub_f32_e32 v26, v26, v57
	;; [unrolled: 1-line block ×5, first 2 shown]
	v_add_f32_e32 v73, v73, v74
	v_cvt_i32_f32_e32 v74, v75
	v_sub_f32_e32 v35, v35, v57
	v_sub_f32_e32 v37, v37, v57
	;; [unrolled: 1-line block ×3, first 2 shown]
	v_exp_f32_e32 v73, v73
	v_sub_f32_e32 v41, v41, v57
	v_sub_f32_e32 v43, v43, v57
	v_sub_f32_e32 v45, v45, v57
	v_sub_f32_e32 v48, v48, v57
	v_sub_f32_e32 v49, v49, v57
	v_sub_f32_e32 v52, v52, v57
	v_sub_f32_e32 v53, v53, v57
	v_sub_f32_e32 v56, v56, v57
	v_sub_f32_e32 v59, v59, v57
	v_ldexp_f32 v73, v73, v74
	v_mul_f32_e32 v74, 0x3fb8aa3b, v9
	v_sub_f32_e32 v61, v61, v57
	v_sub_f32_e32 v63, v63, v57
	;; [unrolled: 1-line block ×3, first 2 shown]
	v_cndmask_b32_e64 v73, 0, v73, s64
	v_fma_f32 v75, 0x3fb8aa3b, v9, -v74
	v_rndne_f32_e32 v76, v74
	v_cmp_nlt_f32_e64 s64, 0x42b17218, v7
	v_sub_f32_e32 v68, v68, v57
	v_sub_f32_e32 v69, v69, v57
	v_fmac_f32_e32 v75, 0x32a5705f, v9
	v_sub_f32_e32 v74, v74, v76
	v_cndmask_b32_e64 v73, 0x7f800000, v73, s64
	v_cmp_ngt_f32_e64 s64, 0xc2ce8ed0, v9
	v_sub_f32_e32 v72, v72, v57
	v_sub_f32_e32 v71, v71, v57
	v_add_f32_e32 v74, v74, v75
	v_cvt_i32_f32_e32 v75, v76
	v_sub_f32_e32 v70, v70, v57
	v_sub_f32_e32 v67, v67, v57
	;; [unrolled: 1-line block ×3, first 2 shown]
	v_exp_f32_e32 v74, v74
	v_sub_f32_e32 v64, v64, v57
	v_sub_f32_e32 v62, v62, v57
	;; [unrolled: 1-line block ×9, first 2 shown]
	v_ldexp_f32 v74, v74, v75
	v_sub_f32_e32 v46, v46, v57
	v_sub_f32_e32 v44, v44, v57
	;; [unrolled: 1-line block ×4, first 2 shown]
	v_cndmask_b32_e64 v74, 0, v74, s64
	v_cmp_nlt_f32_e64 s64, 0x42b17218, v9
	v_sub_f32_e32 v38, v38, v57
	v_sub_f32_e32 v36, v36, v57
	;; [unrolled: 1-line block ×4, first 2 shown]
	v_cndmask_b32_e64 v74, 0x7f800000, v74, s64
	v_cmp_ngt_f32_e64 s64, 0xc2ce8ed0, v10
	v_sub_f32_e32 v31, v31, v57
	v_sub_f32_e32 v28, v28, v57
	v_sub_f32_e32 v27, v27, v57
	v_add_f32_e32 v73, v73, v74
	v_mul_f32_e32 v74, 0x3fb8aa3b, v10
	v_sub_f32_e32 v24, v24, v57
	v_sub_f32_e32 v23, v23, v57
	;; [unrolled: 1-line block ×4, first 2 shown]
	v_fma_f32 v75, 0x3fb8aa3b, v10, -v74
	v_rndne_f32_e32 v76, v74
	v_sub_f32_e32 v17, v17, v57
	v_sub_f32_e32 v15, v15, v57
	;; [unrolled: 1-line block ×3, first 2 shown]
	v_fmac_f32_e32 v75, 0x32a5705f, v10
	v_sub_f32_e32 v74, v74, v76
	v_mul_f32_e32 v57, 0x3fb8aa3b, v13
	v_add_f32_e32 v74, v74, v75
	v_cvt_i32_f32_e32 v75, v76
	v_exp_f32_e32 v74, v74
	v_ldexp_f32 v74, v74, v75
	v_cndmask_b32_e64 v74, 0, v74, s64
	v_cmp_nlt_f32_e64 s64, 0x42b17218, v10
	v_cndmask_b32_e64 v74, 0x7f800000, v74, s64
	v_cmp_ngt_f32_e64 s64, 0xc2ce8ed0, v11
	v_add_f32_e32 v73, v73, v74
	v_mul_f32_e32 v74, 0x3fb8aa3b, v11
	v_fma_f32 v75, 0x3fb8aa3b, v11, -v74
	v_rndne_f32_e32 v76, v74
	v_fmac_f32_e32 v75, 0x32a5705f, v11
	v_sub_f32_e32 v74, v74, v76
	v_add_f32_e32 v74, v74, v75
	v_cvt_i32_f32_e32 v75, v76
	v_exp_f32_e32 v74, v74
	v_ldexp_f32 v74, v74, v75
	v_cndmask_b32_e64 v74, 0, v74, s64
	v_cmp_nlt_f32_e64 s64, 0x42b17218, v11
	v_cndmask_b32_e64 v74, 0x7f800000, v74, s64
	v_cmp_ngt_f32_e64 s64, 0xc2ce8ed0, v12
	v_add_f32_e32 v73, v73, v74
	v_mul_f32_e32 v74, 0x3fb8aa3b, v12
	v_fma_f32 v75, 0x3fb8aa3b, v12, -v74
	v_rndne_f32_e32 v76, v74
	v_fmac_f32_e32 v75, 0x32a5705f, v12
	v_sub_f32_e32 v74, v74, v76
	;; [unrolled: 14-line block ×60, first 2 shown]
	v_add_f32_e32 v74, v74, v75
	v_cvt_i32_f32_e32 v75, v76
	v_exp_f32_e32 v74, v74
	v_ldexp_f32 v74, v74, v75
	v_rndne_f32_e32 v75, v57
	v_cndmask_b32_e64 v74, 0, v74, s64
	v_cmp_nlt_f32_e64 s64, 0x42b17218, v15
	v_cndmask_b32_e64 v74, 0x7f800000, v74, s64
	v_cmp_ngt_f32_e64 s64, 0xc2ce8ed0, v13
	v_add_f32_e32 v73, v73, v74
	v_fma_f32 v74, 0x3fb8aa3b, v13, -v57
	v_sub_f32_e32 v57, v57, v75
	v_fmac_f32_e32 v74, 0x32a5705f, v13
	v_add_f32_e32 v57, v57, v74
	v_cvt_i32_f32_e32 v74, v75
	v_exp_f32_e32 v57, v57
	v_ldexp_f32 v57, v57, v74
	v_cndmask_b32_e64 v57, 0, v57, s64
	v_cmp_nlt_f32_e64 s64, 0x42b17218, v13
	v_cndmask_b32_e64 v57, 0x7f800000, v57, s64
	v_add_f32_e32 v57, v73, v57
	ds_bpermute_b32 v0, v0, v57
	s_waitcnt lgkmcnt(0)
	v_add_f32_e32 v0, v57, v0
	ds_bpermute_b32 v3, v3, v0
	s_waitcnt lgkmcnt(0)
	;; [unrolled: 3-line block ×4, first 2 shown]
	v_add_f32_e32 v0, v0, v3
	ds_bpermute_b32 v3, v8, v0
	v_cmpx_lt_i32_e32 0, v5
	s_cbranch_execz .LBB58_194
; %bb.129:
	s_and_b32 exec_lo, exec_lo, s1
	s_cbranch_execz .LBB58_194
; %bb.130:
	s_waitcnt lgkmcnt(0)
	v_add_f32_e32 v0, v0, v3
	v_cmp_gt_f32_e64 s1, 0x800000, v0
	v_cndmask_b32_e64 v3, 0, 32, s1
	v_ldexp_f32 v0, v0, v3
	v_log_f32_e32 v0, v0
	v_mul_f32_e32 v3, 0x3f317217, v0
	v_cmp_gt_f32_e64 s64, 0x7f800000, |v0|
	v_fma_f32 v3, 0x3f317217, v0, -v3
	v_fmamk_f32 v3, v0, 0x3377d1cf, v3
	v_fmac_f32_e32 v3, 0x3f317217, v0
	v_cndmask_b32_e64 v0, v0, v3, s64
	v_cndmask_b32_e64 v3, 0, 0x41b17218, s1
	v_sub_f32_e32 v4, v0, v3
	v_add_co_u32 v0, s1, s68, v1
	v_add_co_ci_u32_e64 v1, null, s69, v2, s1
	v_sub_f32_e32 v2, v7, v4
	global_store_dword v[0:1], v2, off
	s_and_b32 exec_lo, exec_lo, vcc_lo
	s_cbranch_execz .LBB58_194
; %bb.131:
	v_sub_f32_e32 v2, v9, v4
	global_store_dword v[0:1], v2, off offset:128
	s_and_b32 exec_lo, exec_lo, s0
	s_cbranch_execz .LBB58_194
; %bb.132:
	v_sub_f32_e32 v2, v10, v4
	global_store_dword v[0:1], v2, off offset:256
	s_and_b32 exec_lo, exec_lo, s2
	;; [unrolled: 5-line block ×15, first 2 shown]
	s_cbranch_execz .LBB58_194
; %bb.146:
	v_add_co_u32 v2, vcc_lo, 0x800, v0
	v_sub_f32_e32 v5, v37, v4
	v_add_co_ci_u32_e64 v3, null, 0, v1, vcc_lo
	global_store_dword v[2:3], v5, off
	s_and_b32 exec_lo, exec_lo, s16
	s_cbranch_execz .LBB58_194
; %bb.147:
	v_sub_f32_e32 v5, v39, v4
	global_store_dword v[2:3], v5, off offset:128
	s_and_b32 exec_lo, exec_lo, s17
	s_cbranch_execz .LBB58_194
; %bb.148:
	v_sub_f32_e32 v5, v41, v4
	global_store_dword v[2:3], v5, off offset:256
	;; [unrolled: 5-line block ×15, first 2 shown]
	s_and_b32 exec_lo, exec_lo, s31
	s_cbranch_execz .LBB58_194
; %bb.162:
	v_add_co_u32 v2, vcc_lo, 0x1000, v0
	v_sub_f32_e32 v5, v72, v4
	v_add_co_ci_u32_e64 v3, null, 0, v1, vcc_lo
	global_store_dword v[2:3], v5, off
	s_and_b32 exec_lo, exec_lo, s33
	s_cbranch_execz .LBB58_194
; %bb.163:
	v_sub_f32_e32 v5, v71, v4
	global_store_dword v[2:3], v5, off offset:128
	s_and_b32 exec_lo, exec_lo, s34
	s_cbranch_execz .LBB58_194
; %bb.164:
	v_sub_f32_e32 v5, v70, v4
	global_store_dword v[2:3], v5, off offset:256
	;; [unrolled: 5-line block ×15, first 2 shown]
	s_and_b32 exec_lo, exec_lo, s48
	s_cbranch_execz .LBB58_194
; %bb.178:
	v_add_co_u32 v0, vcc_lo, 0x1800, v0
	v_sub_f32_e32 v2, v42, v4
	v_add_co_ci_u32_e64 v1, null, 0, v1, vcc_lo
	global_store_dword v[0:1], v2, off
	s_and_b32 exec_lo, exec_lo, s49
	s_cbranch_execz .LBB58_194
; %bb.179:
	v_sub_f32_e32 v2, v40, v4
	global_store_dword v[0:1], v2, off offset:128
	s_and_b32 exec_lo, exec_lo, s50
	s_cbranch_execz .LBB58_194
; %bb.180:
	v_sub_f32_e32 v2, v38, v4
	global_store_dword v[0:1], v2, off offset:256
	;; [unrolled: 5-line block ×15, first 2 shown]
.LBB58_194:
	s_endpgm
	.section	.rodata,"a",@progbits
	.p2align	6, 0x0
	.amdhsa_kernel _ZN12_GLOBAL__N_120softmax_warp_forwardIfffLi11ELb1ELb0ELi32EEEvPT0_PKT_iiiPKbib
		.amdhsa_group_segment_fixed_size 0
		.amdhsa_private_segment_fixed_size 0
		.amdhsa_kernarg_size 304
		.amdhsa_user_sgpr_count 6
		.amdhsa_user_sgpr_private_segment_buffer 1
		.amdhsa_user_sgpr_dispatch_ptr 0
		.amdhsa_user_sgpr_queue_ptr 0
		.amdhsa_user_sgpr_kernarg_segment_ptr 1
		.amdhsa_user_sgpr_dispatch_id 0
		.amdhsa_user_sgpr_flat_scratch_init 0
		.amdhsa_user_sgpr_private_segment_size 0
		.amdhsa_wavefront_size32 1
		.amdhsa_uses_dynamic_stack 0
		.amdhsa_system_sgpr_private_segment_wavefront_offset 0
		.amdhsa_system_sgpr_workgroup_id_x 1
		.amdhsa_system_sgpr_workgroup_id_y 0
		.amdhsa_system_sgpr_workgroup_id_z 0
		.amdhsa_system_sgpr_workgroup_info 0
		.amdhsa_system_vgpr_workitem_id 1
		.amdhsa_next_free_vgpr 77
		.amdhsa_next_free_sgpr 76
		.amdhsa_reserve_vcc 1
		.amdhsa_reserve_flat_scratch 0
		.amdhsa_float_round_mode_32 0
		.amdhsa_float_round_mode_16_64 0
		.amdhsa_float_denorm_mode_32 3
		.amdhsa_float_denorm_mode_16_64 3
		.amdhsa_dx10_clamp 1
		.amdhsa_ieee_mode 1
		.amdhsa_fp16_overflow 0
		.amdhsa_workgroup_processor_mode 1
		.amdhsa_memory_ordered 1
		.amdhsa_forward_progress 1
		.amdhsa_shared_vgpr_count 0
		.amdhsa_exception_fp_ieee_invalid_op 0
		.amdhsa_exception_fp_denorm_src 0
		.amdhsa_exception_fp_ieee_div_zero 0
		.amdhsa_exception_fp_ieee_overflow 0
		.amdhsa_exception_fp_ieee_underflow 0
		.amdhsa_exception_fp_ieee_inexact 0
		.amdhsa_exception_int_div_zero 0
	.end_amdhsa_kernel
	.section	.text._ZN12_GLOBAL__N_120softmax_warp_forwardIfffLi11ELb1ELb0ELi32EEEvPT0_PKT_iiiPKbib,"axG",@progbits,_ZN12_GLOBAL__N_120softmax_warp_forwardIfffLi11ELb1ELb0ELi32EEEvPT0_PKT_iiiPKbib,comdat
.Lfunc_end58:
	.size	_ZN12_GLOBAL__N_120softmax_warp_forwardIfffLi11ELb1ELb0ELi32EEEvPT0_PKT_iiiPKbib, .Lfunc_end58-_ZN12_GLOBAL__N_120softmax_warp_forwardIfffLi11ELb1ELb0ELi32EEEvPT0_PKT_iiiPKbib
                                        ; -- End function
	.set _ZN12_GLOBAL__N_120softmax_warp_forwardIfffLi11ELb1ELb0ELi32EEEvPT0_PKT_iiiPKbib.num_vgpr, 77
	.set _ZN12_GLOBAL__N_120softmax_warp_forwardIfffLi11ELb1ELb0ELi32EEEvPT0_PKT_iiiPKbib.num_agpr, 0
	.set _ZN12_GLOBAL__N_120softmax_warp_forwardIfffLi11ELb1ELb0ELi32EEEvPT0_PKT_iiiPKbib.numbered_sgpr, 76
	.set _ZN12_GLOBAL__N_120softmax_warp_forwardIfffLi11ELb1ELb0ELi32EEEvPT0_PKT_iiiPKbib.num_named_barrier, 0
	.set _ZN12_GLOBAL__N_120softmax_warp_forwardIfffLi11ELb1ELb0ELi32EEEvPT0_PKT_iiiPKbib.private_seg_size, 0
	.set _ZN12_GLOBAL__N_120softmax_warp_forwardIfffLi11ELb1ELb0ELi32EEEvPT0_PKT_iiiPKbib.uses_vcc, 1
	.set _ZN12_GLOBAL__N_120softmax_warp_forwardIfffLi11ELb1ELb0ELi32EEEvPT0_PKT_iiiPKbib.uses_flat_scratch, 0
	.set _ZN12_GLOBAL__N_120softmax_warp_forwardIfffLi11ELb1ELb0ELi32EEEvPT0_PKT_iiiPKbib.has_dyn_sized_stack, 0
	.set _ZN12_GLOBAL__N_120softmax_warp_forwardIfffLi11ELb1ELb0ELi32EEEvPT0_PKT_iiiPKbib.has_recursion, 0
	.set _ZN12_GLOBAL__N_120softmax_warp_forwardIfffLi11ELb1ELb0ELi32EEEvPT0_PKT_iiiPKbib.has_indirect_call, 0
	.section	.AMDGPU.csdata,"",@progbits
; Kernel info:
; codeLenInByte = 13840
; TotalNumSgprs: 78
; NumVgprs: 77
; ScratchSize: 0
; MemoryBound: 0
; FloatMode: 240
; IeeeMode: 1
; LDSByteSize: 0 bytes/workgroup (compile time only)
; SGPRBlocks: 0
; VGPRBlocks: 9
; NumSGPRsForWavesPerEU: 78
; NumVGPRsForWavesPerEU: 77
; Occupancy: 12
; WaveLimiterHint : 0
; COMPUTE_PGM_RSRC2:SCRATCH_EN: 0
; COMPUTE_PGM_RSRC2:USER_SGPR: 6
; COMPUTE_PGM_RSRC2:TRAP_HANDLER: 0
; COMPUTE_PGM_RSRC2:TGID_X_EN: 1
; COMPUTE_PGM_RSRC2:TGID_Y_EN: 0
; COMPUTE_PGM_RSRC2:TGID_Z_EN: 0
; COMPUTE_PGM_RSRC2:TIDIG_COMP_CNT: 1
	.section	.text._ZN2at6native12_GLOBAL__N_122cunn_SoftMaxForwardRegIfffNS1_25LogSoftMaxForwardEpilogueElLi1EEEvPT1_PKT_T3_,"axG",@progbits,_ZN2at6native12_GLOBAL__N_122cunn_SoftMaxForwardRegIfffNS1_25LogSoftMaxForwardEpilogueElLi1EEEvPT1_PKT_T3_,comdat
	.globl	_ZN2at6native12_GLOBAL__N_122cunn_SoftMaxForwardRegIfffNS1_25LogSoftMaxForwardEpilogueElLi1EEEvPT1_PKT_T3_ ; -- Begin function _ZN2at6native12_GLOBAL__N_122cunn_SoftMaxForwardRegIfffNS1_25LogSoftMaxForwardEpilogueElLi1EEEvPT1_PKT_T3_
	.p2align	8
	.type	_ZN2at6native12_GLOBAL__N_122cunn_SoftMaxForwardRegIfffNS1_25LogSoftMaxForwardEpilogueElLi1EEEvPT1_PKT_T3_,@function
_ZN2at6native12_GLOBAL__N_122cunn_SoftMaxForwardRegIfffNS1_25LogSoftMaxForwardEpilogueElLi1EEEvPT1_PKT_T3_: ; @_ZN2at6native12_GLOBAL__N_122cunn_SoftMaxForwardRegIfffNS1_25LogSoftMaxForwardEpilogueElLi1EEEvPT1_PKT_T3_
; %bb.0:
	s_clause 0x1
	s_load_dwordx2 s[0:1], s[4:5], 0x10
	s_load_dwordx4 s[8:11], s[4:5], 0x0
	v_mov_b32_e32 v1, 0
	v_mov_b32_e32 v4, 0xff7fffff
                                        ; implicit-def: $vgpr7
	s_waitcnt lgkmcnt(0)
	v_cmp_gt_i64_e32 vcc_lo, s[0:1], v[0:1]
	v_lshlrev_b32_e32 v1, 2, v0
	s_mul_i32 s2, s1, s6
	s_mul_hi_u32 s3, s0, s6
	s_mul_i32 s6, s0, s6
	s_add_i32 s7, s3, s2
	s_and_saveexec_b32 s0, vcc_lo
	s_cbranch_execz .LBB59_2
; %bb.1:
	s_lshl_b64 s[2:3], s[6:7], 2
	s_add_u32 s2, s10, s2
	s_addc_u32 s3, s11, s3
	global_load_dword v7, v1, s[2:3]
	s_waitcnt vmcnt(0)
	v_max_f32_e32 v2, v7, v7
	v_max_f32_e32 v4, 0xff7fffff, v2
.LBB59_2:
	s_or_b32 exec_lo, exec_lo, s0
	v_mbcnt_lo_u32_b32 v6, -1, 0
	s_barrier
	buffer_gl0_inv
	v_lshl_or_b32 v2, v6, 2, 64
	v_cmp_gt_u32_e64 s0, 24, v6
	ds_bpermute_b32 v5, v2, v4
	v_cndmask_b32_e64 v3, 0, 8, s0
	v_add_lshl_u32 v3, v3, v6, 2
	s_waitcnt lgkmcnt(0)
	v_cmp_lt_f32_e64 s0, v4, v5
	v_cndmask_b32_e64 v5, v4, v5, s0
	v_cmp_gt_u32_e64 s0, 28, v6
	ds_bpermute_b32 v8, v3, v5
	v_cndmask_b32_e64 v4, 0, 4, s0
	v_add_lshl_u32 v4, v4, v6, 2
	s_waitcnt lgkmcnt(0)
	v_cmp_lt_f32_e64 s0, v5, v8
	v_cndmask_b32_e64 v8, v5, v8, s0
	;; [unrolled: 7-line block ×3, first 2 shown]
	v_cmp_ne_u32_e64 s0, 31, v6
	ds_bpermute_b32 v9, v5, v8
	v_add_co_ci_u32_e64 v6, null, 0, v6, s0
	v_lshlrev_b32_e32 v6, 2, v6
	s_waitcnt lgkmcnt(0)
	v_cmp_lt_f32_e64 s0, v8, v9
	v_cndmask_b32_e64 v10, v8, v9, s0
	v_and_b32_e32 v9, 31, v0
	v_lshrrev_b32_e32 v8, 3, v0
	ds_bpermute_b32 v11, v6, v10
	v_cmp_eq_u32_e64 s0, 0, v9
	s_and_saveexec_b32 s1, s0
	s_xor_b32 s2, exec_lo, s1
	s_cbranch_execz .LBB59_4
; %bb.3:
	s_waitcnt lgkmcnt(0)
	v_cmp_lt_f32_e64 s1, v10, v11
	v_add_nc_u32_e32 v12, 0, v8
	v_cndmask_b32_e64 v10, v10, v11, s1
	ds_write_b32 v12, v10
.LBB59_4:
	s_or_b32 exec_lo, exec_lo, s2
	s_waitcnt lgkmcnt(0)
	s_barrier
	buffer_gl0_inv
	s_load_dword s1, s[4:5], 0x24
	v_mov_b32_e32 v10, 0xff7fffff
	v_lshl_add_u32 v9, v9, 2, 0
	s_waitcnt lgkmcnt(0)
	s_bfe_u32 s1, s1, 0xb0005
	v_cmp_gt_u32_e64 s1, s1, v0
	s_and_saveexec_b32 s2, s1
	s_cbranch_execnz .LBB59_17
; %bb.5:
	s_or_b32 exec_lo, exec_lo, s2
	v_cmp_gt_u32_e64 s2, 32, v0
	s_and_saveexec_b32 s4, s2
	s_cbranch_execnz .LBB59_18
.LBB59_6:
	s_or_b32 exec_lo, exec_lo, s4
	v_cmp_eq_u32_e64 s3, 0, v0
	s_and_saveexec_b32 s4, s3
	s_cbranch_execz .LBB59_8
.LBB59_7:
	v_mov_b32_e32 v0, 0
	s_waitcnt lgkmcnt(0)
	ds_write_b32 v0, v10
.LBB59_8:
	s_or_b32 exec_lo, exec_lo, s4
	s_waitcnt lgkmcnt(0)
	v_mov_b32_e32 v10, 0
	s_barrier
	buffer_gl0_inv
	ds_read_b32 v0, v10
	s_waitcnt lgkmcnt(0)
	s_barrier
	buffer_gl0_inv
	v_sub_f32_e32 v0, v7, v0
	v_mul_f32_e32 v7, 0x3fb8aa3b, v0
	v_cmp_ngt_f32_e64 s4, 0xc2ce8ed0, v0
	v_fma_f32 v11, 0x3fb8aa3b, v0, -v7
	v_rndne_f32_e32 v12, v7
	v_fmamk_f32 v11, v0, 0x32a5705f, v11
	v_sub_f32_e32 v7, v7, v12
	v_add_f32_e32 v7, v7, v11
	v_cvt_i32_f32_e32 v11, v12
	v_exp_f32_e32 v7, v7
	v_ldexp_f32 v7, v7, v11
	v_cndmask_b32_e64 v7, 0, v7, s4
	v_cmp_nlt_f32_e64 s4, 0x42b17218, v0
	v_cndmask_b32_e64 v7, 0x7f800000, v7, s4
	v_cndmask_b32_e32 v7, 0, v7, vcc_lo
	ds_bpermute_b32 v11, v2, v7
	s_waitcnt lgkmcnt(0)
	v_add_f32_e32 v7, v7, v11
	ds_bpermute_b32 v11, v3, v7
	s_waitcnt lgkmcnt(0)
	v_add_f32_e32 v7, v7, v11
	;; [unrolled: 3-line block ×4, first 2 shown]
	ds_bpermute_b32 v11, v6, v7
	s_and_saveexec_b32 s4, s0
	s_cbranch_execz .LBB59_10
; %bb.9:
	v_add_nc_u32_e32 v8, 0, v8
	s_waitcnt lgkmcnt(0)
	v_add_f32_e32 v7, v7, v11
	ds_write_b32 v8, v7
.LBB59_10:
	s_or_b32 exec_lo, exec_lo, s4
	s_waitcnt lgkmcnt(0)
	s_barrier
	buffer_gl0_inv
	s_and_saveexec_b32 s0, s1
	s_cbranch_execnz .LBB59_19
; %bb.11:
	s_or_b32 exec_lo, exec_lo, s0
	s_and_saveexec_b32 s0, s2
	s_cbranch_execnz .LBB59_20
.LBB59_12:
	s_or_b32 exec_lo, exec_lo, s0
	s_and_saveexec_b32 s0, s3
	s_cbranch_execz .LBB59_14
.LBB59_13:
	v_mov_b32_e32 v2, 0
	s_waitcnt lgkmcnt(0)
	ds_write_b32 v2, v10
.LBB59_14:
	s_or_b32 exec_lo, exec_lo, s0
	s_waitcnt lgkmcnt(0)
	s_barrier
	buffer_gl0_inv
	s_and_saveexec_b32 s0, vcc_lo
	s_cbranch_execz .LBB59_16
; %bb.15:
	v_mov_b32_e32 v2, 0
	s_lshl_b64 s[0:1], s[6:7], 2
	s_add_u32 s0, s8, s0
	s_addc_u32 s1, s9, s1
	ds_read_b32 v2, v2
	s_waitcnt lgkmcnt(0)
	v_cmp_gt_f32_e32 vcc_lo, 0x800000, v2
	s_and_b32 s2, vcc_lo, exec_lo
	s_cselect_b32 s2, 32, 0
	v_cndmask_b32_e64 v3, 0, 0x41b17218, vcc_lo
	v_ldexp_f32 v2, v2, s2
	v_log_f32_e32 v2, v2
	v_mul_f32_e32 v4, 0x3f317217, v2
	v_cmp_gt_f32_e64 vcc_lo, 0x7f800000, |v2|
	v_fma_f32 v4, 0x3f317217, v2, -v4
	v_fmamk_f32 v4, v2, 0x3377d1cf, v4
	v_fmac_f32_e32 v4, 0x3f317217, v2
	v_cndmask_b32_e32 v2, v2, v4, vcc_lo
	v_sub_f32_e32 v2, v2, v3
	v_sub_f32_e32 v0, v0, v2
	global_store_dword v1, v0, s[0:1]
.LBB59_16:
	s_endpgm
.LBB59_17:
	ds_read_b32 v10, v9
	s_or_b32 exec_lo, exec_lo, s2
	v_cmp_gt_u32_e64 s2, 32, v0
	s_and_saveexec_b32 s4, s2
	s_cbranch_execz .LBB59_6
.LBB59_18:
	s_waitcnt lgkmcnt(0)
	ds_bpermute_b32 v11, v2, v10
	s_waitcnt lgkmcnt(0)
	v_cmp_lt_f32_e64 s3, v10, v11
	v_cndmask_b32_e64 v10, v10, v11, s3
	ds_bpermute_b32 v11, v3, v10
	s_waitcnt lgkmcnt(0)
	v_cmp_lt_f32_e64 s3, v10, v11
	v_cndmask_b32_e64 v10, v10, v11, s3
	;; [unrolled: 4-line block ×5, first 2 shown]
	s_or_b32 exec_lo, exec_lo, s4
	v_cmp_eq_u32_e64 s3, 0, v0
	s_and_saveexec_b32 s4, s3
	s_cbranch_execnz .LBB59_7
	s_branch .LBB59_8
.LBB59_19:
	ds_read_b32 v10, v9
	s_or_b32 exec_lo, exec_lo, s0
	s_and_saveexec_b32 s0, s2
	s_cbranch_execz .LBB59_12
.LBB59_20:
	s_waitcnt lgkmcnt(0)
	ds_bpermute_b32 v2, v2, v10
	s_waitcnt lgkmcnt(0)
	v_add_f32_e32 v2, v10, v2
	ds_bpermute_b32 v3, v3, v2
	s_waitcnt lgkmcnt(0)
	v_add_f32_e32 v2, v2, v3
	;; [unrolled: 3-line block ×5, first 2 shown]
	s_or_b32 exec_lo, exec_lo, s0
	s_and_saveexec_b32 s0, s3
	s_cbranch_execnz .LBB59_13
	s_branch .LBB59_14
	.section	.rodata,"a",@progbits
	.p2align	6, 0x0
	.amdhsa_kernel _ZN2at6native12_GLOBAL__N_122cunn_SoftMaxForwardRegIfffNS1_25LogSoftMaxForwardEpilogueElLi1EEEvPT1_PKT_T3_
		.amdhsa_group_segment_fixed_size 0
		.amdhsa_private_segment_fixed_size 0
		.amdhsa_kernarg_size 280
		.amdhsa_user_sgpr_count 6
		.amdhsa_user_sgpr_private_segment_buffer 1
		.amdhsa_user_sgpr_dispatch_ptr 0
		.amdhsa_user_sgpr_queue_ptr 0
		.amdhsa_user_sgpr_kernarg_segment_ptr 1
		.amdhsa_user_sgpr_dispatch_id 0
		.amdhsa_user_sgpr_flat_scratch_init 0
		.amdhsa_user_sgpr_private_segment_size 0
		.amdhsa_wavefront_size32 1
		.amdhsa_uses_dynamic_stack 0
		.amdhsa_system_sgpr_private_segment_wavefront_offset 0
		.amdhsa_system_sgpr_workgroup_id_x 1
		.amdhsa_system_sgpr_workgroup_id_y 0
		.amdhsa_system_sgpr_workgroup_id_z 0
		.amdhsa_system_sgpr_workgroup_info 0
		.amdhsa_system_vgpr_workitem_id 0
		.amdhsa_next_free_vgpr 13
		.amdhsa_next_free_sgpr 12
		.amdhsa_reserve_vcc 1
		.amdhsa_reserve_flat_scratch 0
		.amdhsa_float_round_mode_32 0
		.amdhsa_float_round_mode_16_64 0
		.amdhsa_float_denorm_mode_32 3
		.amdhsa_float_denorm_mode_16_64 3
		.amdhsa_dx10_clamp 1
		.amdhsa_ieee_mode 1
		.amdhsa_fp16_overflow 0
		.amdhsa_workgroup_processor_mode 1
		.amdhsa_memory_ordered 1
		.amdhsa_forward_progress 1
		.amdhsa_shared_vgpr_count 0
		.amdhsa_exception_fp_ieee_invalid_op 0
		.amdhsa_exception_fp_denorm_src 0
		.amdhsa_exception_fp_ieee_div_zero 0
		.amdhsa_exception_fp_ieee_overflow 0
		.amdhsa_exception_fp_ieee_underflow 0
		.amdhsa_exception_fp_ieee_inexact 0
		.amdhsa_exception_int_div_zero 0
	.end_amdhsa_kernel
	.section	.text._ZN2at6native12_GLOBAL__N_122cunn_SoftMaxForwardRegIfffNS1_25LogSoftMaxForwardEpilogueElLi1EEEvPT1_PKT_T3_,"axG",@progbits,_ZN2at6native12_GLOBAL__N_122cunn_SoftMaxForwardRegIfffNS1_25LogSoftMaxForwardEpilogueElLi1EEEvPT1_PKT_T3_,comdat
.Lfunc_end59:
	.size	_ZN2at6native12_GLOBAL__N_122cunn_SoftMaxForwardRegIfffNS1_25LogSoftMaxForwardEpilogueElLi1EEEvPT1_PKT_T3_, .Lfunc_end59-_ZN2at6native12_GLOBAL__N_122cunn_SoftMaxForwardRegIfffNS1_25LogSoftMaxForwardEpilogueElLi1EEEvPT1_PKT_T3_
                                        ; -- End function
	.set _ZN2at6native12_GLOBAL__N_122cunn_SoftMaxForwardRegIfffNS1_25LogSoftMaxForwardEpilogueElLi1EEEvPT1_PKT_T3_.num_vgpr, 13
	.set _ZN2at6native12_GLOBAL__N_122cunn_SoftMaxForwardRegIfffNS1_25LogSoftMaxForwardEpilogueElLi1EEEvPT1_PKT_T3_.num_agpr, 0
	.set _ZN2at6native12_GLOBAL__N_122cunn_SoftMaxForwardRegIfffNS1_25LogSoftMaxForwardEpilogueElLi1EEEvPT1_PKT_T3_.numbered_sgpr, 12
	.set _ZN2at6native12_GLOBAL__N_122cunn_SoftMaxForwardRegIfffNS1_25LogSoftMaxForwardEpilogueElLi1EEEvPT1_PKT_T3_.num_named_barrier, 0
	.set _ZN2at6native12_GLOBAL__N_122cunn_SoftMaxForwardRegIfffNS1_25LogSoftMaxForwardEpilogueElLi1EEEvPT1_PKT_T3_.private_seg_size, 0
	.set _ZN2at6native12_GLOBAL__N_122cunn_SoftMaxForwardRegIfffNS1_25LogSoftMaxForwardEpilogueElLi1EEEvPT1_PKT_T3_.uses_vcc, 1
	.set _ZN2at6native12_GLOBAL__N_122cunn_SoftMaxForwardRegIfffNS1_25LogSoftMaxForwardEpilogueElLi1EEEvPT1_PKT_T3_.uses_flat_scratch, 0
	.set _ZN2at6native12_GLOBAL__N_122cunn_SoftMaxForwardRegIfffNS1_25LogSoftMaxForwardEpilogueElLi1EEEvPT1_PKT_T3_.has_dyn_sized_stack, 0
	.set _ZN2at6native12_GLOBAL__N_122cunn_SoftMaxForwardRegIfffNS1_25LogSoftMaxForwardEpilogueElLi1EEEvPT1_PKT_T3_.has_recursion, 0
	.set _ZN2at6native12_GLOBAL__N_122cunn_SoftMaxForwardRegIfffNS1_25LogSoftMaxForwardEpilogueElLi1EEEvPT1_PKT_T3_.has_indirect_call, 0
	.section	.AMDGPU.csdata,"",@progbits
; Kernel info:
; codeLenInByte = 1344
; TotalNumSgprs: 14
; NumVgprs: 13
; ScratchSize: 0
; MemoryBound: 0
; FloatMode: 240
; IeeeMode: 1
; LDSByteSize: 0 bytes/workgroup (compile time only)
; SGPRBlocks: 0
; VGPRBlocks: 1
; NumSGPRsForWavesPerEU: 14
; NumVGPRsForWavesPerEU: 13
; Occupancy: 16
; WaveLimiterHint : 0
; COMPUTE_PGM_RSRC2:SCRATCH_EN: 0
; COMPUTE_PGM_RSRC2:USER_SGPR: 6
; COMPUTE_PGM_RSRC2:TRAP_HANDLER: 0
; COMPUTE_PGM_RSRC2:TGID_X_EN: 1
; COMPUTE_PGM_RSRC2:TGID_Y_EN: 0
; COMPUTE_PGM_RSRC2:TGID_Z_EN: 0
; COMPUTE_PGM_RSRC2:TIDIG_COMP_CNT: 0
	.section	.text._ZN2at6native12_GLOBAL__N_122cunn_SoftMaxForwardRegIfffNS1_25LogSoftMaxForwardEpilogueElLi2EEEvPT1_PKT_T3_,"axG",@progbits,_ZN2at6native12_GLOBAL__N_122cunn_SoftMaxForwardRegIfffNS1_25LogSoftMaxForwardEpilogueElLi2EEEvPT1_PKT_T3_,comdat
	.globl	_ZN2at6native12_GLOBAL__N_122cunn_SoftMaxForwardRegIfffNS1_25LogSoftMaxForwardEpilogueElLi2EEEvPT1_PKT_T3_ ; -- Begin function _ZN2at6native12_GLOBAL__N_122cunn_SoftMaxForwardRegIfffNS1_25LogSoftMaxForwardEpilogueElLi2EEEvPT1_PKT_T3_
	.p2align	8
	.type	_ZN2at6native12_GLOBAL__N_122cunn_SoftMaxForwardRegIfffNS1_25LogSoftMaxForwardEpilogueElLi2EEEvPT1_PKT_T3_,@function
_ZN2at6native12_GLOBAL__N_122cunn_SoftMaxForwardRegIfffNS1_25LogSoftMaxForwardEpilogueElLi2EEEvPT1_PKT_T3_: ; @_ZN2at6native12_GLOBAL__N_122cunn_SoftMaxForwardRegIfffNS1_25LogSoftMaxForwardEpilogueElLi2EEEvPT1_PKT_T3_
; %bb.0:
	s_clause 0x2
	s_load_dwordx2 s[0:1], s[4:5], 0x10
	s_load_dwordx4 s[8:11], s[4:5], 0x0
	s_load_dword s4, s[4:5], 0x24
	v_mov_b32_e32 v1, 0
	v_mov_b32_e32 v5, 0xff7fffff
	v_lshlrev_b32_e32 v2, 2, v0
	v_mov_b32_e32 v9, v1
	v_mov_b32_e32 v7, v1
	s_waitcnt lgkmcnt(0)
	s_mul_i32 s3, s1, s6
	s_mul_hi_u32 s5, s0, s6
	s_mul_i32 s2, s0, s6
	s_add_i32 s3, s5, s3
	v_cmp_gt_i64_e32 vcc_lo, s[0:1], v[0:1]
	s_lshl_b64 s[6:7], s[2:3], 2
	s_add_u32 s2, s10, s6
	s_addc_u32 s3, s11, s7
	s_and_saveexec_b32 s5, vcc_lo
	s_cbranch_execz .LBB60_2
; %bb.1:
	global_load_dword v9, v2, s[2:3]
	v_mov_b32_e32 v7, v1
	s_waitcnt vmcnt(0)
	v_max_f32_e32 v3, v9, v9
	v_max_f32_e32 v5, 0xff7fffff, v3
.LBB60_2:
	s_or_b32 exec_lo, exec_lo, s5
	s_and_b32 s4, 0xffff, s4
	v_mov_b32_e32 v4, v1
	v_add_nc_u32_e32 v3, s4, v0
	v_cmp_gt_i64_e64 s0, s[0:1], v[3:4]
	v_lshlrev_b32_e32 v1, 2, v3
	s_and_saveexec_b32 s1, s0
	s_cbranch_execz .LBB60_4
; %bb.3:
	global_load_dword v7, v1, s[2:3]
	v_max_f32_e32 v4, v5, v5
	s_waitcnt vmcnt(0)
	v_max_f32_e32 v3, v7, v7
	v_max_f32_e32 v5, v4, v3
.LBB60_4:
	s_or_b32 exec_lo, exec_lo, s1
	v_mbcnt_lo_u32_b32 v8, -1, 0
	s_barrier
	buffer_gl0_inv
	v_lshl_or_b32 v3, v8, 2, 64
	v_cmp_gt_u32_e64 s1, 24, v8
	ds_bpermute_b32 v6, v3, v5
	v_cndmask_b32_e64 v4, 0, 8, s1
	v_add_lshl_u32 v4, v4, v8, 2
	s_waitcnt lgkmcnt(0)
	v_cmp_lt_f32_e64 s1, v5, v6
	v_cndmask_b32_e64 v6, v5, v6, s1
	v_cmp_gt_u32_e64 s1, 28, v8
	ds_bpermute_b32 v10, v4, v6
	v_cndmask_b32_e64 v5, 0, 4, s1
	v_add_lshl_u32 v5, v5, v8, 2
	s_waitcnt lgkmcnt(0)
	v_cmp_lt_f32_e64 s1, v6, v10
	v_cndmask_b32_e64 v10, v6, v10, s1
	;; [unrolled: 7-line block ×3, first 2 shown]
	v_cmp_ne_u32_e64 s1, 31, v8
	ds_bpermute_b32 v11, v6, v10
	v_add_co_ci_u32_e64 v8, null, 0, v8, s1
	v_lshlrev_b32_e32 v8, 2, v8
	s_waitcnt lgkmcnt(0)
	v_cmp_lt_f32_e64 s1, v10, v11
	v_cndmask_b32_e64 v12, v10, v11, s1
	v_and_b32_e32 v11, 31, v0
	v_lshrrev_b32_e32 v10, 3, v0
	ds_bpermute_b32 v13, v8, v12
	v_cmp_eq_u32_e64 s1, 0, v11
	s_and_saveexec_b32 s2, s1
	s_xor_b32 s3, exec_lo, s2
	s_cbranch_execz .LBB60_6
; %bb.5:
	s_waitcnt lgkmcnt(0)
	v_cmp_lt_f32_e64 s2, v12, v13
	v_add_nc_u32_e32 v14, 0, v10
	v_cndmask_b32_e64 v12, v12, v13, s2
	ds_write_b32 v14, v12
.LBB60_6:
	s_or_b32 exec_lo, exec_lo, s3
	s_lshr_b32 s2, s4, 5
	v_mov_b32_e32 v12, 0xff7fffff
	v_cmp_gt_u32_e64 s2, s2, v0
	v_lshl_add_u32 v11, v11, 2, 0
	s_waitcnt lgkmcnt(0)
	s_barrier
	buffer_gl0_inv
	s_and_saveexec_b32 s3, s2
	s_cbranch_execnz .LBB60_19
; %bb.7:
	s_or_b32 exec_lo, exec_lo, s3
	v_cmp_gt_u32_e64 s3, 32, v0
	s_and_saveexec_b32 s5, s3
	s_cbranch_execnz .LBB60_20
.LBB60_8:
	s_or_b32 exec_lo, exec_lo, s5
	v_cmp_eq_u32_e64 s4, 0, v0
	s_and_saveexec_b32 s5, s4
	s_cbranch_execz .LBB60_10
.LBB60_9:
	v_mov_b32_e32 v0, 0
	s_waitcnt lgkmcnt(0)
	ds_write_b32 v0, v12
.LBB60_10:
	s_or_b32 exec_lo, exec_lo, s5
	s_waitcnt lgkmcnt(0)
	v_mov_b32_e32 v12, 0
	s_barrier
	buffer_gl0_inv
	ds_read_b32 v13, v12
	s_waitcnt lgkmcnt(0)
	s_barrier
	buffer_gl0_inv
	v_sub_f32_e32 v0, v9, v13
	v_sub_f32_e32 v7, v7, v13
	v_mul_f32_e32 v9, 0x3fb8aa3b, v0
	v_mul_f32_e32 v15, 0x3fb8aa3b, v7
	v_cmp_ngt_f32_e64 s5, 0xc2ce8ed0, v0
	v_fma_f32 v13, 0x3fb8aa3b, v0, -v9
	v_rndne_f32_e32 v14, v9
	v_fma_f32 v16, 0x3fb8aa3b, v7, -v15
	v_rndne_f32_e32 v17, v15
	v_fmac_f32_e32 v13, 0x32a5705f, v0
	v_sub_f32_e32 v9, v9, v14
	v_fmac_f32_e32 v16, 0x32a5705f, v7
	v_cvt_i32_f32_e32 v14, v14
	v_add_f32_e32 v9, v9, v13
	v_sub_f32_e32 v13, v15, v17
	v_exp_f32_e32 v9, v9
	v_add_f32_e32 v13, v13, v16
	v_exp_f32_e32 v13, v13
	v_ldexp_f32 v9, v9, v14
	v_cvt_i32_f32_e32 v14, v17
	v_cndmask_b32_e64 v9, 0, v9, s5
	v_cmp_nlt_f32_e64 s5, 0x42b17218, v0
	v_ldexp_f32 v13, v13, v14
	v_cndmask_b32_e64 v9, 0x7f800000, v9, s5
	v_cmp_ngt_f32_e64 s5, 0xc2ce8ed0, v7
	v_cndmask_b32_e32 v9, 0, v9, vcc_lo
	v_cndmask_b32_e64 v13, 0, v13, s5
	v_cmp_nlt_f32_e64 s5, 0x42b17218, v7
	v_cndmask_b32_e64 v13, 0x7f800000, v13, s5
	v_add_f32_e32 v13, v9, v13
	v_cndmask_b32_e64 v9, v9, v13, s0
	ds_bpermute_b32 v13, v3, v9
	s_waitcnt lgkmcnt(0)
	v_add_f32_e32 v9, v9, v13
	ds_bpermute_b32 v13, v4, v9
	s_waitcnt lgkmcnt(0)
	v_add_f32_e32 v9, v9, v13
	;; [unrolled: 3-line block ×4, first 2 shown]
	ds_bpermute_b32 v13, v8, v9
	s_and_saveexec_b32 s5, s1
	s_cbranch_execz .LBB60_12
; %bb.11:
	v_add_nc_u32_e32 v10, 0, v10
	s_waitcnt lgkmcnt(0)
	v_add_f32_e32 v9, v9, v13
	ds_write_b32 v10, v9
.LBB60_12:
	s_or_b32 exec_lo, exec_lo, s5
	s_waitcnt lgkmcnt(0)
	s_barrier
	buffer_gl0_inv
	s_and_saveexec_b32 s1, s2
	s_cbranch_execnz .LBB60_21
; %bb.13:
	s_or_b32 exec_lo, exec_lo, s1
	s_and_saveexec_b32 s1, s3
	s_cbranch_execnz .LBB60_22
.LBB60_14:
	s_or_b32 exec_lo, exec_lo, s1
	s_and_saveexec_b32 s1, s4
	s_cbranch_execz .LBB60_16
.LBB60_15:
	v_mov_b32_e32 v3, 0
	s_waitcnt lgkmcnt(0)
	ds_write_b32 v3, v12
.LBB60_16:
	s_or_b32 exec_lo, exec_lo, s1
	v_mov_b32_e32 v3, 0
	s_waitcnt lgkmcnt(0)
	s_barrier
	buffer_gl0_inv
	s_add_u32 s2, s8, s6
	ds_read_b32 v3, v3
	s_addc_u32 s3, s9, s7
	s_waitcnt lgkmcnt(0)
	v_cmp_gt_f32_e64 s1, 0x800000, v3
	v_cndmask_b32_e64 v4, 0, 0x41b17218, s1
	s_and_b32 s1, s1, exec_lo
	s_cselect_b32 s1, 32, 0
	v_ldexp_f32 v3, v3, s1
	v_log_f32_e32 v3, v3
	v_mul_f32_e32 v5, 0x3f317217, v3
	v_cmp_gt_f32_e64 s1, 0x7f800000, |v3|
	v_fma_f32 v5, 0x3f317217, v3, -v5
	v_fmamk_f32 v5, v3, 0x3377d1cf, v5
	v_fmac_f32_e32 v5, 0x3f317217, v3
	v_cndmask_b32_e64 v3, v3, v5, s1
	v_sub_f32_e32 v3, v3, v4
	s_and_saveexec_b32 s1, vcc_lo
	s_cbranch_execnz .LBB60_23
; %bb.17:
	s_or_b32 exec_lo, exec_lo, s1
	s_and_saveexec_b32 s1, s0
	s_cbranch_execnz .LBB60_24
.LBB60_18:
	s_endpgm
.LBB60_19:
	ds_read_b32 v12, v11
	s_or_b32 exec_lo, exec_lo, s3
	v_cmp_gt_u32_e64 s3, 32, v0
	s_and_saveexec_b32 s5, s3
	s_cbranch_execz .LBB60_8
.LBB60_20:
	s_waitcnt lgkmcnt(0)
	ds_bpermute_b32 v13, v3, v12
	s_waitcnt lgkmcnt(0)
	v_cmp_lt_f32_e64 s4, v12, v13
	v_cndmask_b32_e64 v12, v12, v13, s4
	ds_bpermute_b32 v13, v4, v12
	s_waitcnt lgkmcnt(0)
	v_cmp_lt_f32_e64 s4, v12, v13
	v_cndmask_b32_e64 v12, v12, v13, s4
	;; [unrolled: 4-line block ×5, first 2 shown]
	s_or_b32 exec_lo, exec_lo, s5
	v_cmp_eq_u32_e64 s4, 0, v0
	s_and_saveexec_b32 s5, s4
	s_cbranch_execnz .LBB60_9
	s_branch .LBB60_10
.LBB60_21:
	ds_read_b32 v12, v11
	s_or_b32 exec_lo, exec_lo, s1
	s_and_saveexec_b32 s1, s3
	s_cbranch_execz .LBB60_14
.LBB60_22:
	s_waitcnt lgkmcnt(0)
	ds_bpermute_b32 v3, v3, v12
	s_waitcnt lgkmcnt(0)
	v_add_f32_e32 v3, v12, v3
	ds_bpermute_b32 v4, v4, v3
	s_waitcnt lgkmcnt(0)
	v_add_f32_e32 v3, v3, v4
	;; [unrolled: 3-line block ×5, first 2 shown]
	s_or_b32 exec_lo, exec_lo, s1
	s_and_saveexec_b32 s1, s4
	s_cbranch_execnz .LBB60_15
	s_branch .LBB60_16
.LBB60_23:
	v_sub_f32_e32 v0, v0, v3
	global_store_dword v2, v0, s[2:3]
	s_or_b32 exec_lo, exec_lo, s1
	s_and_saveexec_b32 s1, s0
	s_cbranch_execz .LBB60_18
.LBB60_24:
	v_sub_f32_e32 v0, v7, v3
	global_store_dword v1, v0, s[2:3]
	s_endpgm
	.section	.rodata,"a",@progbits
	.p2align	6, 0x0
	.amdhsa_kernel _ZN2at6native12_GLOBAL__N_122cunn_SoftMaxForwardRegIfffNS1_25LogSoftMaxForwardEpilogueElLi2EEEvPT1_PKT_T3_
		.amdhsa_group_segment_fixed_size 0
		.amdhsa_private_segment_fixed_size 0
		.amdhsa_kernarg_size 280
		.amdhsa_user_sgpr_count 6
		.amdhsa_user_sgpr_private_segment_buffer 1
		.amdhsa_user_sgpr_dispatch_ptr 0
		.amdhsa_user_sgpr_queue_ptr 0
		.amdhsa_user_sgpr_kernarg_segment_ptr 1
		.amdhsa_user_sgpr_dispatch_id 0
		.amdhsa_user_sgpr_flat_scratch_init 0
		.amdhsa_user_sgpr_private_segment_size 0
		.amdhsa_wavefront_size32 1
		.amdhsa_uses_dynamic_stack 0
		.amdhsa_system_sgpr_private_segment_wavefront_offset 0
		.amdhsa_system_sgpr_workgroup_id_x 1
		.amdhsa_system_sgpr_workgroup_id_y 0
		.amdhsa_system_sgpr_workgroup_id_z 0
		.amdhsa_system_sgpr_workgroup_info 0
		.amdhsa_system_vgpr_workitem_id 0
		.amdhsa_next_free_vgpr 18
		.amdhsa_next_free_sgpr 12
		.amdhsa_reserve_vcc 1
		.amdhsa_reserve_flat_scratch 0
		.amdhsa_float_round_mode_32 0
		.amdhsa_float_round_mode_16_64 0
		.amdhsa_float_denorm_mode_32 3
		.amdhsa_float_denorm_mode_16_64 3
		.amdhsa_dx10_clamp 1
		.amdhsa_ieee_mode 1
		.amdhsa_fp16_overflow 0
		.amdhsa_workgroup_processor_mode 1
		.amdhsa_memory_ordered 1
		.amdhsa_forward_progress 1
		.amdhsa_shared_vgpr_count 0
		.amdhsa_exception_fp_ieee_invalid_op 0
		.amdhsa_exception_fp_denorm_src 0
		.amdhsa_exception_fp_ieee_div_zero 0
		.amdhsa_exception_fp_ieee_overflow 0
		.amdhsa_exception_fp_ieee_underflow 0
		.amdhsa_exception_fp_ieee_inexact 0
		.amdhsa_exception_int_div_zero 0
	.end_amdhsa_kernel
	.section	.text._ZN2at6native12_GLOBAL__N_122cunn_SoftMaxForwardRegIfffNS1_25LogSoftMaxForwardEpilogueElLi2EEEvPT1_PKT_T3_,"axG",@progbits,_ZN2at6native12_GLOBAL__N_122cunn_SoftMaxForwardRegIfffNS1_25LogSoftMaxForwardEpilogueElLi2EEEvPT1_PKT_T3_,comdat
.Lfunc_end60:
	.size	_ZN2at6native12_GLOBAL__N_122cunn_SoftMaxForwardRegIfffNS1_25LogSoftMaxForwardEpilogueElLi2EEEvPT1_PKT_T3_, .Lfunc_end60-_ZN2at6native12_GLOBAL__N_122cunn_SoftMaxForwardRegIfffNS1_25LogSoftMaxForwardEpilogueElLi2EEEvPT1_PKT_T3_
                                        ; -- End function
	.set _ZN2at6native12_GLOBAL__N_122cunn_SoftMaxForwardRegIfffNS1_25LogSoftMaxForwardEpilogueElLi2EEEvPT1_PKT_T3_.num_vgpr, 18
	.set _ZN2at6native12_GLOBAL__N_122cunn_SoftMaxForwardRegIfffNS1_25LogSoftMaxForwardEpilogueElLi2EEEvPT1_PKT_T3_.num_agpr, 0
	.set _ZN2at6native12_GLOBAL__N_122cunn_SoftMaxForwardRegIfffNS1_25LogSoftMaxForwardEpilogueElLi2EEEvPT1_PKT_T3_.numbered_sgpr, 12
	.set _ZN2at6native12_GLOBAL__N_122cunn_SoftMaxForwardRegIfffNS1_25LogSoftMaxForwardEpilogueElLi2EEEvPT1_PKT_T3_.num_named_barrier, 0
	.set _ZN2at6native12_GLOBAL__N_122cunn_SoftMaxForwardRegIfffNS1_25LogSoftMaxForwardEpilogueElLi2EEEvPT1_PKT_T3_.private_seg_size, 0
	.set _ZN2at6native12_GLOBAL__N_122cunn_SoftMaxForwardRegIfffNS1_25LogSoftMaxForwardEpilogueElLi2EEEvPT1_PKT_T3_.uses_vcc, 1
	.set _ZN2at6native12_GLOBAL__N_122cunn_SoftMaxForwardRegIfffNS1_25LogSoftMaxForwardEpilogueElLi2EEEvPT1_PKT_T3_.uses_flat_scratch, 0
	.set _ZN2at6native12_GLOBAL__N_122cunn_SoftMaxForwardRegIfffNS1_25LogSoftMaxForwardEpilogueElLi2EEEvPT1_PKT_T3_.has_dyn_sized_stack, 0
	.set _ZN2at6native12_GLOBAL__N_122cunn_SoftMaxForwardRegIfffNS1_25LogSoftMaxForwardEpilogueElLi2EEEvPT1_PKT_T3_.has_recursion, 0
	.set _ZN2at6native12_GLOBAL__N_122cunn_SoftMaxForwardRegIfffNS1_25LogSoftMaxForwardEpilogueElLi2EEEvPT1_PKT_T3_.has_indirect_call, 0
	.section	.AMDGPU.csdata,"",@progbits
; Kernel info:
; codeLenInByte = 1572
; TotalNumSgprs: 14
; NumVgprs: 18
; ScratchSize: 0
; MemoryBound: 0
; FloatMode: 240
; IeeeMode: 1
; LDSByteSize: 0 bytes/workgroup (compile time only)
; SGPRBlocks: 0
; VGPRBlocks: 2
; NumSGPRsForWavesPerEU: 14
; NumVGPRsForWavesPerEU: 18
; Occupancy: 16
; WaveLimiterHint : 0
; COMPUTE_PGM_RSRC2:SCRATCH_EN: 0
; COMPUTE_PGM_RSRC2:USER_SGPR: 6
; COMPUTE_PGM_RSRC2:TRAP_HANDLER: 0
; COMPUTE_PGM_RSRC2:TGID_X_EN: 1
; COMPUTE_PGM_RSRC2:TGID_Y_EN: 0
; COMPUTE_PGM_RSRC2:TGID_Z_EN: 0
; COMPUTE_PGM_RSRC2:TIDIG_COMP_CNT: 0
	.section	.text._ZN2at6native12_GLOBAL__N_122cunn_SoftMaxForwardRegIfffNS1_25LogSoftMaxForwardEpilogueElLi3EEEvPT1_PKT_T3_,"axG",@progbits,_ZN2at6native12_GLOBAL__N_122cunn_SoftMaxForwardRegIfffNS1_25LogSoftMaxForwardEpilogueElLi3EEEvPT1_PKT_T3_,comdat
	.globl	_ZN2at6native12_GLOBAL__N_122cunn_SoftMaxForwardRegIfffNS1_25LogSoftMaxForwardEpilogueElLi3EEEvPT1_PKT_T3_ ; -- Begin function _ZN2at6native12_GLOBAL__N_122cunn_SoftMaxForwardRegIfffNS1_25LogSoftMaxForwardEpilogueElLi3EEEvPT1_PKT_T3_
	.p2align	8
	.type	_ZN2at6native12_GLOBAL__N_122cunn_SoftMaxForwardRegIfffNS1_25LogSoftMaxForwardEpilogueElLi3EEEvPT1_PKT_T3_,@function
_ZN2at6native12_GLOBAL__N_122cunn_SoftMaxForwardRegIfffNS1_25LogSoftMaxForwardEpilogueElLi3EEEvPT1_PKT_T3_: ; @_ZN2at6native12_GLOBAL__N_122cunn_SoftMaxForwardRegIfffNS1_25LogSoftMaxForwardEpilogueElLi3EEEvPT1_PKT_T3_
; %bb.0:
	s_clause 0x2
	s_load_dwordx2 s[2:3], s[4:5], 0x10
	s_load_dwordx4 s[8:11], s[4:5], 0x0
	s_load_dword s0, s[4:5], 0x24
	v_mov_b32_e32 v5, 0
	v_mov_b32_e32 v9, 0xff7fffff
	v_lshlrev_b32_e32 v7, 2, v0
	v_mov_b32_e32 v1, v5
	v_mov_b32_e32 v4, v5
	;; [unrolled: 1-line block ×3, first 2 shown]
	s_waitcnt lgkmcnt(0)
	s_mul_i32 s1, s3, s6
	s_mul_hi_u32 s5, s2, s6
	s_mul_i32 s4, s2, s6
	s_add_i32 s5, s5, s1
	v_cmp_gt_i64_e32 vcc_lo, s[2:3], v[0:1]
	v_mov_b32_e32 v1, v4
	s_lshl_b64 s[12:13], s[4:5], 2
	v_mov_b32_e32 v2, v5
	v_mov_b32_e32 v3, v6
	s_add_u32 s4, s10, s12
	s_addc_u32 s5, s11, s13
	s_and_saveexec_b32 s1, vcc_lo
	s_cbranch_execz .LBB61_2
; %bb.1:
	global_load_dword v4, v7, s[4:5]
	v_mov_b32_e32 v6, v5
	s_waitcnt vmcnt(0)
	v_max_f32_e32 v1, v4, v4
	v_max_f32_e32 v9, 0xff7fffff, v1
	v_mov_b32_e32 v1, v4
	v_mov_b32_e32 v2, v5
	;; [unrolled: 1-line block ×3, first 2 shown]
.LBB61_2:
	s_or_b32 exec_lo, exec_lo, s1
	s_and_b32 s6, 0xffff, s0
	v_add_nc_u32_e32 v4, s6, v0
	v_cmp_gt_i64_e64 s0, s[2:3], v[4:5]
	v_lshlrev_b32_e32 v5, 2, v4
	s_and_saveexec_b32 s1, s0
	s_cbranch_execz .LBB61_4
; %bb.3:
	global_load_dword v2, v5, s[4:5]
	v_max_f32_e32 v8, v9, v9
	s_waitcnt vmcnt(0)
	v_max_f32_e32 v6, v2, v2
	v_max_f32_e32 v9, v8, v6
.LBB61_4:
	s_or_b32 exec_lo, exec_lo, s1
	v_add_nc_u32_e32 v10, s6, v4
	v_mov_b32_e32 v11, 0
	v_lshlrev_b32_e32 v4, 2, v10
	v_cmp_gt_i64_e64 s1, s[2:3], v[10:11]
	s_and_saveexec_b32 s2, s1
	s_cbranch_execz .LBB61_6
; %bb.5:
	global_load_dword v3, v4, s[4:5]
	v_max_f32_e32 v8, v9, v9
	s_waitcnt vmcnt(0)
	v_max_f32_e32 v6, v3, v3
	v_max_f32_e32 v9, v8, v6
.LBB61_6:
	s_or_b32 exec_lo, exec_lo, s2
	v_mbcnt_lo_u32_b32 v11, -1, 0
	s_barrier
	buffer_gl0_inv
	v_lshl_or_b32 v6, v11, 2, 64
	v_cmp_gt_u32_e64 s2, 24, v11
	ds_bpermute_b32 v10, v6, v9
	v_cndmask_b32_e64 v8, 0, 8, s2
	v_add_lshl_u32 v8, v8, v11, 2
	s_waitcnt lgkmcnt(0)
	v_cmp_lt_f32_e64 s2, v9, v10
	v_cndmask_b32_e64 v10, v9, v10, s2
	v_cmp_gt_u32_e64 s2, 28, v11
	ds_bpermute_b32 v12, v8, v10
	v_cndmask_b32_e64 v9, 0, 4, s2
	v_add_lshl_u32 v9, v9, v11, 2
	s_waitcnt lgkmcnt(0)
	v_cmp_lt_f32_e64 s2, v10, v12
	v_cndmask_b32_e64 v12, v10, v12, s2
	;; [unrolled: 7-line block ×3, first 2 shown]
	v_cmp_ne_u32_e64 s2, 31, v11
	ds_bpermute_b32 v13, v10, v12
	v_add_co_ci_u32_e64 v11, null, 0, v11, s2
	v_lshlrev_b32_e32 v11, 2, v11
	s_waitcnt lgkmcnt(0)
	v_cmp_lt_f32_e64 s2, v12, v13
	v_cndmask_b32_e64 v14, v12, v13, s2
	v_and_b32_e32 v13, 31, v0
	v_lshrrev_b32_e32 v12, 3, v0
	ds_bpermute_b32 v15, v11, v14
	v_cmp_eq_u32_e64 s2, 0, v13
	s_and_saveexec_b32 s3, s2
	s_xor_b32 s4, exec_lo, s3
	s_cbranch_execz .LBB61_8
; %bb.7:
	s_waitcnt lgkmcnt(0)
	v_cmp_lt_f32_e64 s3, v14, v15
	v_add_nc_u32_e32 v16, 0, v12
	v_cndmask_b32_e64 v14, v14, v15, s3
	ds_write_b32 v16, v14
.LBB61_8:
	s_or_b32 exec_lo, exec_lo, s4
	s_lshr_b32 s3, s6, 5
	v_mov_b32_e32 v14, 0xff7fffff
	v_cmp_gt_u32_e64 s3, s3, v0
	v_lshl_add_u32 v13, v13, 2, 0
	s_waitcnt lgkmcnt(0)
	s_barrier
	buffer_gl0_inv
	s_and_saveexec_b32 s4, s3
	s_cbranch_execnz .LBB61_22
; %bb.9:
	s_or_b32 exec_lo, exec_lo, s4
	v_cmp_gt_u32_e64 s4, 32, v0
	s_and_saveexec_b32 s6, s4
	s_cbranch_execnz .LBB61_23
.LBB61_10:
	s_or_b32 exec_lo, exec_lo, s6
	v_cmp_eq_u32_e64 s5, 0, v0
	s_and_saveexec_b32 s6, s5
	s_cbranch_execz .LBB61_12
.LBB61_11:
	v_mov_b32_e32 v0, 0
	s_waitcnt lgkmcnt(0)
	ds_write_b32 v0, v14
.LBB61_12:
	s_or_b32 exec_lo, exec_lo, s6
	s_waitcnt lgkmcnt(0)
	v_mov_b32_e32 v14, 0
	s_barrier
	buffer_gl0_inv
	ds_read_b32 v15, v14
	s_waitcnt lgkmcnt(0)
	s_barrier
	buffer_gl0_inv
	v_sub_f32_e32 v0, v1, v15
	v_sub_f32_e32 v1, v2, v15
	v_sub_f32_e32 v2, v3, v15
	v_mul_f32_e32 v16, 0x3fb8aa3b, v0
	v_mul_f32_e32 v17, 0x3fb8aa3b, v1
	;; [unrolled: 1-line block ×3, first 2 shown]
	v_cmp_ngt_f32_e64 s6, 0xc2ce8ed0, v0
	v_fma_f32 v18, 0x3fb8aa3b, v0, -v16
	v_rndne_f32_e32 v19, v16
	v_fma_f32 v3, 0x3fb8aa3b, v1, -v17
	v_rndne_f32_e32 v15, v17
	v_fmac_f32_e32 v18, 0x32a5705f, v0
	v_sub_f32_e32 v16, v16, v19
	v_fmac_f32_e32 v3, 0x32a5705f, v1
	v_sub_f32_e32 v17, v17, v15
	v_cvt_i32_f32_e32 v19, v19
	v_cvt_i32_f32_e32 v15, v15
	v_add_f32_e32 v16, v16, v18
	v_rndne_f32_e32 v18, v20
	v_add_f32_e32 v3, v17, v3
	v_fma_f32 v17, 0x3fb8aa3b, v2, -v20
	v_exp_f32_e32 v16, v16
	v_sub_f32_e32 v20, v20, v18
	v_exp_f32_e32 v3, v3
	v_fmac_f32_e32 v17, 0x32a5705f, v2
	v_add_f32_e32 v17, v20, v17
	v_ldexp_f32 v16, v16, v19
	v_ldexp_f32 v3, v3, v15
	v_cndmask_b32_e64 v15, 0, v16, s6
	v_cmp_ngt_f32_e64 s6, 0xc2ce8ed0, v1
	v_exp_f32_e32 v16, v17
	v_cvt_i32_f32_e32 v17, v18
	v_cndmask_b32_e64 v3, 0, v3, s6
	v_cmp_nlt_f32_e64 s6, 0x42b17218, v0
	v_cndmask_b32_e64 v15, 0x7f800000, v15, s6
	v_cmp_nlt_f32_e64 s6, 0x42b17218, v1
	v_ldexp_f32 v16, v16, v17
	v_cndmask_b32_e32 v15, 0, v15, vcc_lo
	v_cndmask_b32_e64 v3, 0x7f800000, v3, s6
	v_cmp_ngt_f32_e64 s6, 0xc2ce8ed0, v2
	v_add_f32_e32 v3, v15, v3
	v_cndmask_b32_e64 v16, 0, v16, s6
	v_cmp_nlt_f32_e64 s6, 0x42b17218, v2
	v_cndmask_b32_e64 v3, v15, v3, s0
	v_cndmask_b32_e64 v15, 0x7f800000, v16, s6
	v_add_f32_e32 v15, v3, v15
	v_cndmask_b32_e64 v3, v3, v15, s1
	ds_bpermute_b32 v15, v6, v3
	s_waitcnt lgkmcnt(0)
	v_add_f32_e32 v3, v3, v15
	ds_bpermute_b32 v15, v8, v3
	s_waitcnt lgkmcnt(0)
	v_add_f32_e32 v3, v3, v15
	;; [unrolled: 3-line block ×4, first 2 shown]
	ds_bpermute_b32 v15, v11, v3
	s_and_saveexec_b32 s6, s2
	s_cbranch_execz .LBB61_14
; %bb.13:
	v_add_nc_u32_e32 v12, 0, v12
	s_waitcnt lgkmcnt(0)
	v_add_f32_e32 v3, v3, v15
	ds_write_b32 v12, v3
.LBB61_14:
	s_or_b32 exec_lo, exec_lo, s6
	s_waitcnt lgkmcnt(0)
	s_barrier
	buffer_gl0_inv
	s_and_saveexec_b32 s2, s3
	s_cbranch_execnz .LBB61_24
; %bb.15:
	s_or_b32 exec_lo, exec_lo, s2
	s_and_saveexec_b32 s2, s4
	s_cbranch_execnz .LBB61_25
.LBB61_16:
	s_or_b32 exec_lo, exec_lo, s2
	s_and_saveexec_b32 s2, s5
	s_cbranch_execz .LBB61_18
.LBB61_17:
	v_mov_b32_e32 v3, 0
	s_waitcnt lgkmcnt(0)
	ds_write_b32 v3, v14
.LBB61_18:
	s_or_b32 exec_lo, exec_lo, s2
	v_mov_b32_e32 v3, 0
	s_waitcnt lgkmcnt(0)
	s_barrier
	buffer_gl0_inv
	s_add_u32 s4, s8, s12
	ds_read_b32 v3, v3
	s_addc_u32 s5, s9, s13
	s_waitcnt lgkmcnt(0)
	v_cmp_gt_f32_e64 s2, 0x800000, v3
	v_cndmask_b32_e64 v6, 0, 0x41b17218, s2
	s_and_b32 s2, s2, exec_lo
	s_cselect_b32 s2, 32, 0
	v_ldexp_f32 v3, v3, s2
	v_log_f32_e32 v3, v3
	v_mul_f32_e32 v8, 0x3f317217, v3
	v_cmp_gt_f32_e64 s2, 0x7f800000, |v3|
	v_fma_f32 v8, 0x3f317217, v3, -v8
	v_fmamk_f32 v8, v3, 0x3377d1cf, v8
	v_fmac_f32_e32 v8, 0x3f317217, v3
	v_cndmask_b32_e64 v3, v3, v8, s2
	v_sub_f32_e32 v3, v3, v6
	s_and_saveexec_b32 s2, vcc_lo
	s_cbranch_execnz .LBB61_26
; %bb.19:
	s_or_b32 exec_lo, exec_lo, s2
	s_and_saveexec_b32 s2, s0
	s_cbranch_execnz .LBB61_27
.LBB61_20:
	s_or_b32 exec_lo, exec_lo, s2
	s_and_saveexec_b32 s0, s1
	s_cbranch_execnz .LBB61_28
.LBB61_21:
	s_endpgm
.LBB61_22:
	ds_read_b32 v14, v13
	s_or_b32 exec_lo, exec_lo, s4
	v_cmp_gt_u32_e64 s4, 32, v0
	s_and_saveexec_b32 s6, s4
	s_cbranch_execz .LBB61_10
.LBB61_23:
	s_waitcnt lgkmcnt(0)
	ds_bpermute_b32 v15, v6, v14
	s_waitcnt lgkmcnt(0)
	v_cmp_lt_f32_e64 s5, v14, v15
	v_cndmask_b32_e64 v14, v14, v15, s5
	ds_bpermute_b32 v15, v8, v14
	s_waitcnt lgkmcnt(0)
	v_cmp_lt_f32_e64 s5, v14, v15
	v_cndmask_b32_e64 v14, v14, v15, s5
	;; [unrolled: 4-line block ×5, first 2 shown]
	s_or_b32 exec_lo, exec_lo, s6
	v_cmp_eq_u32_e64 s5, 0, v0
	s_and_saveexec_b32 s6, s5
	s_cbranch_execnz .LBB61_11
	s_branch .LBB61_12
.LBB61_24:
	ds_read_b32 v14, v13
	s_or_b32 exec_lo, exec_lo, s2
	s_and_saveexec_b32 s2, s4
	s_cbranch_execz .LBB61_16
.LBB61_25:
	s_waitcnt lgkmcnt(0)
	ds_bpermute_b32 v3, v6, v14
	s_waitcnt lgkmcnt(0)
	v_add_f32_e32 v3, v14, v3
	ds_bpermute_b32 v6, v8, v3
	s_waitcnt lgkmcnt(0)
	v_add_f32_e32 v3, v3, v6
	ds_bpermute_b32 v6, v9, v3
	s_waitcnt lgkmcnt(0)
	v_add_f32_e32 v3, v3, v6
	ds_bpermute_b32 v6, v10, v3
	s_waitcnt lgkmcnt(0)
	v_add_f32_e32 v3, v3, v6
	ds_bpermute_b32 v6, v11, v3
	s_waitcnt lgkmcnt(0)
	v_add_f32_e32 v14, v3, v6
	s_or_b32 exec_lo, exec_lo, s2
	s_and_saveexec_b32 s2, s5
	s_cbranch_execnz .LBB61_17
	s_branch .LBB61_18
.LBB61_26:
	v_sub_f32_e32 v0, v0, v3
	global_store_dword v7, v0, s[4:5]
	s_or_b32 exec_lo, exec_lo, s2
	s_and_saveexec_b32 s2, s0
	s_cbranch_execz .LBB61_20
.LBB61_27:
	v_sub_f32_e32 v0, v1, v3
	global_store_dword v5, v0, s[4:5]
	s_or_b32 exec_lo, exec_lo, s2
	s_and_saveexec_b32 s0, s1
	s_cbranch_execz .LBB61_21
.LBB61_28:
	v_sub_f32_e32 v0, v2, v3
	global_store_dword v4, v0, s[4:5]
	s_endpgm
	.section	.rodata,"a",@progbits
	.p2align	6, 0x0
	.amdhsa_kernel _ZN2at6native12_GLOBAL__N_122cunn_SoftMaxForwardRegIfffNS1_25LogSoftMaxForwardEpilogueElLi3EEEvPT1_PKT_T3_
		.amdhsa_group_segment_fixed_size 0
		.amdhsa_private_segment_fixed_size 0
		.amdhsa_kernarg_size 280
		.amdhsa_user_sgpr_count 6
		.amdhsa_user_sgpr_private_segment_buffer 1
		.amdhsa_user_sgpr_dispatch_ptr 0
		.amdhsa_user_sgpr_queue_ptr 0
		.amdhsa_user_sgpr_kernarg_segment_ptr 1
		.amdhsa_user_sgpr_dispatch_id 0
		.amdhsa_user_sgpr_flat_scratch_init 0
		.amdhsa_user_sgpr_private_segment_size 0
		.amdhsa_wavefront_size32 1
		.amdhsa_uses_dynamic_stack 0
		.amdhsa_system_sgpr_private_segment_wavefront_offset 0
		.amdhsa_system_sgpr_workgroup_id_x 1
		.amdhsa_system_sgpr_workgroup_id_y 0
		.amdhsa_system_sgpr_workgroup_id_z 0
		.amdhsa_system_sgpr_workgroup_info 0
		.amdhsa_system_vgpr_workitem_id 0
		.amdhsa_next_free_vgpr 21
		.amdhsa_next_free_sgpr 14
		.amdhsa_reserve_vcc 1
		.amdhsa_reserve_flat_scratch 0
		.amdhsa_float_round_mode_32 0
		.amdhsa_float_round_mode_16_64 0
		.amdhsa_float_denorm_mode_32 3
		.amdhsa_float_denorm_mode_16_64 3
		.amdhsa_dx10_clamp 1
		.amdhsa_ieee_mode 1
		.amdhsa_fp16_overflow 0
		.amdhsa_workgroup_processor_mode 1
		.amdhsa_memory_ordered 1
		.amdhsa_forward_progress 1
		.amdhsa_shared_vgpr_count 0
		.amdhsa_exception_fp_ieee_invalid_op 0
		.amdhsa_exception_fp_denorm_src 0
		.amdhsa_exception_fp_ieee_div_zero 0
		.amdhsa_exception_fp_ieee_overflow 0
		.amdhsa_exception_fp_ieee_underflow 0
		.amdhsa_exception_fp_ieee_inexact 0
		.amdhsa_exception_int_div_zero 0
	.end_amdhsa_kernel
	.section	.text._ZN2at6native12_GLOBAL__N_122cunn_SoftMaxForwardRegIfffNS1_25LogSoftMaxForwardEpilogueElLi3EEEvPT1_PKT_T3_,"axG",@progbits,_ZN2at6native12_GLOBAL__N_122cunn_SoftMaxForwardRegIfffNS1_25LogSoftMaxForwardEpilogueElLi3EEEvPT1_PKT_T3_,comdat
.Lfunc_end61:
	.size	_ZN2at6native12_GLOBAL__N_122cunn_SoftMaxForwardRegIfffNS1_25LogSoftMaxForwardEpilogueElLi3EEEvPT1_PKT_T3_, .Lfunc_end61-_ZN2at6native12_GLOBAL__N_122cunn_SoftMaxForwardRegIfffNS1_25LogSoftMaxForwardEpilogueElLi3EEEvPT1_PKT_T3_
                                        ; -- End function
	.set _ZN2at6native12_GLOBAL__N_122cunn_SoftMaxForwardRegIfffNS1_25LogSoftMaxForwardEpilogueElLi3EEEvPT1_PKT_T3_.num_vgpr, 21
	.set _ZN2at6native12_GLOBAL__N_122cunn_SoftMaxForwardRegIfffNS1_25LogSoftMaxForwardEpilogueElLi3EEEvPT1_PKT_T3_.num_agpr, 0
	.set _ZN2at6native12_GLOBAL__N_122cunn_SoftMaxForwardRegIfffNS1_25LogSoftMaxForwardEpilogueElLi3EEEvPT1_PKT_T3_.numbered_sgpr, 14
	.set _ZN2at6native12_GLOBAL__N_122cunn_SoftMaxForwardRegIfffNS1_25LogSoftMaxForwardEpilogueElLi3EEEvPT1_PKT_T3_.num_named_barrier, 0
	.set _ZN2at6native12_GLOBAL__N_122cunn_SoftMaxForwardRegIfffNS1_25LogSoftMaxForwardEpilogueElLi3EEEvPT1_PKT_T3_.private_seg_size, 0
	.set _ZN2at6native12_GLOBAL__N_122cunn_SoftMaxForwardRegIfffNS1_25LogSoftMaxForwardEpilogueElLi3EEEvPT1_PKT_T3_.uses_vcc, 1
	.set _ZN2at6native12_GLOBAL__N_122cunn_SoftMaxForwardRegIfffNS1_25LogSoftMaxForwardEpilogueElLi3EEEvPT1_PKT_T3_.uses_flat_scratch, 0
	.set _ZN2at6native12_GLOBAL__N_122cunn_SoftMaxForwardRegIfffNS1_25LogSoftMaxForwardEpilogueElLi3EEEvPT1_PKT_T3_.has_dyn_sized_stack, 0
	.set _ZN2at6native12_GLOBAL__N_122cunn_SoftMaxForwardRegIfffNS1_25LogSoftMaxForwardEpilogueElLi3EEEvPT1_PKT_T3_.has_recursion, 0
	.set _ZN2at6native12_GLOBAL__N_122cunn_SoftMaxForwardRegIfffNS1_25LogSoftMaxForwardEpilogueElLi3EEEvPT1_PKT_T3_.has_indirect_call, 0
	.section	.AMDGPU.csdata,"",@progbits
; Kernel info:
; codeLenInByte = 1804
; TotalNumSgprs: 16
; NumVgprs: 21
; ScratchSize: 0
; MemoryBound: 0
; FloatMode: 240
; IeeeMode: 1
; LDSByteSize: 0 bytes/workgroup (compile time only)
; SGPRBlocks: 0
; VGPRBlocks: 2
; NumSGPRsForWavesPerEU: 16
; NumVGPRsForWavesPerEU: 21
; Occupancy: 16
; WaveLimiterHint : 0
; COMPUTE_PGM_RSRC2:SCRATCH_EN: 0
; COMPUTE_PGM_RSRC2:USER_SGPR: 6
; COMPUTE_PGM_RSRC2:TRAP_HANDLER: 0
; COMPUTE_PGM_RSRC2:TGID_X_EN: 1
; COMPUTE_PGM_RSRC2:TGID_Y_EN: 0
; COMPUTE_PGM_RSRC2:TGID_Z_EN: 0
; COMPUTE_PGM_RSRC2:TIDIG_COMP_CNT: 0
	.section	.text._ZN2at6native12_GLOBAL__N_122cunn_SoftMaxForwardRegIfffNS1_25LogSoftMaxForwardEpilogueElLi4EEEvPT1_PKT_T3_,"axG",@progbits,_ZN2at6native12_GLOBAL__N_122cunn_SoftMaxForwardRegIfffNS1_25LogSoftMaxForwardEpilogueElLi4EEEvPT1_PKT_T3_,comdat
	.globl	_ZN2at6native12_GLOBAL__N_122cunn_SoftMaxForwardRegIfffNS1_25LogSoftMaxForwardEpilogueElLi4EEEvPT1_PKT_T3_ ; -- Begin function _ZN2at6native12_GLOBAL__N_122cunn_SoftMaxForwardRegIfffNS1_25LogSoftMaxForwardEpilogueElLi4EEEvPT1_PKT_T3_
	.p2align	8
	.type	_ZN2at6native12_GLOBAL__N_122cunn_SoftMaxForwardRegIfffNS1_25LogSoftMaxForwardEpilogueElLi4EEEvPT1_PKT_T3_,@function
_ZN2at6native12_GLOBAL__N_122cunn_SoftMaxForwardRegIfffNS1_25LogSoftMaxForwardEpilogueElLi4EEEvPT1_PKT_T3_: ; @_ZN2at6native12_GLOBAL__N_122cunn_SoftMaxForwardRegIfffNS1_25LogSoftMaxForwardEpilogueElLi4EEEvPT1_PKT_T3_
; %bb.0:
	s_clause 0x2
	s_load_dwordx2 s[2:3], s[4:5], 0x10
	s_load_dwordx4 s[8:11], s[4:5], 0x0
	s_load_dword s0, s[4:5], 0x24
	v_mov_b32_e32 v6, 0
	v_mov_b32_e32 v11, 0xff7fffff
	v_lshlrev_b32_e32 v9, 2, v0
	v_mov_b32_e32 v1, v6
	v_mov_b32_e32 v5, v6
	;; [unrolled: 1-line block ×4, first 2 shown]
	s_waitcnt lgkmcnt(0)
	s_mul_i32 s1, s3, s6
	s_mul_hi_u32 s5, s2, s6
	s_mul_i32 s4, s2, s6
	s_add_i32 s5, s5, s1
	v_cmp_gt_i64_e32 vcc_lo, s[2:3], v[0:1]
	v_mov_b32_e32 v1, v5
	s_lshl_b64 s[12:13], s[4:5], 2
	v_mov_b32_e32 v2, v6
	v_mov_b32_e32 v3, v7
	v_mov_b32_e32 v4, v8
	s_add_u32 s4, s10, s12
	s_addc_u32 s5, s11, s13
	s_and_saveexec_b32 s1, vcc_lo
	s_cbranch_execz .LBB62_2
; %bb.1:
	global_load_dword v5, v9, s[4:5]
	v_mov_b32_e32 v7, v6
	v_mov_b32_e32 v8, v6
	s_waitcnt vmcnt(0)
	v_max_f32_e32 v1, v5, v5
	v_max_f32_e32 v11, 0xff7fffff, v1
	v_mov_b32_e32 v1, v5
	v_mov_b32_e32 v2, v6
	;; [unrolled: 1-line block ×4, first 2 shown]
.LBB62_2:
	s_or_b32 exec_lo, exec_lo, s1
	s_and_b32 s6, 0xffff, s0
	v_add_nc_u32_e32 v5, s6, v0
	v_cmp_gt_i64_e64 s0, s[2:3], v[5:6]
	v_lshlrev_b32_e32 v7, 2, v5
	s_and_saveexec_b32 s1, s0
	s_cbranch_execz .LBB62_4
; %bb.3:
	global_load_dword v2, v7, s[4:5]
	v_max_f32_e32 v8, v11, v11
	s_waitcnt vmcnt(0)
	v_max_f32_e32 v6, v2, v2
	v_max_f32_e32 v11, v8, v6
.LBB62_4:
	s_or_b32 exec_lo, exec_lo, s1
	v_add_nc_u32_e32 v5, s6, v5
	v_mov_b32_e32 v6, 0
	v_lshlrev_b32_e32 v8, 2, v5
	v_cmp_gt_i64_e64 s1, s[2:3], v[5:6]
	s_and_saveexec_b32 s7, s1
	s_cbranch_execz .LBB62_6
; %bb.5:
	global_load_dword v3, v8, s[4:5]
	v_max_f32_e32 v11, v11, v11
	s_waitcnt vmcnt(0)
	v_max_f32_e32 v10, v3, v3
	v_max_f32_e32 v11, v11, v10
.LBB62_6:
	s_or_b32 exec_lo, exec_lo, s7
	v_add_nc_u32_e32 v5, s6, v5
	v_cmp_gt_i64_e64 s2, s[2:3], v[5:6]
	v_lshlrev_b32_e32 v5, 2, v5
	s_and_saveexec_b32 s3, s2
	s_cbranch_execz .LBB62_8
; %bb.7:
	global_load_dword v4, v5, s[4:5]
	v_max_f32_e32 v10, v11, v11
	s_waitcnt vmcnt(0)
	v_max_f32_e32 v6, v4, v4
	v_max_f32_e32 v11, v10, v6
.LBB62_8:
	s_or_b32 exec_lo, exec_lo, s3
	v_mbcnt_lo_u32_b32 v13, -1, 0
	s_barrier
	buffer_gl0_inv
	v_lshl_or_b32 v6, v13, 2, 64
	v_cmp_gt_u32_e64 s3, 24, v13
	ds_bpermute_b32 v12, v6, v11
	v_cndmask_b32_e64 v10, 0, 8, s3
	v_add_lshl_u32 v10, v10, v13, 2
	s_waitcnt lgkmcnt(0)
	v_cmp_lt_f32_e64 s3, v11, v12
	v_cndmask_b32_e64 v12, v11, v12, s3
	v_cmp_gt_u32_e64 s3, 28, v13
	ds_bpermute_b32 v14, v10, v12
	v_cndmask_b32_e64 v11, 0, 4, s3
	v_add_lshl_u32 v11, v11, v13, 2
	s_waitcnt lgkmcnt(0)
	v_cmp_lt_f32_e64 s3, v12, v14
	v_cndmask_b32_e64 v14, v12, v14, s3
	;; [unrolled: 7-line block ×3, first 2 shown]
	v_cmp_ne_u32_e64 s3, 31, v13
	ds_bpermute_b32 v15, v12, v14
	v_add_co_ci_u32_e64 v13, null, 0, v13, s3
	v_lshlrev_b32_e32 v13, 2, v13
	s_waitcnt lgkmcnt(0)
	v_cmp_lt_f32_e64 s3, v14, v15
	v_cndmask_b32_e64 v16, v14, v15, s3
	v_and_b32_e32 v15, 31, v0
	v_lshrrev_b32_e32 v14, 3, v0
	ds_bpermute_b32 v17, v13, v16
	v_cmp_eq_u32_e64 s3, 0, v15
	s_and_saveexec_b32 s4, s3
	s_xor_b32 s5, exec_lo, s4
	s_cbranch_execz .LBB62_10
; %bb.9:
	s_waitcnt lgkmcnt(0)
	v_cmp_lt_f32_e64 s4, v16, v17
	v_add_nc_u32_e32 v18, 0, v14
	v_cndmask_b32_e64 v16, v16, v17, s4
	ds_write_b32 v18, v16
.LBB62_10:
	s_or_b32 exec_lo, exec_lo, s5
	s_lshr_b32 s4, s6, 5
	v_mov_b32_e32 v16, 0xff7fffff
	v_cmp_gt_u32_e64 s4, s4, v0
	v_lshl_add_u32 v15, v15, 2, 0
	s_waitcnt lgkmcnt(0)
	s_barrier
	buffer_gl0_inv
	s_and_saveexec_b32 s5, s4
	s_cbranch_execnz .LBB62_25
; %bb.11:
	s_or_b32 exec_lo, exec_lo, s5
	v_cmp_gt_u32_e64 s5, 32, v0
	s_and_saveexec_b32 s7, s5
	s_cbranch_execnz .LBB62_26
.LBB62_12:
	s_or_b32 exec_lo, exec_lo, s7
	v_cmp_eq_u32_e64 s6, 0, v0
	s_and_saveexec_b32 s7, s6
	s_cbranch_execz .LBB62_14
.LBB62_13:
	v_mov_b32_e32 v0, 0
	s_waitcnt lgkmcnt(0)
	ds_write_b32 v0, v16
.LBB62_14:
	s_or_b32 exec_lo, exec_lo, s7
	s_waitcnt lgkmcnt(0)
	v_mov_b32_e32 v16, 0
	s_barrier
	buffer_gl0_inv
	ds_read_b32 v17, v16
	s_waitcnt lgkmcnt(0)
	s_barrier
	buffer_gl0_inv
	v_sub_f32_e32 v0, v1, v17
	v_sub_f32_e32 v1, v2, v17
	;; [unrolled: 1-line block ×4, first 2 shown]
	v_mul_f32_e32 v18, 0x3fb8aa3b, v0
	v_mul_f32_e32 v19, 0x3fb8aa3b, v1
	;; [unrolled: 1-line block ×3, first 2 shown]
	v_cmp_ngt_f32_e64 s7, 0xc2ce8ed0, v0
	v_fma_f32 v20, 0x3fb8aa3b, v0, -v18
	v_rndne_f32_e32 v21, v18
	v_fma_f32 v22, 0x3fb8aa3b, v1, -v19
	v_rndne_f32_e32 v23, v19
	v_fma_f32 v17, 0x3fb8aa3b, v2, -v24
	v_fmac_f32_e32 v20, 0x32a5705f, v0
	v_sub_f32_e32 v18, v18, v21
	v_fmac_f32_e32 v22, 0x32a5705f, v1
	v_sub_f32_e32 v19, v19, v23
	v_fmac_f32_e32 v17, 0x32a5705f, v2
	v_cvt_i32_f32_e32 v21, v21
	v_add_f32_e32 v4, v18, v20
	v_rndne_f32_e32 v18, v24
	v_add_f32_e32 v19, v19, v22
	v_mul_f32_e32 v20, 0x3fb8aa3b, v3
	v_exp_f32_e32 v4, v4
	v_sub_f32_e32 v22, v24, v18
	v_exp_f32_e32 v19, v19
	v_fma_f32 v24, 0x3fb8aa3b, v3, -v20
	v_rndne_f32_e32 v25, v20
	v_cvt_i32_f32_e32 v18, v18
	v_add_f32_e32 v17, v22, v17
	v_cvt_i32_f32_e32 v22, v23
	v_fmac_f32_e32 v24, 0x32a5705f, v3
	v_sub_f32_e32 v20, v20, v25
	v_ldexp_f32 v4, v4, v21
	v_exp_f32_e32 v17, v17
	v_ldexp_f32 v19, v19, v22
	v_add_f32_e32 v20, v20, v24
	v_cndmask_b32_e64 v4, 0, v4, s7
	v_cmp_ngt_f32_e64 s7, 0xc2ce8ed0, v1
	v_cndmask_b32_e64 v19, 0, v19, s7
	v_cmp_nlt_f32_e64 s7, 0x42b17218, v0
	v_ldexp_f32 v17, v17, v18
	v_cndmask_b32_e64 v4, 0x7f800000, v4, s7
	v_cmp_nlt_f32_e64 s7, 0x42b17218, v1
	v_cndmask_b32_e32 v4, 0, v4, vcc_lo
	v_cndmask_b32_e64 v18, 0x7f800000, v19, s7
	v_exp_f32_e32 v19, v20
	v_cmp_ngt_f32_e64 s7, 0xc2ce8ed0, v2
	v_cvt_i32_f32_e32 v20, v25
	v_add_f32_e32 v18, v4, v18
	v_cndmask_b32_e64 v17, 0, v17, s7
	v_cmp_nlt_f32_e64 s7, 0x42b17218, v2
	v_cndmask_b32_e64 v4, v4, v18, s0
	v_ldexp_f32 v18, v19, v20
	v_cndmask_b32_e64 v17, 0x7f800000, v17, s7
	v_cmp_ngt_f32_e64 s7, 0xc2ce8ed0, v3
	v_add_f32_e32 v17, v4, v17
	v_cndmask_b32_e64 v18, 0, v18, s7
	v_cmp_nlt_f32_e64 s7, 0x42b17218, v3
	v_cndmask_b32_e64 v4, v4, v17, s1
	v_cndmask_b32_e64 v17, 0x7f800000, v18, s7
	v_add_f32_e32 v17, v4, v17
	v_cndmask_b32_e64 v4, v4, v17, s2
	ds_bpermute_b32 v17, v6, v4
	s_waitcnt lgkmcnt(0)
	v_add_f32_e32 v4, v4, v17
	ds_bpermute_b32 v17, v10, v4
	s_waitcnt lgkmcnt(0)
	v_add_f32_e32 v4, v4, v17
	;; [unrolled: 3-line block ×4, first 2 shown]
	ds_bpermute_b32 v17, v13, v4
	s_and_saveexec_b32 s7, s3
	s_cbranch_execz .LBB62_16
; %bb.15:
	v_add_nc_u32_e32 v14, 0, v14
	s_waitcnt lgkmcnt(0)
	v_add_f32_e32 v4, v4, v17
	ds_write_b32 v14, v4
.LBB62_16:
	s_or_b32 exec_lo, exec_lo, s7
	s_waitcnt lgkmcnt(0)
	s_barrier
	buffer_gl0_inv
	s_and_saveexec_b32 s3, s4
	s_cbranch_execnz .LBB62_27
; %bb.17:
	s_or_b32 exec_lo, exec_lo, s3
	s_and_saveexec_b32 s3, s5
	s_cbranch_execnz .LBB62_28
.LBB62_18:
	s_or_b32 exec_lo, exec_lo, s3
	s_and_saveexec_b32 s3, s6
	s_cbranch_execz .LBB62_20
.LBB62_19:
	v_mov_b32_e32 v4, 0
	s_waitcnt lgkmcnt(0)
	ds_write_b32 v4, v16
.LBB62_20:
	s_or_b32 exec_lo, exec_lo, s3
	v_mov_b32_e32 v4, 0
	s_waitcnt lgkmcnt(0)
	s_barrier
	buffer_gl0_inv
	s_add_u32 s4, s8, s12
	ds_read_b32 v4, v4
	s_addc_u32 s5, s9, s13
	s_waitcnt lgkmcnt(0)
	v_cmp_gt_f32_e64 s3, 0x800000, v4
	v_cndmask_b32_e64 v6, 0, 0x41b17218, s3
	s_and_b32 s3, s3, exec_lo
	s_cselect_b32 s3, 32, 0
	v_ldexp_f32 v4, v4, s3
	v_log_f32_e32 v4, v4
	v_mul_f32_e32 v10, 0x3f317217, v4
	v_cmp_gt_f32_e64 s3, 0x7f800000, |v4|
	v_fma_f32 v10, 0x3f317217, v4, -v10
	v_fmamk_f32 v10, v4, 0x3377d1cf, v10
	v_fmac_f32_e32 v10, 0x3f317217, v4
	v_cndmask_b32_e64 v4, v4, v10, s3
	v_sub_f32_e32 v4, v4, v6
	s_and_saveexec_b32 s3, vcc_lo
	s_cbranch_execnz .LBB62_29
; %bb.21:
	s_or_b32 exec_lo, exec_lo, s3
	s_and_saveexec_b32 s3, s0
	s_cbranch_execnz .LBB62_30
.LBB62_22:
	s_or_b32 exec_lo, exec_lo, s3
	s_and_saveexec_b32 s0, s1
	s_cbranch_execnz .LBB62_31
.LBB62_23:
	s_or_b32 exec_lo, exec_lo, s0
	s_and_saveexec_b32 s0, s2
	s_cbranch_execnz .LBB62_32
.LBB62_24:
	s_endpgm
.LBB62_25:
	ds_read_b32 v16, v15
	s_or_b32 exec_lo, exec_lo, s5
	v_cmp_gt_u32_e64 s5, 32, v0
	s_and_saveexec_b32 s7, s5
	s_cbranch_execz .LBB62_12
.LBB62_26:
	s_waitcnt lgkmcnt(0)
	ds_bpermute_b32 v17, v6, v16
	s_waitcnt lgkmcnt(0)
	v_cmp_lt_f32_e64 s6, v16, v17
	v_cndmask_b32_e64 v16, v16, v17, s6
	ds_bpermute_b32 v17, v10, v16
	s_waitcnt lgkmcnt(0)
	v_cmp_lt_f32_e64 s6, v16, v17
	v_cndmask_b32_e64 v16, v16, v17, s6
	;; [unrolled: 4-line block ×5, first 2 shown]
	s_or_b32 exec_lo, exec_lo, s7
	v_cmp_eq_u32_e64 s6, 0, v0
	s_and_saveexec_b32 s7, s6
	s_cbranch_execnz .LBB62_13
	s_branch .LBB62_14
.LBB62_27:
	ds_read_b32 v16, v15
	s_or_b32 exec_lo, exec_lo, s3
	s_and_saveexec_b32 s3, s5
	s_cbranch_execz .LBB62_18
.LBB62_28:
	s_waitcnt lgkmcnt(0)
	ds_bpermute_b32 v4, v6, v16
	s_waitcnt lgkmcnt(0)
	v_add_f32_e32 v4, v16, v4
	ds_bpermute_b32 v6, v10, v4
	s_waitcnt lgkmcnt(0)
	v_add_f32_e32 v4, v4, v6
	ds_bpermute_b32 v6, v11, v4
	s_waitcnt lgkmcnt(0)
	v_add_f32_e32 v4, v4, v6
	ds_bpermute_b32 v6, v12, v4
	s_waitcnt lgkmcnt(0)
	v_add_f32_e32 v4, v4, v6
	ds_bpermute_b32 v6, v13, v4
	s_waitcnt lgkmcnt(0)
	v_add_f32_e32 v16, v4, v6
	s_or_b32 exec_lo, exec_lo, s3
	s_and_saveexec_b32 s3, s6
	s_cbranch_execnz .LBB62_19
	s_branch .LBB62_20
.LBB62_29:
	v_sub_f32_e32 v0, v0, v4
	global_store_dword v9, v0, s[4:5]
	s_or_b32 exec_lo, exec_lo, s3
	s_and_saveexec_b32 s3, s0
	s_cbranch_execz .LBB62_22
.LBB62_30:
	v_sub_f32_e32 v0, v1, v4
	global_store_dword v7, v0, s[4:5]
	s_or_b32 exec_lo, exec_lo, s3
	s_and_saveexec_b32 s0, s1
	s_cbranch_execz .LBB62_23
.LBB62_31:
	v_sub_f32_e32 v0, v2, v4
	global_store_dword v8, v0, s[4:5]
	s_or_b32 exec_lo, exec_lo, s0
	s_and_saveexec_b32 s0, s2
	s_cbranch_execz .LBB62_24
.LBB62_32:
	v_sub_f32_e32 v0, v3, v4
	global_store_dword v5, v0, s[4:5]
	s_endpgm
	.section	.rodata,"a",@progbits
	.p2align	6, 0x0
	.amdhsa_kernel _ZN2at6native12_GLOBAL__N_122cunn_SoftMaxForwardRegIfffNS1_25LogSoftMaxForwardEpilogueElLi4EEEvPT1_PKT_T3_
		.amdhsa_group_segment_fixed_size 0
		.amdhsa_private_segment_fixed_size 0
		.amdhsa_kernarg_size 280
		.amdhsa_user_sgpr_count 6
		.amdhsa_user_sgpr_private_segment_buffer 1
		.amdhsa_user_sgpr_dispatch_ptr 0
		.amdhsa_user_sgpr_queue_ptr 0
		.amdhsa_user_sgpr_kernarg_segment_ptr 1
		.amdhsa_user_sgpr_dispatch_id 0
		.amdhsa_user_sgpr_flat_scratch_init 0
		.amdhsa_user_sgpr_private_segment_size 0
		.amdhsa_wavefront_size32 1
		.amdhsa_uses_dynamic_stack 0
		.amdhsa_system_sgpr_private_segment_wavefront_offset 0
		.amdhsa_system_sgpr_workgroup_id_x 1
		.amdhsa_system_sgpr_workgroup_id_y 0
		.amdhsa_system_sgpr_workgroup_id_z 0
		.amdhsa_system_sgpr_workgroup_info 0
		.amdhsa_system_vgpr_workitem_id 0
		.amdhsa_next_free_vgpr 26
		.amdhsa_next_free_sgpr 14
		.amdhsa_reserve_vcc 1
		.amdhsa_reserve_flat_scratch 0
		.amdhsa_float_round_mode_32 0
		.amdhsa_float_round_mode_16_64 0
		.amdhsa_float_denorm_mode_32 3
		.amdhsa_float_denorm_mode_16_64 3
		.amdhsa_dx10_clamp 1
		.amdhsa_ieee_mode 1
		.amdhsa_fp16_overflow 0
		.amdhsa_workgroup_processor_mode 1
		.amdhsa_memory_ordered 1
		.amdhsa_forward_progress 1
		.amdhsa_shared_vgpr_count 0
		.amdhsa_exception_fp_ieee_invalid_op 0
		.amdhsa_exception_fp_denorm_src 0
		.amdhsa_exception_fp_ieee_div_zero 0
		.amdhsa_exception_fp_ieee_overflow 0
		.amdhsa_exception_fp_ieee_underflow 0
		.amdhsa_exception_fp_ieee_inexact 0
		.amdhsa_exception_int_div_zero 0
	.end_amdhsa_kernel
	.section	.text._ZN2at6native12_GLOBAL__N_122cunn_SoftMaxForwardRegIfffNS1_25LogSoftMaxForwardEpilogueElLi4EEEvPT1_PKT_T3_,"axG",@progbits,_ZN2at6native12_GLOBAL__N_122cunn_SoftMaxForwardRegIfffNS1_25LogSoftMaxForwardEpilogueElLi4EEEvPT1_PKT_T3_,comdat
.Lfunc_end62:
	.size	_ZN2at6native12_GLOBAL__N_122cunn_SoftMaxForwardRegIfffNS1_25LogSoftMaxForwardEpilogueElLi4EEEvPT1_PKT_T3_, .Lfunc_end62-_ZN2at6native12_GLOBAL__N_122cunn_SoftMaxForwardRegIfffNS1_25LogSoftMaxForwardEpilogueElLi4EEEvPT1_PKT_T3_
                                        ; -- End function
	.set _ZN2at6native12_GLOBAL__N_122cunn_SoftMaxForwardRegIfffNS1_25LogSoftMaxForwardEpilogueElLi4EEEvPT1_PKT_T3_.num_vgpr, 26
	.set _ZN2at6native12_GLOBAL__N_122cunn_SoftMaxForwardRegIfffNS1_25LogSoftMaxForwardEpilogueElLi4EEEvPT1_PKT_T3_.num_agpr, 0
	.set _ZN2at6native12_GLOBAL__N_122cunn_SoftMaxForwardRegIfffNS1_25LogSoftMaxForwardEpilogueElLi4EEEvPT1_PKT_T3_.numbered_sgpr, 14
	.set _ZN2at6native12_GLOBAL__N_122cunn_SoftMaxForwardRegIfffNS1_25LogSoftMaxForwardEpilogueElLi4EEEvPT1_PKT_T3_.num_named_barrier, 0
	.set _ZN2at6native12_GLOBAL__N_122cunn_SoftMaxForwardRegIfffNS1_25LogSoftMaxForwardEpilogueElLi4EEEvPT1_PKT_T3_.private_seg_size, 0
	.set _ZN2at6native12_GLOBAL__N_122cunn_SoftMaxForwardRegIfffNS1_25LogSoftMaxForwardEpilogueElLi4EEEvPT1_PKT_T3_.uses_vcc, 1
	.set _ZN2at6native12_GLOBAL__N_122cunn_SoftMaxForwardRegIfffNS1_25LogSoftMaxForwardEpilogueElLi4EEEvPT1_PKT_T3_.uses_flat_scratch, 0
	.set _ZN2at6native12_GLOBAL__N_122cunn_SoftMaxForwardRegIfffNS1_25LogSoftMaxForwardEpilogueElLi4EEEvPT1_PKT_T3_.has_dyn_sized_stack, 0
	.set _ZN2at6native12_GLOBAL__N_122cunn_SoftMaxForwardRegIfffNS1_25LogSoftMaxForwardEpilogueElLi4EEEvPT1_PKT_T3_.has_recursion, 0
	.set _ZN2at6native12_GLOBAL__N_122cunn_SoftMaxForwardRegIfffNS1_25LogSoftMaxForwardEpilogueElLi4EEEvPT1_PKT_T3_.has_indirect_call, 0
	.section	.AMDGPU.csdata,"",@progbits
; Kernel info:
; codeLenInByte = 2024
; TotalNumSgprs: 16
; NumVgprs: 26
; ScratchSize: 0
; MemoryBound: 0
; FloatMode: 240
; IeeeMode: 1
; LDSByteSize: 0 bytes/workgroup (compile time only)
; SGPRBlocks: 0
; VGPRBlocks: 3
; NumSGPRsForWavesPerEU: 16
; NumVGPRsForWavesPerEU: 26
; Occupancy: 16
; WaveLimiterHint : 0
; COMPUTE_PGM_RSRC2:SCRATCH_EN: 0
; COMPUTE_PGM_RSRC2:USER_SGPR: 6
; COMPUTE_PGM_RSRC2:TRAP_HANDLER: 0
; COMPUTE_PGM_RSRC2:TGID_X_EN: 1
; COMPUTE_PGM_RSRC2:TGID_Y_EN: 0
; COMPUTE_PGM_RSRC2:TGID_Z_EN: 0
; COMPUTE_PGM_RSRC2:TIDIG_COMP_CNT: 0
	.section	.text._ZN2at6native12_GLOBAL__N_122cunn_SoftMaxForwardRegIfffNS1_25LogSoftMaxForwardEpilogueElLi5EEEvPT1_PKT_T3_,"axG",@progbits,_ZN2at6native12_GLOBAL__N_122cunn_SoftMaxForwardRegIfffNS1_25LogSoftMaxForwardEpilogueElLi5EEEvPT1_PKT_T3_,comdat
	.globl	_ZN2at6native12_GLOBAL__N_122cunn_SoftMaxForwardRegIfffNS1_25LogSoftMaxForwardEpilogueElLi5EEEvPT1_PKT_T3_ ; -- Begin function _ZN2at6native12_GLOBAL__N_122cunn_SoftMaxForwardRegIfffNS1_25LogSoftMaxForwardEpilogueElLi5EEEvPT1_PKT_T3_
	.p2align	8
	.type	_ZN2at6native12_GLOBAL__N_122cunn_SoftMaxForwardRegIfffNS1_25LogSoftMaxForwardEpilogueElLi5EEEvPT1_PKT_T3_,@function
_ZN2at6native12_GLOBAL__N_122cunn_SoftMaxForwardRegIfffNS1_25LogSoftMaxForwardEpilogueElLi5EEEvPT1_PKT_T3_: ; @_ZN2at6native12_GLOBAL__N_122cunn_SoftMaxForwardRegIfffNS1_25LogSoftMaxForwardEpilogueElLi5EEEvPT1_PKT_T3_
; %bb.0:
	s_clause 0x2
	s_load_dwordx2 s[8:9], s[4:5], 0x10
	s_load_dwordx4 s[12:15], s[4:5], 0x0
	s_load_dword s0, s[4:5], 0x24
	v_mov_b32_e32 v7, 0
	v_mov_b32_e32 v13, 0xff7fffff
	v_lshlrev_b32_e32 v11, 2, v0
	v_mov_b32_e32 v1, v7
	v_mov_b32_e32 v6, v7
	;; [unrolled: 1-line block ×5, first 2 shown]
	s_waitcnt lgkmcnt(0)
	s_mul_i32 s1, s9, s6
	s_mul_hi_u32 s3, s8, s6
	s_mul_i32 s2, s8, s6
	s_add_i32 s3, s3, s1
	v_cmp_gt_i64_e32 vcc_lo, s[8:9], v[0:1]
	v_mov_b32_e32 v1, v6
	s_lshl_b64 s[10:11], s[2:3], 2
	v_mov_b32_e32 v2, v7
	v_mov_b32_e32 v3, v8
	;; [unrolled: 1-line block ×4, first 2 shown]
	s_add_u32 s4, s14, s10
	s_addc_u32 s5, s15, s11
	s_and_saveexec_b32 s1, vcc_lo
	s_cbranch_execz .LBB63_2
; %bb.1:
	global_load_dword v6, v11, s[4:5]
	v_mov_b32_e32 v8, v7
	v_mov_b32_e32 v9, v7
	;; [unrolled: 1-line block ×3, first 2 shown]
	s_waitcnt vmcnt(0)
	v_max_f32_e32 v1, v6, v6
	v_max_f32_e32 v13, 0xff7fffff, v1
	v_mov_b32_e32 v1, v6
	v_mov_b32_e32 v2, v7
	;; [unrolled: 1-line block ×5, first 2 shown]
.LBB63_2:
	s_or_b32 exec_lo, exec_lo, s1
	s_and_b32 s6, 0xffff, s0
	v_add_nc_u32_e32 v6, s6, v0
	v_cmp_gt_i64_e64 s0, s[8:9], v[6:7]
	v_lshlrev_b32_e32 v8, 2, v6
	s_and_saveexec_b32 s1, s0
	s_cbranch_execz .LBB63_4
; %bb.3:
	global_load_dword v2, v8, s[4:5]
	v_max_f32_e32 v9, v13, v13
	s_waitcnt vmcnt(0)
	v_max_f32_e32 v7, v2, v2
	v_max_f32_e32 v13, v9, v7
.LBB63_4:
	s_or_b32 exec_lo, exec_lo, s1
	v_add_nc_u32_e32 v6, s6, v6
	v_mov_b32_e32 v7, 0
	v_lshlrev_b32_e32 v9, 2, v6
	v_cmp_gt_i64_e64 s1, s[8:9], v[6:7]
	s_and_saveexec_b32 s2, s1
	s_cbranch_execz .LBB63_6
; %bb.5:
	global_load_dword v3, v9, s[4:5]
	v_max_f32_e32 v12, v13, v13
	s_waitcnt vmcnt(0)
	v_max_f32_e32 v10, v3, v3
	v_max_f32_e32 v13, v12, v10
.LBB63_6:
	s_or_b32 exec_lo, exec_lo, s2
	v_add_nc_u32_e32 v6, s6, v6
	v_cmp_gt_i64_e64 s2, s[8:9], v[6:7]
	v_lshlrev_b32_e32 v7, 2, v6
	s_and_saveexec_b32 s3, s2
	s_cbranch_execz .LBB63_8
; %bb.7:
	global_load_dword v4, v7, s[4:5]
	v_max_f32_e32 v12, v13, v13
	s_waitcnt vmcnt(0)
	v_max_f32_e32 v10, v4, v4
	v_max_f32_e32 v13, v12, v10
.LBB63_8:
	s_or_b32 exec_lo, exec_lo, s3
	v_add_nc_u32_e32 v14, s6, v6
	v_mov_b32_e32 v15, 0
	v_lshlrev_b32_e32 v6, 2, v14
	v_cmp_gt_i64_e64 s3, s[8:9], v[14:15]
	s_and_saveexec_b32 s7, s3
	s_cbranch_execz .LBB63_10
; %bb.9:
	global_load_dword v5, v6, s[4:5]
	v_max_f32_e32 v12, v13, v13
	s_waitcnt vmcnt(0)
	v_max_f32_e32 v10, v5, v5
	v_max_f32_e32 v13, v12, v10
.LBB63_10:
	s_or_b32 exec_lo, exec_lo, s7
	v_mbcnt_lo_u32_b32 v15, -1, 0
	s_barrier
	buffer_gl0_inv
	v_lshl_or_b32 v10, v15, 2, 64
	v_cmp_gt_u32_e64 s4, 24, v15
	ds_bpermute_b32 v14, v10, v13
	v_cndmask_b32_e64 v12, 0, 8, s4
	v_add_lshl_u32 v12, v12, v15, 2
	s_waitcnt lgkmcnt(0)
	v_cmp_lt_f32_e64 s4, v13, v14
	v_cndmask_b32_e64 v14, v13, v14, s4
	v_cmp_gt_u32_e64 s4, 28, v15
	ds_bpermute_b32 v16, v12, v14
	v_cndmask_b32_e64 v13, 0, 4, s4
	v_add_lshl_u32 v13, v13, v15, 2
	s_waitcnt lgkmcnt(0)
	v_cmp_lt_f32_e64 s4, v14, v16
	v_cndmask_b32_e64 v16, v14, v16, s4
	;; [unrolled: 7-line block ×3, first 2 shown]
	v_cmp_ne_u32_e64 s4, 31, v15
	ds_bpermute_b32 v17, v14, v16
	v_add_co_ci_u32_e64 v15, null, 0, v15, s4
	v_lshlrev_b32_e32 v15, 2, v15
	s_waitcnt lgkmcnt(0)
	v_cmp_lt_f32_e64 s4, v16, v17
	v_cndmask_b32_e64 v18, v16, v17, s4
	v_and_b32_e32 v17, 31, v0
	v_lshrrev_b32_e32 v16, 3, v0
	ds_bpermute_b32 v19, v15, v18
	v_cmp_eq_u32_e64 s4, 0, v17
	s_and_saveexec_b32 s5, s4
	s_xor_b32 s7, exec_lo, s5
	s_cbranch_execz .LBB63_12
; %bb.11:
	s_waitcnt lgkmcnt(0)
	v_cmp_lt_f32_e64 s5, v18, v19
	v_add_nc_u32_e32 v20, 0, v16
	v_cndmask_b32_e64 v18, v18, v19, s5
	ds_write_b32 v20, v18
.LBB63_12:
	s_or_b32 exec_lo, exec_lo, s7
	s_lshr_b32 s5, s6, 5
	v_mov_b32_e32 v18, 0xff7fffff
	v_cmp_gt_u32_e64 s5, s5, v0
	v_lshl_add_u32 v17, v17, 2, 0
	s_waitcnt lgkmcnt(0)
	s_barrier
	buffer_gl0_inv
	s_and_saveexec_b32 s6, s5
	s_cbranch_execnz .LBB63_28
; %bb.13:
	s_or_b32 exec_lo, exec_lo, s6
	v_cmp_gt_u32_e64 s6, 32, v0
	s_and_saveexec_b32 s8, s6
	s_cbranch_execnz .LBB63_29
.LBB63_14:
	s_or_b32 exec_lo, exec_lo, s8
	v_cmp_eq_u32_e64 s7, 0, v0
	s_and_saveexec_b32 s8, s7
	s_cbranch_execz .LBB63_16
.LBB63_15:
	v_mov_b32_e32 v0, 0
	s_waitcnt lgkmcnt(0)
	ds_write_b32 v0, v18
.LBB63_16:
	s_or_b32 exec_lo, exec_lo, s8
	s_waitcnt lgkmcnt(0)
	v_mov_b32_e32 v18, 0
	s_barrier
	buffer_gl0_inv
	ds_read_b32 v19, v18
	s_waitcnt lgkmcnt(0)
	s_barrier
	buffer_gl0_inv
	v_sub_f32_e32 v0, v1, v19
	v_sub_f32_e32 v1, v2, v19
	;; [unrolled: 1-line block ×5, first 2 shown]
	v_mul_f32_e32 v5, 0x3fb8aa3b, v0
	v_mul_f32_e32 v19, 0x3fb8aa3b, v1
	;; [unrolled: 1-line block ×4, first 2 shown]
	v_cmp_ngt_f32_e64 s8, 0xc2ce8ed0, v0
	v_fma_f32 v23, 0x3fb8aa3b, v0, -v5
	v_rndne_f32_e32 v24, v5
	v_fma_f32 v25, 0x3fb8aa3b, v1, -v19
	v_rndne_f32_e32 v26, v19
	v_fma_f32 v27, 0x3fb8aa3b, v2, -v20
	v_fmac_f32_e32 v23, 0x32a5705f, v0
	v_sub_f32_e32 v5, v5, v24
	v_fmac_f32_e32 v25, 0x32a5705f, v1
	v_sub_f32_e32 v19, v19, v26
	v_rndne_f32_e32 v28, v20
	v_cvt_i32_f32_e32 v24, v24
	v_add_f32_e32 v5, v5, v23
	v_fmac_f32_e32 v27, 0x32a5705f, v2
	v_add_f32_e32 v19, v19, v25
	v_sub_f32_e32 v20, v20, v28
	v_cvt_i32_f32_e32 v26, v26
	v_exp_f32_e32 v5, v5
	v_fma_f32 v29, 0x3fb8aa3b, v3, -v21
	v_exp_f32_e32 v19, v19
	v_rndne_f32_e32 v23, v21
	v_add_f32_e32 v20, v20, v27
	v_mul_f32_e32 v22, 0x3fb8aa3b, v4
	v_fmac_f32_e32 v29, 0x32a5705f, v3
	v_cvt_i32_f32_e32 v28, v28
	v_sub_f32_e32 v21, v21, v23
	v_exp_f32_e32 v20, v20
	v_ldexp_f32 v5, v5, v24
	v_fma_f32 v30, 0x3fb8aa3b, v4, -v22
	v_ldexp_f32 v19, v19, v26
	v_rndne_f32_e32 v25, v22
	v_add_f32_e32 v21, v21, v29
	v_cndmask_b32_e64 v5, 0, v5, s8
	v_cmp_ngt_f32_e64 s8, 0xc2ce8ed0, v1
	v_fmac_f32_e32 v30, 0x32a5705f, v4
	v_sub_f32_e32 v22, v22, v25
	v_exp_f32_e32 v21, v21
	v_ldexp_f32 v20, v20, v28
	v_cndmask_b32_e64 v19, 0, v19, s8
	v_cmp_nlt_f32_e64 s8, 0x42b17218, v0
	v_cvt_i32_f32_e32 v23, v23
	v_add_f32_e32 v22, v22, v30
	v_cndmask_b32_e64 v5, 0x7f800000, v5, s8
	v_cmp_nlt_f32_e64 s8, 0x42b17218, v1
	v_ldexp_f32 v21, v21, v23
	v_cndmask_b32_e32 v5, 0, v5, vcc_lo
	v_cndmask_b32_e64 v19, 0x7f800000, v19, s8
	v_cmp_ngt_f32_e64 s8, 0xc2ce8ed0, v2
	v_add_f32_e32 v19, v5, v19
	v_cndmask_b32_e64 v20, 0, v20, s8
	v_cmp_nlt_f32_e64 s8, 0x42b17218, v2
	v_cndmask_b32_e64 v5, v5, v19, s0
	v_exp_f32_e32 v19, v22
	v_cndmask_b32_e64 v20, 0x7f800000, v20, s8
	v_cmp_ngt_f32_e64 s8, 0xc2ce8ed0, v3
	v_cvt_i32_f32_e32 v22, v25
	v_add_f32_e32 v20, v5, v20
	v_cndmask_b32_e64 v21, 0, v21, s8
	v_cmp_nlt_f32_e64 s8, 0x42b17218, v3
	v_ldexp_f32 v19, v19, v22
	v_cndmask_b32_e64 v5, v5, v20, s1
	v_cndmask_b32_e64 v21, 0x7f800000, v21, s8
	v_cmp_ngt_f32_e64 s8, 0xc2ce8ed0, v4
	v_add_f32_e32 v20, v5, v21
	v_cndmask_b32_e64 v19, 0, v19, s8
	v_cmp_nlt_f32_e64 s8, 0x42b17218, v4
	v_cndmask_b32_e64 v5, v5, v20, s2
	v_cndmask_b32_e64 v19, 0x7f800000, v19, s8
	v_add_f32_e32 v19, v5, v19
	v_cndmask_b32_e64 v5, v5, v19, s3
	ds_bpermute_b32 v19, v10, v5
	s_waitcnt lgkmcnt(0)
	v_add_f32_e32 v5, v5, v19
	ds_bpermute_b32 v19, v12, v5
	s_waitcnt lgkmcnt(0)
	v_add_f32_e32 v5, v5, v19
	;; [unrolled: 3-line block ×4, first 2 shown]
	ds_bpermute_b32 v19, v15, v5
	s_and_saveexec_b32 s8, s4
	s_cbranch_execz .LBB63_18
; %bb.17:
	v_add_nc_u32_e32 v16, 0, v16
	s_waitcnt lgkmcnt(0)
	v_add_f32_e32 v5, v5, v19
	ds_write_b32 v16, v5
.LBB63_18:
	s_or_b32 exec_lo, exec_lo, s8
	s_waitcnt lgkmcnt(0)
	s_barrier
	buffer_gl0_inv
	s_and_saveexec_b32 s4, s5
	s_cbranch_execnz .LBB63_30
; %bb.19:
	s_or_b32 exec_lo, exec_lo, s4
	s_and_saveexec_b32 s4, s6
	s_cbranch_execnz .LBB63_31
.LBB63_20:
	s_or_b32 exec_lo, exec_lo, s4
	s_and_saveexec_b32 s4, s7
	s_cbranch_execz .LBB63_22
.LBB63_21:
	v_mov_b32_e32 v5, 0
	s_waitcnt lgkmcnt(0)
	ds_write_b32 v5, v18
.LBB63_22:
	s_or_b32 exec_lo, exec_lo, s4
	v_mov_b32_e32 v5, 0
	s_waitcnt lgkmcnt(0)
	s_barrier
	buffer_gl0_inv
	s_add_u32 s6, s12, s10
	ds_read_b32 v5, v5
	s_addc_u32 s7, s13, s11
	s_waitcnt lgkmcnt(0)
	v_cmp_gt_f32_e64 s4, 0x800000, v5
	v_cndmask_b32_e64 v10, 0, 0x41b17218, s4
	s_and_b32 s4, s4, exec_lo
	s_cselect_b32 s4, 32, 0
	v_ldexp_f32 v5, v5, s4
	v_log_f32_e32 v5, v5
	v_mul_f32_e32 v12, 0x3f317217, v5
	v_cmp_gt_f32_e64 s4, 0x7f800000, |v5|
	v_fma_f32 v12, 0x3f317217, v5, -v12
	v_fmamk_f32 v12, v5, 0x3377d1cf, v12
	v_fmac_f32_e32 v12, 0x3f317217, v5
	v_cndmask_b32_e64 v5, v5, v12, s4
	v_sub_f32_e32 v5, v5, v10
	s_and_saveexec_b32 s4, vcc_lo
	s_cbranch_execnz .LBB63_32
; %bb.23:
	s_or_b32 exec_lo, exec_lo, s4
	s_and_saveexec_b32 s4, s0
	s_cbranch_execnz .LBB63_33
.LBB63_24:
	s_or_b32 exec_lo, exec_lo, s4
	s_and_saveexec_b32 s0, s1
	s_cbranch_execnz .LBB63_34
.LBB63_25:
	s_or_b32 exec_lo, exec_lo, s0
	s_and_saveexec_b32 s0, s2
	s_cbranch_execnz .LBB63_35
.LBB63_26:
	s_or_b32 exec_lo, exec_lo, s0
	s_and_saveexec_b32 s0, s3
	s_cbranch_execnz .LBB63_36
.LBB63_27:
	s_endpgm
.LBB63_28:
	ds_read_b32 v18, v17
	s_or_b32 exec_lo, exec_lo, s6
	v_cmp_gt_u32_e64 s6, 32, v0
	s_and_saveexec_b32 s8, s6
	s_cbranch_execz .LBB63_14
.LBB63_29:
	s_waitcnt lgkmcnt(0)
	ds_bpermute_b32 v19, v10, v18
	s_waitcnt lgkmcnt(0)
	v_cmp_lt_f32_e64 s7, v18, v19
	v_cndmask_b32_e64 v18, v18, v19, s7
	ds_bpermute_b32 v19, v12, v18
	s_waitcnt lgkmcnt(0)
	v_cmp_lt_f32_e64 s7, v18, v19
	v_cndmask_b32_e64 v18, v18, v19, s7
	;; [unrolled: 4-line block ×5, first 2 shown]
	s_or_b32 exec_lo, exec_lo, s8
	v_cmp_eq_u32_e64 s7, 0, v0
	s_and_saveexec_b32 s8, s7
	s_cbranch_execnz .LBB63_15
	s_branch .LBB63_16
.LBB63_30:
	ds_read_b32 v18, v17
	s_or_b32 exec_lo, exec_lo, s4
	s_and_saveexec_b32 s4, s6
	s_cbranch_execz .LBB63_20
.LBB63_31:
	s_waitcnt lgkmcnt(0)
	ds_bpermute_b32 v5, v10, v18
	s_waitcnt lgkmcnt(0)
	v_add_f32_e32 v5, v18, v5
	ds_bpermute_b32 v10, v12, v5
	s_waitcnt lgkmcnt(0)
	v_add_f32_e32 v5, v5, v10
	;; [unrolled: 3-line block ×5, first 2 shown]
	s_or_b32 exec_lo, exec_lo, s4
	s_and_saveexec_b32 s4, s7
	s_cbranch_execnz .LBB63_21
	s_branch .LBB63_22
.LBB63_32:
	v_sub_f32_e32 v0, v0, v5
	global_store_dword v11, v0, s[6:7]
	s_or_b32 exec_lo, exec_lo, s4
	s_and_saveexec_b32 s4, s0
	s_cbranch_execz .LBB63_24
.LBB63_33:
	v_sub_f32_e32 v0, v1, v5
	global_store_dword v8, v0, s[6:7]
	s_or_b32 exec_lo, exec_lo, s4
	s_and_saveexec_b32 s0, s1
	s_cbranch_execz .LBB63_25
.LBB63_34:
	v_sub_f32_e32 v0, v2, v5
	global_store_dword v9, v0, s[6:7]
	s_or_b32 exec_lo, exec_lo, s0
	s_and_saveexec_b32 s0, s2
	s_cbranch_execz .LBB63_26
.LBB63_35:
	v_sub_f32_e32 v0, v3, v5
	global_store_dword v7, v0, s[6:7]
	s_or_b32 exec_lo, exec_lo, s0
	s_and_saveexec_b32 s0, s3
	s_cbranch_execz .LBB63_27
.LBB63_36:
	v_sub_f32_e32 v0, v4, v5
	global_store_dword v6, v0, s[6:7]
	s_endpgm
	.section	.rodata,"a",@progbits
	.p2align	6, 0x0
	.amdhsa_kernel _ZN2at6native12_GLOBAL__N_122cunn_SoftMaxForwardRegIfffNS1_25LogSoftMaxForwardEpilogueElLi5EEEvPT1_PKT_T3_
		.amdhsa_group_segment_fixed_size 0
		.amdhsa_private_segment_fixed_size 0
		.amdhsa_kernarg_size 280
		.amdhsa_user_sgpr_count 6
		.amdhsa_user_sgpr_private_segment_buffer 1
		.amdhsa_user_sgpr_dispatch_ptr 0
		.amdhsa_user_sgpr_queue_ptr 0
		.amdhsa_user_sgpr_kernarg_segment_ptr 1
		.amdhsa_user_sgpr_dispatch_id 0
		.amdhsa_user_sgpr_flat_scratch_init 0
		.amdhsa_user_sgpr_private_segment_size 0
		.amdhsa_wavefront_size32 1
		.amdhsa_uses_dynamic_stack 0
		.amdhsa_system_sgpr_private_segment_wavefront_offset 0
		.amdhsa_system_sgpr_workgroup_id_x 1
		.amdhsa_system_sgpr_workgroup_id_y 0
		.amdhsa_system_sgpr_workgroup_id_z 0
		.amdhsa_system_sgpr_workgroup_info 0
		.amdhsa_system_vgpr_workitem_id 0
		.amdhsa_next_free_vgpr 31
		.amdhsa_next_free_sgpr 16
		.amdhsa_reserve_vcc 1
		.amdhsa_reserve_flat_scratch 0
		.amdhsa_float_round_mode_32 0
		.amdhsa_float_round_mode_16_64 0
		.amdhsa_float_denorm_mode_32 3
		.amdhsa_float_denorm_mode_16_64 3
		.amdhsa_dx10_clamp 1
		.amdhsa_ieee_mode 1
		.amdhsa_fp16_overflow 0
		.amdhsa_workgroup_processor_mode 1
		.amdhsa_memory_ordered 1
		.amdhsa_forward_progress 1
		.amdhsa_shared_vgpr_count 0
		.amdhsa_exception_fp_ieee_invalid_op 0
		.amdhsa_exception_fp_denorm_src 0
		.amdhsa_exception_fp_ieee_div_zero 0
		.amdhsa_exception_fp_ieee_overflow 0
		.amdhsa_exception_fp_ieee_underflow 0
		.amdhsa_exception_fp_ieee_inexact 0
		.amdhsa_exception_int_div_zero 0
	.end_amdhsa_kernel
	.section	.text._ZN2at6native12_GLOBAL__N_122cunn_SoftMaxForwardRegIfffNS1_25LogSoftMaxForwardEpilogueElLi5EEEvPT1_PKT_T3_,"axG",@progbits,_ZN2at6native12_GLOBAL__N_122cunn_SoftMaxForwardRegIfffNS1_25LogSoftMaxForwardEpilogueElLi5EEEvPT1_PKT_T3_,comdat
.Lfunc_end63:
	.size	_ZN2at6native12_GLOBAL__N_122cunn_SoftMaxForwardRegIfffNS1_25LogSoftMaxForwardEpilogueElLi5EEEvPT1_PKT_T3_, .Lfunc_end63-_ZN2at6native12_GLOBAL__N_122cunn_SoftMaxForwardRegIfffNS1_25LogSoftMaxForwardEpilogueElLi5EEEvPT1_PKT_T3_
                                        ; -- End function
	.set _ZN2at6native12_GLOBAL__N_122cunn_SoftMaxForwardRegIfffNS1_25LogSoftMaxForwardEpilogueElLi5EEEvPT1_PKT_T3_.num_vgpr, 31
	.set _ZN2at6native12_GLOBAL__N_122cunn_SoftMaxForwardRegIfffNS1_25LogSoftMaxForwardEpilogueElLi5EEEvPT1_PKT_T3_.num_agpr, 0
	.set _ZN2at6native12_GLOBAL__N_122cunn_SoftMaxForwardRegIfffNS1_25LogSoftMaxForwardEpilogueElLi5EEEvPT1_PKT_T3_.numbered_sgpr, 16
	.set _ZN2at6native12_GLOBAL__N_122cunn_SoftMaxForwardRegIfffNS1_25LogSoftMaxForwardEpilogueElLi5EEEvPT1_PKT_T3_.num_named_barrier, 0
	.set _ZN2at6native12_GLOBAL__N_122cunn_SoftMaxForwardRegIfffNS1_25LogSoftMaxForwardEpilogueElLi5EEEvPT1_PKT_T3_.private_seg_size, 0
	.set _ZN2at6native12_GLOBAL__N_122cunn_SoftMaxForwardRegIfffNS1_25LogSoftMaxForwardEpilogueElLi5EEEvPT1_PKT_T3_.uses_vcc, 1
	.set _ZN2at6native12_GLOBAL__N_122cunn_SoftMaxForwardRegIfffNS1_25LogSoftMaxForwardEpilogueElLi5EEEvPT1_PKT_T3_.uses_flat_scratch, 0
	.set _ZN2at6native12_GLOBAL__N_122cunn_SoftMaxForwardRegIfffNS1_25LogSoftMaxForwardEpilogueElLi5EEEvPT1_PKT_T3_.has_dyn_sized_stack, 0
	.set _ZN2at6native12_GLOBAL__N_122cunn_SoftMaxForwardRegIfffNS1_25LogSoftMaxForwardEpilogueElLi5EEEvPT1_PKT_T3_.has_recursion, 0
	.set _ZN2at6native12_GLOBAL__N_122cunn_SoftMaxForwardRegIfffNS1_25LogSoftMaxForwardEpilogueElLi5EEEvPT1_PKT_T3_.has_indirect_call, 0
	.section	.AMDGPU.csdata,"",@progbits
; Kernel info:
; codeLenInByte = 2248
; TotalNumSgprs: 18
; NumVgprs: 31
; ScratchSize: 0
; MemoryBound: 0
; FloatMode: 240
; IeeeMode: 1
; LDSByteSize: 0 bytes/workgroup (compile time only)
; SGPRBlocks: 0
; VGPRBlocks: 3
; NumSGPRsForWavesPerEU: 18
; NumVGPRsForWavesPerEU: 31
; Occupancy: 16
; WaveLimiterHint : 0
; COMPUTE_PGM_RSRC2:SCRATCH_EN: 0
; COMPUTE_PGM_RSRC2:USER_SGPR: 6
; COMPUTE_PGM_RSRC2:TRAP_HANDLER: 0
; COMPUTE_PGM_RSRC2:TGID_X_EN: 1
; COMPUTE_PGM_RSRC2:TGID_Y_EN: 0
; COMPUTE_PGM_RSRC2:TGID_Z_EN: 0
; COMPUTE_PGM_RSRC2:TIDIG_COMP_CNT: 0
	.section	.text._ZN2at6native12_GLOBAL__N_122cunn_SoftMaxForwardRegIfffNS1_25LogSoftMaxForwardEpilogueElLi6EEEvPT1_PKT_T3_,"axG",@progbits,_ZN2at6native12_GLOBAL__N_122cunn_SoftMaxForwardRegIfffNS1_25LogSoftMaxForwardEpilogueElLi6EEEvPT1_PKT_T3_,comdat
	.globl	_ZN2at6native12_GLOBAL__N_122cunn_SoftMaxForwardRegIfffNS1_25LogSoftMaxForwardEpilogueElLi6EEEvPT1_PKT_T3_ ; -- Begin function _ZN2at6native12_GLOBAL__N_122cunn_SoftMaxForwardRegIfffNS1_25LogSoftMaxForwardEpilogueElLi6EEEvPT1_PKT_T3_
	.p2align	8
	.type	_ZN2at6native12_GLOBAL__N_122cunn_SoftMaxForwardRegIfffNS1_25LogSoftMaxForwardEpilogueElLi6EEEvPT1_PKT_T3_,@function
_ZN2at6native12_GLOBAL__N_122cunn_SoftMaxForwardRegIfffNS1_25LogSoftMaxForwardEpilogueElLi6EEEvPT1_PKT_T3_: ; @_ZN2at6native12_GLOBAL__N_122cunn_SoftMaxForwardRegIfffNS1_25LogSoftMaxForwardEpilogueElLi6EEEvPT1_PKT_T3_
; %bb.0:
	s_clause 0x2
	s_load_dwordx2 s[8:9], s[4:5], 0x10
	s_load_dwordx4 s[12:15], s[4:5], 0x0
	s_load_dword s0, s[4:5], 0x24
	v_mov_b32_e32 v8, 0
	v_mov_b32_e32 v15, 0xff7fffff
	v_lshlrev_b32_e32 v13, 2, v0
	v_mov_b32_e32 v1, v8
	v_mov_b32_e32 v7, v8
	;; [unrolled: 1-line block ×6, first 2 shown]
	s_waitcnt lgkmcnt(0)
	s_mul_i32 s1, s9, s6
	s_mul_hi_u32 s3, s8, s6
	s_mul_i32 s2, s8, s6
	s_add_i32 s3, s3, s1
	v_cmp_gt_i64_e32 vcc_lo, s[8:9], v[0:1]
	v_mov_b32_e32 v1, v7
	s_lshl_b64 s[10:11], s[2:3], 2
	v_mov_b32_e32 v2, v8
	v_mov_b32_e32 v3, v9
	;; [unrolled: 1-line block ×5, first 2 shown]
	s_add_u32 s6, s14, s10
	s_addc_u32 s7, s15, s11
	s_and_saveexec_b32 s1, vcc_lo
	s_cbranch_execz .LBB64_2
; %bb.1:
	global_load_dword v7, v13, s[6:7]
	v_mov_b32_e32 v9, v8
	v_mov_b32_e32 v10, v8
	v_mov_b32_e32 v11, v8
	v_mov_b32_e32 v12, v8
	s_waitcnt vmcnt(0)
	v_max_f32_e32 v1, v7, v7
	v_max_f32_e32 v15, 0xff7fffff, v1
	v_mov_b32_e32 v1, v7
	v_mov_b32_e32 v2, v8
	;; [unrolled: 1-line block ×6, first 2 shown]
.LBB64_2:
	s_or_b32 exec_lo, exec_lo, s1
	s_and_b32 s14, 0xffff, s0
	v_add_nc_u32_e32 v7, s14, v0
	v_cmp_gt_i64_e64 s0, s[8:9], v[7:8]
	v_lshlrev_b32_e32 v9, 2, v7
	s_and_saveexec_b32 s1, s0
	s_cbranch_execz .LBB64_4
; %bb.3:
	global_load_dword v2, v9, s[6:7]
	v_max_f32_e32 v10, v15, v15
	s_waitcnt vmcnt(0)
	v_max_f32_e32 v8, v2, v2
	v_max_f32_e32 v15, v10, v8
.LBB64_4:
	s_or_b32 exec_lo, exec_lo, s1
	v_add_nc_u32_e32 v7, s14, v7
	v_mov_b32_e32 v8, 0
	v_lshlrev_b32_e32 v10, 2, v7
	v_cmp_gt_i64_e64 s1, s[8:9], v[7:8]
	s_and_saveexec_b32 s2, s1
	s_cbranch_execz .LBB64_6
; %bb.5:
	global_load_dword v3, v10, s[6:7]
	v_max_f32_e32 v12, v15, v15
	s_waitcnt vmcnt(0)
	v_max_f32_e32 v11, v3, v3
	v_max_f32_e32 v15, v12, v11
.LBB64_6:
	s_or_b32 exec_lo, exec_lo, s2
	v_add_nc_u32_e32 v7, s14, v7
	v_cmp_gt_i64_e64 s2, s[8:9], v[7:8]
	v_lshlrev_b32_e32 v11, 2, v7
	s_and_saveexec_b32 s3, s2
	s_cbranch_execz .LBB64_8
; %bb.7:
	global_load_dword v4, v11, s[6:7]
	v_max_f32_e32 v12, v15, v15
	s_waitcnt vmcnt(0)
	v_max_f32_e32 v8, v4, v4
	v_max_f32_e32 v15, v12, v8
.LBB64_8:
	s_or_b32 exec_lo, exec_lo, s3
	v_add_nc_u32_e32 v7, s14, v7
	v_mov_b32_e32 v8, 0
	v_lshlrev_b32_e32 v12, 2, v7
	v_cmp_gt_i64_e64 s3, s[8:9], v[7:8]
	s_and_saveexec_b32 s4, s3
	s_cbranch_execz .LBB64_10
; %bb.9:
	global_load_dword v5, v12, s[6:7]
	v_max_f32_e32 v15, v15, v15
	s_waitcnt vmcnt(0)
	v_max_f32_e32 v14, v5, v5
	v_max_f32_e32 v15, v15, v14
.LBB64_10:
	s_or_b32 exec_lo, exec_lo, s4
	v_add_nc_u32_e32 v7, s14, v7
	v_cmp_gt_i64_e64 s4, s[8:9], v[7:8]
	v_lshlrev_b32_e32 v7, 2, v7
	s_and_saveexec_b32 s5, s4
	s_cbranch_execz .LBB64_12
; %bb.11:
	global_load_dword v6, v7, s[6:7]
	v_max_f32_e32 v14, v15, v15
	s_waitcnt vmcnt(0)
	v_max_f32_e32 v8, v6, v6
	v_max_f32_e32 v15, v14, v8
.LBB64_12:
	s_or_b32 exec_lo, exec_lo, s5
	v_mbcnt_lo_u32_b32 v17, -1, 0
	s_barrier
	buffer_gl0_inv
	v_lshl_or_b32 v8, v17, 2, 64
	v_cmp_gt_u32_e64 s5, 24, v17
	ds_bpermute_b32 v16, v8, v15
	v_cndmask_b32_e64 v14, 0, 8, s5
	v_add_lshl_u32 v14, v14, v17, 2
	s_waitcnt lgkmcnt(0)
	v_cmp_lt_f32_e64 s5, v15, v16
	v_cndmask_b32_e64 v16, v15, v16, s5
	v_cmp_gt_u32_e64 s5, 28, v17
	ds_bpermute_b32 v18, v14, v16
	v_cndmask_b32_e64 v15, 0, 4, s5
	v_add_lshl_u32 v15, v15, v17, 2
	s_waitcnt lgkmcnt(0)
	v_cmp_lt_f32_e64 s5, v16, v18
	v_cndmask_b32_e64 v18, v16, v18, s5
	;; [unrolled: 7-line block ×3, first 2 shown]
	v_cmp_ne_u32_e64 s5, 31, v17
	ds_bpermute_b32 v19, v16, v18
	v_add_co_ci_u32_e64 v17, null, 0, v17, s5
	v_lshlrev_b32_e32 v17, 2, v17
	s_waitcnt lgkmcnt(0)
	v_cmp_lt_f32_e64 s5, v18, v19
	v_cndmask_b32_e64 v20, v18, v19, s5
	v_and_b32_e32 v19, 31, v0
	v_lshrrev_b32_e32 v18, 3, v0
	ds_bpermute_b32 v21, v17, v20
	v_cmp_eq_u32_e64 s5, 0, v19
	s_and_saveexec_b32 s6, s5
	s_xor_b32 s7, exec_lo, s6
	s_cbranch_execz .LBB64_14
; %bb.13:
	s_waitcnt lgkmcnt(0)
	v_cmp_lt_f32_e64 s6, v20, v21
	v_add_nc_u32_e32 v22, 0, v18
	v_cndmask_b32_e64 v20, v20, v21, s6
	ds_write_b32 v22, v20
.LBB64_14:
	s_or_b32 exec_lo, exec_lo, s7
	s_lshr_b32 s6, s14, 5
	v_mov_b32_e32 v20, 0xff7fffff
	v_cmp_gt_u32_e64 s6, s6, v0
	v_lshl_add_u32 v19, v19, 2, 0
	s_waitcnt lgkmcnt(0)
	s_barrier
	buffer_gl0_inv
	s_and_saveexec_b32 s7, s6
	s_cbranch_execnz .LBB64_31
; %bb.15:
	s_or_b32 exec_lo, exec_lo, s7
	v_cmp_gt_u32_e64 s7, 32, v0
	s_and_saveexec_b32 s9, s7
	s_cbranch_execnz .LBB64_32
.LBB64_16:
	s_or_b32 exec_lo, exec_lo, s9
	v_cmp_eq_u32_e64 s8, 0, v0
	s_and_saveexec_b32 s9, s8
	s_cbranch_execz .LBB64_18
.LBB64_17:
	v_mov_b32_e32 v0, 0
	s_waitcnt lgkmcnt(0)
	ds_write_b32 v0, v20
.LBB64_18:
	s_or_b32 exec_lo, exec_lo, s9
	s_waitcnt lgkmcnt(0)
	v_mov_b32_e32 v20, 0
	s_barrier
	buffer_gl0_inv
	ds_read_b32 v21, v20
	s_waitcnt lgkmcnt(0)
	s_barrier
	buffer_gl0_inv
	v_sub_f32_e32 v0, v1, v21
	v_sub_f32_e32 v1, v2, v21
	;; [unrolled: 1-line block ×6, first 2 shown]
	v_mul_f32_e32 v6, 0x3fb8aa3b, v0
	v_mul_f32_e32 v21, 0x3fb8aa3b, v1
	v_mul_f32_e32 v22, 0x3fb8aa3b, v2
	v_mul_f32_e32 v23, 0x3fb8aa3b, v3
	v_cmp_ngt_f32_e64 s9, 0xc2ce8ed0, v0
	v_fma_f32 v26, 0x3fb8aa3b, v0, -v6
	v_rndne_f32_e32 v27, v6
	v_fma_f32 v28, 0x3fb8aa3b, v1, -v21
	v_rndne_f32_e32 v29, v21
	v_fma_f32 v30, 0x3fb8aa3b, v2, -v22
	v_fmac_f32_e32 v26, 0x32a5705f, v0
	v_sub_f32_e32 v6, v6, v27
	v_fmac_f32_e32 v28, 0x32a5705f, v1
	v_sub_f32_e32 v21, v21, v29
	v_rndne_f32_e32 v31, v22
	v_cvt_i32_f32_e32 v27, v27
	v_add_f32_e32 v6, v6, v26
	v_fmac_f32_e32 v30, 0x32a5705f, v2
	v_add_f32_e32 v21, v21, v28
	v_cvt_i32_f32_e32 v28, v29
	v_sub_f32_e32 v22, v22, v31
	v_exp_f32_e32 v6, v6
	v_fma_f32 v32, 0x3fb8aa3b, v3, -v23
	v_exp_f32_e32 v21, v21
	v_rndne_f32_e32 v33, v23
	v_add_f32_e32 v22, v22, v30
	v_mul_f32_e32 v24, 0x3fb8aa3b, v4
	v_fmac_f32_e32 v32, 0x32a5705f, v3
	v_cvt_i32_f32_e32 v29, v31
	v_sub_f32_e32 v23, v23, v33
	v_exp_f32_e32 v22, v22
	v_ldexp_f32 v6, v6, v27
	v_fma_f32 v34, 0x3fb8aa3b, v4, -v24
	v_ldexp_f32 v21, v21, v28
	v_rndne_f32_e32 v35, v24
	v_add_f32_e32 v23, v23, v32
	v_cndmask_b32_e64 v6, 0, v6, s9
	v_cmp_ngt_f32_e64 s9, 0xc2ce8ed0, v1
	v_mul_f32_e32 v25, 0x3fb8aa3b, v5
	v_fmac_f32_e32 v34, 0x32a5705f, v4
	v_sub_f32_e32 v24, v24, v35
	v_exp_f32_e32 v23, v23
	v_cndmask_b32_e64 v21, 0, v21, s9
	v_cmp_nlt_f32_e64 s9, 0x42b17218, v0
	v_ldexp_f32 v22, v22, v29
	v_fma_f32 v36, 0x3fb8aa3b, v5, -v25
	v_rndne_f32_e32 v26, v25
	v_cvt_i32_f32_e32 v30, v33
	v_cndmask_b32_e64 v6, 0x7f800000, v6, s9
	v_cmp_nlt_f32_e64 s9, 0x42b17218, v1
	v_add_f32_e32 v24, v24, v34
	v_fmac_f32_e32 v36, 0x32a5705f, v5
	v_ldexp_f32 v23, v23, v30
	v_cndmask_b32_e32 v6, 0, v6, vcc_lo
	v_cndmask_b32_e64 v21, 0x7f800000, v21, s9
	v_cmp_ngt_f32_e64 s9, 0xc2ce8ed0, v2
	v_exp_f32_e32 v24, v24
	v_add_f32_e32 v21, v6, v21
	v_cndmask_b32_e64 v22, 0, v22, s9
	v_cmp_nlt_f32_e64 s9, 0x42b17218, v2
	v_cndmask_b32_e64 v6, v6, v21, s0
	v_sub_f32_e32 v21, v25, v26
	v_cndmask_b32_e64 v22, 0x7f800000, v22, s9
	v_cmp_ngt_f32_e64 s9, 0xc2ce8ed0, v3
	v_cvt_i32_f32_e32 v25, v35
	v_add_f32_e32 v21, v21, v36
	v_add_f32_e32 v22, v6, v22
	v_cndmask_b32_e64 v23, 0, v23, s9
	v_cmp_nlt_f32_e64 s9, 0x42b17218, v3
	v_ldexp_f32 v24, v24, v25
	v_exp_f32_e32 v21, v21
	v_cndmask_b32_e64 v6, v6, v22, s1
	v_cndmask_b32_e64 v23, 0x7f800000, v23, s9
	v_cmp_ngt_f32_e64 s9, 0xc2ce8ed0, v4
	v_add_f32_e32 v23, v6, v23
	v_cndmask_b32_e64 v22, 0, v24, s9
	v_cvt_i32_f32_e32 v24, v26
	v_cmp_nlt_f32_e64 s9, 0x42b17218, v4
	v_cndmask_b32_e64 v6, v6, v23, s2
	v_ldexp_f32 v21, v21, v24
	v_cndmask_b32_e64 v22, 0x7f800000, v22, s9
	v_cmp_ngt_f32_e64 s9, 0xc2ce8ed0, v5
	v_add_f32_e32 v22, v6, v22
	v_cndmask_b32_e64 v21, 0, v21, s9
	v_cmp_nlt_f32_e64 s9, 0x42b17218, v5
	v_cndmask_b32_e64 v6, v6, v22, s3
	v_cndmask_b32_e64 v21, 0x7f800000, v21, s9
	v_add_f32_e32 v21, v6, v21
	v_cndmask_b32_e64 v6, v6, v21, s4
	ds_bpermute_b32 v21, v8, v6
	s_waitcnt lgkmcnt(0)
	v_add_f32_e32 v6, v6, v21
	ds_bpermute_b32 v21, v14, v6
	s_waitcnt lgkmcnt(0)
	v_add_f32_e32 v6, v6, v21
	;; [unrolled: 3-line block ×4, first 2 shown]
	ds_bpermute_b32 v21, v17, v6
	s_and_saveexec_b32 s9, s5
	s_cbranch_execz .LBB64_20
; %bb.19:
	v_add_nc_u32_e32 v18, 0, v18
	s_waitcnt lgkmcnt(0)
	v_add_f32_e32 v6, v6, v21
	ds_write_b32 v18, v6
.LBB64_20:
	s_or_b32 exec_lo, exec_lo, s9
	s_waitcnt lgkmcnt(0)
	s_barrier
	buffer_gl0_inv
	s_and_saveexec_b32 s5, s6
	s_cbranch_execnz .LBB64_33
; %bb.21:
	s_or_b32 exec_lo, exec_lo, s5
	s_and_saveexec_b32 s5, s7
	s_cbranch_execnz .LBB64_34
.LBB64_22:
	s_or_b32 exec_lo, exec_lo, s5
	s_and_saveexec_b32 s5, s8
	s_cbranch_execz .LBB64_24
.LBB64_23:
	v_mov_b32_e32 v6, 0
	s_waitcnt lgkmcnt(0)
	ds_write_b32 v6, v20
.LBB64_24:
	s_or_b32 exec_lo, exec_lo, s5
	v_mov_b32_e32 v6, 0
	s_waitcnt lgkmcnt(0)
	s_barrier
	buffer_gl0_inv
	s_add_u32 s6, s12, s10
	ds_read_b32 v6, v6
	s_addc_u32 s7, s13, s11
	s_waitcnt lgkmcnt(0)
	v_cmp_gt_f32_e64 s5, 0x800000, v6
	v_cndmask_b32_e64 v8, 0, 0x41b17218, s5
	s_and_b32 s5, s5, exec_lo
	s_cselect_b32 s5, 32, 0
	v_ldexp_f32 v6, v6, s5
	v_log_f32_e32 v6, v6
	v_mul_f32_e32 v14, 0x3f317217, v6
	v_cmp_gt_f32_e64 s5, 0x7f800000, |v6|
	v_fma_f32 v14, 0x3f317217, v6, -v14
	v_fmamk_f32 v14, v6, 0x3377d1cf, v14
	v_fmac_f32_e32 v14, 0x3f317217, v6
	v_cndmask_b32_e64 v6, v6, v14, s5
	v_sub_f32_e32 v6, v6, v8
	s_and_saveexec_b32 s5, vcc_lo
	s_cbranch_execnz .LBB64_35
; %bb.25:
	s_or_b32 exec_lo, exec_lo, s5
	s_and_saveexec_b32 s5, s0
	s_cbranch_execnz .LBB64_36
.LBB64_26:
	s_or_b32 exec_lo, exec_lo, s5
	s_and_saveexec_b32 s0, s1
	s_cbranch_execnz .LBB64_37
.LBB64_27:
	s_or_b32 exec_lo, exec_lo, s0
	s_and_saveexec_b32 s0, s2
	s_cbranch_execnz .LBB64_38
.LBB64_28:
	s_or_b32 exec_lo, exec_lo, s0
	s_and_saveexec_b32 s0, s3
	s_cbranch_execnz .LBB64_39
.LBB64_29:
	s_or_b32 exec_lo, exec_lo, s0
	s_and_saveexec_b32 s0, s4
	s_cbranch_execnz .LBB64_40
.LBB64_30:
	s_endpgm
.LBB64_31:
	ds_read_b32 v20, v19
	s_or_b32 exec_lo, exec_lo, s7
	v_cmp_gt_u32_e64 s7, 32, v0
	s_and_saveexec_b32 s9, s7
	s_cbranch_execz .LBB64_16
.LBB64_32:
	s_waitcnt lgkmcnt(0)
	ds_bpermute_b32 v21, v8, v20
	s_waitcnt lgkmcnt(0)
	v_cmp_lt_f32_e64 s8, v20, v21
	v_cndmask_b32_e64 v20, v20, v21, s8
	ds_bpermute_b32 v21, v14, v20
	s_waitcnt lgkmcnt(0)
	v_cmp_lt_f32_e64 s8, v20, v21
	v_cndmask_b32_e64 v20, v20, v21, s8
	;; [unrolled: 4-line block ×5, first 2 shown]
	s_or_b32 exec_lo, exec_lo, s9
	v_cmp_eq_u32_e64 s8, 0, v0
	s_and_saveexec_b32 s9, s8
	s_cbranch_execnz .LBB64_17
	s_branch .LBB64_18
.LBB64_33:
	ds_read_b32 v20, v19
	s_or_b32 exec_lo, exec_lo, s5
	s_and_saveexec_b32 s5, s7
	s_cbranch_execz .LBB64_22
.LBB64_34:
	s_waitcnt lgkmcnt(0)
	ds_bpermute_b32 v6, v8, v20
	s_waitcnt lgkmcnt(0)
	v_add_f32_e32 v6, v20, v6
	ds_bpermute_b32 v8, v14, v6
	s_waitcnt lgkmcnt(0)
	v_add_f32_e32 v6, v6, v8
	;; [unrolled: 3-line block ×5, first 2 shown]
	s_or_b32 exec_lo, exec_lo, s5
	s_and_saveexec_b32 s5, s8
	s_cbranch_execnz .LBB64_23
	s_branch .LBB64_24
.LBB64_35:
	v_sub_f32_e32 v0, v0, v6
	global_store_dword v13, v0, s[6:7]
	s_or_b32 exec_lo, exec_lo, s5
	s_and_saveexec_b32 s5, s0
	s_cbranch_execz .LBB64_26
.LBB64_36:
	v_sub_f32_e32 v0, v1, v6
	global_store_dword v9, v0, s[6:7]
	s_or_b32 exec_lo, exec_lo, s5
	s_and_saveexec_b32 s0, s1
	s_cbranch_execz .LBB64_27
.LBB64_37:
	v_sub_f32_e32 v0, v2, v6
	global_store_dword v10, v0, s[6:7]
	s_or_b32 exec_lo, exec_lo, s0
	s_and_saveexec_b32 s0, s2
	s_cbranch_execz .LBB64_28
.LBB64_38:
	v_sub_f32_e32 v0, v3, v6
	global_store_dword v11, v0, s[6:7]
	s_or_b32 exec_lo, exec_lo, s0
	s_and_saveexec_b32 s0, s3
	s_cbranch_execz .LBB64_29
.LBB64_39:
	v_sub_f32_e32 v0, v4, v6
	global_store_dword v12, v0, s[6:7]
	s_or_b32 exec_lo, exec_lo, s0
	s_and_saveexec_b32 s0, s4
	s_cbranch_execz .LBB64_30
.LBB64_40:
	v_sub_f32_e32 v0, v5, v6
	global_store_dword v7, v0, s[6:7]
	s_endpgm
	.section	.rodata,"a",@progbits
	.p2align	6, 0x0
	.amdhsa_kernel _ZN2at6native12_GLOBAL__N_122cunn_SoftMaxForwardRegIfffNS1_25LogSoftMaxForwardEpilogueElLi6EEEvPT1_PKT_T3_
		.amdhsa_group_segment_fixed_size 0
		.amdhsa_private_segment_fixed_size 0
		.amdhsa_kernarg_size 280
		.amdhsa_user_sgpr_count 6
		.amdhsa_user_sgpr_private_segment_buffer 1
		.amdhsa_user_sgpr_dispatch_ptr 0
		.amdhsa_user_sgpr_queue_ptr 0
		.amdhsa_user_sgpr_kernarg_segment_ptr 1
		.amdhsa_user_sgpr_dispatch_id 0
		.amdhsa_user_sgpr_flat_scratch_init 0
		.amdhsa_user_sgpr_private_segment_size 0
		.amdhsa_wavefront_size32 1
		.amdhsa_uses_dynamic_stack 0
		.amdhsa_system_sgpr_private_segment_wavefront_offset 0
		.amdhsa_system_sgpr_workgroup_id_x 1
		.amdhsa_system_sgpr_workgroup_id_y 0
		.amdhsa_system_sgpr_workgroup_id_z 0
		.amdhsa_system_sgpr_workgroup_info 0
		.amdhsa_system_vgpr_workitem_id 0
		.amdhsa_next_free_vgpr 37
		.amdhsa_next_free_sgpr 16
		.amdhsa_reserve_vcc 1
		.amdhsa_reserve_flat_scratch 0
		.amdhsa_float_round_mode_32 0
		.amdhsa_float_round_mode_16_64 0
		.amdhsa_float_denorm_mode_32 3
		.amdhsa_float_denorm_mode_16_64 3
		.amdhsa_dx10_clamp 1
		.amdhsa_ieee_mode 1
		.amdhsa_fp16_overflow 0
		.amdhsa_workgroup_processor_mode 1
		.amdhsa_memory_ordered 1
		.amdhsa_forward_progress 1
		.amdhsa_shared_vgpr_count 0
		.amdhsa_exception_fp_ieee_invalid_op 0
		.amdhsa_exception_fp_denorm_src 0
		.amdhsa_exception_fp_ieee_div_zero 0
		.amdhsa_exception_fp_ieee_overflow 0
		.amdhsa_exception_fp_ieee_underflow 0
		.amdhsa_exception_fp_ieee_inexact 0
		.amdhsa_exception_int_div_zero 0
	.end_amdhsa_kernel
	.section	.text._ZN2at6native12_GLOBAL__N_122cunn_SoftMaxForwardRegIfffNS1_25LogSoftMaxForwardEpilogueElLi6EEEvPT1_PKT_T3_,"axG",@progbits,_ZN2at6native12_GLOBAL__N_122cunn_SoftMaxForwardRegIfffNS1_25LogSoftMaxForwardEpilogueElLi6EEEvPT1_PKT_T3_,comdat
.Lfunc_end64:
	.size	_ZN2at6native12_GLOBAL__N_122cunn_SoftMaxForwardRegIfffNS1_25LogSoftMaxForwardEpilogueElLi6EEEvPT1_PKT_T3_, .Lfunc_end64-_ZN2at6native12_GLOBAL__N_122cunn_SoftMaxForwardRegIfffNS1_25LogSoftMaxForwardEpilogueElLi6EEEvPT1_PKT_T3_
                                        ; -- End function
	.set _ZN2at6native12_GLOBAL__N_122cunn_SoftMaxForwardRegIfffNS1_25LogSoftMaxForwardEpilogueElLi6EEEvPT1_PKT_T3_.num_vgpr, 37
	.set _ZN2at6native12_GLOBAL__N_122cunn_SoftMaxForwardRegIfffNS1_25LogSoftMaxForwardEpilogueElLi6EEEvPT1_PKT_T3_.num_agpr, 0
	.set _ZN2at6native12_GLOBAL__N_122cunn_SoftMaxForwardRegIfffNS1_25LogSoftMaxForwardEpilogueElLi6EEEvPT1_PKT_T3_.numbered_sgpr, 16
	.set _ZN2at6native12_GLOBAL__N_122cunn_SoftMaxForwardRegIfffNS1_25LogSoftMaxForwardEpilogueElLi6EEEvPT1_PKT_T3_.num_named_barrier, 0
	.set _ZN2at6native12_GLOBAL__N_122cunn_SoftMaxForwardRegIfffNS1_25LogSoftMaxForwardEpilogueElLi6EEEvPT1_PKT_T3_.private_seg_size, 0
	.set _ZN2at6native12_GLOBAL__N_122cunn_SoftMaxForwardRegIfffNS1_25LogSoftMaxForwardEpilogueElLi6EEEvPT1_PKT_T3_.uses_vcc, 1
	.set _ZN2at6native12_GLOBAL__N_122cunn_SoftMaxForwardRegIfffNS1_25LogSoftMaxForwardEpilogueElLi6EEEvPT1_PKT_T3_.uses_flat_scratch, 0
	.set _ZN2at6native12_GLOBAL__N_122cunn_SoftMaxForwardRegIfffNS1_25LogSoftMaxForwardEpilogueElLi6EEEvPT1_PKT_T3_.has_dyn_sized_stack, 0
	.set _ZN2at6native12_GLOBAL__N_122cunn_SoftMaxForwardRegIfffNS1_25LogSoftMaxForwardEpilogueElLi6EEEvPT1_PKT_T3_.has_recursion, 0
	.set _ZN2at6native12_GLOBAL__N_122cunn_SoftMaxForwardRegIfffNS1_25LogSoftMaxForwardEpilogueElLi6EEEvPT1_PKT_T3_.has_indirect_call, 0
	.section	.AMDGPU.csdata,"",@progbits
; Kernel info:
; codeLenInByte = 2468
; TotalNumSgprs: 18
; NumVgprs: 37
; ScratchSize: 0
; MemoryBound: 0
; FloatMode: 240
; IeeeMode: 1
; LDSByteSize: 0 bytes/workgroup (compile time only)
; SGPRBlocks: 0
; VGPRBlocks: 4
; NumSGPRsForWavesPerEU: 18
; NumVGPRsForWavesPerEU: 37
; Occupancy: 16
; WaveLimiterHint : 0
; COMPUTE_PGM_RSRC2:SCRATCH_EN: 0
; COMPUTE_PGM_RSRC2:USER_SGPR: 6
; COMPUTE_PGM_RSRC2:TRAP_HANDLER: 0
; COMPUTE_PGM_RSRC2:TGID_X_EN: 1
; COMPUTE_PGM_RSRC2:TGID_Y_EN: 0
; COMPUTE_PGM_RSRC2:TGID_Z_EN: 0
; COMPUTE_PGM_RSRC2:TIDIG_COMP_CNT: 0
	.section	.text._ZN2at6native12_GLOBAL__N_122cunn_SoftMaxForwardRegIfffNS1_25LogSoftMaxForwardEpilogueElLi7EEEvPT1_PKT_T3_,"axG",@progbits,_ZN2at6native12_GLOBAL__N_122cunn_SoftMaxForwardRegIfffNS1_25LogSoftMaxForwardEpilogueElLi7EEEvPT1_PKT_T3_,comdat
	.globl	_ZN2at6native12_GLOBAL__N_122cunn_SoftMaxForwardRegIfffNS1_25LogSoftMaxForwardEpilogueElLi7EEEvPT1_PKT_T3_ ; -- Begin function _ZN2at6native12_GLOBAL__N_122cunn_SoftMaxForwardRegIfffNS1_25LogSoftMaxForwardEpilogueElLi7EEEvPT1_PKT_T3_
	.p2align	8
	.type	_ZN2at6native12_GLOBAL__N_122cunn_SoftMaxForwardRegIfffNS1_25LogSoftMaxForwardEpilogueElLi7EEEvPT1_PKT_T3_,@function
_ZN2at6native12_GLOBAL__N_122cunn_SoftMaxForwardRegIfffNS1_25LogSoftMaxForwardEpilogueElLi7EEEvPT1_PKT_T3_: ; @_ZN2at6native12_GLOBAL__N_122cunn_SoftMaxForwardRegIfffNS1_25LogSoftMaxForwardEpilogueElLi7EEEvPT1_PKT_T3_
; %bb.0:
	s_clause 0x2
	s_load_dwordx2 s[8:9], s[4:5], 0x10
	s_load_dwordx4 s[12:15], s[4:5], 0x0
	s_load_dword s0, s[4:5], 0x24
	v_mov_b32_e32 v9, 0
	v_mov_b32_e32 v17, 0xff7fffff
	v_lshlrev_b32_e32 v15, 2, v0
	v_mov_b32_e32 v1, v9
	v_mov_b32_e32 v8, v9
	;; [unrolled: 1-line block ×7, first 2 shown]
	s_waitcnt lgkmcnt(0)
	s_mul_i32 s1, s9, s6
	s_mul_hi_u32 s3, s8, s6
	s_mul_i32 s2, s8, s6
	s_add_i32 s3, s3, s1
	v_cmp_gt_i64_e32 vcc_lo, s[8:9], v[0:1]
	v_mov_b32_e32 v1, v8
	s_lshl_b64 s[16:17], s[2:3], 2
	v_mov_b32_e32 v2, v9
	v_mov_b32_e32 v3, v10
	;; [unrolled: 1-line block ×6, first 2 shown]
	s_add_u32 s6, s14, s16
	s_addc_u32 s7, s15, s17
	s_and_saveexec_b32 s1, vcc_lo
	s_cbranch_execz .LBB65_2
; %bb.1:
	global_load_dword v8, v15, s[6:7]
	v_mov_b32_e32 v10, v9
	v_mov_b32_e32 v11, v9
	;; [unrolled: 1-line block ×5, first 2 shown]
	s_waitcnt vmcnt(0)
	v_max_f32_e32 v1, v8, v8
	v_max_f32_e32 v17, 0xff7fffff, v1
	v_mov_b32_e32 v1, v8
	v_mov_b32_e32 v2, v9
	;; [unrolled: 1-line block ×7, first 2 shown]
.LBB65_2:
	s_or_b32 exec_lo, exec_lo, s1
	s_and_b32 s10, 0xffff, s0
	v_add_nc_u32_e32 v8, s10, v0
	v_cmp_gt_i64_e64 s0, s[8:9], v[8:9]
	v_lshlrev_b32_e32 v10, 2, v8
	s_and_saveexec_b32 s1, s0
	s_cbranch_execz .LBB65_4
; %bb.3:
	global_load_dword v2, v10, s[6:7]
	v_max_f32_e32 v11, v17, v17
	s_waitcnt vmcnt(0)
	v_max_f32_e32 v9, v2, v2
	v_max_f32_e32 v17, v11, v9
.LBB65_4:
	s_or_b32 exec_lo, exec_lo, s1
	v_add_nc_u32_e32 v8, s10, v8
	v_mov_b32_e32 v9, 0
	v_lshlrev_b32_e32 v11, 2, v8
	v_cmp_gt_i64_e64 s1, s[8:9], v[8:9]
	s_and_saveexec_b32 s2, s1
	s_cbranch_execz .LBB65_6
; %bb.5:
	global_load_dword v3, v11, s[6:7]
	v_max_f32_e32 v13, v17, v17
	s_waitcnt vmcnt(0)
	v_max_f32_e32 v12, v3, v3
	v_max_f32_e32 v17, v13, v12
.LBB65_6:
	s_or_b32 exec_lo, exec_lo, s2
	v_add_nc_u32_e32 v8, s10, v8
	v_cmp_gt_i64_e64 s2, s[8:9], v[8:9]
	v_lshlrev_b32_e32 v12, 2, v8
	s_and_saveexec_b32 s3, s2
	s_cbranch_execz .LBB65_8
; %bb.7:
	global_load_dword v4, v12, s[6:7]
	v_max_f32_e32 v13, v17, v17
	s_waitcnt vmcnt(0)
	v_max_f32_e32 v9, v4, v4
	v_max_f32_e32 v17, v13, v9
.LBB65_8:
	s_or_b32 exec_lo, exec_lo, s3
	v_add_nc_u32_e32 v8, s10, v8
	v_mov_b32_e32 v9, 0
	v_lshlrev_b32_e32 v13, 2, v8
	v_cmp_gt_i64_e64 s3, s[8:9], v[8:9]
	s_and_saveexec_b32 s4, s3
	s_cbranch_execz .LBB65_10
; %bb.9:
	global_load_dword v5, v13, s[6:7]
	v_max_f32_e32 v16, v17, v17
	s_waitcnt vmcnt(0)
	v_max_f32_e32 v14, v5, v5
	v_max_f32_e32 v17, v16, v14
.LBB65_10:
	s_or_b32 exec_lo, exec_lo, s4
	;; [unrolled: 27-line block ×3, first 2 shown]
	v_mbcnt_lo_u32_b32 v19, -1, 0
	s_barrier
	buffer_gl0_inv
	v_lshl_or_b32 v14, v19, 2, 64
	v_cmp_gt_u32_e64 s6, 24, v19
	ds_bpermute_b32 v18, v14, v17
	v_cndmask_b32_e64 v16, 0, 8, s6
	v_add_lshl_u32 v16, v16, v19, 2
	s_waitcnt lgkmcnt(0)
	v_cmp_lt_f32_e64 s6, v17, v18
	v_cndmask_b32_e64 v18, v17, v18, s6
	v_cmp_gt_u32_e64 s6, 28, v19
	ds_bpermute_b32 v20, v16, v18
	v_cndmask_b32_e64 v17, 0, 4, s6
	v_add_lshl_u32 v17, v17, v19, 2
	s_waitcnt lgkmcnt(0)
	v_cmp_lt_f32_e64 s6, v18, v20
	v_cndmask_b32_e64 v20, v18, v20, s6
	;; [unrolled: 7-line block ×3, first 2 shown]
	v_cmp_ne_u32_e64 s6, 31, v19
	ds_bpermute_b32 v21, v18, v20
	v_add_co_ci_u32_e64 v19, null, 0, v19, s6
	v_lshlrev_b32_e32 v19, 2, v19
	s_waitcnt lgkmcnt(0)
	v_cmp_lt_f32_e64 s6, v20, v21
	v_cndmask_b32_e64 v22, v20, v21, s6
	v_and_b32_e32 v21, 31, v0
	v_lshrrev_b32_e32 v20, 3, v0
	ds_bpermute_b32 v23, v19, v22
	v_cmp_eq_u32_e64 s6, 0, v21
	s_and_saveexec_b32 s7, s6
	s_xor_b32 s8, exec_lo, s7
	s_cbranch_execz .LBB65_16
; %bb.15:
	s_waitcnt lgkmcnt(0)
	v_cmp_lt_f32_e64 s7, v22, v23
	v_add_nc_u32_e32 v24, 0, v20
	v_cndmask_b32_e64 v22, v22, v23, s7
	ds_write_b32 v24, v22
.LBB65_16:
	s_or_b32 exec_lo, exec_lo, s8
	s_lshr_b32 s7, s10, 5
	v_mov_b32_e32 v22, 0xff7fffff
	v_cmp_gt_u32_e64 s7, s7, v0
	v_lshl_add_u32 v21, v21, 2, 0
	s_waitcnt lgkmcnt(0)
	s_barrier
	buffer_gl0_inv
	s_and_saveexec_b32 s8, s7
	s_cbranch_execnz .LBB65_34
; %bb.17:
	s_or_b32 exec_lo, exec_lo, s8
	v_cmp_gt_u32_e64 s8, 32, v0
	s_and_saveexec_b32 s10, s8
	s_cbranch_execnz .LBB65_35
.LBB65_18:
	s_or_b32 exec_lo, exec_lo, s10
	v_cmp_eq_u32_e64 s9, 0, v0
	s_and_saveexec_b32 s10, s9
	s_cbranch_execz .LBB65_20
.LBB65_19:
	v_mov_b32_e32 v0, 0
	s_waitcnt lgkmcnt(0)
	ds_write_b32 v0, v22
.LBB65_20:
	s_or_b32 exec_lo, exec_lo, s10
	s_waitcnt lgkmcnt(0)
	v_mov_b32_e32 v22, 0
	s_barrier
	buffer_gl0_inv
	ds_read_b32 v23, v22
	s_waitcnt lgkmcnt(0)
	s_barrier
	buffer_gl0_inv
	v_sub_f32_e32 v0, v1, v23
	v_sub_f32_e32 v1, v2, v23
	;; [unrolled: 1-line block ×7, first 2 shown]
	v_mul_f32_e32 v7, 0x3fb8aa3b, v0
	v_mul_f32_e32 v23, 0x3fb8aa3b, v1
	;; [unrolled: 1-line block ×4, first 2 shown]
	v_cmp_ngt_f32_e64 s10, 0xc2ce8ed0, v0
	v_fma_f32 v29, 0x3fb8aa3b, v0, -v7
	v_rndne_f32_e32 v30, v7
	v_fma_f32 v31, 0x3fb8aa3b, v1, -v23
	v_rndne_f32_e32 v32, v23
	v_fma_f32 v33, 0x3fb8aa3b, v2, -v24
	v_fmac_f32_e32 v29, 0x32a5705f, v0
	v_sub_f32_e32 v7, v7, v30
	v_fmac_f32_e32 v31, 0x32a5705f, v1
	v_sub_f32_e32 v23, v23, v32
	v_rndne_f32_e32 v34, v24
	v_cvt_i32_f32_e32 v30, v30
	v_add_f32_e32 v7, v7, v29
	v_cvt_i32_f32_e32 v29, v32
	v_add_f32_e32 v23, v23, v31
	v_fmac_f32_e32 v33, 0x32a5705f, v2
	v_sub_f32_e32 v24, v24, v34
	v_exp_f32_e32 v7, v7
	v_fma_f32 v35, 0x3fb8aa3b, v3, -v25
	v_exp_f32_e32 v23, v23
	v_rndne_f32_e32 v36, v25
	v_add_f32_e32 v24, v24, v33
	v_mul_f32_e32 v26, 0x3fb8aa3b, v4
	v_fmac_f32_e32 v35, 0x32a5705f, v3
	v_cvt_i32_f32_e32 v31, v34
	v_sub_f32_e32 v25, v25, v36
	v_exp_f32_e32 v24, v24
	v_ldexp_f32 v7, v7, v30
	v_fma_f32 v37, 0x3fb8aa3b, v4, -v26
	v_ldexp_f32 v23, v23, v29
	v_rndne_f32_e32 v38, v26
	v_add_f32_e32 v25, v25, v35
	v_cndmask_b32_e64 v7, 0, v7, s10
	v_cmp_ngt_f32_e64 s10, 0xc2ce8ed0, v1
	v_mul_f32_e32 v27, 0x3fb8aa3b, v5
	v_fmac_f32_e32 v37, 0x32a5705f, v4
	v_sub_f32_e32 v26, v26, v38
	v_exp_f32_e32 v25, v25
	v_cndmask_b32_e64 v23, 0, v23, s10
	v_cmp_nlt_f32_e64 s10, 0x42b17218, v0
	v_ldexp_f32 v24, v24, v31
	v_fma_f32 v39, 0x3fb8aa3b, v5, -v27
	v_rndne_f32_e32 v40, v27
	v_cvt_i32_f32_e32 v32, v36
	v_cndmask_b32_e64 v7, 0x7f800000, v7, s10
	v_cmp_nlt_f32_e64 s10, 0x42b17218, v1
	v_add_f32_e32 v26, v26, v37
	v_mul_f32_e32 v28, 0x3fb8aa3b, v6
	v_fmac_f32_e32 v39, 0x32a5705f, v5
	v_cndmask_b32_e32 v7, 0, v7, vcc_lo
	v_cndmask_b32_e64 v23, 0x7f800000, v23, s10
	v_cmp_ngt_f32_e64 s10, 0xc2ce8ed0, v2
	v_sub_f32_e32 v27, v27, v40
	v_exp_f32_e32 v26, v26
	v_ldexp_f32 v25, v25, v32
	v_add_f32_e32 v23, v7, v23
	v_cndmask_b32_e64 v24, 0, v24, s10
	v_cmp_nlt_f32_e64 s10, 0x42b17218, v2
	v_fma_f32 v41, 0x3fb8aa3b, v6, -v28
	v_rndne_f32_e32 v42, v28
	v_cndmask_b32_e64 v7, v7, v23, s0
	v_cvt_i32_f32_e32 v33, v38
	v_cndmask_b32_e64 v24, 0x7f800000, v24, s10
	v_cmp_ngt_f32_e64 s10, 0xc2ce8ed0, v3
	v_add_f32_e32 v23, v27, v39
	v_fmac_f32_e32 v41, 0x32a5705f, v6
	v_ldexp_f32 v26, v26, v33
	v_add_f32_e32 v24, v7, v24
	v_cndmask_b32_e64 v25, 0, v25, s10
	v_cmp_nlt_f32_e64 s10, 0x42b17218, v3
	v_exp_f32_e32 v23, v23
	v_cvt_i32_f32_e32 v27, v40
	v_cndmask_b32_e64 v7, v7, v24, s1
	v_sub_f32_e32 v24, v28, v42
	v_cndmask_b32_e64 v25, 0x7f800000, v25, s10
	v_cmp_ngt_f32_e64 s10, 0xc2ce8ed0, v4
	v_add_f32_e32 v24, v24, v41
	v_add_f32_e32 v25, v7, v25
	v_cndmask_b32_e64 v26, 0, v26, s10
	v_cmp_nlt_f32_e64 s10, 0x42b17218, v4
	v_ldexp_f32 v23, v23, v27
	v_exp_f32_e32 v24, v24
	v_cndmask_b32_e64 v7, v7, v25, s2
	v_cndmask_b32_e64 v26, 0x7f800000, v26, s10
	v_cmp_ngt_f32_e64 s10, 0xc2ce8ed0, v5
	v_add_f32_e32 v25, v7, v26
	v_cndmask_b32_e64 v23, 0, v23, s10
	v_cvt_i32_f32_e32 v26, v42
	v_cmp_nlt_f32_e64 s10, 0x42b17218, v5
	v_cndmask_b32_e64 v7, v7, v25, s3
	v_ldexp_f32 v24, v24, v26
	v_cndmask_b32_e64 v23, 0x7f800000, v23, s10
	v_cmp_ngt_f32_e64 s10, 0xc2ce8ed0, v6
	v_add_f32_e32 v23, v7, v23
	v_cndmask_b32_e64 v24, 0, v24, s10
	v_cmp_nlt_f32_e64 s10, 0x42b17218, v6
	v_cndmask_b32_e64 v7, v7, v23, s4
	v_cndmask_b32_e64 v23, 0x7f800000, v24, s10
	v_add_f32_e32 v23, v7, v23
	v_cndmask_b32_e64 v7, v7, v23, s5
	ds_bpermute_b32 v23, v14, v7
	s_waitcnt lgkmcnt(0)
	v_add_f32_e32 v7, v7, v23
	ds_bpermute_b32 v23, v16, v7
	s_waitcnt lgkmcnt(0)
	v_add_f32_e32 v7, v7, v23
	;; [unrolled: 3-line block ×4, first 2 shown]
	ds_bpermute_b32 v23, v19, v7
	s_and_saveexec_b32 s10, s6
	s_cbranch_execz .LBB65_22
; %bb.21:
	v_add_nc_u32_e32 v20, 0, v20
	s_waitcnt lgkmcnt(0)
	v_add_f32_e32 v7, v7, v23
	ds_write_b32 v20, v7
.LBB65_22:
	s_or_b32 exec_lo, exec_lo, s10
	s_waitcnt lgkmcnt(0)
	s_barrier
	buffer_gl0_inv
	s_and_saveexec_b32 s6, s7
	s_cbranch_execnz .LBB65_36
; %bb.23:
	s_or_b32 exec_lo, exec_lo, s6
	s_and_saveexec_b32 s6, s8
	s_cbranch_execnz .LBB65_37
.LBB65_24:
	s_or_b32 exec_lo, exec_lo, s6
	s_and_saveexec_b32 s6, s9
	s_cbranch_execz .LBB65_26
.LBB65_25:
	v_mov_b32_e32 v7, 0
	s_waitcnt lgkmcnt(0)
	ds_write_b32 v7, v22
.LBB65_26:
	s_or_b32 exec_lo, exec_lo, s6
	v_mov_b32_e32 v7, 0
	s_waitcnt lgkmcnt(0)
	s_barrier
	buffer_gl0_inv
	s_add_u32 s8, s12, s16
	ds_read_b32 v7, v7
	s_addc_u32 s9, s13, s17
	s_waitcnt lgkmcnt(0)
	v_cmp_gt_f32_e64 s6, 0x800000, v7
	v_cndmask_b32_e64 v14, 0, 0x41b17218, s6
	s_and_b32 s6, s6, exec_lo
	s_cselect_b32 s6, 32, 0
	v_ldexp_f32 v7, v7, s6
	v_log_f32_e32 v7, v7
	v_mul_f32_e32 v16, 0x3f317217, v7
	v_cmp_gt_f32_e64 s6, 0x7f800000, |v7|
	v_fma_f32 v16, 0x3f317217, v7, -v16
	v_fmamk_f32 v16, v7, 0x3377d1cf, v16
	v_fmac_f32_e32 v16, 0x3f317217, v7
	v_cndmask_b32_e64 v7, v7, v16, s6
	v_sub_f32_e32 v7, v7, v14
	s_and_saveexec_b32 s6, vcc_lo
	s_cbranch_execnz .LBB65_38
; %bb.27:
	s_or_b32 exec_lo, exec_lo, s6
	s_and_saveexec_b32 s6, s0
	s_cbranch_execnz .LBB65_39
.LBB65_28:
	s_or_b32 exec_lo, exec_lo, s6
	s_and_saveexec_b32 s0, s1
	s_cbranch_execnz .LBB65_40
.LBB65_29:
	s_or_b32 exec_lo, exec_lo, s0
	s_and_saveexec_b32 s0, s2
	s_cbranch_execnz .LBB65_41
.LBB65_30:
	s_or_b32 exec_lo, exec_lo, s0
	s_and_saveexec_b32 s0, s3
	s_cbranch_execnz .LBB65_42
.LBB65_31:
	s_or_b32 exec_lo, exec_lo, s0
	s_and_saveexec_b32 s0, s4
	s_cbranch_execnz .LBB65_43
.LBB65_32:
	s_or_b32 exec_lo, exec_lo, s0
	s_and_saveexec_b32 s0, s5
	s_cbranch_execnz .LBB65_44
.LBB65_33:
	s_endpgm
.LBB65_34:
	ds_read_b32 v22, v21
	s_or_b32 exec_lo, exec_lo, s8
	v_cmp_gt_u32_e64 s8, 32, v0
	s_and_saveexec_b32 s10, s8
	s_cbranch_execz .LBB65_18
.LBB65_35:
	s_waitcnt lgkmcnt(0)
	ds_bpermute_b32 v23, v14, v22
	s_waitcnt lgkmcnt(0)
	v_cmp_lt_f32_e64 s9, v22, v23
	v_cndmask_b32_e64 v22, v22, v23, s9
	ds_bpermute_b32 v23, v16, v22
	s_waitcnt lgkmcnt(0)
	v_cmp_lt_f32_e64 s9, v22, v23
	v_cndmask_b32_e64 v22, v22, v23, s9
	;; [unrolled: 4-line block ×5, first 2 shown]
	s_or_b32 exec_lo, exec_lo, s10
	v_cmp_eq_u32_e64 s9, 0, v0
	s_and_saveexec_b32 s10, s9
	s_cbranch_execnz .LBB65_19
	s_branch .LBB65_20
.LBB65_36:
	ds_read_b32 v22, v21
	s_or_b32 exec_lo, exec_lo, s6
	s_and_saveexec_b32 s6, s8
	s_cbranch_execz .LBB65_24
.LBB65_37:
	s_waitcnt lgkmcnt(0)
	ds_bpermute_b32 v7, v14, v22
	s_waitcnt lgkmcnt(0)
	v_add_f32_e32 v7, v22, v7
	ds_bpermute_b32 v14, v16, v7
	s_waitcnt lgkmcnt(0)
	v_add_f32_e32 v7, v7, v14
	;; [unrolled: 3-line block ×5, first 2 shown]
	s_or_b32 exec_lo, exec_lo, s6
	s_and_saveexec_b32 s6, s9
	s_cbranch_execnz .LBB65_25
	s_branch .LBB65_26
.LBB65_38:
	v_sub_f32_e32 v0, v0, v7
	global_store_dword v15, v0, s[8:9]
	s_or_b32 exec_lo, exec_lo, s6
	s_and_saveexec_b32 s6, s0
	s_cbranch_execz .LBB65_28
.LBB65_39:
	v_sub_f32_e32 v0, v1, v7
	global_store_dword v10, v0, s[8:9]
	s_or_b32 exec_lo, exec_lo, s6
	s_and_saveexec_b32 s0, s1
	s_cbranch_execz .LBB65_29
.LBB65_40:
	v_sub_f32_e32 v0, v2, v7
	global_store_dword v11, v0, s[8:9]
	s_or_b32 exec_lo, exec_lo, s0
	s_and_saveexec_b32 s0, s2
	s_cbranch_execz .LBB65_30
.LBB65_41:
	v_sub_f32_e32 v0, v3, v7
	global_store_dword v12, v0, s[8:9]
	s_or_b32 exec_lo, exec_lo, s0
	s_and_saveexec_b32 s0, s3
	s_cbranch_execz .LBB65_31
.LBB65_42:
	v_sub_f32_e32 v0, v4, v7
	global_store_dword v13, v0, s[8:9]
	s_or_b32 exec_lo, exec_lo, s0
	s_and_saveexec_b32 s0, s4
	s_cbranch_execz .LBB65_32
.LBB65_43:
	v_sub_f32_e32 v0, v5, v7
	global_store_dword v9, v0, s[8:9]
	s_or_b32 exec_lo, exec_lo, s0
	s_and_saveexec_b32 s0, s5
	s_cbranch_execz .LBB65_33
.LBB65_44:
	v_sub_f32_e32 v0, v6, v7
	global_store_dword v8, v0, s[8:9]
	s_endpgm
	.section	.rodata,"a",@progbits
	.p2align	6, 0x0
	.amdhsa_kernel _ZN2at6native12_GLOBAL__N_122cunn_SoftMaxForwardRegIfffNS1_25LogSoftMaxForwardEpilogueElLi7EEEvPT1_PKT_T3_
		.amdhsa_group_segment_fixed_size 0
		.amdhsa_private_segment_fixed_size 0
		.amdhsa_kernarg_size 280
		.amdhsa_user_sgpr_count 6
		.amdhsa_user_sgpr_private_segment_buffer 1
		.amdhsa_user_sgpr_dispatch_ptr 0
		.amdhsa_user_sgpr_queue_ptr 0
		.amdhsa_user_sgpr_kernarg_segment_ptr 1
		.amdhsa_user_sgpr_dispatch_id 0
		.amdhsa_user_sgpr_flat_scratch_init 0
		.amdhsa_user_sgpr_private_segment_size 0
		.amdhsa_wavefront_size32 1
		.amdhsa_uses_dynamic_stack 0
		.amdhsa_system_sgpr_private_segment_wavefront_offset 0
		.amdhsa_system_sgpr_workgroup_id_x 1
		.amdhsa_system_sgpr_workgroup_id_y 0
		.amdhsa_system_sgpr_workgroup_id_z 0
		.amdhsa_system_sgpr_workgroup_info 0
		.amdhsa_system_vgpr_workitem_id 0
		.amdhsa_next_free_vgpr 43
		.amdhsa_next_free_sgpr 18
		.amdhsa_reserve_vcc 1
		.amdhsa_reserve_flat_scratch 0
		.amdhsa_float_round_mode_32 0
		.amdhsa_float_round_mode_16_64 0
		.amdhsa_float_denorm_mode_32 3
		.amdhsa_float_denorm_mode_16_64 3
		.amdhsa_dx10_clamp 1
		.amdhsa_ieee_mode 1
		.amdhsa_fp16_overflow 0
		.amdhsa_workgroup_processor_mode 1
		.amdhsa_memory_ordered 1
		.amdhsa_forward_progress 1
		.amdhsa_shared_vgpr_count 0
		.amdhsa_exception_fp_ieee_invalid_op 0
		.amdhsa_exception_fp_denorm_src 0
		.amdhsa_exception_fp_ieee_div_zero 0
		.amdhsa_exception_fp_ieee_overflow 0
		.amdhsa_exception_fp_ieee_underflow 0
		.amdhsa_exception_fp_ieee_inexact 0
		.amdhsa_exception_int_div_zero 0
	.end_amdhsa_kernel
	.section	.text._ZN2at6native12_GLOBAL__N_122cunn_SoftMaxForwardRegIfffNS1_25LogSoftMaxForwardEpilogueElLi7EEEvPT1_PKT_T3_,"axG",@progbits,_ZN2at6native12_GLOBAL__N_122cunn_SoftMaxForwardRegIfffNS1_25LogSoftMaxForwardEpilogueElLi7EEEvPT1_PKT_T3_,comdat
.Lfunc_end65:
	.size	_ZN2at6native12_GLOBAL__N_122cunn_SoftMaxForwardRegIfffNS1_25LogSoftMaxForwardEpilogueElLi7EEEvPT1_PKT_T3_, .Lfunc_end65-_ZN2at6native12_GLOBAL__N_122cunn_SoftMaxForwardRegIfffNS1_25LogSoftMaxForwardEpilogueElLi7EEEvPT1_PKT_T3_
                                        ; -- End function
	.set _ZN2at6native12_GLOBAL__N_122cunn_SoftMaxForwardRegIfffNS1_25LogSoftMaxForwardEpilogueElLi7EEEvPT1_PKT_T3_.num_vgpr, 43
	.set _ZN2at6native12_GLOBAL__N_122cunn_SoftMaxForwardRegIfffNS1_25LogSoftMaxForwardEpilogueElLi7EEEvPT1_PKT_T3_.num_agpr, 0
	.set _ZN2at6native12_GLOBAL__N_122cunn_SoftMaxForwardRegIfffNS1_25LogSoftMaxForwardEpilogueElLi7EEEvPT1_PKT_T3_.numbered_sgpr, 18
	.set _ZN2at6native12_GLOBAL__N_122cunn_SoftMaxForwardRegIfffNS1_25LogSoftMaxForwardEpilogueElLi7EEEvPT1_PKT_T3_.num_named_barrier, 0
	.set _ZN2at6native12_GLOBAL__N_122cunn_SoftMaxForwardRegIfffNS1_25LogSoftMaxForwardEpilogueElLi7EEEvPT1_PKT_T3_.private_seg_size, 0
	.set _ZN2at6native12_GLOBAL__N_122cunn_SoftMaxForwardRegIfffNS1_25LogSoftMaxForwardEpilogueElLi7EEEvPT1_PKT_T3_.uses_vcc, 1
	.set _ZN2at6native12_GLOBAL__N_122cunn_SoftMaxForwardRegIfffNS1_25LogSoftMaxForwardEpilogueElLi7EEEvPT1_PKT_T3_.uses_flat_scratch, 0
	.set _ZN2at6native12_GLOBAL__N_122cunn_SoftMaxForwardRegIfffNS1_25LogSoftMaxForwardEpilogueElLi7EEEvPT1_PKT_T3_.has_dyn_sized_stack, 0
	.set _ZN2at6native12_GLOBAL__N_122cunn_SoftMaxForwardRegIfffNS1_25LogSoftMaxForwardEpilogueElLi7EEEvPT1_PKT_T3_.has_recursion, 0
	.set _ZN2at6native12_GLOBAL__N_122cunn_SoftMaxForwardRegIfffNS1_25LogSoftMaxForwardEpilogueElLi7EEEvPT1_PKT_T3_.has_indirect_call, 0
	.section	.AMDGPU.csdata,"",@progbits
; Kernel info:
; codeLenInByte = 2692
; TotalNumSgprs: 20
; NumVgprs: 43
; ScratchSize: 0
; MemoryBound: 0
; FloatMode: 240
; IeeeMode: 1
; LDSByteSize: 0 bytes/workgroup (compile time only)
; SGPRBlocks: 0
; VGPRBlocks: 5
; NumSGPRsForWavesPerEU: 20
; NumVGPRsForWavesPerEU: 43
; Occupancy: 16
; WaveLimiterHint : 0
; COMPUTE_PGM_RSRC2:SCRATCH_EN: 0
; COMPUTE_PGM_RSRC2:USER_SGPR: 6
; COMPUTE_PGM_RSRC2:TRAP_HANDLER: 0
; COMPUTE_PGM_RSRC2:TGID_X_EN: 1
; COMPUTE_PGM_RSRC2:TGID_Y_EN: 0
; COMPUTE_PGM_RSRC2:TGID_Z_EN: 0
; COMPUTE_PGM_RSRC2:TIDIG_COMP_CNT: 0
	.section	.text._ZN2at6native12_GLOBAL__N_122cunn_SoftMaxForwardRegIfffNS1_25LogSoftMaxForwardEpilogueElLi8EEEvPT1_PKT_T3_,"axG",@progbits,_ZN2at6native12_GLOBAL__N_122cunn_SoftMaxForwardRegIfffNS1_25LogSoftMaxForwardEpilogueElLi8EEEvPT1_PKT_T3_,comdat
	.globl	_ZN2at6native12_GLOBAL__N_122cunn_SoftMaxForwardRegIfffNS1_25LogSoftMaxForwardEpilogueElLi8EEEvPT1_PKT_T3_ ; -- Begin function _ZN2at6native12_GLOBAL__N_122cunn_SoftMaxForwardRegIfffNS1_25LogSoftMaxForwardEpilogueElLi8EEEvPT1_PKT_T3_
	.p2align	8
	.type	_ZN2at6native12_GLOBAL__N_122cunn_SoftMaxForwardRegIfffNS1_25LogSoftMaxForwardEpilogueElLi8EEEvPT1_PKT_T3_,@function
_ZN2at6native12_GLOBAL__N_122cunn_SoftMaxForwardRegIfffNS1_25LogSoftMaxForwardEpilogueElLi8EEEvPT1_PKT_T3_: ; @_ZN2at6native12_GLOBAL__N_122cunn_SoftMaxForwardRegIfffNS1_25LogSoftMaxForwardEpilogueElLi8EEEvPT1_PKT_T3_
; %bb.0:
	s_clause 0x2
	s_load_dwordx2 s[8:9], s[4:5], 0x10
	s_load_dwordx4 s[12:15], s[4:5], 0x0
	s_load_dword s0, s[4:5], 0x24
	v_mov_b32_e32 v10, 0
	v_mov_b32_e32 v19, 0xff7fffff
	v_lshlrev_b32_e32 v17, 2, v0
	v_mov_b32_e32 v1, v10
	v_mov_b32_e32 v9, v10
	;; [unrolled: 1-line block ×8, first 2 shown]
	s_waitcnt lgkmcnt(0)
	s_mul_i32 s1, s9, s6
	s_mul_hi_u32 s3, s8, s6
	s_mul_i32 s2, s8, s6
	s_add_i32 s3, s3, s1
	v_cmp_gt_i64_e32 vcc_lo, s[8:9], v[0:1]
	v_mov_b32_e32 v1, v9
	s_lshl_b64 s[16:17], s[2:3], 2
	v_mov_b32_e32 v2, v10
	v_mov_b32_e32 v3, v11
	;; [unrolled: 1-line block ×7, first 2 shown]
	s_add_u32 s10, s14, s16
	s_addc_u32 s11, s15, s17
	s_and_saveexec_b32 s1, vcc_lo
	s_cbranch_execz .LBB66_2
; %bb.1:
	global_load_dword v9, v17, s[10:11]
	v_mov_b32_e32 v11, v10
	v_mov_b32_e32 v12, v10
	;; [unrolled: 1-line block ×6, first 2 shown]
	s_waitcnt vmcnt(0)
	v_max_f32_e32 v1, v9, v9
	v_max_f32_e32 v19, 0xff7fffff, v1
	v_mov_b32_e32 v1, v9
	v_mov_b32_e32 v2, v10
	;; [unrolled: 1-line block ×8, first 2 shown]
.LBB66_2:
	s_or_b32 exec_lo, exec_lo, s1
	s_and_b32 s14, 0xffff, s0
	v_add_nc_u32_e32 v9, s14, v0
	v_cmp_gt_i64_e64 s0, s[8:9], v[9:10]
	v_lshlrev_b32_e32 v11, 2, v9
	s_and_saveexec_b32 s1, s0
	s_cbranch_execz .LBB66_4
; %bb.3:
	global_load_dword v2, v11, s[10:11]
	v_max_f32_e32 v12, v19, v19
	s_waitcnt vmcnt(0)
	v_max_f32_e32 v10, v2, v2
	v_max_f32_e32 v19, v12, v10
.LBB66_4:
	s_or_b32 exec_lo, exec_lo, s1
	v_add_nc_u32_e32 v9, s14, v9
	v_mov_b32_e32 v10, 0
	v_lshlrev_b32_e32 v12, 2, v9
	v_cmp_gt_i64_e64 s1, s[8:9], v[9:10]
	s_and_saveexec_b32 s2, s1
	s_cbranch_execz .LBB66_6
; %bb.5:
	global_load_dword v3, v12, s[10:11]
	v_max_f32_e32 v14, v19, v19
	s_waitcnt vmcnt(0)
	v_max_f32_e32 v13, v3, v3
	v_max_f32_e32 v19, v14, v13
.LBB66_6:
	s_or_b32 exec_lo, exec_lo, s2
	v_add_nc_u32_e32 v9, s14, v9
	v_cmp_gt_i64_e64 s2, s[8:9], v[9:10]
	v_lshlrev_b32_e32 v13, 2, v9
	s_and_saveexec_b32 s3, s2
	s_cbranch_execz .LBB66_8
; %bb.7:
	global_load_dword v4, v13, s[10:11]
	v_max_f32_e32 v14, v19, v19
	s_waitcnt vmcnt(0)
	v_max_f32_e32 v10, v4, v4
	v_max_f32_e32 v19, v14, v10
.LBB66_8:
	s_or_b32 exec_lo, exec_lo, s3
	v_add_nc_u32_e32 v9, s14, v9
	v_mov_b32_e32 v10, 0
	v_lshlrev_b32_e32 v14, 2, v9
	v_cmp_gt_i64_e64 s3, s[8:9], v[9:10]
	s_and_saveexec_b32 s4, s3
	s_cbranch_execz .LBB66_10
; %bb.9:
	global_load_dword v5, v14, s[10:11]
	v_max_f32_e32 v16, v19, v19
	s_waitcnt vmcnt(0)
	v_max_f32_e32 v15, v5, v5
	v_max_f32_e32 v19, v16, v15
.LBB66_10:
	s_or_b32 exec_lo, exec_lo, s4
	;; [unrolled: 27-line block ×3, first 2 shown]
	v_add_nc_u32_e32 v9, s14, v9
	v_cmp_gt_i64_e64 s6, s[8:9], v[9:10]
	v_lshlrev_b32_e32 v9, 2, v9
	s_and_saveexec_b32 s7, s6
	s_cbranch_execz .LBB66_16
; %bb.15:
	global_load_dword v8, v9, s[10:11]
	v_max_f32_e32 v18, v19, v19
	s_waitcnt vmcnt(0)
	v_max_f32_e32 v10, v8, v8
	v_max_f32_e32 v19, v18, v10
.LBB66_16:
	s_or_b32 exec_lo, exec_lo, s7
	v_mbcnt_lo_u32_b32 v21, -1, 0
	s_barrier
	buffer_gl0_inv
	v_lshl_or_b32 v10, v21, 2, 64
	v_cmp_gt_u32_e64 s7, 24, v21
	ds_bpermute_b32 v20, v10, v19
	v_cndmask_b32_e64 v18, 0, 8, s7
	v_add_lshl_u32 v18, v18, v21, 2
	s_waitcnt lgkmcnt(0)
	v_cmp_lt_f32_e64 s7, v19, v20
	v_cndmask_b32_e64 v20, v19, v20, s7
	v_cmp_gt_u32_e64 s7, 28, v21
	ds_bpermute_b32 v22, v18, v20
	v_cndmask_b32_e64 v19, 0, 4, s7
	v_add_lshl_u32 v19, v19, v21, 2
	s_waitcnt lgkmcnt(0)
	v_cmp_lt_f32_e64 s7, v20, v22
	v_cndmask_b32_e64 v22, v20, v22, s7
	;; [unrolled: 7-line block ×3, first 2 shown]
	v_cmp_ne_u32_e64 s7, 31, v21
	ds_bpermute_b32 v23, v20, v22
	v_add_co_ci_u32_e64 v21, null, 0, v21, s7
	v_lshlrev_b32_e32 v21, 2, v21
	s_waitcnt lgkmcnt(0)
	v_cmp_lt_f32_e64 s7, v22, v23
	v_cndmask_b32_e64 v24, v22, v23, s7
	v_and_b32_e32 v23, 31, v0
	v_lshrrev_b32_e32 v22, 3, v0
	ds_bpermute_b32 v25, v21, v24
	v_cmp_eq_u32_e64 s7, 0, v23
	s_and_saveexec_b32 s8, s7
	s_xor_b32 s9, exec_lo, s8
	s_cbranch_execz .LBB66_18
; %bb.17:
	s_waitcnt lgkmcnt(0)
	v_cmp_lt_f32_e64 s8, v24, v25
	v_add_nc_u32_e32 v26, 0, v22
	v_cndmask_b32_e64 v24, v24, v25, s8
	ds_write_b32 v26, v24
.LBB66_18:
	s_or_b32 exec_lo, exec_lo, s9
	s_lshr_b32 s8, s14, 5
	v_mov_b32_e32 v24, 0xff7fffff
	v_cmp_gt_u32_e64 s8, s8, v0
	v_lshl_add_u32 v23, v23, 2, 0
	s_waitcnt lgkmcnt(0)
	s_barrier
	buffer_gl0_inv
	s_and_saveexec_b32 s9, s8
	s_cbranch_execnz .LBB66_37
; %bb.19:
	s_or_b32 exec_lo, exec_lo, s9
	v_cmp_gt_u32_e64 s9, 32, v0
	s_and_saveexec_b32 s11, s9
	s_cbranch_execnz .LBB66_38
.LBB66_20:
	s_or_b32 exec_lo, exec_lo, s11
	v_cmp_eq_u32_e64 s10, 0, v0
	s_and_saveexec_b32 s11, s10
	s_cbranch_execz .LBB66_22
.LBB66_21:
	v_mov_b32_e32 v0, 0
	s_waitcnt lgkmcnt(0)
	ds_write_b32 v0, v24
.LBB66_22:
	s_or_b32 exec_lo, exec_lo, s11
	s_waitcnt lgkmcnt(0)
	v_mov_b32_e32 v24, 0
	s_barrier
	buffer_gl0_inv
	ds_read_b32 v25, v24
	s_waitcnt lgkmcnt(0)
	s_barrier
	buffer_gl0_inv
	v_sub_f32_e32 v0, v1, v25
	v_sub_f32_e32 v1, v2, v25
	;; [unrolled: 1-line block ×8, first 2 shown]
	v_mul_f32_e32 v8, 0x3fb8aa3b, v0
	v_mul_f32_e32 v25, 0x3fb8aa3b, v1
	;; [unrolled: 1-line block ×4, first 2 shown]
	v_cmp_ngt_f32_e64 s11, 0xc2ce8ed0, v0
	v_fma_f32 v32, 0x3fb8aa3b, v0, -v8
	v_rndne_f32_e32 v33, v8
	v_fma_f32 v34, 0x3fb8aa3b, v1, -v25
	v_rndne_f32_e32 v35, v25
	v_fma_f32 v36, 0x3fb8aa3b, v2, -v26
	v_fmac_f32_e32 v32, 0x32a5705f, v0
	v_sub_f32_e32 v8, v8, v33
	v_fmac_f32_e32 v34, 0x32a5705f, v1
	v_sub_f32_e32 v25, v25, v35
	v_rndne_f32_e32 v37, v26
	v_cvt_i32_f32_e32 v33, v33
	v_add_f32_e32 v8, v8, v32
	v_cvt_i32_f32_e32 v35, v35
	v_add_f32_e32 v25, v25, v34
	v_fmac_f32_e32 v36, 0x32a5705f, v2
	v_sub_f32_e32 v26, v26, v37
	v_exp_f32_e32 v8, v8
	v_fma_f32 v38, 0x3fb8aa3b, v3, -v27
	v_exp_f32_e32 v25, v25
	v_rndne_f32_e32 v39, v27
	v_add_f32_e32 v26, v26, v36
	v_mul_f32_e32 v28, 0x3fb8aa3b, v4
	v_fmac_f32_e32 v38, 0x32a5705f, v3
	v_cvt_i32_f32_e32 v32, v37
	v_sub_f32_e32 v27, v27, v39
	v_exp_f32_e32 v26, v26
	v_ldexp_f32 v8, v8, v33
	v_fma_f32 v40, 0x3fb8aa3b, v4, -v28
	v_ldexp_f32 v25, v25, v35
	v_rndne_f32_e32 v41, v28
	v_add_f32_e32 v27, v27, v38
	v_cndmask_b32_e64 v8, 0, v8, s11
	v_cmp_ngt_f32_e64 s11, 0xc2ce8ed0, v1
	v_mul_f32_e32 v29, 0x3fb8aa3b, v5
	v_fmac_f32_e32 v40, 0x32a5705f, v4
	v_sub_f32_e32 v28, v28, v41
	v_exp_f32_e32 v27, v27
	v_cndmask_b32_e64 v25, 0, v25, s11
	v_cmp_nlt_f32_e64 s11, 0x42b17218, v0
	v_ldexp_f32 v26, v26, v32
	v_fma_f32 v42, 0x3fb8aa3b, v5, -v29
	v_rndne_f32_e32 v43, v29
	v_cvt_i32_f32_e32 v34, v39
	v_cndmask_b32_e64 v8, 0x7f800000, v8, s11
	v_cmp_nlt_f32_e64 s11, 0x42b17218, v1
	v_add_f32_e32 v28, v28, v40
	v_mul_f32_e32 v30, 0x3fb8aa3b, v6
	v_fmac_f32_e32 v42, 0x32a5705f, v5
	v_cndmask_b32_e32 v8, 0, v8, vcc_lo
	v_cndmask_b32_e64 v25, 0x7f800000, v25, s11
	v_cmp_ngt_f32_e64 s11, 0xc2ce8ed0, v2
	v_sub_f32_e32 v29, v29, v43
	v_exp_f32_e32 v28, v28
	v_ldexp_f32 v27, v27, v34
	v_add_f32_e32 v25, v8, v25
	v_cndmask_b32_e64 v26, 0, v26, s11
	v_cmp_nlt_f32_e64 s11, 0x42b17218, v2
	v_fma_f32 v44, 0x3fb8aa3b, v6, -v30
	v_rndne_f32_e32 v45, v30
	v_cndmask_b32_e64 v8, v8, v25, s0
	v_cvt_i32_f32_e32 v37, v41
	v_cndmask_b32_e64 v26, 0x7f800000, v26, s11
	v_cmp_ngt_f32_e64 s11, 0xc2ce8ed0, v3
	v_add_f32_e32 v25, v29, v42
	v_mul_f32_e32 v31, 0x3fb8aa3b, v7
	v_fmac_f32_e32 v44, 0x32a5705f, v6
	v_add_f32_e32 v26, v8, v26
	v_cndmask_b32_e64 v27, 0, v27, s11
	v_cmp_nlt_f32_e64 s11, 0x42b17218, v3
	v_sub_f32_e32 v29, v30, v45
	v_exp_f32_e32 v25, v25
	v_ldexp_f32 v28, v28, v37
	v_cndmask_b32_e64 v8, v8, v26, s1
	v_cndmask_b32_e64 v27, 0x7f800000, v27, s11
	v_cmp_ngt_f32_e64 s11, 0xc2ce8ed0, v4
	v_fma_f32 v46, 0x3fb8aa3b, v7, -v31
	v_rndne_f32_e32 v47, v31
	v_cvt_i32_f32_e32 v33, v43
	v_add_f32_e32 v26, v29, v44
	v_cndmask_b32_e64 v28, 0, v28, s11
	v_add_f32_e32 v27, v8, v27
	v_cmp_nlt_f32_e64 s11, 0x42b17218, v4
	v_fmac_f32_e32 v46, 0x32a5705f, v7
	v_exp_f32_e32 v26, v26
	v_ldexp_f32 v25, v25, v33
	v_cndmask_b32_e64 v8, v8, v27, s2
	v_cndmask_b32_e64 v28, 0x7f800000, v28, s11
	v_sub_f32_e32 v27, v31, v47
	v_cmp_ngt_f32_e64 s11, 0xc2ce8ed0, v5
	v_cvt_i32_f32_e32 v29, v45
	v_add_f32_e32 v28, v8, v28
	v_add_f32_e32 v27, v27, v46
	v_cndmask_b32_e64 v25, 0, v25, s11
	v_cmp_nlt_f32_e64 s11, 0x42b17218, v5
	v_ldexp_f32 v26, v26, v29
	v_cndmask_b32_e64 v8, v8, v28, s3
	v_exp_f32_e32 v27, v27
	v_cvt_i32_f32_e32 v28, v47
	v_cndmask_b32_e64 v25, 0x7f800000, v25, s11
	v_cmp_ngt_f32_e64 s11, 0xc2ce8ed0, v6
	v_add_f32_e32 v25, v8, v25
	v_cndmask_b32_e64 v26, 0, v26, s11
	v_cmp_nlt_f32_e64 s11, 0x42b17218, v6
	v_cndmask_b32_e64 v8, v8, v25, s4
	v_ldexp_f32 v25, v27, v28
	v_cndmask_b32_e64 v26, 0x7f800000, v26, s11
	v_cmp_ngt_f32_e64 s11, 0xc2ce8ed0, v7
	v_add_f32_e32 v26, v8, v26
	v_cndmask_b32_e64 v25, 0, v25, s11
	v_cmp_nlt_f32_e64 s11, 0x42b17218, v7
	v_cndmask_b32_e64 v8, v8, v26, s5
	v_cndmask_b32_e64 v25, 0x7f800000, v25, s11
	v_add_f32_e32 v25, v8, v25
	v_cndmask_b32_e64 v8, v8, v25, s6
	ds_bpermute_b32 v25, v10, v8
	s_waitcnt lgkmcnt(0)
	v_add_f32_e32 v8, v8, v25
	ds_bpermute_b32 v25, v18, v8
	s_waitcnt lgkmcnt(0)
	v_add_f32_e32 v8, v8, v25
	;; [unrolled: 3-line block ×4, first 2 shown]
	ds_bpermute_b32 v25, v21, v8
	s_and_saveexec_b32 s11, s7
	s_cbranch_execz .LBB66_24
; %bb.23:
	v_add_nc_u32_e32 v22, 0, v22
	s_waitcnt lgkmcnt(0)
	v_add_f32_e32 v8, v8, v25
	ds_write_b32 v22, v8
.LBB66_24:
	s_or_b32 exec_lo, exec_lo, s11
	s_waitcnt lgkmcnt(0)
	s_barrier
	buffer_gl0_inv
	s_and_saveexec_b32 s7, s8
	s_cbranch_execnz .LBB66_39
; %bb.25:
	s_or_b32 exec_lo, exec_lo, s7
	s_and_saveexec_b32 s7, s9
	s_cbranch_execnz .LBB66_40
.LBB66_26:
	s_or_b32 exec_lo, exec_lo, s7
	s_and_saveexec_b32 s7, s10
	s_cbranch_execz .LBB66_28
.LBB66_27:
	v_mov_b32_e32 v8, 0
	s_waitcnt lgkmcnt(0)
	ds_write_b32 v8, v24
.LBB66_28:
	s_or_b32 exec_lo, exec_lo, s7
	v_mov_b32_e32 v8, 0
	s_waitcnt lgkmcnt(0)
	s_barrier
	buffer_gl0_inv
	s_add_u32 s8, s12, s16
	ds_read_b32 v8, v8
	s_addc_u32 s9, s13, s17
	s_waitcnt lgkmcnt(0)
	v_cmp_gt_f32_e64 s7, 0x800000, v8
	v_cndmask_b32_e64 v10, 0, 0x41b17218, s7
	s_and_b32 s7, s7, exec_lo
	s_cselect_b32 s7, 32, 0
	v_ldexp_f32 v8, v8, s7
	v_log_f32_e32 v8, v8
	v_mul_f32_e32 v18, 0x3f317217, v8
	v_cmp_gt_f32_e64 s7, 0x7f800000, |v8|
	v_fma_f32 v18, 0x3f317217, v8, -v18
	v_fmamk_f32 v18, v8, 0x3377d1cf, v18
	v_fmac_f32_e32 v18, 0x3f317217, v8
	v_cndmask_b32_e64 v8, v8, v18, s7
	v_sub_f32_e32 v8, v8, v10
	s_and_saveexec_b32 s7, vcc_lo
	s_cbranch_execnz .LBB66_41
; %bb.29:
	s_or_b32 exec_lo, exec_lo, s7
	s_and_saveexec_b32 s7, s0
	s_cbranch_execnz .LBB66_42
.LBB66_30:
	s_or_b32 exec_lo, exec_lo, s7
	s_and_saveexec_b32 s0, s1
	s_cbranch_execnz .LBB66_43
.LBB66_31:
	s_or_b32 exec_lo, exec_lo, s0
	s_and_saveexec_b32 s0, s2
	s_cbranch_execnz .LBB66_44
.LBB66_32:
	s_or_b32 exec_lo, exec_lo, s0
	s_and_saveexec_b32 s0, s3
	s_cbranch_execnz .LBB66_45
.LBB66_33:
	s_or_b32 exec_lo, exec_lo, s0
	s_and_saveexec_b32 s0, s4
	s_cbranch_execnz .LBB66_46
.LBB66_34:
	s_or_b32 exec_lo, exec_lo, s0
	s_and_saveexec_b32 s0, s5
	s_cbranch_execnz .LBB66_47
.LBB66_35:
	s_or_b32 exec_lo, exec_lo, s0
	s_and_saveexec_b32 s0, s6
	s_cbranch_execnz .LBB66_48
.LBB66_36:
	s_endpgm
.LBB66_37:
	ds_read_b32 v24, v23
	s_or_b32 exec_lo, exec_lo, s9
	v_cmp_gt_u32_e64 s9, 32, v0
	s_and_saveexec_b32 s11, s9
	s_cbranch_execz .LBB66_20
.LBB66_38:
	s_waitcnt lgkmcnt(0)
	ds_bpermute_b32 v25, v10, v24
	s_waitcnt lgkmcnt(0)
	v_cmp_lt_f32_e64 s10, v24, v25
	v_cndmask_b32_e64 v24, v24, v25, s10
	ds_bpermute_b32 v25, v18, v24
	s_waitcnt lgkmcnt(0)
	v_cmp_lt_f32_e64 s10, v24, v25
	v_cndmask_b32_e64 v24, v24, v25, s10
	;; [unrolled: 4-line block ×5, first 2 shown]
	s_or_b32 exec_lo, exec_lo, s11
	v_cmp_eq_u32_e64 s10, 0, v0
	s_and_saveexec_b32 s11, s10
	s_cbranch_execnz .LBB66_21
	s_branch .LBB66_22
.LBB66_39:
	ds_read_b32 v24, v23
	s_or_b32 exec_lo, exec_lo, s7
	s_and_saveexec_b32 s7, s9
	s_cbranch_execz .LBB66_26
.LBB66_40:
	s_waitcnt lgkmcnt(0)
	ds_bpermute_b32 v8, v10, v24
	s_waitcnt lgkmcnt(0)
	v_add_f32_e32 v8, v24, v8
	ds_bpermute_b32 v10, v18, v8
	s_waitcnt lgkmcnt(0)
	v_add_f32_e32 v8, v8, v10
	;; [unrolled: 3-line block ×5, first 2 shown]
	s_or_b32 exec_lo, exec_lo, s7
	s_and_saveexec_b32 s7, s10
	s_cbranch_execnz .LBB66_27
	s_branch .LBB66_28
.LBB66_41:
	v_sub_f32_e32 v0, v0, v8
	global_store_dword v17, v0, s[8:9]
	s_or_b32 exec_lo, exec_lo, s7
	s_and_saveexec_b32 s7, s0
	s_cbranch_execz .LBB66_30
.LBB66_42:
	v_sub_f32_e32 v0, v1, v8
	global_store_dword v11, v0, s[8:9]
	s_or_b32 exec_lo, exec_lo, s7
	s_and_saveexec_b32 s0, s1
	s_cbranch_execz .LBB66_31
.LBB66_43:
	v_sub_f32_e32 v0, v2, v8
	global_store_dword v12, v0, s[8:9]
	s_or_b32 exec_lo, exec_lo, s0
	s_and_saveexec_b32 s0, s2
	s_cbranch_execz .LBB66_32
.LBB66_44:
	v_sub_f32_e32 v0, v3, v8
	global_store_dword v13, v0, s[8:9]
	s_or_b32 exec_lo, exec_lo, s0
	s_and_saveexec_b32 s0, s3
	s_cbranch_execz .LBB66_33
.LBB66_45:
	v_sub_f32_e32 v0, v4, v8
	global_store_dword v14, v0, s[8:9]
	s_or_b32 exec_lo, exec_lo, s0
	s_and_saveexec_b32 s0, s4
	s_cbranch_execz .LBB66_34
.LBB66_46:
	v_sub_f32_e32 v0, v5, v8
	global_store_dword v15, v0, s[8:9]
	s_or_b32 exec_lo, exec_lo, s0
	s_and_saveexec_b32 s0, s5
	s_cbranch_execz .LBB66_35
.LBB66_47:
	v_sub_f32_e32 v0, v6, v8
	global_store_dword v16, v0, s[8:9]
	s_or_b32 exec_lo, exec_lo, s0
	s_and_saveexec_b32 s0, s6
	s_cbranch_execz .LBB66_36
.LBB66_48:
	v_sub_f32_e32 v0, v7, v8
	global_store_dword v9, v0, s[8:9]
	s_endpgm
	.section	.rodata,"a",@progbits
	.p2align	6, 0x0
	.amdhsa_kernel _ZN2at6native12_GLOBAL__N_122cunn_SoftMaxForwardRegIfffNS1_25LogSoftMaxForwardEpilogueElLi8EEEvPT1_PKT_T3_
		.amdhsa_group_segment_fixed_size 0
		.amdhsa_private_segment_fixed_size 0
		.amdhsa_kernarg_size 280
		.amdhsa_user_sgpr_count 6
		.amdhsa_user_sgpr_private_segment_buffer 1
		.amdhsa_user_sgpr_dispatch_ptr 0
		.amdhsa_user_sgpr_queue_ptr 0
		.amdhsa_user_sgpr_kernarg_segment_ptr 1
		.amdhsa_user_sgpr_dispatch_id 0
		.amdhsa_user_sgpr_flat_scratch_init 0
		.amdhsa_user_sgpr_private_segment_size 0
		.amdhsa_wavefront_size32 1
		.amdhsa_uses_dynamic_stack 0
		.amdhsa_system_sgpr_private_segment_wavefront_offset 0
		.amdhsa_system_sgpr_workgroup_id_x 1
		.amdhsa_system_sgpr_workgroup_id_y 0
		.amdhsa_system_sgpr_workgroup_id_z 0
		.amdhsa_system_sgpr_workgroup_info 0
		.amdhsa_system_vgpr_workitem_id 0
		.amdhsa_next_free_vgpr 48
		.amdhsa_next_free_sgpr 18
		.amdhsa_reserve_vcc 1
		.amdhsa_reserve_flat_scratch 0
		.amdhsa_float_round_mode_32 0
		.amdhsa_float_round_mode_16_64 0
		.amdhsa_float_denorm_mode_32 3
		.amdhsa_float_denorm_mode_16_64 3
		.amdhsa_dx10_clamp 1
		.amdhsa_ieee_mode 1
		.amdhsa_fp16_overflow 0
		.amdhsa_workgroup_processor_mode 1
		.amdhsa_memory_ordered 1
		.amdhsa_forward_progress 1
		.amdhsa_shared_vgpr_count 0
		.amdhsa_exception_fp_ieee_invalid_op 0
		.amdhsa_exception_fp_denorm_src 0
		.amdhsa_exception_fp_ieee_div_zero 0
		.amdhsa_exception_fp_ieee_overflow 0
		.amdhsa_exception_fp_ieee_underflow 0
		.amdhsa_exception_fp_ieee_inexact 0
		.amdhsa_exception_int_div_zero 0
	.end_amdhsa_kernel
	.section	.text._ZN2at6native12_GLOBAL__N_122cunn_SoftMaxForwardRegIfffNS1_25LogSoftMaxForwardEpilogueElLi8EEEvPT1_PKT_T3_,"axG",@progbits,_ZN2at6native12_GLOBAL__N_122cunn_SoftMaxForwardRegIfffNS1_25LogSoftMaxForwardEpilogueElLi8EEEvPT1_PKT_T3_,comdat
.Lfunc_end66:
	.size	_ZN2at6native12_GLOBAL__N_122cunn_SoftMaxForwardRegIfffNS1_25LogSoftMaxForwardEpilogueElLi8EEEvPT1_PKT_T3_, .Lfunc_end66-_ZN2at6native12_GLOBAL__N_122cunn_SoftMaxForwardRegIfffNS1_25LogSoftMaxForwardEpilogueElLi8EEEvPT1_PKT_T3_
                                        ; -- End function
	.set _ZN2at6native12_GLOBAL__N_122cunn_SoftMaxForwardRegIfffNS1_25LogSoftMaxForwardEpilogueElLi8EEEvPT1_PKT_T3_.num_vgpr, 48
	.set _ZN2at6native12_GLOBAL__N_122cunn_SoftMaxForwardRegIfffNS1_25LogSoftMaxForwardEpilogueElLi8EEEvPT1_PKT_T3_.num_agpr, 0
	.set _ZN2at6native12_GLOBAL__N_122cunn_SoftMaxForwardRegIfffNS1_25LogSoftMaxForwardEpilogueElLi8EEEvPT1_PKT_T3_.numbered_sgpr, 18
	.set _ZN2at6native12_GLOBAL__N_122cunn_SoftMaxForwardRegIfffNS1_25LogSoftMaxForwardEpilogueElLi8EEEvPT1_PKT_T3_.num_named_barrier, 0
	.set _ZN2at6native12_GLOBAL__N_122cunn_SoftMaxForwardRegIfffNS1_25LogSoftMaxForwardEpilogueElLi8EEEvPT1_PKT_T3_.private_seg_size, 0
	.set _ZN2at6native12_GLOBAL__N_122cunn_SoftMaxForwardRegIfffNS1_25LogSoftMaxForwardEpilogueElLi8EEEvPT1_PKT_T3_.uses_vcc, 1
	.set _ZN2at6native12_GLOBAL__N_122cunn_SoftMaxForwardRegIfffNS1_25LogSoftMaxForwardEpilogueElLi8EEEvPT1_PKT_T3_.uses_flat_scratch, 0
	.set _ZN2at6native12_GLOBAL__N_122cunn_SoftMaxForwardRegIfffNS1_25LogSoftMaxForwardEpilogueElLi8EEEvPT1_PKT_T3_.has_dyn_sized_stack, 0
	.set _ZN2at6native12_GLOBAL__N_122cunn_SoftMaxForwardRegIfffNS1_25LogSoftMaxForwardEpilogueElLi8EEEvPT1_PKT_T3_.has_recursion, 0
	.set _ZN2at6native12_GLOBAL__N_122cunn_SoftMaxForwardRegIfffNS1_25LogSoftMaxForwardEpilogueElLi8EEEvPT1_PKT_T3_.has_indirect_call, 0
	.section	.AMDGPU.csdata,"",@progbits
; Kernel info:
; codeLenInByte = 2912
; TotalNumSgprs: 20
; NumVgprs: 48
; ScratchSize: 0
; MemoryBound: 0
; FloatMode: 240
; IeeeMode: 1
; LDSByteSize: 0 bytes/workgroup (compile time only)
; SGPRBlocks: 0
; VGPRBlocks: 5
; NumSGPRsForWavesPerEU: 20
; NumVGPRsForWavesPerEU: 48
; Occupancy: 16
; WaveLimiterHint : 0
; COMPUTE_PGM_RSRC2:SCRATCH_EN: 0
; COMPUTE_PGM_RSRC2:USER_SGPR: 6
; COMPUTE_PGM_RSRC2:TRAP_HANDLER: 0
; COMPUTE_PGM_RSRC2:TGID_X_EN: 1
; COMPUTE_PGM_RSRC2:TGID_Y_EN: 0
; COMPUTE_PGM_RSRC2:TGID_Z_EN: 0
; COMPUTE_PGM_RSRC2:TIDIG_COMP_CNT: 0
	.section	.text._ZN2at6native12_GLOBAL__N_122cunn_SoftMaxForwardRegIfffNS1_25LogSoftMaxForwardEpilogueElLi9EEEvPT1_PKT_T3_,"axG",@progbits,_ZN2at6native12_GLOBAL__N_122cunn_SoftMaxForwardRegIfffNS1_25LogSoftMaxForwardEpilogueElLi9EEEvPT1_PKT_T3_,comdat
	.globl	_ZN2at6native12_GLOBAL__N_122cunn_SoftMaxForwardRegIfffNS1_25LogSoftMaxForwardEpilogueElLi9EEEvPT1_PKT_T3_ ; -- Begin function _ZN2at6native12_GLOBAL__N_122cunn_SoftMaxForwardRegIfffNS1_25LogSoftMaxForwardEpilogueElLi9EEEvPT1_PKT_T3_
	.p2align	8
	.type	_ZN2at6native12_GLOBAL__N_122cunn_SoftMaxForwardRegIfffNS1_25LogSoftMaxForwardEpilogueElLi9EEEvPT1_PKT_T3_,@function
_ZN2at6native12_GLOBAL__N_122cunn_SoftMaxForwardRegIfffNS1_25LogSoftMaxForwardEpilogueElLi9EEEvPT1_PKT_T3_: ; @_ZN2at6native12_GLOBAL__N_122cunn_SoftMaxForwardRegIfffNS1_25LogSoftMaxForwardEpilogueElLi9EEEvPT1_PKT_T3_
; %bb.0:
	s_clause 0x2
	s_load_dwordx2 s[8:9], s[4:5], 0x10
	s_load_dwordx4 s[16:19], s[4:5], 0x0
	s_load_dword s0, s[4:5], 0x24
	v_mov_b32_e32 v12, 0
	v_mov_b32_e32 v21, 0xff7fffff
	;; [unrolled: 1-line block ×15, first 2 shown]
	s_waitcnt lgkmcnt(0)
	s_mul_i32 s1, s9, s6
	s_mul_hi_u32 s3, s8, s6
	s_mul_i32 s2, s8, s6
	s_add_i32 s3, s3, s1
	v_cmp_gt_i64_e32 vcc_lo, s[8:9], v[0:1]
	v_mov_b32_e32 v6, v15
	v_mov_b32_e32 v7, v16
	;; [unrolled: 1-line block ×5, first 2 shown]
	s_lshl_b64 s[14:15], s[2:3], 2
	v_lshlrev_b32_e32 v1, 2, v0
	s_add_u32 s10, s18, s14
	s_addc_u32 s11, s19, s15
	s_and_saveexec_b32 s1, vcc_lo
	s_cbranch_execz .LBB67_2
; %bb.1:
	global_load_dword v11, v1, s[10:11]
	v_mov_b32_e32 v13, v12
	v_mov_b32_e32 v14, v12
	;; [unrolled: 1-line block ×7, first 2 shown]
	s_waitcnt vmcnt(0)
	v_max_f32_e32 v20, v11, v11
	v_mov_b32_e32 v2, v11
	v_mov_b32_e32 v3, v12
	;; [unrolled: 1-line block ×9, first 2 shown]
	v_max_f32_e32 v21, 0xff7fffff, v20
.LBB67_2:
	s_or_b32 exec_lo, exec_lo, s1
	s_and_b32 s12, 0xffff, s0
	v_add_nc_u32_e32 v11, s12, v0
	v_cmp_gt_i64_e64 s0, s[8:9], v[11:12]
	v_lshlrev_b32_e32 v13, 2, v11
	s_and_saveexec_b32 s1, s0
	s_cbranch_execz .LBB67_4
; %bb.3:
	global_load_dword v3, v13, s[10:11]
	v_max_f32_e32 v14, v21, v21
	s_waitcnt vmcnt(0)
	v_max_f32_e32 v12, v3, v3
	v_max_f32_e32 v21, v14, v12
.LBB67_4:
	s_or_b32 exec_lo, exec_lo, s1
	v_add_nc_u32_e32 v11, s12, v11
	v_mov_b32_e32 v12, 0
	v_lshlrev_b32_e32 v14, 2, v11
	v_cmp_gt_i64_e64 s1, s[8:9], v[11:12]
	s_and_saveexec_b32 s2, s1
	s_cbranch_execz .LBB67_6
; %bb.5:
	global_load_dword v4, v14, s[10:11]
	v_max_f32_e32 v16, v21, v21
	s_waitcnt vmcnt(0)
	v_max_f32_e32 v15, v4, v4
	v_max_f32_e32 v21, v16, v15
.LBB67_6:
	s_or_b32 exec_lo, exec_lo, s2
	v_add_nc_u32_e32 v11, s12, v11
	v_cmp_gt_i64_e64 s2, s[8:9], v[11:12]
	v_lshlrev_b32_e32 v15, 2, v11
	s_and_saveexec_b32 s3, s2
	s_cbranch_execz .LBB67_8
; %bb.7:
	global_load_dword v5, v15, s[10:11]
	v_max_f32_e32 v16, v21, v21
	s_waitcnt vmcnt(0)
	v_max_f32_e32 v12, v5, v5
	v_max_f32_e32 v21, v16, v12
.LBB67_8:
	s_or_b32 exec_lo, exec_lo, s3
	v_add_nc_u32_e32 v11, s12, v11
	v_mov_b32_e32 v12, 0
	v_lshlrev_b32_e32 v16, 2, v11
	v_cmp_gt_i64_e64 s3, s[8:9], v[11:12]
	s_and_saveexec_b32 s4, s3
	s_cbranch_execz .LBB67_10
; %bb.9:
	global_load_dword v6, v16, s[10:11]
	v_max_f32_e32 v18, v21, v21
	s_waitcnt vmcnt(0)
	v_max_f32_e32 v17, v6, v6
	v_max_f32_e32 v21, v18, v17
.LBB67_10:
	s_or_b32 exec_lo, exec_lo, s4
	;; [unrolled: 27-line block ×4, first 2 shown]
	v_mbcnt_lo_u32_b32 v23, -1, 0
	s_barrier
	buffer_gl0_inv
	v_lshl_or_b32 v19, v23, 2, 64
	v_cmp_gt_u32_e64 s8, 24, v23
	ds_bpermute_b32 v22, v19, v21
	v_cndmask_b32_e64 v20, 0, 8, s8
	v_add_lshl_u32 v20, v20, v23, 2
	s_waitcnt lgkmcnt(0)
	v_cmp_lt_f32_e64 s8, v21, v22
	v_cndmask_b32_e64 v22, v21, v22, s8
	v_cmp_gt_u32_e64 s8, 28, v23
	ds_bpermute_b32 v24, v20, v22
	v_cndmask_b32_e64 v21, 0, 4, s8
	v_add_lshl_u32 v21, v21, v23, 2
	s_waitcnt lgkmcnt(0)
	v_cmp_lt_f32_e64 s8, v22, v24
	v_cndmask_b32_e64 v24, v22, v24, s8
	v_cmp_gt_u32_e64 s8, 30, v23
	ds_bpermute_b32 v25, v21, v24
	v_cndmask_b32_e64 v22, 0, 2, s8
	v_add_lshl_u32 v22, v22, v23, 2
	s_waitcnt lgkmcnt(0)
	v_cmp_lt_f32_e64 s8, v24, v25
	v_cndmask_b32_e64 v24, v24, v25, s8
	v_cmp_ne_u32_e64 s8, 31, v23
	ds_bpermute_b32 v25, v22, v24
	v_add_co_ci_u32_e64 v23, null, 0, v23, s8
	v_lshlrev_b32_e32 v23, 2, v23
	s_waitcnt lgkmcnt(0)
	v_cmp_lt_f32_e64 s8, v24, v25
	v_cndmask_b32_e64 v26, v24, v25, s8
	v_and_b32_e32 v25, 31, v0
	v_lshrrev_b32_e32 v24, 3, v0
	ds_bpermute_b32 v27, v23, v26
	v_cmp_eq_u32_e64 s8, 0, v25
	s_and_saveexec_b32 s9, s8
	s_xor_b32 s10, exec_lo, s9
	s_cbranch_execz .LBB67_20
; %bb.19:
	s_waitcnt lgkmcnt(0)
	v_cmp_lt_f32_e64 s9, v26, v27
	v_add_nc_u32_e32 v28, 0, v24
	v_cndmask_b32_e64 v26, v26, v27, s9
	ds_write_b32 v28, v26
.LBB67_20:
	s_or_b32 exec_lo, exec_lo, s10
	s_lshr_b32 s9, s12, 5
	v_mov_b32_e32 v26, 0xff7fffff
	v_cmp_gt_u32_e64 s9, s9, v0
	v_lshl_add_u32 v25, v25, 2, 0
	s_waitcnt lgkmcnt(0)
	s_barrier
	buffer_gl0_inv
	s_and_saveexec_b32 s10, s9
	s_cbranch_execnz .LBB67_40
; %bb.21:
	s_or_b32 exec_lo, exec_lo, s10
	v_cmp_gt_u32_e64 s10, 32, v0
	s_and_saveexec_b32 s12, s10
	s_cbranch_execnz .LBB67_41
.LBB67_22:
	s_or_b32 exec_lo, exec_lo, s12
	v_cmp_eq_u32_e64 s11, 0, v0
	s_and_saveexec_b32 s12, s11
	s_cbranch_execz .LBB67_24
.LBB67_23:
	v_mov_b32_e32 v0, 0
	s_waitcnt lgkmcnt(0)
	ds_write_b32 v0, v26
.LBB67_24:
	s_or_b32 exec_lo, exec_lo, s12
	s_waitcnt lgkmcnt(0)
	v_mov_b32_e32 v26, 0
	s_barrier
	buffer_gl0_inv
	ds_read_b32 v27, v26
	s_waitcnt lgkmcnt(0)
	s_barrier
	buffer_gl0_inv
	v_sub_f32_e32 v0, v2, v27
	v_sub_f32_e32 v2, v3, v27
	;; [unrolled: 1-line block ×9, first 2 shown]
	v_mul_f32_e32 v10, 0x3fb8aa3b, v0
	v_mul_f32_e32 v27, 0x3fb8aa3b, v2
	v_mul_f32_e32 v28, 0x3fb8aa3b, v3
	v_mul_f32_e32 v29, 0x3fb8aa3b, v4
	v_cmp_ngt_f32_e64 s12, 0xc2ce8ed0, v0
	v_fma_f32 v35, 0x3fb8aa3b, v0, -v10
	v_rndne_f32_e32 v36, v10
	v_fma_f32 v37, 0x3fb8aa3b, v2, -v27
	v_rndne_f32_e32 v38, v27
	v_fma_f32 v39, 0x3fb8aa3b, v3, -v28
	v_fmac_f32_e32 v35, 0x32a5705f, v0
	v_sub_f32_e32 v10, v10, v36
	v_fmac_f32_e32 v37, 0x32a5705f, v2
	v_sub_f32_e32 v27, v27, v38
	v_rndne_f32_e32 v40, v28
	v_cvt_i32_f32_e32 v36, v36
	v_add_f32_e32 v10, v10, v35
	v_cvt_i32_f32_e32 v35, v38
	v_add_f32_e32 v27, v27, v37
	v_fmac_f32_e32 v39, 0x32a5705f, v3
	v_sub_f32_e32 v28, v28, v40
	v_exp_f32_e32 v10, v10
	v_fma_f32 v41, 0x3fb8aa3b, v4, -v29
	v_exp_f32_e32 v27, v27
	v_rndne_f32_e32 v42, v29
	v_add_f32_e32 v28, v28, v39
	v_mul_f32_e32 v30, 0x3fb8aa3b, v5
	v_fmac_f32_e32 v41, 0x32a5705f, v4
	v_cvt_i32_f32_e32 v37, v40
	v_sub_f32_e32 v29, v29, v42
	v_exp_f32_e32 v28, v28
	v_ldexp_f32 v10, v10, v36
	v_fma_f32 v43, 0x3fb8aa3b, v5, -v30
	v_ldexp_f32 v27, v27, v35
	v_rndne_f32_e32 v44, v30
	v_add_f32_e32 v29, v29, v41
	v_cndmask_b32_e64 v10, 0, v10, s12
	v_cmp_ngt_f32_e64 s12, 0xc2ce8ed0, v2
	v_mul_f32_e32 v31, 0x3fb8aa3b, v6
	v_fmac_f32_e32 v43, 0x32a5705f, v5
	v_sub_f32_e32 v30, v30, v44
	v_exp_f32_e32 v29, v29
	v_cndmask_b32_e64 v27, 0, v27, s12
	v_cmp_nlt_f32_e64 s12, 0x42b17218, v0
	v_ldexp_f32 v28, v28, v37
	v_fma_f32 v45, 0x3fb8aa3b, v6, -v31
	v_rndne_f32_e32 v46, v31
	v_cvt_i32_f32_e32 v38, v42
	v_cndmask_b32_e64 v10, 0x7f800000, v10, s12
	v_cmp_nlt_f32_e64 s12, 0x42b17218, v2
	v_add_f32_e32 v30, v30, v43
	v_fmac_f32_e32 v45, 0x32a5705f, v6
	v_sub_f32_e32 v31, v31, v46
	v_cndmask_b32_e32 v10, 0, v10, vcc_lo
	v_cndmask_b32_e64 v27, 0x7f800000, v27, s12
	v_cmp_ngt_f32_e64 s12, 0xc2ce8ed0, v3
	v_exp_f32_e32 v30, v30
	v_ldexp_f32 v29, v29, v38
	v_mul_f32_e32 v32, 0x3fb8aa3b, v7
	v_add_f32_e32 v27, v10, v27
	v_cndmask_b32_e64 v28, 0, v28, s12
	v_cmp_nlt_f32_e64 s12, 0x42b17218, v3
	v_cvt_i32_f32_e32 v39, v44
	v_fma_f32 v47, 0x3fb8aa3b, v7, -v32
	v_cndmask_b32_e64 v10, v10, v27, s0
	v_add_f32_e32 v27, v31, v45
	v_cndmask_b32_e64 v28, 0x7f800000, v28, s12
	v_cmp_ngt_f32_e64 s12, 0xc2ce8ed0, v4
	v_rndne_f32_e32 v48, v32
	v_ldexp_f32 v30, v30, v39
	v_exp_f32_e32 v27, v27
	v_add_f32_e32 v28, v10, v28
	v_cndmask_b32_e64 v29, 0, v29, s12
	v_cmp_nlt_f32_e64 s12, 0x42b17218, v4
	v_mul_f32_e32 v33, 0x3fb8aa3b, v8
	v_fmac_f32_e32 v47, 0x32a5705f, v7
	v_cndmask_b32_e64 v10, v10, v28, s1
	v_sub_f32_e32 v28, v32, v48
	v_cndmask_b32_e64 v29, 0x7f800000, v29, s12
	v_cmp_ngt_f32_e64 s12, 0xc2ce8ed0, v5
	v_cvt_i32_f32_e32 v31, v46
	v_fma_f32 v49, 0x3fb8aa3b, v8, -v33
	v_rndne_f32_e32 v50, v33
	v_add_f32_e32 v29, v10, v29
	v_cndmask_b32_e64 v30, 0, v30, s12
	v_cmp_nlt_f32_e64 s12, 0x42b17218, v5
	v_add_f32_e32 v28, v28, v47
	v_ldexp_f32 v27, v27, v31
	v_cndmask_b32_e64 v10, v10, v29, s2
	v_mul_f32_e32 v34, 0x3fb8aa3b, v9
	v_cndmask_b32_e64 v30, 0x7f800000, v30, s12
	v_cmp_ngt_f32_e64 s12, 0xc2ce8ed0, v6
	v_fmac_f32_e32 v49, 0x32a5705f, v8
	v_exp_f32_e32 v28, v28
	v_fma_f32 v51, 0x3fb8aa3b, v9, -v34
	v_add_f32_e32 v29, v10, v30
	v_cndmask_b32_e64 v27, 0, v27, s12
	v_sub_f32_e32 v30, v33, v50
	v_cmp_nlt_f32_e64 s12, 0x42b17218, v6
	v_cvt_i32_f32_e32 v31, v48
	v_cndmask_b32_e64 v10, v10, v29, s3
	v_fmac_f32_e32 v51, 0x32a5705f, v9
	v_add_f32_e32 v29, v30, v49
	v_cndmask_b32_e64 v27, 0x7f800000, v27, s12
	v_rndne_f32_e32 v30, v34
	v_ldexp_f32 v28, v28, v31
	v_cmp_ngt_f32_e64 s12, 0xc2ce8ed0, v7
	v_exp_f32_e32 v29, v29
	v_add_f32_e32 v27, v10, v27
	v_sub_f32_e32 v31, v34, v30
	v_cvt_i32_f32_e32 v30, v30
	v_cndmask_b32_e64 v28, 0, v28, s12
	v_cmp_nlt_f32_e64 s12, 0x42b17218, v7
	v_cndmask_b32_e64 v10, v10, v27, s4
	v_cvt_i32_f32_e32 v27, v50
	v_add_f32_e32 v31, v31, v51
	v_cndmask_b32_e64 v28, 0x7f800000, v28, s12
	v_cmp_ngt_f32_e64 s12, 0xc2ce8ed0, v8
	v_ldexp_f32 v27, v29, v27
	v_exp_f32_e32 v29, v31
	v_add_f32_e32 v28, v10, v28
	v_cndmask_b32_e64 v27, 0, v27, s12
	v_cmp_nlt_f32_e64 s12, 0x42b17218, v8
	v_cndmask_b32_e64 v10, v10, v28, s5
	v_cndmask_b32_e64 v27, 0x7f800000, v27, s12
	v_ldexp_f32 v28, v29, v30
	v_cmp_ngt_f32_e64 s12, 0xc2ce8ed0, v9
	v_add_f32_e32 v27, v10, v27
	v_cndmask_b32_e64 v28, 0, v28, s12
	v_cmp_nlt_f32_e64 s12, 0x42b17218, v9
	v_cndmask_b32_e64 v10, v10, v27, s6
	v_cndmask_b32_e64 v27, 0x7f800000, v28, s12
	v_add_f32_e32 v27, v10, v27
	v_cndmask_b32_e64 v10, v10, v27, s7
	ds_bpermute_b32 v27, v19, v10
	s_waitcnt lgkmcnt(0)
	v_add_f32_e32 v10, v10, v27
	ds_bpermute_b32 v27, v20, v10
	s_waitcnt lgkmcnt(0)
	v_add_f32_e32 v10, v10, v27
	;; [unrolled: 3-line block ×4, first 2 shown]
	ds_bpermute_b32 v27, v23, v10
	s_and_saveexec_b32 s12, s8
	s_cbranch_execz .LBB67_26
; %bb.25:
	v_add_nc_u32_e32 v24, 0, v24
	s_waitcnt lgkmcnt(0)
	v_add_f32_e32 v10, v10, v27
	ds_write_b32 v24, v10
.LBB67_26:
	s_or_b32 exec_lo, exec_lo, s12
	s_waitcnt lgkmcnt(0)
	s_barrier
	buffer_gl0_inv
	s_and_saveexec_b32 s8, s9
	s_cbranch_execnz .LBB67_42
; %bb.27:
	s_or_b32 exec_lo, exec_lo, s8
	s_and_saveexec_b32 s8, s10
	s_cbranch_execnz .LBB67_43
.LBB67_28:
	s_or_b32 exec_lo, exec_lo, s8
	s_and_saveexec_b32 s8, s11
	s_cbranch_execz .LBB67_30
.LBB67_29:
	v_mov_b32_e32 v10, 0
	s_waitcnt lgkmcnt(0)
	ds_write_b32 v10, v26
.LBB67_30:
	s_or_b32 exec_lo, exec_lo, s8
	v_mov_b32_e32 v10, 0
	s_waitcnt lgkmcnt(0)
	s_barrier
	buffer_gl0_inv
	s_add_u32 s10, s16, s14
	ds_read_b32 v10, v10
	s_addc_u32 s11, s17, s15
	s_waitcnt lgkmcnt(0)
	v_cmp_gt_f32_e64 s8, 0x800000, v10
	v_cndmask_b32_e64 v19, 0, 0x41b17218, s8
	s_and_b32 s8, s8, exec_lo
	s_cselect_b32 s8, 32, 0
	v_ldexp_f32 v10, v10, s8
	v_log_f32_e32 v10, v10
	v_mul_f32_e32 v20, 0x3f317217, v10
	v_cmp_gt_f32_e64 s8, 0x7f800000, |v10|
	v_fma_f32 v20, 0x3f317217, v10, -v20
	v_fmamk_f32 v20, v10, 0x3377d1cf, v20
	v_fmac_f32_e32 v20, 0x3f317217, v10
	v_cndmask_b32_e64 v10, v10, v20, s8
	v_sub_f32_e32 v10, v10, v19
	s_and_saveexec_b32 s8, vcc_lo
	s_cbranch_execnz .LBB67_44
; %bb.31:
	s_or_b32 exec_lo, exec_lo, s8
	s_and_saveexec_b32 s8, s0
	s_cbranch_execnz .LBB67_45
.LBB67_32:
	s_or_b32 exec_lo, exec_lo, s8
	s_and_saveexec_b32 s0, s1
	s_cbranch_execnz .LBB67_46
.LBB67_33:
	s_or_b32 exec_lo, exec_lo, s0
	s_and_saveexec_b32 s0, s2
	s_cbranch_execnz .LBB67_47
.LBB67_34:
	s_or_b32 exec_lo, exec_lo, s0
	s_and_saveexec_b32 s0, s3
	s_cbranch_execnz .LBB67_48
.LBB67_35:
	s_or_b32 exec_lo, exec_lo, s0
	s_and_saveexec_b32 s0, s4
	s_cbranch_execnz .LBB67_49
.LBB67_36:
	s_or_b32 exec_lo, exec_lo, s0
	s_and_saveexec_b32 s0, s5
	s_cbranch_execnz .LBB67_50
.LBB67_37:
	s_or_b32 exec_lo, exec_lo, s0
	s_and_saveexec_b32 s0, s6
	s_cbranch_execnz .LBB67_51
.LBB67_38:
	s_or_b32 exec_lo, exec_lo, s0
	s_and_saveexec_b32 s0, s7
	s_cbranch_execnz .LBB67_52
.LBB67_39:
	s_endpgm
.LBB67_40:
	ds_read_b32 v26, v25
	s_or_b32 exec_lo, exec_lo, s10
	v_cmp_gt_u32_e64 s10, 32, v0
	s_and_saveexec_b32 s12, s10
	s_cbranch_execz .LBB67_22
.LBB67_41:
	s_waitcnt lgkmcnt(0)
	ds_bpermute_b32 v27, v19, v26
	s_waitcnt lgkmcnt(0)
	v_cmp_lt_f32_e64 s11, v26, v27
	v_cndmask_b32_e64 v26, v26, v27, s11
	ds_bpermute_b32 v27, v20, v26
	s_waitcnt lgkmcnt(0)
	v_cmp_lt_f32_e64 s11, v26, v27
	v_cndmask_b32_e64 v26, v26, v27, s11
	;; [unrolled: 4-line block ×5, first 2 shown]
	s_or_b32 exec_lo, exec_lo, s12
	v_cmp_eq_u32_e64 s11, 0, v0
	s_and_saveexec_b32 s12, s11
	s_cbranch_execnz .LBB67_23
	s_branch .LBB67_24
.LBB67_42:
	ds_read_b32 v26, v25
	s_or_b32 exec_lo, exec_lo, s8
	s_and_saveexec_b32 s8, s10
	s_cbranch_execz .LBB67_28
.LBB67_43:
	s_waitcnt lgkmcnt(0)
	ds_bpermute_b32 v10, v19, v26
	s_waitcnt lgkmcnt(0)
	v_add_f32_e32 v10, v26, v10
	ds_bpermute_b32 v19, v20, v10
	s_waitcnt lgkmcnt(0)
	v_add_f32_e32 v10, v10, v19
	ds_bpermute_b32 v19, v21, v10
	s_waitcnt lgkmcnt(0)
	v_add_f32_e32 v10, v10, v19
	ds_bpermute_b32 v19, v22, v10
	s_waitcnt lgkmcnt(0)
	v_add_f32_e32 v10, v10, v19
	ds_bpermute_b32 v19, v23, v10
	s_waitcnt lgkmcnt(0)
	v_add_f32_e32 v26, v10, v19
	s_or_b32 exec_lo, exec_lo, s8
	s_and_saveexec_b32 s8, s11
	s_cbranch_execnz .LBB67_29
	s_branch .LBB67_30
.LBB67_44:
	v_sub_f32_e32 v0, v0, v10
	global_store_dword v1, v0, s[10:11]
	s_or_b32 exec_lo, exec_lo, s8
	s_and_saveexec_b32 s8, s0
	s_cbranch_execz .LBB67_32
.LBB67_45:
	v_sub_f32_e32 v0, v2, v10
	global_store_dword v13, v0, s[10:11]
	s_or_b32 exec_lo, exec_lo, s8
	s_and_saveexec_b32 s0, s1
	s_cbranch_execz .LBB67_33
.LBB67_46:
	v_sub_f32_e32 v0, v3, v10
	global_store_dword v14, v0, s[10:11]
	s_or_b32 exec_lo, exec_lo, s0
	s_and_saveexec_b32 s0, s2
	s_cbranch_execz .LBB67_34
.LBB67_47:
	v_sub_f32_e32 v0, v4, v10
	global_store_dword v15, v0, s[10:11]
	s_or_b32 exec_lo, exec_lo, s0
	s_and_saveexec_b32 s0, s3
	s_cbranch_execz .LBB67_35
.LBB67_48:
	v_sub_f32_e32 v0, v5, v10
	global_store_dword v16, v0, s[10:11]
	s_or_b32 exec_lo, exec_lo, s0
	s_and_saveexec_b32 s0, s4
	s_cbranch_execz .LBB67_36
.LBB67_49:
	v_sub_f32_e32 v0, v6, v10
	global_store_dword v17, v0, s[10:11]
	s_or_b32 exec_lo, exec_lo, s0
	s_and_saveexec_b32 s0, s5
	s_cbranch_execz .LBB67_37
.LBB67_50:
	v_sub_f32_e32 v0, v7, v10
	global_store_dword v18, v0, s[10:11]
	s_or_b32 exec_lo, exec_lo, s0
	s_and_saveexec_b32 s0, s6
	s_cbranch_execz .LBB67_38
.LBB67_51:
	v_sub_f32_e32 v0, v8, v10
	global_store_dword v12, v0, s[10:11]
	s_or_b32 exec_lo, exec_lo, s0
	s_and_saveexec_b32 s0, s7
	s_cbranch_execz .LBB67_39
.LBB67_52:
	v_sub_f32_e32 v0, v9, v10
	global_store_dword v11, v0, s[10:11]
	s_endpgm
	.section	.rodata,"a",@progbits
	.p2align	6, 0x0
	.amdhsa_kernel _ZN2at6native12_GLOBAL__N_122cunn_SoftMaxForwardRegIfffNS1_25LogSoftMaxForwardEpilogueElLi9EEEvPT1_PKT_T3_
		.amdhsa_group_segment_fixed_size 0
		.amdhsa_private_segment_fixed_size 0
		.amdhsa_kernarg_size 280
		.amdhsa_user_sgpr_count 6
		.amdhsa_user_sgpr_private_segment_buffer 1
		.amdhsa_user_sgpr_dispatch_ptr 0
		.amdhsa_user_sgpr_queue_ptr 0
		.amdhsa_user_sgpr_kernarg_segment_ptr 1
		.amdhsa_user_sgpr_dispatch_id 0
		.amdhsa_user_sgpr_flat_scratch_init 0
		.amdhsa_user_sgpr_private_segment_size 0
		.amdhsa_wavefront_size32 1
		.amdhsa_uses_dynamic_stack 0
		.amdhsa_system_sgpr_private_segment_wavefront_offset 0
		.amdhsa_system_sgpr_workgroup_id_x 1
		.amdhsa_system_sgpr_workgroup_id_y 0
		.amdhsa_system_sgpr_workgroup_id_z 0
		.amdhsa_system_sgpr_workgroup_info 0
		.amdhsa_system_vgpr_workitem_id 0
		.amdhsa_next_free_vgpr 52
		.amdhsa_next_free_sgpr 20
		.amdhsa_reserve_vcc 1
		.amdhsa_reserve_flat_scratch 0
		.amdhsa_float_round_mode_32 0
		.amdhsa_float_round_mode_16_64 0
		.amdhsa_float_denorm_mode_32 3
		.amdhsa_float_denorm_mode_16_64 3
		.amdhsa_dx10_clamp 1
		.amdhsa_ieee_mode 1
		.amdhsa_fp16_overflow 0
		.amdhsa_workgroup_processor_mode 1
		.amdhsa_memory_ordered 1
		.amdhsa_forward_progress 1
		.amdhsa_shared_vgpr_count 0
		.amdhsa_exception_fp_ieee_invalid_op 0
		.amdhsa_exception_fp_denorm_src 0
		.amdhsa_exception_fp_ieee_div_zero 0
		.amdhsa_exception_fp_ieee_overflow 0
		.amdhsa_exception_fp_ieee_underflow 0
		.amdhsa_exception_fp_ieee_inexact 0
		.amdhsa_exception_int_div_zero 0
	.end_amdhsa_kernel
	.section	.text._ZN2at6native12_GLOBAL__N_122cunn_SoftMaxForwardRegIfffNS1_25LogSoftMaxForwardEpilogueElLi9EEEvPT1_PKT_T3_,"axG",@progbits,_ZN2at6native12_GLOBAL__N_122cunn_SoftMaxForwardRegIfffNS1_25LogSoftMaxForwardEpilogueElLi9EEEvPT1_PKT_T3_,comdat
.Lfunc_end67:
	.size	_ZN2at6native12_GLOBAL__N_122cunn_SoftMaxForwardRegIfffNS1_25LogSoftMaxForwardEpilogueElLi9EEEvPT1_PKT_T3_, .Lfunc_end67-_ZN2at6native12_GLOBAL__N_122cunn_SoftMaxForwardRegIfffNS1_25LogSoftMaxForwardEpilogueElLi9EEEvPT1_PKT_T3_
                                        ; -- End function
	.set _ZN2at6native12_GLOBAL__N_122cunn_SoftMaxForwardRegIfffNS1_25LogSoftMaxForwardEpilogueElLi9EEEvPT1_PKT_T3_.num_vgpr, 52
	.set _ZN2at6native12_GLOBAL__N_122cunn_SoftMaxForwardRegIfffNS1_25LogSoftMaxForwardEpilogueElLi9EEEvPT1_PKT_T3_.num_agpr, 0
	.set _ZN2at6native12_GLOBAL__N_122cunn_SoftMaxForwardRegIfffNS1_25LogSoftMaxForwardEpilogueElLi9EEEvPT1_PKT_T3_.numbered_sgpr, 20
	.set _ZN2at6native12_GLOBAL__N_122cunn_SoftMaxForwardRegIfffNS1_25LogSoftMaxForwardEpilogueElLi9EEEvPT1_PKT_T3_.num_named_barrier, 0
	.set _ZN2at6native12_GLOBAL__N_122cunn_SoftMaxForwardRegIfffNS1_25LogSoftMaxForwardEpilogueElLi9EEEvPT1_PKT_T3_.private_seg_size, 0
	.set _ZN2at6native12_GLOBAL__N_122cunn_SoftMaxForwardRegIfffNS1_25LogSoftMaxForwardEpilogueElLi9EEEvPT1_PKT_T3_.uses_vcc, 1
	.set _ZN2at6native12_GLOBAL__N_122cunn_SoftMaxForwardRegIfffNS1_25LogSoftMaxForwardEpilogueElLi9EEEvPT1_PKT_T3_.uses_flat_scratch, 0
	.set _ZN2at6native12_GLOBAL__N_122cunn_SoftMaxForwardRegIfffNS1_25LogSoftMaxForwardEpilogueElLi9EEEvPT1_PKT_T3_.has_dyn_sized_stack, 0
	.set _ZN2at6native12_GLOBAL__N_122cunn_SoftMaxForwardRegIfffNS1_25LogSoftMaxForwardEpilogueElLi9EEEvPT1_PKT_T3_.has_recursion, 0
	.set _ZN2at6native12_GLOBAL__N_122cunn_SoftMaxForwardRegIfffNS1_25LogSoftMaxForwardEpilogueElLi9EEEvPT1_PKT_T3_.has_indirect_call, 0
	.section	.AMDGPU.csdata,"",@progbits
; Kernel info:
; codeLenInByte = 3136
; TotalNumSgprs: 22
; NumVgprs: 52
; ScratchSize: 0
; MemoryBound: 0
; FloatMode: 240
; IeeeMode: 1
; LDSByteSize: 0 bytes/workgroup (compile time only)
; SGPRBlocks: 0
; VGPRBlocks: 6
; NumSGPRsForWavesPerEU: 22
; NumVGPRsForWavesPerEU: 52
; Occupancy: 16
; WaveLimiterHint : 0
; COMPUTE_PGM_RSRC2:SCRATCH_EN: 0
; COMPUTE_PGM_RSRC2:USER_SGPR: 6
; COMPUTE_PGM_RSRC2:TRAP_HANDLER: 0
; COMPUTE_PGM_RSRC2:TGID_X_EN: 1
; COMPUTE_PGM_RSRC2:TGID_Y_EN: 0
; COMPUTE_PGM_RSRC2:TGID_Z_EN: 0
; COMPUTE_PGM_RSRC2:TIDIG_COMP_CNT: 0
	.section	.text._ZN2at6native12_GLOBAL__N_123cunn_SoftMaxForwardSmemILi4EfffNS1_25LogSoftMaxForwardEpilogueElEEvPT2_PKT0_T4_,"axG",@progbits,_ZN2at6native12_GLOBAL__N_123cunn_SoftMaxForwardSmemILi4EfffNS1_25LogSoftMaxForwardEpilogueElEEvPT2_PKT0_T4_,comdat
	.globl	_ZN2at6native12_GLOBAL__N_123cunn_SoftMaxForwardSmemILi4EfffNS1_25LogSoftMaxForwardEpilogueElEEvPT2_PKT0_T4_ ; -- Begin function _ZN2at6native12_GLOBAL__N_123cunn_SoftMaxForwardSmemILi4EfffNS1_25LogSoftMaxForwardEpilogueElEEvPT2_PKT0_T4_
	.p2align	8
	.type	_ZN2at6native12_GLOBAL__N_123cunn_SoftMaxForwardSmemILi4EfffNS1_25LogSoftMaxForwardEpilogueElEEvPT2_PKT0_T4_,@function
_ZN2at6native12_GLOBAL__N_123cunn_SoftMaxForwardSmemILi4EfffNS1_25LogSoftMaxForwardEpilogueElEEvPT2_PKT0_T4_: ; @_ZN2at6native12_GLOBAL__N_123cunn_SoftMaxForwardSmemILi4EfffNS1_25LogSoftMaxForwardEpilogueElEEvPT2_PKT0_T4_
; %bb.0:
	s_clause 0x1
	s_load_dwordx2 s[12:13], s[4:5], 0x10
	s_load_dwordx4 s[8:11], s[4:5], 0x0
	v_mov_b32_e32 v1, 0
	v_lshlrev_b32_e32 v2, 2, v0
	v_mov_b32_e32 v8, 0xff7fffff
	v_lshlrev_b32_e32 v6, 4, v0
	s_mov_b32 s2, 0
	v_mov_b32_e32 v3, v1
	s_waitcnt lgkmcnt(0)
	v_cmp_gt_i64_e32 vcc_lo, s[12:13], v[2:3]
	s_mul_i32 s14, s13, s6
	s_mul_hi_u32 s15, s12, s6
	s_mul_i32 s6, s12, s6
	s_and_saveexec_b32 s3, vcc_lo
	s_cbranch_execz .LBB68_4
; %bb.1:
	s_load_dword s0, s[4:5], 0x24
	s_add_i32 s7, s15, s14
	v_mov_b32_e32 v5, v1
	v_add_nc_u32_e32 v7, 0, v6
	v_mov_b32_e32 v8, 0xff7fffff
	v_mov_b32_e32 v4, v0
	s_waitcnt lgkmcnt(0)
	s_and_b32 s16, s0, 0xffff
	s_lshl_b64 s[0:1], s[6:7], 2
	s_lshl_b32 s7, s16, 4
	s_add_u32 s0, s10, s0
	s_addc_u32 s1, s11, s1
	v_add_co_u32 v2, s0, s0, v6
	v_add_co_ci_u32_e64 v3, null, s1, 0, s0
	v_add_co_u32 v2, s0, v2, 8
	v_add_co_ci_u32_e64 v3, null, 0, v3, s0
	.p2align	6
.LBB68_2:                               ; =>This Inner Loop Header: Depth=1
	global_load_dwordx4 v[9:12], v[2:3], off offset:-8
	v_add_co_u32 v4, s0, v4, s16
	v_add_co_ci_u32_e64 v5, null, 0, v5, s0
	v_add_co_u32 v2, s0, v2, s7
	v_add_co_ci_u32_e64 v3, null, 0, v3, s0
	v_lshlrev_b64 v[13:14], 2, v[4:5]
	v_cmp_le_i64_e64 s1, s[12:13], v[13:14]
	s_or_b32 s2, s1, s2
	s_waitcnt vmcnt(0)
	v_max3_f32 v8, v8, v9, v10
	ds_write_b128 v7, v[9:12]
	v_add_nc_u32_e32 v7, s7, v7
	v_max3_f32 v8, v8, v11, v12
	s_andn2_b32 exec_lo, exec_lo, s2
	s_cbranch_execnz .LBB68_2
; %bb.3:
	s_or_b32 exec_lo, exec_lo, s2
.LBB68_4:
	s_or_b32 exec_lo, exec_lo, s3
	v_mbcnt_lo_u32_b32 v2, -1, 0
	v_lshrrev_b32_e32 v11, 3, v0
	s_lshl_b32 s1, s12, 2
	s_waitcnt lgkmcnt(0)
	s_add_i32 s7, s1, 0
	v_lshl_or_b32 v5, v2, 2, 64
	v_cmp_gt_u32_e64 s0, 24, v2
	s_barrier
	buffer_gl0_inv
	ds_bpermute_b32 v3, v5, v8
	v_cndmask_b32_e64 v4, 0, 8, s0
	v_add_lshl_u32 v7, v4, v2, 2
	s_waitcnt lgkmcnt(0)
	v_cmp_lt_f32_e64 s0, v8, v3
	v_cndmask_b32_e64 v3, v8, v3, s0
	v_cmp_gt_u32_e64 s0, 28, v2
	ds_bpermute_b32 v4, v7, v3
	v_cndmask_b32_e64 v8, 0, 4, s0
	v_add_lshl_u32 v8, v8, v2, 2
	s_waitcnt lgkmcnt(0)
	v_cmp_lt_f32_e64 s0, v3, v4
	v_cndmask_b32_e64 v3, v3, v4, s0
	v_cmp_gt_u32_e64 s0, 30, v2
	ds_bpermute_b32 v4, v8, v3
	v_cndmask_b32_e64 v9, 0, 2, s0
	v_add_lshl_u32 v9, v9, v2, 2
	s_waitcnt lgkmcnt(0)
	v_cmp_lt_f32_e64 s0, v3, v4
	v_cndmask_b32_e64 v3, v3, v4, s0
	v_cmp_ne_u32_e64 s0, 31, v2
	ds_bpermute_b32 v4, v9, v3
	v_add_co_ci_u32_e64 v10, null, 0, v2, s0
	v_lshlrev_b32_e32 v10, 2, v10
	s_waitcnt lgkmcnt(0)
	v_cmp_lt_f32_e64 s0, v3, v4
	v_cndmask_b32_e64 v2, v3, v4, s0
	v_and_b32_e32 v3, 31, v0
	ds_bpermute_b32 v4, v10, v2
	v_cmp_eq_u32_e64 s0, 0, v3
	s_and_saveexec_b32 s2, s0
	s_cbranch_execz .LBB68_6
; %bb.5:
	s_waitcnt lgkmcnt(0)
	v_cmp_lt_f32_e64 s1, v2, v4
	v_add_nc_u32_e32 v12, s7, v11
	v_cndmask_b32_e64 v2, v2, v4, s1
	ds_write_b32 v12, v2
.LBB68_6:
	s_or_b32 exec_lo, exec_lo, s2
	s_waitcnt lgkmcnt(0)
	s_barrier
	buffer_gl0_inv
	s_load_dword s4, s[4:5], 0x24
	v_mov_b32_e32 v2, 0xff7fffff
	v_lshl_add_u32 v12, v3, 2, s7
	s_waitcnt lgkmcnt(0)
	s_bfe_u32 s1, s4, 0xb0005
	v_cmp_gt_u32_e64 s1, s1, v0
	s_and_saveexec_b32 s2, s1
	s_cbranch_execnz .LBB68_24
; %bb.7:
	s_or_b32 exec_lo, exec_lo, s2
	v_cmp_gt_u32_e64 s2, 32, v0
	s_and_saveexec_b32 s5, s2
	s_cbranch_execnz .LBB68_25
.LBB68_8:
	s_or_b32 exec_lo, exec_lo, s5
	v_cmp_eq_u32_e64 s3, 0, v0
	s_and_saveexec_b32 s5, s3
	s_cbranch_execz .LBB68_10
.LBB68_9:
	v_mov_b32_e32 v3, s7
	s_waitcnt lgkmcnt(0)
	ds_write_b32 v3, v2
.LBB68_10:
	s_or_b32 exec_lo, exec_lo, s5
	s_waitcnt lgkmcnt(0)
	v_mov_b32_e32 v2, s7
	s_barrier
	buffer_gl0_inv
	v_mov_b32_e32 v13, 0
	ds_read_b32 v4, v2
	s_and_b32 s5, 0xffff, s4
	s_and_saveexec_b32 s10, vcc_lo
	s_cbranch_execz .LBB68_14
; %bb.11:
	v_mov_b32_e32 v3, v1
	v_lshl_add_u32 v14, v0, 4, 0
	v_mov_b32_e32 v13, 0
	v_mov_b32_e32 v2, v0
	s_mov_b32 s11, 0
	s_lshl_b32 s16, s5, 4
.LBB68_12:                              ; =>This Inner Loop Header: Depth=1
	ds_read_b128 v[15:18], v14
	v_add_co_u32 v2, s4, v2, s5
	v_add_co_ci_u32_e64 v3, null, 0, v3, s4
	v_add_nc_u32_e32 v14, s16, v14
	v_lshlrev_b64 v[19:20], 2, v[2:3]
	s_waitcnt lgkmcnt(0)
	v_sub_f32_e32 v15, v15, v4
	v_sub_f32_e32 v16, v16, v4
	;; [unrolled: 1-line block ×4, first 2 shown]
	v_mul_f32_e32 v21, 0x3fb8aa3b, v15
	v_mul_f32_e32 v22, 0x3fb8aa3b, v16
	;; [unrolled: 1-line block ×4, first 2 shown]
	v_cmp_ngt_f32_e64 s4, 0xc2ce8ed0, v15
	v_fma_f32 v25, 0x3fb8aa3b, v15, -v21
	v_rndne_f32_e32 v26, v21
	v_fma_f32 v27, 0x3fb8aa3b, v16, -v22
	v_rndne_f32_e32 v28, v22
	v_fma_f32 v29, 0x3fb8aa3b, v17, -v23
	v_fmac_f32_e32 v25, 0x32a5705f, v15
	v_sub_f32_e32 v21, v21, v26
	v_fmac_f32_e32 v27, 0x32a5705f, v16
	v_sub_f32_e32 v22, v22, v28
	v_rndne_f32_e32 v30, v23
	v_cvt_i32_f32_e32 v26, v26
	v_add_f32_e32 v21, v21, v25
	v_fmac_f32_e32 v29, 0x32a5705f, v17
	v_add_f32_e32 v22, v22, v27
	v_sub_f32_e32 v23, v23, v30
	v_fma_f32 v31, 0x3fb8aa3b, v18, -v24
	v_exp_f32_e32 v21, v21
	v_rndne_f32_e32 v32, v24
	v_exp_f32_e32 v22, v22
	v_cvt_i32_f32_e32 v28, v28
	v_add_f32_e32 v23, v23, v29
	v_fmac_f32_e32 v31, 0x32a5705f, v18
	v_sub_f32_e32 v24, v24, v32
	v_cvt_i32_f32_e32 v30, v30
	v_cvt_i32_f32_e32 v32, v32
	v_exp_f32_e32 v23, v23
	v_ldexp_f32 v21, v21, v26
	v_add_f32_e32 v24, v24, v31
	v_ldexp_f32 v22, v22, v28
	v_cndmask_b32_e64 v21, 0, v21, s4
	v_cmp_ngt_f32_e64 s4, 0xc2ce8ed0, v16
	v_exp_f32_e32 v24, v24
	v_ldexp_f32 v23, v23, v30
	v_cndmask_b32_e64 v22, 0, v22, s4
	v_cmp_nlt_f32_e64 s4, 0x42b17218, v15
	v_ldexp_f32 v24, v24, v32
	v_cndmask_b32_e64 v15, 0x7f800000, v21, s4
	v_cmp_ngt_f32_e64 s4, 0xc2ce8ed0, v17
	v_add_f32_e32 v13, v13, v15
	v_cndmask_b32_e64 v21, 0, v23, s4
	v_cmp_nlt_f32_e64 s4, 0x42b17218, v16
	v_cndmask_b32_e64 v16, 0x7f800000, v22, s4
	v_cmp_ngt_f32_e64 s4, 0xc2ce8ed0, v18
	v_add_f32_e32 v13, v13, v16
	v_cndmask_b32_e64 v15, 0, v24, s4
	v_cmp_nlt_f32_e64 s4, 0x42b17218, v17
	v_cndmask_b32_e64 v17, 0x7f800000, v21, s4
	v_cmp_nlt_f32_e64 s4, 0x42b17218, v18
	v_add_f32_e32 v13, v13, v17
	v_cndmask_b32_e64 v15, 0x7f800000, v15, s4
	v_cmp_le_i64_e64 s4, s[12:13], v[19:20]
	v_add_f32_e32 v13, v13, v15
	s_or_b32 s11, s4, s11
	s_andn2_b32 exec_lo, exec_lo, s11
	s_cbranch_execnz .LBB68_12
; %bb.13:
	s_or_b32 exec_lo, exec_lo, s11
.LBB68_14:
	s_or_b32 exec_lo, exec_lo, s10
	ds_bpermute_b32 v2, v5, v13
	s_waitcnt lgkmcnt(0)
	s_barrier
	buffer_gl0_inv
	v_add_f32_e32 v2, v13, v2
	ds_bpermute_b32 v3, v7, v2
	s_waitcnt lgkmcnt(0)
	v_add_f32_e32 v2, v2, v3
	ds_bpermute_b32 v3, v8, v2
	s_waitcnt lgkmcnt(0)
	;; [unrolled: 3-line block ×3, first 2 shown]
	v_add_f32_e32 v2, v2, v3
	ds_bpermute_b32 v3, v10, v2
	s_and_saveexec_b32 s4, s0
	s_cbranch_execz .LBB68_16
; %bb.15:
	v_add_nc_u32_e32 v11, s7, v11
	s_waitcnt lgkmcnt(0)
	v_add_f32_e32 v2, v2, v3
	ds_write_b32 v11, v2
.LBB68_16:
	s_or_b32 exec_lo, exec_lo, s4
	v_mov_b32_e32 v2, 0
	s_waitcnt lgkmcnt(0)
	s_barrier
	buffer_gl0_inv
	s_and_saveexec_b32 s0, s1
	s_cbranch_execnz .LBB68_26
; %bb.17:
	s_or_b32 exec_lo, exec_lo, s0
	s_and_saveexec_b32 s0, s2
	s_cbranch_execnz .LBB68_27
.LBB68_18:
	s_or_b32 exec_lo, exec_lo, s0
	s_and_saveexec_b32 s0, s3
	s_cbranch_execz .LBB68_20
.LBB68_19:
	v_mov_b32_e32 v3, s7
	s_waitcnt lgkmcnt(0)
	ds_write_b32 v3, v2
.LBB68_20:
	s_or_b32 exec_lo, exec_lo, s0
	s_waitcnt lgkmcnt(0)
	s_barrier
	buffer_gl0_inv
	s_and_saveexec_b32 s0, vcc_lo
	s_cbranch_execz .LBB68_23
; %bb.21:
	v_mov_b32_e32 v2, s7
	ds_read_b32 v2, v2
	s_waitcnt lgkmcnt(0)
	v_cmp_gt_f32_e32 vcc_lo, 0x800000, v2
	s_and_b32 s0, vcc_lo, exec_lo
	s_cselect_b32 s0, 32, 0
	s_add_i32 s7, s15, s14
	v_ldexp_f32 v2, v2, s0
	v_cndmask_b32_e64 v3, 0, 0x41b17218, vcc_lo
	s_lshl_b64 s[2:3], s[6:7], 2
	s_lshl_b32 s1, s5, 4
	s_add_u32 s0, s8, s2
	v_log_f32_e32 v2, v2
	s_addc_u32 s2, s9, s3
	v_mul_f32_e32 v5, 0x3f317217, v2
	v_cmp_gt_f32_e64 vcc_lo, 0x7f800000, |v2|
	v_fma_f32 v5, 0x3f317217, v2, -v5
	v_fmamk_f32 v7, v2, 0x3377d1cf, v5
	v_add_nc_u32_e32 v5, 0, v6
	v_fmac_f32_e32 v7, 0x3f317217, v2
	v_cndmask_b32_e32 v2, v2, v7, vcc_lo
	v_add_co_u32 v7, s0, s0, v6
	v_add_co_ci_u32_e64 v8, null, s2, 0, s0
	v_sub_f32_e32 v6, v2, v3
	v_add_co_u32 v2, vcc_lo, v7, 8
	v_add_co_ci_u32_e64 v3, null, 0, v8, vcc_lo
	s_mov_b32 s2, 0
	.p2align	6
.LBB68_22:                              ; =>This Inner Loop Header: Depth=1
	ds_read_b128 v[7:10], v5
	v_add_co_u32 v0, vcc_lo, v0, s5
	v_add_co_ci_u32_e64 v1, null, 0, v1, vcc_lo
	v_add_nc_u32_e32 v5, s1, v5
	v_lshlrev_b64 v[11:12], 2, v[0:1]
	v_cmp_le_i64_e32 vcc_lo, s[12:13], v[11:12]
	s_or_b32 s2, vcc_lo, s2
	s_waitcnt lgkmcnt(0)
	v_sub_f32_e32 v7, v7, v4
	v_sub_f32_e32 v8, v8, v4
	;; [unrolled: 1-line block ×8, first 2 shown]
	global_store_dwordx4 v[2:3], v[7:10], off offset:-8
	v_add_co_u32 v2, s0, v2, s1
	v_add_co_ci_u32_e64 v3, null, 0, v3, s0
	s_andn2_b32 exec_lo, exec_lo, s2
	s_cbranch_execnz .LBB68_22
.LBB68_23:
	s_endpgm
.LBB68_24:
	ds_read_b32 v2, v12
	s_or_b32 exec_lo, exec_lo, s2
	v_cmp_gt_u32_e64 s2, 32, v0
	s_and_saveexec_b32 s5, s2
	s_cbranch_execz .LBB68_8
.LBB68_25:
	s_waitcnt lgkmcnt(0)
	ds_bpermute_b32 v3, v5, v2
	s_waitcnt lgkmcnt(0)
	v_cmp_lt_f32_e64 s3, v2, v3
	v_cndmask_b32_e64 v2, v2, v3, s3
	ds_bpermute_b32 v3, v7, v2
	s_waitcnt lgkmcnt(0)
	v_cmp_lt_f32_e64 s3, v2, v3
	v_cndmask_b32_e64 v2, v2, v3, s3
	ds_bpermute_b32 v3, v8, v2
	s_waitcnt lgkmcnt(0)
	v_cmp_lt_f32_e64 s3, v2, v3
	v_cndmask_b32_e64 v2, v2, v3, s3
	ds_bpermute_b32 v3, v9, v2
	s_waitcnt lgkmcnt(0)
	v_cmp_lt_f32_e64 s3, v2, v3
	v_cndmask_b32_e64 v2, v2, v3, s3
	ds_bpermute_b32 v3, v10, v2
	s_waitcnt lgkmcnt(0)
	v_cmp_lt_f32_e64 s3, v2, v3
	v_cndmask_b32_e64 v2, v2, v3, s3
	s_or_b32 exec_lo, exec_lo, s5
	v_cmp_eq_u32_e64 s3, 0, v0
	s_and_saveexec_b32 s5, s3
	s_cbranch_execnz .LBB68_9
	s_branch .LBB68_10
.LBB68_26:
	ds_read_b32 v2, v12
	s_or_b32 exec_lo, exec_lo, s0
	s_and_saveexec_b32 s0, s2
	s_cbranch_execz .LBB68_18
.LBB68_27:
	s_waitcnt lgkmcnt(0)
	ds_bpermute_b32 v3, v5, v2
	s_waitcnt lgkmcnt(0)
	v_add_f32_e32 v2, v2, v3
	ds_bpermute_b32 v3, v7, v2
	s_waitcnt lgkmcnt(0)
	v_add_f32_e32 v2, v2, v3
	ds_bpermute_b32 v3, v8, v2
	s_waitcnt lgkmcnt(0)
	v_add_f32_e32 v2, v2, v3
	ds_bpermute_b32 v3, v9, v2
	s_waitcnt lgkmcnt(0)
	v_add_f32_e32 v2, v2, v3
	ds_bpermute_b32 v3, v10, v2
	s_waitcnt lgkmcnt(0)
	v_add_f32_e32 v2, v2, v3
	s_or_b32 exec_lo, exec_lo, s0
	s_and_saveexec_b32 s0, s3
	s_cbranch_execnz .LBB68_19
	s_branch .LBB68_20
	.section	.rodata,"a",@progbits
	.p2align	6, 0x0
	.amdhsa_kernel _ZN2at6native12_GLOBAL__N_123cunn_SoftMaxForwardSmemILi4EfffNS1_25LogSoftMaxForwardEpilogueElEEvPT2_PKT0_T4_
		.amdhsa_group_segment_fixed_size 0
		.amdhsa_private_segment_fixed_size 0
		.amdhsa_kernarg_size 280
		.amdhsa_user_sgpr_count 6
		.amdhsa_user_sgpr_private_segment_buffer 1
		.amdhsa_user_sgpr_dispatch_ptr 0
		.amdhsa_user_sgpr_queue_ptr 0
		.amdhsa_user_sgpr_kernarg_segment_ptr 1
		.amdhsa_user_sgpr_dispatch_id 0
		.amdhsa_user_sgpr_flat_scratch_init 0
		.amdhsa_user_sgpr_private_segment_size 0
		.amdhsa_wavefront_size32 1
		.amdhsa_uses_dynamic_stack 0
		.amdhsa_system_sgpr_private_segment_wavefront_offset 0
		.amdhsa_system_sgpr_workgroup_id_x 1
		.amdhsa_system_sgpr_workgroup_id_y 0
		.amdhsa_system_sgpr_workgroup_id_z 0
		.amdhsa_system_sgpr_workgroup_info 0
		.amdhsa_system_vgpr_workitem_id 0
		.amdhsa_next_free_vgpr 33
		.amdhsa_next_free_sgpr 17
		.amdhsa_reserve_vcc 1
		.amdhsa_reserve_flat_scratch 0
		.amdhsa_float_round_mode_32 0
		.amdhsa_float_round_mode_16_64 0
		.amdhsa_float_denorm_mode_32 3
		.amdhsa_float_denorm_mode_16_64 3
		.amdhsa_dx10_clamp 1
		.amdhsa_ieee_mode 1
		.amdhsa_fp16_overflow 0
		.amdhsa_workgroup_processor_mode 1
		.amdhsa_memory_ordered 1
		.amdhsa_forward_progress 1
		.amdhsa_shared_vgpr_count 0
		.amdhsa_exception_fp_ieee_invalid_op 0
		.amdhsa_exception_fp_denorm_src 0
		.amdhsa_exception_fp_ieee_div_zero 0
		.amdhsa_exception_fp_ieee_overflow 0
		.amdhsa_exception_fp_ieee_underflow 0
		.amdhsa_exception_fp_ieee_inexact 0
		.amdhsa_exception_int_div_zero 0
	.end_amdhsa_kernel
	.section	.text._ZN2at6native12_GLOBAL__N_123cunn_SoftMaxForwardSmemILi4EfffNS1_25LogSoftMaxForwardEpilogueElEEvPT2_PKT0_T4_,"axG",@progbits,_ZN2at6native12_GLOBAL__N_123cunn_SoftMaxForwardSmemILi4EfffNS1_25LogSoftMaxForwardEpilogueElEEvPT2_PKT0_T4_,comdat
.Lfunc_end68:
	.size	_ZN2at6native12_GLOBAL__N_123cunn_SoftMaxForwardSmemILi4EfffNS1_25LogSoftMaxForwardEpilogueElEEvPT2_PKT0_T4_, .Lfunc_end68-_ZN2at6native12_GLOBAL__N_123cunn_SoftMaxForwardSmemILi4EfffNS1_25LogSoftMaxForwardEpilogueElEEvPT2_PKT0_T4_
                                        ; -- End function
	.set _ZN2at6native12_GLOBAL__N_123cunn_SoftMaxForwardSmemILi4EfffNS1_25LogSoftMaxForwardEpilogueElEEvPT2_PKT0_T4_.num_vgpr, 33
	.set _ZN2at6native12_GLOBAL__N_123cunn_SoftMaxForwardSmemILi4EfffNS1_25LogSoftMaxForwardEpilogueElEEvPT2_PKT0_T4_.num_agpr, 0
	.set _ZN2at6native12_GLOBAL__N_123cunn_SoftMaxForwardSmemILi4EfffNS1_25LogSoftMaxForwardEpilogueElEEvPT2_PKT0_T4_.numbered_sgpr, 17
	.set _ZN2at6native12_GLOBAL__N_123cunn_SoftMaxForwardSmemILi4EfffNS1_25LogSoftMaxForwardEpilogueElEEvPT2_PKT0_T4_.num_named_barrier, 0
	.set _ZN2at6native12_GLOBAL__N_123cunn_SoftMaxForwardSmemILi4EfffNS1_25LogSoftMaxForwardEpilogueElEEvPT2_PKT0_T4_.private_seg_size, 0
	.set _ZN2at6native12_GLOBAL__N_123cunn_SoftMaxForwardSmemILi4EfffNS1_25LogSoftMaxForwardEpilogueElEEvPT2_PKT0_T4_.uses_vcc, 1
	.set _ZN2at6native12_GLOBAL__N_123cunn_SoftMaxForwardSmemILi4EfffNS1_25LogSoftMaxForwardEpilogueElEEvPT2_PKT0_T4_.uses_flat_scratch, 0
	.set _ZN2at6native12_GLOBAL__N_123cunn_SoftMaxForwardSmemILi4EfffNS1_25LogSoftMaxForwardEpilogueElEEvPT2_PKT0_T4_.has_dyn_sized_stack, 0
	.set _ZN2at6native12_GLOBAL__N_123cunn_SoftMaxForwardSmemILi4EfffNS1_25LogSoftMaxForwardEpilogueElEEvPT2_PKT0_T4_.has_recursion, 0
	.set _ZN2at6native12_GLOBAL__N_123cunn_SoftMaxForwardSmemILi4EfffNS1_25LogSoftMaxForwardEpilogueElEEvPT2_PKT0_T4_.has_indirect_call, 0
	.section	.AMDGPU.csdata,"",@progbits
; Kernel info:
; codeLenInByte = 2160
; TotalNumSgprs: 19
; NumVgprs: 33
; ScratchSize: 0
; MemoryBound: 0
; FloatMode: 240
; IeeeMode: 1
; LDSByteSize: 0 bytes/workgroup (compile time only)
; SGPRBlocks: 0
; VGPRBlocks: 4
; NumSGPRsForWavesPerEU: 19
; NumVGPRsForWavesPerEU: 33
; Occupancy: 16
; WaveLimiterHint : 0
; COMPUTE_PGM_RSRC2:SCRATCH_EN: 0
; COMPUTE_PGM_RSRC2:USER_SGPR: 6
; COMPUTE_PGM_RSRC2:TRAP_HANDLER: 0
; COMPUTE_PGM_RSRC2:TGID_X_EN: 1
; COMPUTE_PGM_RSRC2:TGID_Y_EN: 0
; COMPUTE_PGM_RSRC2:TGID_Z_EN: 0
; COMPUTE_PGM_RSRC2:TIDIG_COMP_CNT: 0
	.section	.text._ZN2at6native12_GLOBAL__N_119cunn_SoftMaxForwardILi4EfffNS1_25LogSoftMaxForwardEpilogueEEEvPT2_PKT0_i,"axG",@progbits,_ZN2at6native12_GLOBAL__N_119cunn_SoftMaxForwardILi4EfffNS1_25LogSoftMaxForwardEpilogueEEEvPT2_PKT0_i,comdat
	.globl	_ZN2at6native12_GLOBAL__N_119cunn_SoftMaxForwardILi4EfffNS1_25LogSoftMaxForwardEpilogueEEEvPT2_PKT0_i ; -- Begin function _ZN2at6native12_GLOBAL__N_119cunn_SoftMaxForwardILi4EfffNS1_25LogSoftMaxForwardEpilogueEEEvPT2_PKT0_i
	.p2align	8
	.type	_ZN2at6native12_GLOBAL__N_119cunn_SoftMaxForwardILi4EfffNS1_25LogSoftMaxForwardEpilogueEEEvPT2_PKT0_i,@function
_ZN2at6native12_GLOBAL__N_119cunn_SoftMaxForwardILi4EfffNS1_25LogSoftMaxForwardEpilogueEEEvPT2_PKT0_i: ; @_ZN2at6native12_GLOBAL__N_119cunn_SoftMaxForwardILi4EfffNS1_25LogSoftMaxForwardEpilogueEEEvPT2_PKT0_i
; %bb.0:
	s_clause 0x1
	s_load_dword s7, s[4:5], 0x10
	s_load_dwordx4 s[8:11], s[4:5], 0x0
	s_mov_b32 s13, 0
	s_waitcnt lgkmcnt(0)
	s_ashr_i32 s0, s7, 31
	s_mul_hi_u32 s1, s7, s6
	s_mul_i32 s2, s0, s6
	s_mul_i32 s0, s7, s6
	s_add_i32 s1, s1, s2
	s_lshl_b64 s[14:15], s[0:1], 2
	s_add_u32 s10, s10, s14
	s_addc_u32 s11, s11, s15
	s_bfe_u32 s12, s10, 0x20002
	s_cmp_lg_u32 s12, 0
	s_cselect_b32 s18, -1, 0
	s_add_u32 s2, s4, 24
	s_addc_u32 s3, s5, 0
	s_and_b32 vcc_lo, exec_lo, s18
	s_cbranch_vccz .LBB69_25
; %bb.1:
	s_lshl_b64 s[0:1], s[12:13], 2
	v_cmp_le_u32_e32 vcc_lo, s12, v0
	s_sub_u32 s16, s10, s0
	s_subb_u32 s17, s11, s1
	s_add_i32 s1, s12, s7
	v_mov_b32_e32 v4, 0xff7fffff
	v_cmp_gt_i32_e64 s0, s1, v0
	s_and_b32 s2, vcc_lo, s0
	s_and_saveexec_b32 s0, s2
	s_cbranch_execz .LBB69_3
; %bb.2:
	v_lshlrev_b32_e32 v1, 2, v0
	global_load_dword v1, v1, s[16:17]
	s_waitcnt vmcnt(0)
	v_max_f32_e32 v1, v1, v1
	v_max_f32_e32 v4, 0xff7fffff, v1
.LBB69_3:
	s_or_b32 exec_lo, exec_lo, s0
	s_load_dword s0, s[4:5], 0x24
	s_add_u32 s2, s4, 24
	s_addc_u32 s3, s5, 0
	s_waitcnt lgkmcnt(0)
	s_and_b32 s0, s0, 0xffff
	v_sub_nc_u32_e64 v1, s1, s0 clamp
	s_lshl_b32 s0, s0, 2
	s_add_u32 s0, s16, s0
	s_addc_u32 s1, s17, 0
	v_readfirstlane_b32 s13, v1
	s_branch .LBB69_5
.LBB69_4:
	v_mov_b32_e32 v4, 0xff7fffff
	s_mov_b32 s13, s7
	s_mov_b64 s[0:1], s[10:11]
.LBB69_5:
	s_load_dword s16, s[2:3], 0x0
	v_mov_b32_e32 v1, 0
	v_lshlrev_b32_e32 v3, 2, v0
	s_waitcnt lgkmcnt(0)
	s_cmp_lt_u32 s6, s16
	s_cselect_b32 s16, 12, 18
	s_add_u32 s2, s2, s16
	s_addc_u32 s3, s3, 0
	global_load_ushort v5, v1, s[2:3]
	s_waitcnt vmcnt(0)
	v_readfirstlane_b32 s2, v5
	s_lshl_b32 s2, s2, 2
	v_cvt_f32_u32_e32 v1, s2
	s_sub_i32 s16, 0, s2
	v_rcp_iflag_f32_e32 v1, v1
	v_mul_f32_e32 v1, 0x4f7ffffe, v1
	v_cvt_u32_f32_e32 v1, v1
	v_readfirstlane_b32 s3, v1
	s_mul_i32 s16, s16, s3
	s_mul_hi_u32 s16, s3, s16
	s_add_i32 s3, s3, s16
	s_mul_hi_u32 s3, s13, s3
	s_mul_i32 s3, s3, s2
	s_sub_i32 s3, s13, s3
	s_sub_i32 s16, s3, s2
	s_cmp_ge_u32 s3, s2
	s_cselect_b32 s3, s16, s3
	s_sub_i32 s16, s3, s2
	s_cmp_ge_u32 s3, s2
	s_cselect_b32 s2, s16, s3
	s_mov_b32 s16, 0
	s_sub_i32 s2, s13, s2
	s_mov_b32 s3, exec_lo
	v_cmpx_gt_i32_e64 s2, v3
	s_cbranch_execz .LBB69_9
; %bb.6:
	v_mov_b32_e32 v1, v0
	.p2align	6
.LBB69_7:                               ; =>This Inner Loop Header: Depth=1
	v_ashrrev_i32_e32 v2, 31, v1
	v_lshlrev_b64 v[6:7], 4, v[1:2]
	v_add_nc_u32_e32 v1, v1, v5
	v_lshlrev_b32_e32 v2, 2, v1
	v_add_co_u32 v6, vcc_lo, s0, v6
	v_add_co_ci_u32_e64 v7, null, s1, v7, vcc_lo
	v_cmp_le_i32_e32 vcc_lo, s2, v2
	global_load_dwordx4 v[6:9], v[6:7], off
	s_or_b32 s16, vcc_lo, s16
	s_waitcnt vmcnt(0)
	v_max3_f32 v4, v4, v6, v7
	v_max3_f32 v4, v4, v8, v9
	s_andn2_b32 exec_lo, exec_lo, s16
	s_cbranch_execnz .LBB69_7
; %bb.8:
	s_or_b32 exec_lo, exec_lo, s16
.LBB69_9:
	s_or_b32 exec_lo, exec_lo, s3
	v_add_nc_u32_e32 v1, s2, v0
	s_mov_b32 s2, exec_lo
	v_cmpx_gt_i32_e64 s13, v1
	s_cbranch_execz .LBB69_13
; %bb.10:
	s_mov_b32 s3, 0
	.p2align	6
.LBB69_11:                              ; =>This Inner Loop Header: Depth=1
	v_ashrrev_i32_e32 v2, 31, v1
	v_max_f32_e32 v4, v4, v4
	v_lshlrev_b64 v[6:7], 2, v[1:2]
	v_add_nc_u32_e32 v1, v1, v5
	v_add_co_u32 v6, vcc_lo, s0, v6
	v_add_co_ci_u32_e64 v7, null, s1, v7, vcc_lo
	v_cmp_le_i32_e32 vcc_lo, s13, v1
	global_load_dword v2, v[6:7], off
	s_or_b32 s3, vcc_lo, s3
	s_waitcnt vmcnt(0)
	v_max_f32_e32 v2, v2, v2
	v_max_f32_e32 v4, v4, v2
	s_andn2_b32 exec_lo, exec_lo, s3
	s_cbranch_execnz .LBB69_11
; %bb.12:
	s_or_b32 exec_lo, exec_lo, s3
.LBB69_13:
	s_or_b32 exec_lo, exec_lo, s2
	v_mbcnt_lo_u32_b32 v1, -1, 0
	v_lshrrev_b32_e32 v12, 3, v0
	s_barrier
	buffer_gl0_inv
	v_lshl_or_b32 v7, v1, 2, 64
	v_cmp_gt_u32_e32 vcc_lo, 24, v1
	ds_bpermute_b32 v2, v7, v4
	v_cndmask_b32_e64 v5, 0, 8, vcc_lo
	v_add_lshl_u32 v8, v5, v1, 2
	s_waitcnt lgkmcnt(0)
	v_cmp_lt_f32_e32 vcc_lo, v4, v2
	v_cndmask_b32_e32 v2, v4, v2, vcc_lo
	v_cmp_gt_u32_e32 vcc_lo, 28, v1
	ds_bpermute_b32 v4, v8, v2
	v_cndmask_b32_e64 v5, 0, 4, vcc_lo
	v_add_lshl_u32 v9, v5, v1, 2
	s_waitcnt lgkmcnt(0)
	v_cmp_lt_f32_e32 vcc_lo, v2, v4
	v_cndmask_b32_e32 v2, v2, v4, vcc_lo
	;; [unrolled: 7-line block ×3, first 2 shown]
	v_cmp_ne_u32_e32 vcc_lo, 31, v1
	ds_bpermute_b32 v4, v10, v2
	v_add_co_ci_u32_e64 v5, null, 0, v1, vcc_lo
	v_lshlrev_b32_e32 v11, 2, v5
	s_waitcnt lgkmcnt(0)
	v_cmp_lt_f32_e32 vcc_lo, v2, v4
	v_cndmask_b32_e32 v1, v2, v4, vcc_lo
	v_and_b32_e32 v2, 31, v0
	ds_bpermute_b32 v4, v11, v1
	v_cmp_eq_u32_e64 s0, 0, v2
	s_and_saveexec_b32 s1, s0
	s_cbranch_execz .LBB69_15
; %bb.14:
	s_waitcnt lgkmcnt(0)
	v_cmp_lt_f32_e32 vcc_lo, v1, v4
	v_add_nc_u32_e32 v5, 0, v12
	v_cndmask_b32_e32 v1, v1, v4, vcc_lo
	ds_write_b32 v5, v1
.LBB69_15:
	s_or_b32 exec_lo, exec_lo, s1
	s_waitcnt lgkmcnt(0)
	s_barrier
	buffer_gl0_inv
	s_load_dword s20, s[4:5], 0x24
	s_add_u32 s16, s4, 24
	s_addc_u32 s17, s5, 0
	v_mov_b32_e32 v1, 0xff7fffff
	v_lshl_add_u32 v13, v2, 2, 0
	s_waitcnt lgkmcnt(0)
	s_bfe_u32 s1, s20, 0xb0005
	v_cmp_gt_u32_e64 s1, s1, v0
	s_and_saveexec_b32 s2, s1
	s_cbranch_execnz .LBB69_23
; %bb.16:
	s_or_b32 exec_lo, exec_lo, s2
	v_cmp_gt_u32_e64 s2, 32, v0
	s_and_saveexec_b32 s3, s2
	s_cbranch_execnz .LBB69_24
.LBB69_17:
	s_or_b32 exec_lo, exec_lo, s3
	v_cmp_eq_u32_e64 s3, 0, v0
	s_and_saveexec_b32 s4, s3
	s_cbranch_execz .LBB69_19
.LBB69_18:
	v_mov_b32_e32 v2, 0
	s_waitcnt lgkmcnt(0)
	ds_write_b32 v2, v1
.LBB69_19:
	s_or_b32 exec_lo, exec_lo, s4
	v_mov_b32_e32 v14, 0
	s_waitcnt lgkmcnt(0)
	s_barrier
	buffer_gl0_inv
	v_cndmask_b32_e64 v6, 0, 1, s18
	ds_read_b32 v4, v14
	s_andn2_b32 vcc_lo, exec_lo, s18
	s_mov_b32 s13, 0
	s_cbranch_vccnz .LBB69_26
; %bb.20:
	s_lshl_b64 s[4:5], s[12:13], 2
	v_cmp_le_u32_e32 vcc_lo, s12, v0
	s_sub_u32 s18, s10, s4
	s_subb_u32 s19, s11, s5
	s_add_i32 s5, s12, s7
	v_mov_b32_e32 v14, 0
	v_cmp_gt_i32_e64 s4, s5, v0
	s_and_b32 s13, vcc_lo, s4
	s_and_saveexec_b32 s4, s13
	s_cbranch_execz .LBB69_22
; %bb.21:
	global_load_dword v1, v3, s[18:19]
	s_waitcnt vmcnt(0) lgkmcnt(0)
	v_sub_f32_e32 v1, v1, v4
	v_mul_f32_e32 v2, 0x3fb8aa3b, v1
	v_cmp_ngt_f32_e32 vcc_lo, 0xc2ce8ed0, v1
	v_fma_f32 v5, 0x3fb8aa3b, v1, -v2
	v_rndne_f32_e32 v14, v2
	v_fmamk_f32 v5, v1, 0x32a5705f, v5
	v_sub_f32_e32 v2, v2, v14
	v_add_f32_e32 v2, v2, v5
	v_cvt_i32_f32_e32 v5, v14
	v_exp_f32_e32 v2, v2
	v_ldexp_f32 v2, v2, v5
	v_cndmask_b32_e32 v2, 0, v2, vcc_lo
	v_cmp_nlt_f32_e32 vcc_lo, 0x42b17218, v1
	v_cndmask_b32_e32 v14, 0x7f800000, v2, vcc_lo
.LBB69_22:
	s_or_b32 exec_lo, exec_lo, s4
	s_and_b32 s4, 0xffff, s20
	v_sub_nc_u32_e64 v1, s5, s4 clamp
	s_lshl_b32 s4, s4, 2
	s_add_u32 s4, s18, s4
	s_addc_u32 s5, s19, 0
	v_readfirstlane_b32 s13, v1
	s_branch .LBB69_27
.LBB69_23:
	ds_read_b32 v1, v13
	s_or_b32 exec_lo, exec_lo, s2
	v_cmp_gt_u32_e64 s2, 32, v0
	s_and_saveexec_b32 s3, s2
	s_cbranch_execz .LBB69_17
.LBB69_24:
	s_waitcnt lgkmcnt(0)
	ds_bpermute_b32 v2, v7, v1
	s_waitcnt lgkmcnt(0)
	v_cmp_lt_f32_e32 vcc_lo, v1, v2
	v_cndmask_b32_e32 v1, v1, v2, vcc_lo
	ds_bpermute_b32 v2, v8, v1
	s_waitcnt lgkmcnt(0)
	v_cmp_lt_f32_e32 vcc_lo, v1, v2
	v_cndmask_b32_e32 v1, v1, v2, vcc_lo
	;; [unrolled: 4-line block ×5, first 2 shown]
	s_or_b32 exec_lo, exec_lo, s3
	v_cmp_eq_u32_e64 s3, 0, v0
	s_and_saveexec_b32 s4, s3
	s_cbranch_execnz .LBB69_18
	s_branch .LBB69_19
.LBB69_25:
                                        ; implicit-def: $sgpr0_sgpr1
                                        ; implicit-def: $sgpr13
                                        ; implicit-def: $vgpr4
	s_cbranch_execnz .LBB69_4
	s_branch .LBB69_5
.LBB69_26:
	s_mov_b64 s[4:5], s[10:11]
	s_mov_b32 s13, s7
.LBB69_27:
	s_load_dword s18, s[16:17], 0x0
	v_mov_b32_e32 v1, 0
	s_mov_b32 s19, 0
	s_waitcnt lgkmcnt(0)
	s_cmp_lt_u32 s6, s18
	s_cselect_b32 s6, 12, 18
	s_add_u32 s16, s16, s6
	s_addc_u32 s17, s17, 0
	global_load_ushort v5, v1, s[16:17]
	s_waitcnt vmcnt(0)
	v_readfirstlane_b32 s6, v5
	s_lshl_b32 s6, s6, 2
	v_cvt_f32_u32_e32 v1, s6
	s_sub_i32 s17, 0, s6
	v_rcp_iflag_f32_e32 v1, v1
	v_mul_f32_e32 v1, 0x4f7ffffe, v1
	v_cvt_u32_f32_e32 v1, v1
	v_readfirstlane_b32 s16, v1
	s_mul_i32 s17, s17, s16
	s_mul_hi_u32 s17, s16, s17
	s_add_i32 s16, s16, s17
	s_mul_hi_u32 s17, s13, s16
	s_mul_i32 s17, s17, s6
	s_sub_i32 s17, s13, s17
	s_sub_i32 s18, s17, s6
	s_cmp_ge_u32 s17, s6
	s_cselect_b32 s17, s18, s17
	s_sub_i32 s18, s17, s6
	s_cmp_ge_u32 s17, s6
	s_cselect_b32 s17, s18, s17
	s_mov_b32 s18, exec_lo
	s_sub_i32 s17, s13, s17
	v_cmpx_gt_i32_e64 s17, v3
	s_cbranch_execz .LBB69_31
; %bb.28:
	v_mov_b32_e32 v1, v0
.LBB69_29:                              ; =>This Inner Loop Header: Depth=1
	v_ashrrev_i32_e32 v2, 31, v1
	v_lshlrev_b64 v[15:16], 4, v[1:2]
	v_add_nc_u32_e32 v1, v1, v5
	v_add_co_u32 v15, vcc_lo, s4, v15
	v_add_co_ci_u32_e64 v16, null, s5, v16, vcc_lo
	global_load_dwordx4 v[15:18], v[15:16], off
	s_waitcnt vmcnt(0)
	v_sub_f32_e32 v2, v15, v4
	v_sub_f32_e32 v15, v16, v4
	;; [unrolled: 1-line block ×4, first 2 shown]
	v_mul_f32_e32 v18, 0x3fb8aa3b, v2
	v_mul_f32_e32 v19, 0x3fb8aa3b, v15
	;; [unrolled: 1-line block ×4, first 2 shown]
	v_cmp_ngt_f32_e32 vcc_lo, 0xc2ce8ed0, v2
	v_fma_f32 v22, 0x3fb8aa3b, v2, -v18
	v_rndne_f32_e32 v23, v18
	v_fma_f32 v24, 0x3fb8aa3b, v15, -v19
	v_rndne_f32_e32 v25, v19
	v_fma_f32 v26, 0x3fb8aa3b, v16, -v20
	v_fmac_f32_e32 v22, 0x32a5705f, v2
	v_sub_f32_e32 v18, v18, v23
	v_fmac_f32_e32 v24, 0x32a5705f, v15
	v_sub_f32_e32 v19, v19, v25
	v_rndne_f32_e32 v27, v20
	v_cvt_i32_f32_e32 v23, v23
	v_add_f32_e32 v18, v18, v22
	v_fmac_f32_e32 v26, 0x32a5705f, v16
	v_add_f32_e32 v19, v19, v24
	v_sub_f32_e32 v20, v20, v27
	v_fma_f32 v28, 0x3fb8aa3b, v17, -v21
	v_exp_f32_e32 v18, v18
	v_rndne_f32_e32 v29, v21
	v_exp_f32_e32 v19, v19
	v_cvt_i32_f32_e32 v25, v25
	v_add_f32_e32 v20, v20, v26
	v_fmac_f32_e32 v28, 0x32a5705f, v17
	v_sub_f32_e32 v21, v21, v29
	v_cvt_i32_f32_e32 v27, v27
	v_cvt_i32_f32_e32 v29, v29
	v_exp_f32_e32 v20, v20
	v_ldexp_f32 v18, v18, v23
	v_add_f32_e32 v21, v21, v28
	v_ldexp_f32 v19, v19, v25
	v_cndmask_b32_e32 v18, 0, v18, vcc_lo
	v_cmp_ngt_f32_e32 vcc_lo, 0xc2ce8ed0, v15
	v_exp_f32_e32 v21, v21
	v_ldexp_f32 v20, v20, v27
	v_cndmask_b32_e32 v19, 0, v19, vcc_lo
	v_cmp_nlt_f32_e32 vcc_lo, 0x42b17218, v2
	v_ldexp_f32 v21, v21, v29
	v_cndmask_b32_e32 v2, 0x7f800000, v18, vcc_lo
	v_cmp_ngt_f32_e32 vcc_lo, 0xc2ce8ed0, v16
	v_add_f32_e32 v2, v14, v2
	v_cndmask_b32_e32 v18, 0, v20, vcc_lo
	v_cmp_nlt_f32_e32 vcc_lo, 0x42b17218, v15
	v_cndmask_b32_e32 v15, 0x7f800000, v19, vcc_lo
	v_cmp_ngt_f32_e32 vcc_lo, 0xc2ce8ed0, v17
	v_add_f32_e32 v2, v2, v15
	v_cndmask_b32_e32 v14, 0, v21, vcc_lo
	v_cmp_nlt_f32_e32 vcc_lo, 0x42b17218, v16
	v_lshlrev_b32_e32 v15, 2, v1
	v_cndmask_b32_e32 v16, 0x7f800000, v18, vcc_lo
	v_cmp_nlt_f32_e32 vcc_lo, 0x42b17218, v17
	v_add_f32_e32 v2, v2, v16
	v_cndmask_b32_e32 v14, 0x7f800000, v14, vcc_lo
	v_cmp_le_i32_e32 vcc_lo, s17, v15
	v_add_f32_e32 v14, v2, v14
	s_or_b32 s19, vcc_lo, s19
	s_andn2_b32 exec_lo, exec_lo, s19
	s_cbranch_execnz .LBB69_29
; %bb.30:
	s_or_b32 exec_lo, exec_lo, s19
.LBB69_31:
	s_or_b32 exec_lo, exec_lo, s18
	v_add_nc_u32_e32 v1, s17, v0
	s_mov_b32 s17, exec_lo
	v_cmpx_gt_i32_e64 s13, v1
	s_cbranch_execz .LBB69_35
; %bb.32:
	s_mov_b32 s18, 0
	s_inst_prefetch 0x1
	.p2align	6
.LBB69_33:                              ; =>This Inner Loop Header: Depth=1
	v_ashrrev_i32_e32 v2, 31, v1
	v_lshlrev_b64 v[15:16], 2, v[1:2]
	v_add_nc_u32_e32 v1, v1, v5
	v_add_co_u32 v15, vcc_lo, s4, v15
	v_add_co_ci_u32_e64 v16, null, s5, v16, vcc_lo
	global_load_dword v2, v[15:16], off
	s_waitcnt vmcnt(0)
	v_sub_f32_e32 v2, v2, v4
	v_mul_f32_e32 v15, 0x3fb8aa3b, v2
	v_cmp_ngt_f32_e32 vcc_lo, 0xc2ce8ed0, v2
	v_fma_f32 v16, 0x3fb8aa3b, v2, -v15
	v_rndne_f32_e32 v17, v15
	v_fmac_f32_e32 v16, 0x32a5705f, v2
	v_sub_f32_e32 v15, v15, v17
	v_add_f32_e32 v15, v15, v16
	v_cvt_i32_f32_e32 v16, v17
	v_exp_f32_e32 v15, v15
	v_ldexp_f32 v15, v15, v16
	v_cndmask_b32_e32 v15, 0, v15, vcc_lo
	v_cmp_nlt_f32_e32 vcc_lo, 0x42b17218, v2
	v_cndmask_b32_e32 v2, 0x7f800000, v15, vcc_lo
	v_cmp_le_i32_e32 vcc_lo, s13, v1
	v_add_f32_e32 v14, v14, v2
	s_or_b32 s18, vcc_lo, s18
	s_andn2_b32 exec_lo, exec_lo, s18
	s_cbranch_execnz .LBB69_33
; %bb.34:
	s_inst_prefetch 0x2
	s_or_b32 exec_lo, exec_lo, s18
.LBB69_35:
	s_or_b32 exec_lo, exec_lo, s17
	ds_bpermute_b32 v1, v7, v14
	s_waitcnt lgkmcnt(0)
	s_barrier
	buffer_gl0_inv
	v_add_f32_e32 v1, v14, v1
	ds_bpermute_b32 v2, v8, v1
	s_waitcnt lgkmcnt(0)
	v_add_f32_e32 v1, v1, v2
	ds_bpermute_b32 v2, v9, v1
	s_waitcnt lgkmcnt(0)
	;; [unrolled: 3-line block ×3, first 2 shown]
	v_add_f32_e32 v1, v1, v2
	ds_bpermute_b32 v2, v11, v1
	s_and_saveexec_b32 s4, s0
	s_cbranch_execz .LBB69_37
; %bb.36:
	v_add_nc_u32_e32 v12, 0, v12
	s_waitcnt lgkmcnt(0)
	v_add_f32_e32 v1, v1, v2
	ds_write_b32 v12, v1
.LBB69_37:
	s_or_b32 exec_lo, exec_lo, s4
	v_mov_b32_e32 v1, 0
	s_waitcnt lgkmcnt(0)
	s_barrier
	buffer_gl0_inv
	s_and_saveexec_b32 s0, s1
	s_cbranch_execnz .LBB69_58
; %bb.38:
	s_or_b32 exec_lo, exec_lo, s0
	s_and_saveexec_b32 s0, s2
	s_cbranch_execnz .LBB69_59
.LBB69_39:
	s_or_b32 exec_lo, exec_lo, s0
	s_and_saveexec_b32 s0, s3
	s_cbranch_execz .LBB69_41
.LBB69_40:
	v_mov_b32_e32 v2, 0
	s_waitcnt lgkmcnt(0)
	ds_write_b32 v2, v1
.LBB69_41:
	s_or_b32 exec_lo, exec_lo, s0
	s_waitcnt lgkmcnt(0)
	v_mov_b32_e32 v1, 0
	s_barrier
	buffer_gl0_inv
	s_and_b32 s17, 0xffff, s20
	ds_read_b32 v1, v1
	s_add_u32 s1, s8, s14
	s_addc_u32 s5, s9, s15
	s_bfe_u32 s0, s1, 0x20002
	s_waitcnt lgkmcnt(0)
	v_cmp_gt_f32_e32 vcc_lo, 0x800000, v1
	s_and_b32 s2, vcc_lo, exec_lo
	s_cselect_b32 s2, 32, 0
	v_cndmask_b32_e64 v2, 0, 0x41b17218, vcc_lo
	v_ldexp_f32 v1, v1, s2
	s_cmp_lg_u32 s12, s0
	s_mov_b32 s0, -1
	v_log_f32_e32 v1, v1
	v_mul_f32_e32 v7, 0x3f317217, v1
	v_cmp_gt_f32_e64 vcc_lo, 0x7f800000, |v1|
	v_fma_f32 v7, 0x3f317217, v1, -v7
	v_fmamk_f32 v7, v1, 0x3377d1cf, v7
	v_fmac_f32_e32 v7, 0x3f317217, v1
	v_cndmask_b32_e32 v1, v1, v7, vcc_lo
	v_sub_f32_e32 v7, v1, v2
	s_cbranch_scc0 .LBB69_46
; %bb.42:
	s_mov_b32 s2, exec_lo
	v_cmpx_gt_i32_e64 s7, v0
	s_cbranch_execz .LBB69_45
; %bb.43:
	v_mov_b32_e32 v1, v0
	s_mov_b32 s3, 0
	.p2align	6
.LBB69_44:                              ; =>This Inner Loop Header: Depth=1
	v_ashrrev_i32_e32 v2, 31, v1
	v_lshlrev_b64 v[8:9], 2, v[1:2]
	v_add_nc_u32_e32 v1, s17, v1
	v_add_co_u32 v10, vcc_lo, s10, v8
	v_add_co_ci_u32_e64 v11, null, s11, v9, vcc_lo
	v_cmp_le_i32_e32 vcc_lo, s7, v1
	v_add_co_u32 v8, s0, s1, v8
	global_load_dword v2, v[10:11], off
	v_add_co_ci_u32_e64 v9, null, s5, v9, s0
	s_or_b32 s3, vcc_lo, s3
	s_waitcnt vmcnt(0)
	v_sub_f32_e32 v2, v2, v4
	v_sub_f32_e32 v2, v2, v7
	global_store_dword v[8:9], v2, off
	s_andn2_b32 exec_lo, exec_lo, s3
	s_cbranch_execnz .LBB69_44
.LBB69_45:
	s_or_b32 exec_lo, exec_lo, s2
	s_mov_b32 s0, 0
.LBB69_46:
	s_andn2_b32 vcc_lo, exec_lo, s0
	s_cbranch_vccnz .LBB69_57
; %bb.47:
	v_cmp_ne_u32_e32 vcc_lo, 1, v6
	s_cbranch_vccnz .LBB69_51
; %bb.48:
	s_mov_b32 s13, 0
	v_cmp_le_u32_e32 vcc_lo, s12, v0
	s_lshl_b64 s[8:9], s[12:13], 2
	s_sub_u32 s2, s10, s8
	s_subb_u32 s3, s11, s9
	s_sub_u32 s4, s1, s8
	s_subb_u32 s5, s5, s9
	s_add_i32 s1, s12, s7
	v_cmp_gt_i32_e64 s0, s1, v0
	s_and_b32 s7, vcc_lo, s0
	s_and_saveexec_b32 s0, s7
	s_cbranch_execz .LBB69_50
; %bb.49:
	global_load_dword v1, v3, s[2:3]
	s_waitcnt vmcnt(0)
	v_sub_f32_e32 v1, v1, v4
	v_sub_f32_e32 v1, v1, v7
	global_store_dword v3, v1, s[4:5]
.LBB69_50:
	s_or_b32 exec_lo, exec_lo, s0
	v_sub_nc_u32_e64 v1, s1, s17 clamp
	s_lshl_b32 s0, s17, 2
	s_add_u32 s10, s2, s0
	s_addc_u32 s11, s3, 0
	v_readfirstlane_b32 s7, v1
	s_add_u32 s1, s4, s0
	s_addc_u32 s5, s5, 0
.LBB69_51:
	s_mul_hi_u32 s0, s7, s16
	s_mov_b32 s3, exec_lo
	s_mul_i32 s0, s0, s6
	s_sub_i32 s0, s7, s0
	s_sub_i32 s2, s0, s6
	s_cmp_ge_u32 s0, s6
	s_cselect_b32 s0, s2, s0
	s_sub_i32 s2, s0, s6
	s_cmp_ge_u32 s0, s6
	s_cselect_b32 s0, s2, s0
	s_sub_i32 s2, s7, s0
	v_cmpx_gt_i32_e64 s2, v3
	s_cbranch_execz .LBB69_54
; %bb.52:
	v_mov_b32_e32 v1, v0
	s_mov_b32 s4, 0
	.p2align	6
.LBB69_53:                              ; =>This Inner Loop Header: Depth=1
	v_ashrrev_i32_e32 v2, 31, v1
	v_lshlrev_b64 v[2:3], 4, v[1:2]
	v_add_nc_u32_e32 v1, v1, v5
	v_lshlrev_b32_e32 v6, 2, v1
	v_add_co_u32 v8, vcc_lo, s10, v2
	v_add_co_ci_u32_e64 v9, null, s11, v3, vcc_lo
	v_cmp_le_i32_e32 vcc_lo, s2, v6
	v_add_co_u32 v2, s0, s1, v2
	global_load_dwordx4 v[8:11], v[8:9], off
	v_add_co_ci_u32_e64 v3, null, s5, v3, s0
	s_or_b32 s4, vcc_lo, s4
	s_waitcnt vmcnt(0)
	v_sub_f32_e32 v8, v8, v4
	v_sub_f32_e32 v9, v9, v4
	;; [unrolled: 1-line block ×8, first 2 shown]
	global_store_dwordx4 v[2:3], v[8:11], off
	s_andn2_b32 exec_lo, exec_lo, s4
	s_cbranch_execnz .LBB69_53
.LBB69_54:
	s_or_b32 exec_lo, exec_lo, s3
	v_add_nc_u32_e32 v0, s2, v0
	s_mov_b32 s0, exec_lo
	v_cmpx_gt_i32_e64 s7, v0
	s_cbranch_execz .LBB69_57
; %bb.55:
	s_mov_b32 s2, 0
	.p2align	6
.LBB69_56:                              ; =>This Inner Loop Header: Depth=1
	v_ashrrev_i32_e32 v1, 31, v0
	v_lshlrev_b64 v[1:2], 2, v[0:1]
	v_add_nc_u32_e32 v0, v0, v5
	v_add_co_u32 v8, vcc_lo, s10, v1
	v_add_co_ci_u32_e64 v9, null, s11, v2, vcc_lo
	v_cmp_le_i32_e32 vcc_lo, s7, v0
	v_add_co_u32 v1, s0, s1, v1
	global_load_dword v3, v[8:9], off
	v_add_co_ci_u32_e64 v2, null, s5, v2, s0
	s_or_b32 s2, vcc_lo, s2
	s_waitcnt vmcnt(0)
	v_sub_f32_e32 v3, v3, v4
	v_sub_f32_e32 v3, v3, v7
	global_store_dword v[1:2], v3, off
	s_andn2_b32 exec_lo, exec_lo, s2
	s_cbranch_execnz .LBB69_56
.LBB69_57:
	s_endpgm
.LBB69_58:
	ds_read_b32 v1, v13
	s_or_b32 exec_lo, exec_lo, s0
	s_and_saveexec_b32 s0, s2
	s_cbranch_execz .LBB69_39
.LBB69_59:
	s_waitcnt lgkmcnt(0)
	ds_bpermute_b32 v2, v7, v1
	s_waitcnt lgkmcnt(0)
	v_add_f32_e32 v1, v1, v2
	ds_bpermute_b32 v2, v8, v1
	s_waitcnt lgkmcnt(0)
	v_add_f32_e32 v1, v1, v2
	;; [unrolled: 3-line block ×5, first 2 shown]
	s_or_b32 exec_lo, exec_lo, s0
	s_and_saveexec_b32 s0, s3
	s_cbranch_execnz .LBB69_40
	s_branch .LBB69_41
	.section	.rodata,"a",@progbits
	.p2align	6, 0x0
	.amdhsa_kernel _ZN2at6native12_GLOBAL__N_119cunn_SoftMaxForwardILi4EfffNS1_25LogSoftMaxForwardEpilogueEEEvPT2_PKT0_i
		.amdhsa_group_segment_fixed_size 0
		.amdhsa_private_segment_fixed_size 0
		.amdhsa_kernarg_size 280
		.amdhsa_user_sgpr_count 6
		.amdhsa_user_sgpr_private_segment_buffer 1
		.amdhsa_user_sgpr_dispatch_ptr 0
		.amdhsa_user_sgpr_queue_ptr 0
		.amdhsa_user_sgpr_kernarg_segment_ptr 1
		.amdhsa_user_sgpr_dispatch_id 0
		.amdhsa_user_sgpr_flat_scratch_init 0
		.amdhsa_user_sgpr_private_segment_size 0
		.amdhsa_wavefront_size32 1
		.amdhsa_uses_dynamic_stack 0
		.amdhsa_system_sgpr_private_segment_wavefront_offset 0
		.amdhsa_system_sgpr_workgroup_id_x 1
		.amdhsa_system_sgpr_workgroup_id_y 0
		.amdhsa_system_sgpr_workgroup_id_z 0
		.amdhsa_system_sgpr_workgroup_info 0
		.amdhsa_system_vgpr_workitem_id 0
		.amdhsa_next_free_vgpr 30
		.amdhsa_next_free_sgpr 21
		.amdhsa_reserve_vcc 1
		.amdhsa_reserve_flat_scratch 0
		.amdhsa_float_round_mode_32 0
		.amdhsa_float_round_mode_16_64 0
		.amdhsa_float_denorm_mode_32 3
		.amdhsa_float_denorm_mode_16_64 3
		.amdhsa_dx10_clamp 1
		.amdhsa_ieee_mode 1
		.amdhsa_fp16_overflow 0
		.amdhsa_workgroup_processor_mode 1
		.amdhsa_memory_ordered 1
		.amdhsa_forward_progress 1
		.amdhsa_shared_vgpr_count 0
		.amdhsa_exception_fp_ieee_invalid_op 0
		.amdhsa_exception_fp_denorm_src 0
		.amdhsa_exception_fp_ieee_div_zero 0
		.amdhsa_exception_fp_ieee_overflow 0
		.amdhsa_exception_fp_ieee_underflow 0
		.amdhsa_exception_fp_ieee_inexact 0
		.amdhsa_exception_int_div_zero 0
	.end_amdhsa_kernel
	.section	.text._ZN2at6native12_GLOBAL__N_119cunn_SoftMaxForwardILi4EfffNS1_25LogSoftMaxForwardEpilogueEEEvPT2_PKT0_i,"axG",@progbits,_ZN2at6native12_GLOBAL__N_119cunn_SoftMaxForwardILi4EfffNS1_25LogSoftMaxForwardEpilogueEEEvPT2_PKT0_i,comdat
.Lfunc_end69:
	.size	_ZN2at6native12_GLOBAL__N_119cunn_SoftMaxForwardILi4EfffNS1_25LogSoftMaxForwardEpilogueEEEvPT2_PKT0_i, .Lfunc_end69-_ZN2at6native12_GLOBAL__N_119cunn_SoftMaxForwardILi4EfffNS1_25LogSoftMaxForwardEpilogueEEEvPT2_PKT0_i
                                        ; -- End function
	.set _ZN2at6native12_GLOBAL__N_119cunn_SoftMaxForwardILi4EfffNS1_25LogSoftMaxForwardEpilogueEEEvPT2_PKT0_i.num_vgpr, 30
	.set _ZN2at6native12_GLOBAL__N_119cunn_SoftMaxForwardILi4EfffNS1_25LogSoftMaxForwardEpilogueEEEvPT2_PKT0_i.num_agpr, 0
	.set _ZN2at6native12_GLOBAL__N_119cunn_SoftMaxForwardILi4EfffNS1_25LogSoftMaxForwardEpilogueEEEvPT2_PKT0_i.numbered_sgpr, 21
	.set _ZN2at6native12_GLOBAL__N_119cunn_SoftMaxForwardILi4EfffNS1_25LogSoftMaxForwardEpilogueEEEvPT2_PKT0_i.num_named_barrier, 0
	.set _ZN2at6native12_GLOBAL__N_119cunn_SoftMaxForwardILi4EfffNS1_25LogSoftMaxForwardEpilogueEEEvPT2_PKT0_i.private_seg_size, 0
	.set _ZN2at6native12_GLOBAL__N_119cunn_SoftMaxForwardILi4EfffNS1_25LogSoftMaxForwardEpilogueEEEvPT2_PKT0_i.uses_vcc, 1
	.set _ZN2at6native12_GLOBAL__N_119cunn_SoftMaxForwardILi4EfffNS1_25LogSoftMaxForwardEpilogueEEEvPT2_PKT0_i.uses_flat_scratch, 0
	.set _ZN2at6native12_GLOBAL__N_119cunn_SoftMaxForwardILi4EfffNS1_25LogSoftMaxForwardEpilogueEEEvPT2_PKT0_i.has_dyn_sized_stack, 0
	.set _ZN2at6native12_GLOBAL__N_119cunn_SoftMaxForwardILi4EfffNS1_25LogSoftMaxForwardEpilogueEEEvPT2_PKT0_i.has_recursion, 0
	.set _ZN2at6native12_GLOBAL__N_119cunn_SoftMaxForwardILi4EfffNS1_25LogSoftMaxForwardEpilogueEEEvPT2_PKT0_i.has_indirect_call, 0
	.section	.AMDGPU.csdata,"",@progbits
; Kernel info:
; codeLenInByte = 3416
; TotalNumSgprs: 23
; NumVgprs: 30
; ScratchSize: 0
; MemoryBound: 0
; FloatMode: 240
; IeeeMode: 1
; LDSByteSize: 0 bytes/workgroup (compile time only)
; SGPRBlocks: 0
; VGPRBlocks: 3
; NumSGPRsForWavesPerEU: 23
; NumVGPRsForWavesPerEU: 30
; Occupancy: 16
; WaveLimiterHint : 0
; COMPUTE_PGM_RSRC2:SCRATCH_EN: 0
; COMPUTE_PGM_RSRC2:USER_SGPR: 6
; COMPUTE_PGM_RSRC2:TRAP_HANDLER: 0
; COMPUTE_PGM_RSRC2:TGID_X_EN: 1
; COMPUTE_PGM_RSRC2:TGID_Y_EN: 0
; COMPUTE_PGM_RSRC2:TGID_Z_EN: 0
; COMPUTE_PGM_RSRC2:TIDIG_COMP_CNT: 0
	.section	.text._ZN12_GLOBAL__N_120softmax_warp_forwardIN3c104HalfES2_fLi0ELb1ELb0ELi64EEEvPT0_PKT_iiiPKbib,"axG",@progbits,_ZN12_GLOBAL__N_120softmax_warp_forwardIN3c104HalfES2_fLi0ELb1ELb0ELi64EEEvPT0_PKT_iiiPKbib,comdat
	.globl	_ZN12_GLOBAL__N_120softmax_warp_forwardIN3c104HalfES2_fLi0ELb1ELb0ELi64EEEvPT0_PKT_iiiPKbib ; -- Begin function _ZN12_GLOBAL__N_120softmax_warp_forwardIN3c104HalfES2_fLi0ELb1ELb0ELi64EEEvPT0_PKT_iiiPKbib
	.p2align	8
	.type	_ZN12_GLOBAL__N_120softmax_warp_forwardIN3c104HalfES2_fLi0ELb1ELb0ELi64EEEvPT0_PKT_iiiPKbib,@function
_ZN12_GLOBAL__N_120softmax_warp_forwardIN3c104HalfES2_fLi0ELb1ELb0ELi64EEEvPT0_PKT_iiiPKbib: ; @_ZN12_GLOBAL__N_120softmax_warp_forwardIN3c104HalfES2_fLi0ELb1ELb0ELi64EEEvPT0_PKT_iiiPKbib
; %bb.0:
	s_clause 0x1
	s_load_dword s0, s[4:5], 0x3c
	s_load_dwordx8 s[8:15], s[4:5], 0x0
	v_mov_b32_e32 v6, 0xff800000
	v_mov_b32_e32 v7, 0xff800000
	s_waitcnt lgkmcnt(0)
	s_lshr_b32 s0, s0, 16
	v_cmp_gt_i32_e32 vcc_lo, s14, v0
	s_and_b32 s0, s0, 0xffff
	s_mul_i32 s6, s6, s0
	v_add_lshl_u32 v3, s6, v1, 1
	v_mad_u64_u32 v[1:2], null, v3, s13, v[0:1]
	v_sub_nc_u32_e32 v5, s12, v3
	v_cmp_lt_i32_e64 s0, 0, v5
	v_ashrrev_i32_e32 v2, 31, v1
	s_and_b32 s2, vcc_lo, s0
	v_lshlrev_b64 v[1:2], 1, v[1:2]
	v_add_co_u32 v3, s1, s10, v1
	v_add_co_ci_u32_e64 v4, null, s11, v2, s1
	s_and_saveexec_b32 s1, s2
	s_cbranch_execz .LBB70_2
; %bb.1:
	global_load_ushort v0, v[3:4], off
	s_waitcnt vmcnt(0)
	v_cvt_f32_f16_e32 v7, v0
.LBB70_2:
	s_or_b32 exec_lo, exec_lo, s1
	v_cmp_lt_i32_e64 s1, 1, v5
	s_and_b32 s1, vcc_lo, s1
	s_and_saveexec_b32 s2, s1
	s_cbranch_execz .LBB70_4
; %bb.3:
	s_mov_b32 s15, 0
	s_lshl_b64 s[4:5], s[14:15], 1
	v_add_co_u32 v3, s1, v3, s4
	v_add_co_ci_u32_e64 v4, null, s5, v4, s1
	global_load_ushort v0, v[3:4], off
	s_waitcnt vmcnt(0)
	v_cvt_f32_f16_e32 v6, v0
.LBB70_4:
	s_or_b32 exec_lo, exec_lo, s2
	s_and_saveexec_b32 s1, s0
	s_cbranch_execz .LBB70_9
; %bb.5:
	v_add_co_u32 v0, s0, s8, v1
	v_add_co_ci_u32_e64 v1, null, s9, v2, s0
	s_and_saveexec_b32 s2, vcc_lo
	s_cbranch_execz .LBB70_7
; %bb.6:
	v_sub_f32_e32 v2, v7, v7
	v_mul_f32_e32 v3, 0x3fb8aa3b, v2
	v_cmp_ngt_f32_e64 s0, 0xc2ce8ed0, v2
	v_rndne_f32_e32 v4, v3
	v_fma_f32 v7, 0x3fb8aa3b, v2, -v3
	v_sub_f32_e32 v3, v3, v4
	v_fmamk_f32 v7, v2, 0x32a5705f, v7
	v_cvt_i32_f32_e32 v4, v4
	v_add_f32_e32 v3, v3, v7
	v_exp_f32_e32 v3, v3
	v_ldexp_f32 v3, v3, v4
	v_cndmask_b32_e64 v3, 0, v3, s0
	v_cmp_nlt_f32_e64 s0, 0x42b17218, v2
	v_cndmask_b32_e64 v3, 0x7f800000, v3, s0
	v_cmp_gt_f32_e64 s0, 0x800000, v3
	v_cndmask_b32_e64 v4, 0, 32, s0
	v_ldexp_f32 v3, v3, v4
	v_log_f32_e32 v3, v3
	v_mul_f32_e32 v4, 0x3f317217, v3
	v_cmp_gt_f32_e64 s1, 0x7f800000, |v3|
	v_fma_f32 v4, 0x3f317217, v3, -v4
	v_fmamk_f32 v4, v3, 0x3377d1cf, v4
	v_fmac_f32_e32 v4, 0x3f317217, v3
	v_cndmask_b32_e64 v3, v3, v4, s1
	v_cndmask_b32_e64 v4, 0, 0x41b17218, s0
	v_sub_f32_e32 v3, v3, v4
	v_sub_f32_e32 v2, v2, v3
	v_cvt_f16_f32_e32 v2, v2
	global_store_short v[0:1], v2, off
.LBB70_7:
	s_or_b32 exec_lo, exec_lo, s2
	v_cmp_ne_u32_e64 s0, 1, v5
	s_and_b32 s0, s0, vcc_lo
	s_and_b32 exec_lo, exec_lo, s0
	s_cbranch_execz .LBB70_9
; %bb.8:
	v_sub_f32_e32 v2, v6, v6
	s_mov_b32 s15, 0
	s_lshl_b64 s[0:1], s[14:15], 1
	v_mul_f32_e32 v3, 0x3fb8aa3b, v2
	v_cmp_ngt_f32_e32 vcc_lo, 0xc2ce8ed0, v2
	v_rndne_f32_e32 v4, v3
	v_fma_f32 v5, 0x3fb8aa3b, v2, -v3
	v_sub_f32_e32 v3, v3, v4
	v_fmamk_f32 v5, v2, 0x32a5705f, v5
	v_cvt_i32_f32_e32 v4, v4
	v_add_f32_e32 v3, v3, v5
	v_exp_f32_e32 v3, v3
	v_ldexp_f32 v3, v3, v4
	v_cndmask_b32_e32 v3, 0, v3, vcc_lo
	v_cmp_nlt_f32_e32 vcc_lo, 0x42b17218, v2
	v_cndmask_b32_e32 v3, 0x7f800000, v3, vcc_lo
	v_cmp_gt_f32_e32 vcc_lo, 0x800000, v3
	v_cndmask_b32_e64 v4, 0, 32, vcc_lo
	v_cndmask_b32_e64 v5, 0, 0x41b17218, vcc_lo
	v_ldexp_f32 v3, v3, v4
	v_log_f32_e32 v3, v3
	v_mul_f32_e32 v4, 0x3f317217, v3
	v_cmp_gt_f32_e64 vcc_lo, 0x7f800000, |v3|
	v_fma_f32 v4, 0x3f317217, v3, -v4
	v_fmamk_f32 v4, v3, 0x3377d1cf, v4
	v_fmac_f32_e32 v4, 0x3f317217, v3
	v_cndmask_b32_e32 v3, v3, v4, vcc_lo
	v_add_co_u32 v0, vcc_lo, v0, s0
	v_add_co_ci_u32_e64 v1, null, s1, v1, vcc_lo
	v_sub_f32_e32 v3, v3, v5
	v_sub_f32_e32 v2, v2, v3
	v_cvt_f16_f32_e32 v2, v2
	global_store_short v[0:1], v2, off
.LBB70_9:
	s_endpgm
	.section	.rodata,"a",@progbits
	.p2align	6, 0x0
	.amdhsa_kernel _ZN12_GLOBAL__N_120softmax_warp_forwardIN3c104HalfES2_fLi0ELb1ELb0ELi64EEEvPT0_PKT_iiiPKbib
		.amdhsa_group_segment_fixed_size 0
		.amdhsa_private_segment_fixed_size 0
		.amdhsa_kernarg_size 304
		.amdhsa_user_sgpr_count 6
		.amdhsa_user_sgpr_private_segment_buffer 1
		.amdhsa_user_sgpr_dispatch_ptr 0
		.amdhsa_user_sgpr_queue_ptr 0
		.amdhsa_user_sgpr_kernarg_segment_ptr 1
		.amdhsa_user_sgpr_dispatch_id 0
		.amdhsa_user_sgpr_flat_scratch_init 0
		.amdhsa_user_sgpr_private_segment_size 0
		.amdhsa_wavefront_size32 1
		.amdhsa_uses_dynamic_stack 0
		.amdhsa_system_sgpr_private_segment_wavefront_offset 0
		.amdhsa_system_sgpr_workgroup_id_x 1
		.amdhsa_system_sgpr_workgroup_id_y 0
		.amdhsa_system_sgpr_workgroup_id_z 0
		.amdhsa_system_sgpr_workgroup_info 0
		.amdhsa_system_vgpr_workitem_id 1
		.amdhsa_next_free_vgpr 8
		.amdhsa_next_free_sgpr 16
		.amdhsa_reserve_vcc 1
		.amdhsa_reserve_flat_scratch 0
		.amdhsa_float_round_mode_32 0
		.amdhsa_float_round_mode_16_64 0
		.amdhsa_float_denorm_mode_32 3
		.amdhsa_float_denorm_mode_16_64 3
		.amdhsa_dx10_clamp 1
		.amdhsa_ieee_mode 1
		.amdhsa_fp16_overflow 0
		.amdhsa_workgroup_processor_mode 1
		.amdhsa_memory_ordered 1
		.amdhsa_forward_progress 1
		.amdhsa_shared_vgpr_count 0
		.amdhsa_exception_fp_ieee_invalid_op 0
		.amdhsa_exception_fp_denorm_src 0
		.amdhsa_exception_fp_ieee_div_zero 0
		.amdhsa_exception_fp_ieee_overflow 0
		.amdhsa_exception_fp_ieee_underflow 0
		.amdhsa_exception_fp_ieee_inexact 0
		.amdhsa_exception_int_div_zero 0
	.end_amdhsa_kernel
	.section	.text._ZN12_GLOBAL__N_120softmax_warp_forwardIN3c104HalfES2_fLi0ELb1ELb0ELi64EEEvPT0_PKT_iiiPKbib,"axG",@progbits,_ZN12_GLOBAL__N_120softmax_warp_forwardIN3c104HalfES2_fLi0ELb1ELb0ELi64EEEvPT0_PKT_iiiPKbib,comdat
.Lfunc_end70:
	.size	_ZN12_GLOBAL__N_120softmax_warp_forwardIN3c104HalfES2_fLi0ELb1ELb0ELi64EEEvPT0_PKT_iiiPKbib, .Lfunc_end70-_ZN12_GLOBAL__N_120softmax_warp_forwardIN3c104HalfES2_fLi0ELb1ELb0ELi64EEEvPT0_PKT_iiiPKbib
                                        ; -- End function
	.set _ZN12_GLOBAL__N_120softmax_warp_forwardIN3c104HalfES2_fLi0ELb1ELb0ELi64EEEvPT0_PKT_iiiPKbib.num_vgpr, 8
	.set _ZN12_GLOBAL__N_120softmax_warp_forwardIN3c104HalfES2_fLi0ELb1ELb0ELi64EEEvPT0_PKT_iiiPKbib.num_agpr, 0
	.set _ZN12_GLOBAL__N_120softmax_warp_forwardIN3c104HalfES2_fLi0ELb1ELb0ELi64EEEvPT0_PKT_iiiPKbib.numbered_sgpr, 16
	.set _ZN12_GLOBAL__N_120softmax_warp_forwardIN3c104HalfES2_fLi0ELb1ELb0ELi64EEEvPT0_PKT_iiiPKbib.num_named_barrier, 0
	.set _ZN12_GLOBAL__N_120softmax_warp_forwardIN3c104HalfES2_fLi0ELb1ELb0ELi64EEEvPT0_PKT_iiiPKbib.private_seg_size, 0
	.set _ZN12_GLOBAL__N_120softmax_warp_forwardIN3c104HalfES2_fLi0ELb1ELb0ELi64EEEvPT0_PKT_iiiPKbib.uses_vcc, 1
	.set _ZN12_GLOBAL__N_120softmax_warp_forwardIN3c104HalfES2_fLi0ELb1ELb0ELi64EEEvPT0_PKT_iiiPKbib.uses_flat_scratch, 0
	.set _ZN12_GLOBAL__N_120softmax_warp_forwardIN3c104HalfES2_fLi0ELb1ELb0ELi64EEEvPT0_PKT_iiiPKbib.has_dyn_sized_stack, 0
	.set _ZN12_GLOBAL__N_120softmax_warp_forwardIN3c104HalfES2_fLi0ELb1ELb0ELi64EEEvPT0_PKT_iiiPKbib.has_recursion, 0
	.set _ZN12_GLOBAL__N_120softmax_warp_forwardIN3c104HalfES2_fLi0ELb1ELb0ELi64EEEvPT0_PKT_iiiPKbib.has_indirect_call, 0
	.section	.AMDGPU.csdata,"",@progbits
; Kernel info:
; codeLenInByte = 720
; TotalNumSgprs: 18
; NumVgprs: 8
; ScratchSize: 0
; MemoryBound: 0
; FloatMode: 240
; IeeeMode: 1
; LDSByteSize: 0 bytes/workgroup (compile time only)
; SGPRBlocks: 0
; VGPRBlocks: 0
; NumSGPRsForWavesPerEU: 18
; NumVGPRsForWavesPerEU: 8
; Occupancy: 16
; WaveLimiterHint : 0
; COMPUTE_PGM_RSRC2:SCRATCH_EN: 0
; COMPUTE_PGM_RSRC2:USER_SGPR: 6
; COMPUTE_PGM_RSRC2:TRAP_HANDLER: 0
; COMPUTE_PGM_RSRC2:TGID_X_EN: 1
; COMPUTE_PGM_RSRC2:TGID_Y_EN: 0
; COMPUTE_PGM_RSRC2:TGID_Z_EN: 0
; COMPUTE_PGM_RSRC2:TIDIG_COMP_CNT: 1
	.section	.text._ZN12_GLOBAL__N_120softmax_warp_forwardIN3c104HalfES2_fLi0ELb1ELb0ELi32EEEvPT0_PKT_iiiPKbib,"axG",@progbits,_ZN12_GLOBAL__N_120softmax_warp_forwardIN3c104HalfES2_fLi0ELb1ELb0ELi32EEEvPT0_PKT_iiiPKbib,comdat
	.globl	_ZN12_GLOBAL__N_120softmax_warp_forwardIN3c104HalfES2_fLi0ELb1ELb0ELi32EEEvPT0_PKT_iiiPKbib ; -- Begin function _ZN12_GLOBAL__N_120softmax_warp_forwardIN3c104HalfES2_fLi0ELb1ELb0ELi32EEEvPT0_PKT_iiiPKbib
	.p2align	8
	.type	_ZN12_GLOBAL__N_120softmax_warp_forwardIN3c104HalfES2_fLi0ELb1ELb0ELi32EEEvPT0_PKT_iiiPKbib,@function
_ZN12_GLOBAL__N_120softmax_warp_forwardIN3c104HalfES2_fLi0ELb1ELb0ELi32EEEvPT0_PKT_iiiPKbib: ; @_ZN12_GLOBAL__N_120softmax_warp_forwardIN3c104HalfES2_fLi0ELb1ELb0ELi32EEEvPT0_PKT_iiiPKbib
; %bb.0:
	s_clause 0x1
	s_load_dword s0, s[4:5], 0x3c
	s_load_dwordx8 s[8:15], s[4:5], 0x0
	v_mov_b32_e32 v6, 0xff800000
	v_mov_b32_e32 v7, 0xff800000
	s_waitcnt lgkmcnt(0)
	s_lshr_b32 s0, s0, 16
	v_cmp_gt_i32_e32 vcc_lo, s14, v0
	s_and_b32 s0, s0, 0xffff
	s_mul_i32 s6, s6, s0
	v_add_lshl_u32 v3, s6, v1, 1
	v_mad_u64_u32 v[1:2], null, v3, s13, v[0:1]
	v_sub_nc_u32_e32 v5, s12, v3
	v_cmp_lt_i32_e64 s0, 0, v5
	v_ashrrev_i32_e32 v2, 31, v1
	s_and_b32 s2, vcc_lo, s0
	v_lshlrev_b64 v[1:2], 1, v[1:2]
	v_add_co_u32 v3, s1, s10, v1
	v_add_co_ci_u32_e64 v4, null, s11, v2, s1
	s_and_saveexec_b32 s1, s2
	s_cbranch_execz .LBB71_2
; %bb.1:
	global_load_ushort v0, v[3:4], off
	s_waitcnt vmcnt(0)
	v_cvt_f32_f16_e32 v7, v0
.LBB71_2:
	s_or_b32 exec_lo, exec_lo, s1
	v_cmp_lt_i32_e64 s1, 1, v5
	s_and_b32 s1, vcc_lo, s1
	s_and_saveexec_b32 s2, s1
	s_cbranch_execz .LBB71_4
; %bb.3:
	s_mov_b32 s15, 0
	s_lshl_b64 s[4:5], s[14:15], 1
	v_add_co_u32 v3, s1, v3, s4
	v_add_co_ci_u32_e64 v4, null, s5, v4, s1
	global_load_ushort v0, v[3:4], off
	s_waitcnt vmcnt(0)
	v_cvt_f32_f16_e32 v6, v0
.LBB71_4:
	s_or_b32 exec_lo, exec_lo, s2
	s_and_saveexec_b32 s1, s0
	s_cbranch_execz .LBB71_9
; %bb.5:
	v_add_co_u32 v0, s0, s8, v1
	v_add_co_ci_u32_e64 v1, null, s9, v2, s0
	s_and_saveexec_b32 s2, vcc_lo
	s_cbranch_execz .LBB71_7
; %bb.6:
	v_sub_f32_e32 v2, v7, v7
	v_mul_f32_e32 v3, 0x3fb8aa3b, v2
	v_cmp_ngt_f32_e64 s0, 0xc2ce8ed0, v2
	v_rndne_f32_e32 v4, v3
	v_fma_f32 v7, 0x3fb8aa3b, v2, -v3
	v_sub_f32_e32 v3, v3, v4
	v_fmamk_f32 v7, v2, 0x32a5705f, v7
	v_cvt_i32_f32_e32 v4, v4
	v_add_f32_e32 v3, v3, v7
	v_exp_f32_e32 v3, v3
	v_ldexp_f32 v3, v3, v4
	v_cndmask_b32_e64 v3, 0, v3, s0
	v_cmp_nlt_f32_e64 s0, 0x42b17218, v2
	v_cndmask_b32_e64 v3, 0x7f800000, v3, s0
	v_cmp_gt_f32_e64 s0, 0x800000, v3
	v_cndmask_b32_e64 v4, 0, 32, s0
	v_ldexp_f32 v3, v3, v4
	v_log_f32_e32 v3, v3
	v_mul_f32_e32 v4, 0x3f317217, v3
	v_cmp_gt_f32_e64 s1, 0x7f800000, |v3|
	v_fma_f32 v4, 0x3f317217, v3, -v4
	v_fmamk_f32 v4, v3, 0x3377d1cf, v4
	v_fmac_f32_e32 v4, 0x3f317217, v3
	v_cndmask_b32_e64 v3, v3, v4, s1
	v_cndmask_b32_e64 v4, 0, 0x41b17218, s0
	v_sub_f32_e32 v3, v3, v4
	v_sub_f32_e32 v2, v2, v3
	v_cvt_f16_f32_e32 v2, v2
	global_store_short v[0:1], v2, off
.LBB71_7:
	s_or_b32 exec_lo, exec_lo, s2
	v_cmp_ne_u32_e64 s0, 1, v5
	s_and_b32 s0, s0, vcc_lo
	s_and_b32 exec_lo, exec_lo, s0
	s_cbranch_execz .LBB71_9
; %bb.8:
	v_sub_f32_e32 v2, v6, v6
	s_mov_b32 s15, 0
	s_lshl_b64 s[0:1], s[14:15], 1
	v_mul_f32_e32 v3, 0x3fb8aa3b, v2
	v_cmp_ngt_f32_e32 vcc_lo, 0xc2ce8ed0, v2
	v_rndne_f32_e32 v4, v3
	v_fma_f32 v5, 0x3fb8aa3b, v2, -v3
	v_sub_f32_e32 v3, v3, v4
	v_fmamk_f32 v5, v2, 0x32a5705f, v5
	v_cvt_i32_f32_e32 v4, v4
	v_add_f32_e32 v3, v3, v5
	v_exp_f32_e32 v3, v3
	v_ldexp_f32 v3, v3, v4
	v_cndmask_b32_e32 v3, 0, v3, vcc_lo
	v_cmp_nlt_f32_e32 vcc_lo, 0x42b17218, v2
	v_cndmask_b32_e32 v3, 0x7f800000, v3, vcc_lo
	v_cmp_gt_f32_e32 vcc_lo, 0x800000, v3
	v_cndmask_b32_e64 v4, 0, 32, vcc_lo
	v_cndmask_b32_e64 v5, 0, 0x41b17218, vcc_lo
	v_ldexp_f32 v3, v3, v4
	v_log_f32_e32 v3, v3
	v_mul_f32_e32 v4, 0x3f317217, v3
	v_cmp_gt_f32_e64 vcc_lo, 0x7f800000, |v3|
	v_fma_f32 v4, 0x3f317217, v3, -v4
	v_fmamk_f32 v4, v3, 0x3377d1cf, v4
	v_fmac_f32_e32 v4, 0x3f317217, v3
	v_cndmask_b32_e32 v3, v3, v4, vcc_lo
	v_add_co_u32 v0, vcc_lo, v0, s0
	v_add_co_ci_u32_e64 v1, null, s1, v1, vcc_lo
	v_sub_f32_e32 v3, v3, v5
	v_sub_f32_e32 v2, v2, v3
	v_cvt_f16_f32_e32 v2, v2
	global_store_short v[0:1], v2, off
.LBB71_9:
	s_endpgm
	.section	.rodata,"a",@progbits
	.p2align	6, 0x0
	.amdhsa_kernel _ZN12_GLOBAL__N_120softmax_warp_forwardIN3c104HalfES2_fLi0ELb1ELb0ELi32EEEvPT0_PKT_iiiPKbib
		.amdhsa_group_segment_fixed_size 0
		.amdhsa_private_segment_fixed_size 0
		.amdhsa_kernarg_size 304
		.amdhsa_user_sgpr_count 6
		.amdhsa_user_sgpr_private_segment_buffer 1
		.amdhsa_user_sgpr_dispatch_ptr 0
		.amdhsa_user_sgpr_queue_ptr 0
		.amdhsa_user_sgpr_kernarg_segment_ptr 1
		.amdhsa_user_sgpr_dispatch_id 0
		.amdhsa_user_sgpr_flat_scratch_init 0
		.amdhsa_user_sgpr_private_segment_size 0
		.amdhsa_wavefront_size32 1
		.amdhsa_uses_dynamic_stack 0
		.amdhsa_system_sgpr_private_segment_wavefront_offset 0
		.amdhsa_system_sgpr_workgroup_id_x 1
		.amdhsa_system_sgpr_workgroup_id_y 0
		.amdhsa_system_sgpr_workgroup_id_z 0
		.amdhsa_system_sgpr_workgroup_info 0
		.amdhsa_system_vgpr_workitem_id 1
		.amdhsa_next_free_vgpr 8
		.amdhsa_next_free_sgpr 16
		.amdhsa_reserve_vcc 1
		.amdhsa_reserve_flat_scratch 0
		.amdhsa_float_round_mode_32 0
		.amdhsa_float_round_mode_16_64 0
		.amdhsa_float_denorm_mode_32 3
		.amdhsa_float_denorm_mode_16_64 3
		.amdhsa_dx10_clamp 1
		.amdhsa_ieee_mode 1
		.amdhsa_fp16_overflow 0
		.amdhsa_workgroup_processor_mode 1
		.amdhsa_memory_ordered 1
		.amdhsa_forward_progress 1
		.amdhsa_shared_vgpr_count 0
		.amdhsa_exception_fp_ieee_invalid_op 0
		.amdhsa_exception_fp_denorm_src 0
		.amdhsa_exception_fp_ieee_div_zero 0
		.amdhsa_exception_fp_ieee_overflow 0
		.amdhsa_exception_fp_ieee_underflow 0
		.amdhsa_exception_fp_ieee_inexact 0
		.amdhsa_exception_int_div_zero 0
	.end_amdhsa_kernel
	.section	.text._ZN12_GLOBAL__N_120softmax_warp_forwardIN3c104HalfES2_fLi0ELb1ELb0ELi32EEEvPT0_PKT_iiiPKbib,"axG",@progbits,_ZN12_GLOBAL__N_120softmax_warp_forwardIN3c104HalfES2_fLi0ELb1ELb0ELi32EEEvPT0_PKT_iiiPKbib,comdat
.Lfunc_end71:
	.size	_ZN12_GLOBAL__N_120softmax_warp_forwardIN3c104HalfES2_fLi0ELb1ELb0ELi32EEEvPT0_PKT_iiiPKbib, .Lfunc_end71-_ZN12_GLOBAL__N_120softmax_warp_forwardIN3c104HalfES2_fLi0ELb1ELb0ELi32EEEvPT0_PKT_iiiPKbib
                                        ; -- End function
	.set _ZN12_GLOBAL__N_120softmax_warp_forwardIN3c104HalfES2_fLi0ELb1ELb0ELi32EEEvPT0_PKT_iiiPKbib.num_vgpr, 8
	.set _ZN12_GLOBAL__N_120softmax_warp_forwardIN3c104HalfES2_fLi0ELb1ELb0ELi32EEEvPT0_PKT_iiiPKbib.num_agpr, 0
	.set _ZN12_GLOBAL__N_120softmax_warp_forwardIN3c104HalfES2_fLi0ELb1ELb0ELi32EEEvPT0_PKT_iiiPKbib.numbered_sgpr, 16
	.set _ZN12_GLOBAL__N_120softmax_warp_forwardIN3c104HalfES2_fLi0ELb1ELb0ELi32EEEvPT0_PKT_iiiPKbib.num_named_barrier, 0
	.set _ZN12_GLOBAL__N_120softmax_warp_forwardIN3c104HalfES2_fLi0ELb1ELb0ELi32EEEvPT0_PKT_iiiPKbib.private_seg_size, 0
	.set _ZN12_GLOBAL__N_120softmax_warp_forwardIN3c104HalfES2_fLi0ELb1ELb0ELi32EEEvPT0_PKT_iiiPKbib.uses_vcc, 1
	.set _ZN12_GLOBAL__N_120softmax_warp_forwardIN3c104HalfES2_fLi0ELb1ELb0ELi32EEEvPT0_PKT_iiiPKbib.uses_flat_scratch, 0
	.set _ZN12_GLOBAL__N_120softmax_warp_forwardIN3c104HalfES2_fLi0ELb1ELb0ELi32EEEvPT0_PKT_iiiPKbib.has_dyn_sized_stack, 0
	.set _ZN12_GLOBAL__N_120softmax_warp_forwardIN3c104HalfES2_fLi0ELb1ELb0ELi32EEEvPT0_PKT_iiiPKbib.has_recursion, 0
	.set _ZN12_GLOBAL__N_120softmax_warp_forwardIN3c104HalfES2_fLi0ELb1ELb0ELi32EEEvPT0_PKT_iiiPKbib.has_indirect_call, 0
	.section	.AMDGPU.csdata,"",@progbits
; Kernel info:
; codeLenInByte = 720
; TotalNumSgprs: 18
; NumVgprs: 8
; ScratchSize: 0
; MemoryBound: 0
; FloatMode: 240
; IeeeMode: 1
; LDSByteSize: 0 bytes/workgroup (compile time only)
; SGPRBlocks: 0
; VGPRBlocks: 0
; NumSGPRsForWavesPerEU: 18
; NumVGPRsForWavesPerEU: 8
; Occupancy: 16
; WaveLimiterHint : 0
; COMPUTE_PGM_RSRC2:SCRATCH_EN: 0
; COMPUTE_PGM_RSRC2:USER_SGPR: 6
; COMPUTE_PGM_RSRC2:TRAP_HANDLER: 0
; COMPUTE_PGM_RSRC2:TGID_X_EN: 1
; COMPUTE_PGM_RSRC2:TGID_Y_EN: 0
; COMPUTE_PGM_RSRC2:TGID_Z_EN: 0
; COMPUTE_PGM_RSRC2:TIDIG_COMP_CNT: 1
	.section	.text._ZN12_GLOBAL__N_120softmax_warp_forwardIN3c104HalfES2_fLi1ELb1ELb0ELi64EEEvPT0_PKT_iiiPKbib,"axG",@progbits,_ZN12_GLOBAL__N_120softmax_warp_forwardIN3c104HalfES2_fLi1ELb1ELb0ELi64EEEvPT0_PKT_iiiPKbib,comdat
	.globl	_ZN12_GLOBAL__N_120softmax_warp_forwardIN3c104HalfES2_fLi1ELb1ELb0ELi64EEEvPT0_PKT_iiiPKbib ; -- Begin function _ZN12_GLOBAL__N_120softmax_warp_forwardIN3c104HalfES2_fLi1ELb1ELb0ELi64EEEvPT0_PKT_iiiPKbib
	.p2align	8
	.type	_ZN12_GLOBAL__N_120softmax_warp_forwardIN3c104HalfES2_fLi1ELb1ELb0ELi64EEEvPT0_PKT_iiiPKbib,@function
_ZN12_GLOBAL__N_120softmax_warp_forwardIN3c104HalfES2_fLi1ELb1ELb0ELi64EEEvPT0_PKT_iiiPKbib: ; @_ZN12_GLOBAL__N_120softmax_warp_forwardIN3c104HalfES2_fLi1ELb1ELb0ELi64EEEvPT0_PKT_iiiPKbib
; %bb.0:
	s_clause 0x1
	s_load_dword s0, s[4:5], 0x3c
	s_load_dwordx8 s[8:15], s[4:5], 0x0
	v_mov_b32_e32 v6, 0xff800000
	s_waitcnt lgkmcnt(0)
	s_lshr_b32 s0, s0, 16
	v_cmp_gt_i32_e32 vcc_lo, s14, v0
	s_and_b32 s0, s0, 0xffff
	s_mul_i32 s6, s6, s0
	v_add_lshl_u32 v3, s6, v1, 1
	v_mad_u64_u32 v[1:2], null, v3, s13, v[0:1]
	v_sub_nc_u32_e32 v5, s12, v3
	v_mov_b32_e32 v0, 0xff800000
	v_cmp_lt_i32_e64 s0, 0, v5
	v_ashrrev_i32_e32 v2, 31, v1
	s_and_b32 s2, vcc_lo, s0
	v_lshlrev_b64 v[1:2], 1, v[1:2]
	v_add_co_u32 v3, s1, s10, v1
	v_add_co_ci_u32_e64 v4, null, s11, v2, s1
	s_and_saveexec_b32 s1, s2
	s_cbranch_execz .LBB72_2
; %bb.1:
	global_load_ushort v0, v[3:4], off
	s_waitcnt vmcnt(0)
	v_cvt_f32_f16_e32 v0, v0
.LBB72_2:
	s_or_b32 exec_lo, exec_lo, s1
	v_cmp_lt_i32_e64 s1, 1, v5
	s_and_b32 s1, vcc_lo, s1
	s_and_saveexec_b32 s2, s1
	s_cbranch_execz .LBB72_4
; %bb.3:
	s_mov_b32 s15, 0
	s_lshl_b64 s[4:5], s[14:15], 1
	v_add_co_u32 v3, s1, v3, s4
	v_add_co_ci_u32_e64 v4, null, s5, v4, s1
	global_load_ushort v3, v[3:4], off
	s_waitcnt vmcnt(0)
	v_cvt_f32_f16_e32 v6, v3
.LBB72_4:
	s_or_b32 exec_lo, exec_lo, s2
	v_mbcnt_lo_u32_b32 v3, -1, 0
	v_and_b32_e32 v4, 30, v3
	v_xor_b32_e32 v7, 1, v3
	v_add_nc_u32_e32 v4, 2, v4
	v_cmp_lt_i32_e64 s1, v7, v4
	v_cndmask_b32_e64 v3, v3, v7, s1
	v_lshlrev_b32_e32 v7, 2, v3
	ds_bpermute_b32 v3, v7, v0
	ds_bpermute_b32 v4, v7, v6
	s_waitcnt lgkmcnt(1)
	v_cmp_lt_f32_e64 s1, v0, v3
	v_cndmask_b32_e64 v3, v0, v3, s1
	s_waitcnt lgkmcnt(0)
	v_cmp_lt_f32_e64 s1, v6, v4
	v_cndmask_b32_e64 v8, v6, v4, s1
	v_sub_f32_e32 v4, v0, v3
	v_sub_f32_e32 v3, v6, v8
	v_mul_f32_e32 v0, 0x3fb8aa3b, v4
	v_cmp_ngt_f32_e64 s1, 0xc2ce8ed0, v4
	v_mul_f32_e32 v6, 0x3fb8aa3b, v3
	v_fma_f32 v8, 0x3fb8aa3b, v4, -v0
	v_rndne_f32_e32 v9, v0
	v_fma_f32 v10, 0x3fb8aa3b, v3, -v6
	v_rndne_f32_e32 v11, v6
	v_fmac_f32_e32 v8, 0x32a5705f, v4
	v_sub_f32_e32 v0, v0, v9
	v_fmac_f32_e32 v10, 0x32a5705f, v3
	v_sub_f32_e32 v6, v6, v11
	v_add_f32_e32 v0, v0, v8
	v_cvt_i32_f32_e32 v8, v9
	v_cvt_i32_f32_e32 v9, v11
	v_add_f32_e32 v6, v6, v10
	v_exp_f32_e32 v0, v0
	v_exp_f32_e32 v6, v6
	v_ldexp_f32 v0, v0, v8
	v_ldexp_f32 v6, v6, v9
	v_cndmask_b32_e64 v0, 0, v0, s1
	v_cmp_ngt_f32_e64 s1, 0xc2ce8ed0, v3
	v_cndmask_b32_e64 v6, 0, v6, s1
	v_cmp_nlt_f32_e64 s1, 0x42b17218, v4
	v_cndmask_b32_e64 v8, 0x7f800000, v0, s1
	v_cmp_nlt_f32_e64 s1, 0x42b17218, v3
	ds_bpermute_b32 v9, v7, v8
	v_cndmask_b32_e64 v6, 0x7f800000, v6, s1
	ds_bpermute_b32 v7, v7, v6
	s_and_saveexec_b32 s1, s0
	s_cbranch_execz .LBB72_9
; %bb.5:
	v_add_co_u32 v0, s0, s8, v1
	v_add_co_ci_u32_e64 v1, null, s9, v2, s0
	s_and_saveexec_b32 s2, vcc_lo
	s_cbranch_execz .LBB72_7
; %bb.6:
	s_waitcnt lgkmcnt(1)
	v_add_f32_e32 v2, v8, v9
	v_cmp_gt_f32_e64 s0, 0x800000, v2
	v_cndmask_b32_e64 v8, 0, 32, s0
	v_ldexp_f32 v2, v2, v8
	v_log_f32_e32 v2, v2
	v_mul_f32_e32 v8, 0x3f317217, v2
	v_cmp_gt_f32_e64 s1, 0x7f800000, |v2|
	v_fma_f32 v8, 0x3f317217, v2, -v8
	v_fmamk_f32 v8, v2, 0x3377d1cf, v8
	v_fmac_f32_e32 v8, 0x3f317217, v2
	v_cndmask_b32_e64 v2, v2, v8, s1
	v_cndmask_b32_e64 v8, 0, 0x41b17218, s0
	v_sub_f32_e32 v2, v2, v8
	v_sub_f32_e32 v2, v4, v2
	v_cvt_f16_f32_e32 v2, v2
	global_store_short v[0:1], v2, off
.LBB72_7:
	s_or_b32 exec_lo, exec_lo, s2
	v_cmp_ne_u32_e64 s0, 1, v5
	s_and_b32 s0, s0, vcc_lo
	s_and_b32 exec_lo, exec_lo, s0
	s_cbranch_execz .LBB72_9
; %bb.8:
	s_waitcnt lgkmcnt(0)
	v_add_f32_e32 v2, v6, v7
	s_mov_b32 s15, 0
	s_lshl_b64 s[0:1], s[14:15], 1
	v_cmp_gt_f32_e32 vcc_lo, 0x800000, v2
	v_cndmask_b32_e64 v4, 0, 32, vcc_lo
	v_cndmask_b32_e64 v5, 0, 0x41b17218, vcc_lo
	v_ldexp_f32 v2, v2, v4
	v_log_f32_e32 v2, v2
	v_mul_f32_e32 v4, 0x3f317217, v2
	v_cmp_gt_f32_e64 vcc_lo, 0x7f800000, |v2|
	v_fma_f32 v4, 0x3f317217, v2, -v4
	v_fmamk_f32 v4, v2, 0x3377d1cf, v4
	v_fmac_f32_e32 v4, 0x3f317217, v2
	v_cndmask_b32_e32 v2, v2, v4, vcc_lo
	v_add_co_u32 v0, vcc_lo, v0, s0
	v_add_co_ci_u32_e64 v1, null, s1, v1, vcc_lo
	v_sub_f32_e32 v2, v2, v5
	v_sub_f32_e32 v2, v3, v2
	v_cvt_f16_f32_e32 v2, v2
	global_store_short v[0:1], v2, off
.LBB72_9:
	s_endpgm
	.section	.rodata,"a",@progbits
	.p2align	6, 0x0
	.amdhsa_kernel _ZN12_GLOBAL__N_120softmax_warp_forwardIN3c104HalfES2_fLi1ELb1ELb0ELi64EEEvPT0_PKT_iiiPKbib
		.amdhsa_group_segment_fixed_size 0
		.amdhsa_private_segment_fixed_size 0
		.amdhsa_kernarg_size 304
		.amdhsa_user_sgpr_count 6
		.amdhsa_user_sgpr_private_segment_buffer 1
		.amdhsa_user_sgpr_dispatch_ptr 0
		.amdhsa_user_sgpr_queue_ptr 0
		.amdhsa_user_sgpr_kernarg_segment_ptr 1
		.amdhsa_user_sgpr_dispatch_id 0
		.amdhsa_user_sgpr_flat_scratch_init 0
		.amdhsa_user_sgpr_private_segment_size 0
		.amdhsa_wavefront_size32 1
		.amdhsa_uses_dynamic_stack 0
		.amdhsa_system_sgpr_private_segment_wavefront_offset 0
		.amdhsa_system_sgpr_workgroup_id_x 1
		.amdhsa_system_sgpr_workgroup_id_y 0
		.amdhsa_system_sgpr_workgroup_id_z 0
		.amdhsa_system_sgpr_workgroup_info 0
		.amdhsa_system_vgpr_workitem_id 1
		.amdhsa_next_free_vgpr 12
		.amdhsa_next_free_sgpr 16
		.amdhsa_reserve_vcc 1
		.amdhsa_reserve_flat_scratch 0
		.amdhsa_float_round_mode_32 0
		.amdhsa_float_round_mode_16_64 0
		.amdhsa_float_denorm_mode_32 3
		.amdhsa_float_denorm_mode_16_64 3
		.amdhsa_dx10_clamp 1
		.amdhsa_ieee_mode 1
		.amdhsa_fp16_overflow 0
		.amdhsa_workgroup_processor_mode 1
		.amdhsa_memory_ordered 1
		.amdhsa_forward_progress 1
		.amdhsa_shared_vgpr_count 0
		.amdhsa_exception_fp_ieee_invalid_op 0
		.amdhsa_exception_fp_denorm_src 0
		.amdhsa_exception_fp_ieee_div_zero 0
		.amdhsa_exception_fp_ieee_overflow 0
		.amdhsa_exception_fp_ieee_underflow 0
		.amdhsa_exception_fp_ieee_inexact 0
		.amdhsa_exception_int_div_zero 0
	.end_amdhsa_kernel
	.section	.text._ZN12_GLOBAL__N_120softmax_warp_forwardIN3c104HalfES2_fLi1ELb1ELb0ELi64EEEvPT0_PKT_iiiPKbib,"axG",@progbits,_ZN12_GLOBAL__N_120softmax_warp_forwardIN3c104HalfES2_fLi1ELb1ELb0ELi64EEEvPT0_PKT_iiiPKbib,comdat
.Lfunc_end72:
	.size	_ZN12_GLOBAL__N_120softmax_warp_forwardIN3c104HalfES2_fLi1ELb1ELb0ELi64EEEvPT0_PKT_iiiPKbib, .Lfunc_end72-_ZN12_GLOBAL__N_120softmax_warp_forwardIN3c104HalfES2_fLi1ELb1ELb0ELi64EEEvPT0_PKT_iiiPKbib
                                        ; -- End function
	.set _ZN12_GLOBAL__N_120softmax_warp_forwardIN3c104HalfES2_fLi1ELb1ELb0ELi64EEEvPT0_PKT_iiiPKbib.num_vgpr, 12
	.set _ZN12_GLOBAL__N_120softmax_warp_forwardIN3c104HalfES2_fLi1ELb1ELb0ELi64EEEvPT0_PKT_iiiPKbib.num_agpr, 0
	.set _ZN12_GLOBAL__N_120softmax_warp_forwardIN3c104HalfES2_fLi1ELb1ELb0ELi64EEEvPT0_PKT_iiiPKbib.numbered_sgpr, 16
	.set _ZN12_GLOBAL__N_120softmax_warp_forwardIN3c104HalfES2_fLi1ELb1ELb0ELi64EEEvPT0_PKT_iiiPKbib.num_named_barrier, 0
	.set _ZN12_GLOBAL__N_120softmax_warp_forwardIN3c104HalfES2_fLi1ELb1ELb0ELi64EEEvPT0_PKT_iiiPKbib.private_seg_size, 0
	.set _ZN12_GLOBAL__N_120softmax_warp_forwardIN3c104HalfES2_fLi1ELb1ELb0ELi64EEEvPT0_PKT_iiiPKbib.uses_vcc, 1
	.set _ZN12_GLOBAL__N_120softmax_warp_forwardIN3c104HalfES2_fLi1ELb1ELb0ELi64EEEvPT0_PKT_iiiPKbib.uses_flat_scratch, 0
	.set _ZN12_GLOBAL__N_120softmax_warp_forwardIN3c104HalfES2_fLi1ELb1ELb0ELi64EEEvPT0_PKT_iiiPKbib.has_dyn_sized_stack, 0
	.set _ZN12_GLOBAL__N_120softmax_warp_forwardIN3c104HalfES2_fLi1ELb1ELb0ELi64EEEvPT0_PKT_iiiPKbib.has_recursion, 0
	.set _ZN12_GLOBAL__N_120softmax_warp_forwardIN3c104HalfES2_fLi1ELb1ELb0ELi64EEEvPT0_PKT_iiiPKbib.has_indirect_call, 0
	.section	.AMDGPU.csdata,"",@progbits
; Kernel info:
; codeLenInByte = 864
; TotalNumSgprs: 18
; NumVgprs: 12
; ScratchSize: 0
; MemoryBound: 0
; FloatMode: 240
; IeeeMode: 1
; LDSByteSize: 0 bytes/workgroup (compile time only)
; SGPRBlocks: 0
; VGPRBlocks: 1
; NumSGPRsForWavesPerEU: 18
; NumVGPRsForWavesPerEU: 12
; Occupancy: 16
; WaveLimiterHint : 0
; COMPUTE_PGM_RSRC2:SCRATCH_EN: 0
; COMPUTE_PGM_RSRC2:USER_SGPR: 6
; COMPUTE_PGM_RSRC2:TRAP_HANDLER: 0
; COMPUTE_PGM_RSRC2:TGID_X_EN: 1
; COMPUTE_PGM_RSRC2:TGID_Y_EN: 0
; COMPUTE_PGM_RSRC2:TGID_Z_EN: 0
; COMPUTE_PGM_RSRC2:TIDIG_COMP_CNT: 1
	.section	.text._ZN12_GLOBAL__N_120softmax_warp_forwardIN3c104HalfES2_fLi1ELb1ELb0ELi32EEEvPT0_PKT_iiiPKbib,"axG",@progbits,_ZN12_GLOBAL__N_120softmax_warp_forwardIN3c104HalfES2_fLi1ELb1ELb0ELi32EEEvPT0_PKT_iiiPKbib,comdat
	.globl	_ZN12_GLOBAL__N_120softmax_warp_forwardIN3c104HalfES2_fLi1ELb1ELb0ELi32EEEvPT0_PKT_iiiPKbib ; -- Begin function _ZN12_GLOBAL__N_120softmax_warp_forwardIN3c104HalfES2_fLi1ELb1ELb0ELi32EEEvPT0_PKT_iiiPKbib
	.p2align	8
	.type	_ZN12_GLOBAL__N_120softmax_warp_forwardIN3c104HalfES2_fLi1ELb1ELb0ELi32EEEvPT0_PKT_iiiPKbib,@function
_ZN12_GLOBAL__N_120softmax_warp_forwardIN3c104HalfES2_fLi1ELb1ELb0ELi32EEEvPT0_PKT_iiiPKbib: ; @_ZN12_GLOBAL__N_120softmax_warp_forwardIN3c104HalfES2_fLi1ELb1ELb0ELi32EEEvPT0_PKT_iiiPKbib
; %bb.0:
	s_clause 0x1
	s_load_dword s0, s[4:5], 0x3c
	s_load_dwordx8 s[8:15], s[4:5], 0x0
	v_mov_b32_e32 v6, 0xff800000
	s_waitcnt lgkmcnt(0)
	s_lshr_b32 s0, s0, 16
	v_cmp_gt_i32_e32 vcc_lo, s14, v0
	s_and_b32 s0, s0, 0xffff
	s_mul_i32 s6, s6, s0
	v_add_lshl_u32 v3, s6, v1, 1
	v_mad_u64_u32 v[1:2], null, v3, s13, v[0:1]
	v_sub_nc_u32_e32 v5, s12, v3
	v_mov_b32_e32 v0, 0xff800000
	v_cmp_lt_i32_e64 s0, 0, v5
	v_ashrrev_i32_e32 v2, 31, v1
	s_and_b32 s2, vcc_lo, s0
	v_lshlrev_b64 v[1:2], 1, v[1:2]
	v_add_co_u32 v3, s1, s10, v1
	v_add_co_ci_u32_e64 v4, null, s11, v2, s1
	s_and_saveexec_b32 s1, s2
	s_cbranch_execz .LBB73_2
; %bb.1:
	global_load_ushort v0, v[3:4], off
	s_waitcnt vmcnt(0)
	v_cvt_f32_f16_e32 v0, v0
.LBB73_2:
	s_or_b32 exec_lo, exec_lo, s1
	v_cmp_lt_i32_e64 s1, 1, v5
	s_and_b32 s1, vcc_lo, s1
	s_and_saveexec_b32 s2, s1
	s_cbranch_execz .LBB73_4
; %bb.3:
	s_mov_b32 s15, 0
	s_lshl_b64 s[4:5], s[14:15], 1
	v_add_co_u32 v3, s1, v3, s4
	v_add_co_ci_u32_e64 v4, null, s5, v4, s1
	global_load_ushort v3, v[3:4], off
	s_waitcnt vmcnt(0)
	v_cvt_f32_f16_e32 v6, v3
.LBB73_4:
	s_or_b32 exec_lo, exec_lo, s2
	v_mbcnt_lo_u32_b32 v3, -1, 0
	v_and_b32_e32 v4, 30, v3
	v_xor_b32_e32 v7, 1, v3
	v_add_nc_u32_e32 v4, 2, v4
	v_cmp_lt_i32_e64 s1, v7, v4
	v_cndmask_b32_e64 v3, v3, v7, s1
	v_lshlrev_b32_e32 v7, 2, v3
	ds_bpermute_b32 v3, v7, v0
	ds_bpermute_b32 v4, v7, v6
	s_waitcnt lgkmcnt(1)
	v_cmp_lt_f32_e64 s1, v0, v3
	v_cndmask_b32_e64 v3, v0, v3, s1
	s_waitcnt lgkmcnt(0)
	v_cmp_lt_f32_e64 s1, v6, v4
	v_cndmask_b32_e64 v8, v6, v4, s1
	v_sub_f32_e32 v4, v0, v3
	v_sub_f32_e32 v3, v6, v8
	v_mul_f32_e32 v0, 0x3fb8aa3b, v4
	v_cmp_ngt_f32_e64 s1, 0xc2ce8ed0, v4
	v_mul_f32_e32 v6, 0x3fb8aa3b, v3
	v_fma_f32 v8, 0x3fb8aa3b, v4, -v0
	v_rndne_f32_e32 v9, v0
	v_fma_f32 v10, 0x3fb8aa3b, v3, -v6
	v_rndne_f32_e32 v11, v6
	v_fmac_f32_e32 v8, 0x32a5705f, v4
	v_sub_f32_e32 v0, v0, v9
	v_fmac_f32_e32 v10, 0x32a5705f, v3
	v_sub_f32_e32 v6, v6, v11
	v_add_f32_e32 v0, v0, v8
	v_cvt_i32_f32_e32 v8, v9
	v_cvt_i32_f32_e32 v9, v11
	v_add_f32_e32 v6, v6, v10
	v_exp_f32_e32 v0, v0
	v_exp_f32_e32 v6, v6
	v_ldexp_f32 v0, v0, v8
	v_ldexp_f32 v6, v6, v9
	v_cndmask_b32_e64 v0, 0, v0, s1
	v_cmp_ngt_f32_e64 s1, 0xc2ce8ed0, v3
	v_cndmask_b32_e64 v6, 0, v6, s1
	v_cmp_nlt_f32_e64 s1, 0x42b17218, v4
	v_cndmask_b32_e64 v8, 0x7f800000, v0, s1
	v_cmp_nlt_f32_e64 s1, 0x42b17218, v3
	ds_bpermute_b32 v9, v7, v8
	v_cndmask_b32_e64 v6, 0x7f800000, v6, s1
	ds_bpermute_b32 v7, v7, v6
	s_and_saveexec_b32 s1, s0
	s_cbranch_execz .LBB73_9
; %bb.5:
	v_add_co_u32 v0, s0, s8, v1
	v_add_co_ci_u32_e64 v1, null, s9, v2, s0
	s_and_saveexec_b32 s2, vcc_lo
	s_cbranch_execz .LBB73_7
; %bb.6:
	s_waitcnt lgkmcnt(1)
	v_add_f32_e32 v2, v8, v9
	v_cmp_gt_f32_e64 s0, 0x800000, v2
	v_cndmask_b32_e64 v8, 0, 32, s0
	v_ldexp_f32 v2, v2, v8
	v_log_f32_e32 v2, v2
	v_mul_f32_e32 v8, 0x3f317217, v2
	v_cmp_gt_f32_e64 s1, 0x7f800000, |v2|
	v_fma_f32 v8, 0x3f317217, v2, -v8
	v_fmamk_f32 v8, v2, 0x3377d1cf, v8
	v_fmac_f32_e32 v8, 0x3f317217, v2
	v_cndmask_b32_e64 v2, v2, v8, s1
	v_cndmask_b32_e64 v8, 0, 0x41b17218, s0
	v_sub_f32_e32 v2, v2, v8
	v_sub_f32_e32 v2, v4, v2
	v_cvt_f16_f32_e32 v2, v2
	global_store_short v[0:1], v2, off
.LBB73_7:
	s_or_b32 exec_lo, exec_lo, s2
	v_cmp_ne_u32_e64 s0, 1, v5
	s_and_b32 s0, s0, vcc_lo
	s_and_b32 exec_lo, exec_lo, s0
	s_cbranch_execz .LBB73_9
; %bb.8:
	s_waitcnt lgkmcnt(0)
	v_add_f32_e32 v2, v6, v7
	s_mov_b32 s15, 0
	s_lshl_b64 s[0:1], s[14:15], 1
	v_cmp_gt_f32_e32 vcc_lo, 0x800000, v2
	v_cndmask_b32_e64 v4, 0, 32, vcc_lo
	v_cndmask_b32_e64 v5, 0, 0x41b17218, vcc_lo
	v_ldexp_f32 v2, v2, v4
	v_log_f32_e32 v2, v2
	v_mul_f32_e32 v4, 0x3f317217, v2
	v_cmp_gt_f32_e64 vcc_lo, 0x7f800000, |v2|
	v_fma_f32 v4, 0x3f317217, v2, -v4
	v_fmamk_f32 v4, v2, 0x3377d1cf, v4
	v_fmac_f32_e32 v4, 0x3f317217, v2
	v_cndmask_b32_e32 v2, v2, v4, vcc_lo
	v_add_co_u32 v0, vcc_lo, v0, s0
	v_add_co_ci_u32_e64 v1, null, s1, v1, vcc_lo
	v_sub_f32_e32 v2, v2, v5
	v_sub_f32_e32 v2, v3, v2
	v_cvt_f16_f32_e32 v2, v2
	global_store_short v[0:1], v2, off
.LBB73_9:
	s_endpgm
	.section	.rodata,"a",@progbits
	.p2align	6, 0x0
	.amdhsa_kernel _ZN12_GLOBAL__N_120softmax_warp_forwardIN3c104HalfES2_fLi1ELb1ELb0ELi32EEEvPT0_PKT_iiiPKbib
		.amdhsa_group_segment_fixed_size 0
		.amdhsa_private_segment_fixed_size 0
		.amdhsa_kernarg_size 304
		.amdhsa_user_sgpr_count 6
		.amdhsa_user_sgpr_private_segment_buffer 1
		.amdhsa_user_sgpr_dispatch_ptr 0
		.amdhsa_user_sgpr_queue_ptr 0
		.amdhsa_user_sgpr_kernarg_segment_ptr 1
		.amdhsa_user_sgpr_dispatch_id 0
		.amdhsa_user_sgpr_flat_scratch_init 0
		.amdhsa_user_sgpr_private_segment_size 0
		.amdhsa_wavefront_size32 1
		.amdhsa_uses_dynamic_stack 0
		.amdhsa_system_sgpr_private_segment_wavefront_offset 0
		.amdhsa_system_sgpr_workgroup_id_x 1
		.amdhsa_system_sgpr_workgroup_id_y 0
		.amdhsa_system_sgpr_workgroup_id_z 0
		.amdhsa_system_sgpr_workgroup_info 0
		.amdhsa_system_vgpr_workitem_id 1
		.amdhsa_next_free_vgpr 12
		.amdhsa_next_free_sgpr 16
		.amdhsa_reserve_vcc 1
		.amdhsa_reserve_flat_scratch 0
		.amdhsa_float_round_mode_32 0
		.amdhsa_float_round_mode_16_64 0
		.amdhsa_float_denorm_mode_32 3
		.amdhsa_float_denorm_mode_16_64 3
		.amdhsa_dx10_clamp 1
		.amdhsa_ieee_mode 1
		.amdhsa_fp16_overflow 0
		.amdhsa_workgroup_processor_mode 1
		.amdhsa_memory_ordered 1
		.amdhsa_forward_progress 1
		.amdhsa_shared_vgpr_count 0
		.amdhsa_exception_fp_ieee_invalid_op 0
		.amdhsa_exception_fp_denorm_src 0
		.amdhsa_exception_fp_ieee_div_zero 0
		.amdhsa_exception_fp_ieee_overflow 0
		.amdhsa_exception_fp_ieee_underflow 0
		.amdhsa_exception_fp_ieee_inexact 0
		.amdhsa_exception_int_div_zero 0
	.end_amdhsa_kernel
	.section	.text._ZN12_GLOBAL__N_120softmax_warp_forwardIN3c104HalfES2_fLi1ELb1ELb0ELi32EEEvPT0_PKT_iiiPKbib,"axG",@progbits,_ZN12_GLOBAL__N_120softmax_warp_forwardIN3c104HalfES2_fLi1ELb1ELb0ELi32EEEvPT0_PKT_iiiPKbib,comdat
.Lfunc_end73:
	.size	_ZN12_GLOBAL__N_120softmax_warp_forwardIN3c104HalfES2_fLi1ELb1ELb0ELi32EEEvPT0_PKT_iiiPKbib, .Lfunc_end73-_ZN12_GLOBAL__N_120softmax_warp_forwardIN3c104HalfES2_fLi1ELb1ELb0ELi32EEEvPT0_PKT_iiiPKbib
                                        ; -- End function
	.set _ZN12_GLOBAL__N_120softmax_warp_forwardIN3c104HalfES2_fLi1ELb1ELb0ELi32EEEvPT0_PKT_iiiPKbib.num_vgpr, 12
	.set _ZN12_GLOBAL__N_120softmax_warp_forwardIN3c104HalfES2_fLi1ELb1ELb0ELi32EEEvPT0_PKT_iiiPKbib.num_agpr, 0
	.set _ZN12_GLOBAL__N_120softmax_warp_forwardIN3c104HalfES2_fLi1ELb1ELb0ELi32EEEvPT0_PKT_iiiPKbib.numbered_sgpr, 16
	.set _ZN12_GLOBAL__N_120softmax_warp_forwardIN3c104HalfES2_fLi1ELb1ELb0ELi32EEEvPT0_PKT_iiiPKbib.num_named_barrier, 0
	.set _ZN12_GLOBAL__N_120softmax_warp_forwardIN3c104HalfES2_fLi1ELb1ELb0ELi32EEEvPT0_PKT_iiiPKbib.private_seg_size, 0
	.set _ZN12_GLOBAL__N_120softmax_warp_forwardIN3c104HalfES2_fLi1ELb1ELb0ELi32EEEvPT0_PKT_iiiPKbib.uses_vcc, 1
	.set _ZN12_GLOBAL__N_120softmax_warp_forwardIN3c104HalfES2_fLi1ELb1ELb0ELi32EEEvPT0_PKT_iiiPKbib.uses_flat_scratch, 0
	.set _ZN12_GLOBAL__N_120softmax_warp_forwardIN3c104HalfES2_fLi1ELb1ELb0ELi32EEEvPT0_PKT_iiiPKbib.has_dyn_sized_stack, 0
	.set _ZN12_GLOBAL__N_120softmax_warp_forwardIN3c104HalfES2_fLi1ELb1ELb0ELi32EEEvPT0_PKT_iiiPKbib.has_recursion, 0
	.set _ZN12_GLOBAL__N_120softmax_warp_forwardIN3c104HalfES2_fLi1ELb1ELb0ELi32EEEvPT0_PKT_iiiPKbib.has_indirect_call, 0
	.section	.AMDGPU.csdata,"",@progbits
; Kernel info:
; codeLenInByte = 864
; TotalNumSgprs: 18
; NumVgprs: 12
; ScratchSize: 0
; MemoryBound: 0
; FloatMode: 240
; IeeeMode: 1
; LDSByteSize: 0 bytes/workgroup (compile time only)
; SGPRBlocks: 0
; VGPRBlocks: 1
; NumSGPRsForWavesPerEU: 18
; NumVGPRsForWavesPerEU: 12
; Occupancy: 16
; WaveLimiterHint : 0
; COMPUTE_PGM_RSRC2:SCRATCH_EN: 0
; COMPUTE_PGM_RSRC2:USER_SGPR: 6
; COMPUTE_PGM_RSRC2:TRAP_HANDLER: 0
; COMPUTE_PGM_RSRC2:TGID_X_EN: 1
; COMPUTE_PGM_RSRC2:TGID_Y_EN: 0
; COMPUTE_PGM_RSRC2:TGID_Z_EN: 0
; COMPUTE_PGM_RSRC2:TIDIG_COMP_CNT: 1
	.section	.text._ZN12_GLOBAL__N_120softmax_warp_forwardIN3c104HalfES2_fLi2ELb1ELb0ELi64EEEvPT0_PKT_iiiPKbib,"axG",@progbits,_ZN12_GLOBAL__N_120softmax_warp_forwardIN3c104HalfES2_fLi2ELb1ELb0ELi64EEEvPT0_PKT_iiiPKbib,comdat
	.globl	_ZN12_GLOBAL__N_120softmax_warp_forwardIN3c104HalfES2_fLi2ELb1ELb0ELi64EEEvPT0_PKT_iiiPKbib ; -- Begin function _ZN12_GLOBAL__N_120softmax_warp_forwardIN3c104HalfES2_fLi2ELb1ELb0ELi64EEEvPT0_PKT_iiiPKbib
	.p2align	8
	.type	_ZN12_GLOBAL__N_120softmax_warp_forwardIN3c104HalfES2_fLi2ELb1ELb0ELi64EEEvPT0_PKT_iiiPKbib,@function
_ZN12_GLOBAL__N_120softmax_warp_forwardIN3c104HalfES2_fLi2ELb1ELb0ELi64EEEvPT0_PKT_iiiPKbib: ; @_ZN12_GLOBAL__N_120softmax_warp_forwardIN3c104HalfES2_fLi2ELb1ELb0ELi64EEEvPT0_PKT_iiiPKbib
; %bb.0:
	s_clause 0x1
	s_load_dword s0, s[4:5], 0x3c
	s_load_dwordx8 s[8:15], s[4:5], 0x0
	v_mov_b32_e32 v6, 0xff800000
	s_waitcnt lgkmcnt(0)
	s_lshr_b32 s0, s0, 16
	v_cmp_gt_i32_e32 vcc_lo, s14, v0
	s_and_b32 s0, s0, 0xffff
	s_mul_i32 s6, s6, s0
	v_add_lshl_u32 v3, s6, v1, 1
	v_mad_u64_u32 v[1:2], null, v3, s13, v[0:1]
	v_sub_nc_u32_e32 v5, s12, v3
	v_mov_b32_e32 v0, 0xff800000
	v_cmp_lt_i32_e64 s0, 0, v5
	v_ashrrev_i32_e32 v2, 31, v1
	s_and_b32 s2, vcc_lo, s0
	v_lshlrev_b64 v[1:2], 1, v[1:2]
	v_add_co_u32 v3, s1, s10, v1
	v_add_co_ci_u32_e64 v4, null, s11, v2, s1
	s_and_saveexec_b32 s1, s2
	s_cbranch_execz .LBB74_2
; %bb.1:
	global_load_ushort v0, v[3:4], off
	s_waitcnt vmcnt(0)
	v_cvt_f32_f16_e32 v0, v0
.LBB74_2:
	s_or_b32 exec_lo, exec_lo, s1
	v_cmp_lt_i32_e64 s1, 1, v5
	s_and_b32 s1, vcc_lo, s1
	s_and_saveexec_b32 s2, s1
	s_cbranch_execz .LBB74_4
; %bb.3:
	s_mov_b32 s15, 0
	s_lshl_b64 s[4:5], s[14:15], 1
	v_add_co_u32 v3, s1, v3, s4
	v_add_co_ci_u32_e64 v4, null, s5, v4, s1
	global_load_ushort v3, v[3:4], off
	s_waitcnt vmcnt(0)
	v_cvt_f32_f16_e32 v6, v3
.LBB74_4:
	s_or_b32 exec_lo, exec_lo, s2
	v_mbcnt_lo_u32_b32 v3, -1, 0
	v_and_b32_e32 v4, 28, v3
	v_xor_b32_e32 v7, 2, v3
	v_xor_b32_e32 v10, 1, v3
	v_add_nc_u32_e32 v4, 4, v4
	v_cmp_lt_i32_e64 s1, v7, v4
	v_cndmask_b32_e64 v7, v3, v7, s1
	v_cmp_lt_i32_e64 s1, v10, v4
	v_lshlrev_b32_e32 v7, 2, v7
	v_cndmask_b32_e64 v3, v3, v10, s1
	ds_bpermute_b32 v8, v7, v0
	ds_bpermute_b32 v9, v7, v6
	v_lshlrev_b32_e32 v10, 2, v3
	s_waitcnt lgkmcnt(1)
	v_cmp_lt_f32_e64 s1, v0, v8
	v_cndmask_b32_e64 v3, v0, v8, s1
	s_waitcnt lgkmcnt(0)
	v_cmp_lt_f32_e64 s1, v6, v9
	ds_bpermute_b32 v8, v10, v3
	v_cndmask_b32_e64 v4, v6, v9, s1
	ds_bpermute_b32 v9, v10, v4
	s_waitcnt lgkmcnt(1)
	v_cmp_lt_f32_e64 s1, v3, v8
	v_cndmask_b32_e64 v3, v3, v8, s1
	s_waitcnt lgkmcnt(0)
	v_cmp_lt_f32_e64 s1, v4, v9
	v_cndmask_b32_e64 v8, v4, v9, s1
	v_sub_f32_e32 v4, v0, v3
	v_sub_f32_e32 v3, v6, v8
	v_mul_f32_e32 v0, 0x3fb8aa3b, v4
	v_cmp_ngt_f32_e64 s1, 0xc2ce8ed0, v4
	v_mul_f32_e32 v6, 0x3fb8aa3b, v3
	v_fma_f32 v8, 0x3fb8aa3b, v4, -v0
	v_rndne_f32_e32 v9, v0
	v_fma_f32 v11, 0x3fb8aa3b, v3, -v6
	v_rndne_f32_e32 v12, v6
	v_fmac_f32_e32 v8, 0x32a5705f, v4
	v_sub_f32_e32 v0, v0, v9
	v_fmac_f32_e32 v11, 0x32a5705f, v3
	v_sub_f32_e32 v6, v6, v12
	v_add_f32_e32 v0, v0, v8
	v_cvt_i32_f32_e32 v8, v9
	v_cvt_i32_f32_e32 v9, v12
	v_add_f32_e32 v6, v6, v11
	v_exp_f32_e32 v0, v0
	v_exp_f32_e32 v6, v6
	v_ldexp_f32 v0, v0, v8
	v_ldexp_f32 v6, v6, v9
	v_cndmask_b32_e64 v0, 0, v0, s1
	v_cmp_ngt_f32_e64 s1, 0xc2ce8ed0, v3
	v_cndmask_b32_e64 v6, 0, v6, s1
	v_cmp_nlt_f32_e64 s1, 0x42b17218, v4
	v_cndmask_b32_e64 v0, 0x7f800000, v0, s1
	v_cmp_nlt_f32_e64 s1, 0x42b17218, v3
	ds_bpermute_b32 v8, v7, v0
	v_cndmask_b32_e64 v6, 0x7f800000, v6, s1
	ds_bpermute_b32 v7, v7, v6
	s_waitcnt lgkmcnt(1)
	v_add_f32_e32 v8, v0, v8
	ds_bpermute_b32 v9, v10, v8
	s_waitcnt lgkmcnt(1)
	v_add_f32_e32 v6, v6, v7
	ds_bpermute_b32 v7, v10, v6
	s_and_saveexec_b32 s1, s0
	s_cbranch_execz .LBB74_9
; %bb.5:
	v_add_co_u32 v0, s0, s8, v1
	v_add_co_ci_u32_e64 v1, null, s9, v2, s0
	s_and_saveexec_b32 s2, vcc_lo
	s_cbranch_execz .LBB74_7
; %bb.6:
	s_waitcnt lgkmcnt(1)
	v_add_f32_e32 v2, v8, v9
	v_cmp_gt_f32_e64 s0, 0x800000, v2
	v_cndmask_b32_e64 v8, 0, 32, s0
	v_ldexp_f32 v2, v2, v8
	v_log_f32_e32 v2, v2
	v_mul_f32_e32 v8, 0x3f317217, v2
	v_cmp_gt_f32_e64 s1, 0x7f800000, |v2|
	v_fma_f32 v8, 0x3f317217, v2, -v8
	v_fmamk_f32 v8, v2, 0x3377d1cf, v8
	v_fmac_f32_e32 v8, 0x3f317217, v2
	v_cndmask_b32_e64 v2, v2, v8, s1
	v_cndmask_b32_e64 v8, 0, 0x41b17218, s0
	v_sub_f32_e32 v2, v2, v8
	v_sub_f32_e32 v2, v4, v2
	v_cvt_f16_f32_e32 v2, v2
	global_store_short v[0:1], v2, off
.LBB74_7:
	s_or_b32 exec_lo, exec_lo, s2
	v_cmp_ne_u32_e64 s0, 1, v5
	s_and_b32 s0, s0, vcc_lo
	s_and_b32 exec_lo, exec_lo, s0
	s_cbranch_execz .LBB74_9
; %bb.8:
	s_waitcnt lgkmcnt(0)
	v_add_f32_e32 v2, v6, v7
	s_mov_b32 s15, 0
	s_lshl_b64 s[0:1], s[14:15], 1
	v_cmp_gt_f32_e32 vcc_lo, 0x800000, v2
	v_cndmask_b32_e64 v4, 0, 32, vcc_lo
	v_cndmask_b32_e64 v5, 0, 0x41b17218, vcc_lo
	v_ldexp_f32 v2, v2, v4
	v_log_f32_e32 v2, v2
	v_mul_f32_e32 v4, 0x3f317217, v2
	v_cmp_gt_f32_e64 vcc_lo, 0x7f800000, |v2|
	v_fma_f32 v4, 0x3f317217, v2, -v4
	v_fmamk_f32 v4, v2, 0x3377d1cf, v4
	v_fmac_f32_e32 v4, 0x3f317217, v2
	v_cndmask_b32_e32 v2, v2, v4, vcc_lo
	v_add_co_u32 v0, vcc_lo, v0, s0
	v_add_co_ci_u32_e64 v1, null, s1, v1, vcc_lo
	v_sub_f32_e32 v2, v2, v5
	v_sub_f32_e32 v2, v3, v2
	v_cvt_f16_f32_e32 v2, v2
	global_store_short v[0:1], v2, off
.LBB74_9:
	s_endpgm
	.section	.rodata,"a",@progbits
	.p2align	6, 0x0
	.amdhsa_kernel _ZN12_GLOBAL__N_120softmax_warp_forwardIN3c104HalfES2_fLi2ELb1ELb0ELi64EEEvPT0_PKT_iiiPKbib
		.amdhsa_group_segment_fixed_size 0
		.amdhsa_private_segment_fixed_size 0
		.amdhsa_kernarg_size 304
		.amdhsa_user_sgpr_count 6
		.amdhsa_user_sgpr_private_segment_buffer 1
		.amdhsa_user_sgpr_dispatch_ptr 0
		.amdhsa_user_sgpr_queue_ptr 0
		.amdhsa_user_sgpr_kernarg_segment_ptr 1
		.amdhsa_user_sgpr_dispatch_id 0
		.amdhsa_user_sgpr_flat_scratch_init 0
		.amdhsa_user_sgpr_private_segment_size 0
		.amdhsa_wavefront_size32 1
		.amdhsa_uses_dynamic_stack 0
		.amdhsa_system_sgpr_private_segment_wavefront_offset 0
		.amdhsa_system_sgpr_workgroup_id_x 1
		.amdhsa_system_sgpr_workgroup_id_y 0
		.amdhsa_system_sgpr_workgroup_id_z 0
		.amdhsa_system_sgpr_workgroup_info 0
		.amdhsa_system_vgpr_workitem_id 1
		.amdhsa_next_free_vgpr 13
		.amdhsa_next_free_sgpr 16
		.amdhsa_reserve_vcc 1
		.amdhsa_reserve_flat_scratch 0
		.amdhsa_float_round_mode_32 0
		.amdhsa_float_round_mode_16_64 0
		.amdhsa_float_denorm_mode_32 3
		.amdhsa_float_denorm_mode_16_64 3
		.amdhsa_dx10_clamp 1
		.amdhsa_ieee_mode 1
		.amdhsa_fp16_overflow 0
		.amdhsa_workgroup_processor_mode 1
		.amdhsa_memory_ordered 1
		.amdhsa_forward_progress 1
		.amdhsa_shared_vgpr_count 0
		.amdhsa_exception_fp_ieee_invalid_op 0
		.amdhsa_exception_fp_denorm_src 0
		.amdhsa_exception_fp_ieee_div_zero 0
		.amdhsa_exception_fp_ieee_overflow 0
		.amdhsa_exception_fp_ieee_underflow 0
		.amdhsa_exception_fp_ieee_inexact 0
		.amdhsa_exception_int_div_zero 0
	.end_amdhsa_kernel
	.section	.text._ZN12_GLOBAL__N_120softmax_warp_forwardIN3c104HalfES2_fLi2ELb1ELb0ELi64EEEvPT0_PKT_iiiPKbib,"axG",@progbits,_ZN12_GLOBAL__N_120softmax_warp_forwardIN3c104HalfES2_fLi2ELb1ELb0ELi64EEEvPT0_PKT_iiiPKbib,comdat
.Lfunc_end74:
	.size	_ZN12_GLOBAL__N_120softmax_warp_forwardIN3c104HalfES2_fLi2ELb1ELb0ELi64EEEvPT0_PKT_iiiPKbib, .Lfunc_end74-_ZN12_GLOBAL__N_120softmax_warp_forwardIN3c104HalfES2_fLi2ELb1ELb0ELi64EEEvPT0_PKT_iiiPKbib
                                        ; -- End function
	.set _ZN12_GLOBAL__N_120softmax_warp_forwardIN3c104HalfES2_fLi2ELb1ELb0ELi64EEEvPT0_PKT_iiiPKbib.num_vgpr, 13
	.set _ZN12_GLOBAL__N_120softmax_warp_forwardIN3c104HalfES2_fLi2ELb1ELb0ELi64EEEvPT0_PKT_iiiPKbib.num_agpr, 0
	.set _ZN12_GLOBAL__N_120softmax_warp_forwardIN3c104HalfES2_fLi2ELb1ELb0ELi64EEEvPT0_PKT_iiiPKbib.numbered_sgpr, 16
	.set _ZN12_GLOBAL__N_120softmax_warp_forwardIN3c104HalfES2_fLi2ELb1ELb0ELi64EEEvPT0_PKT_iiiPKbib.num_named_barrier, 0
	.set _ZN12_GLOBAL__N_120softmax_warp_forwardIN3c104HalfES2_fLi2ELb1ELb0ELi64EEEvPT0_PKT_iiiPKbib.private_seg_size, 0
	.set _ZN12_GLOBAL__N_120softmax_warp_forwardIN3c104HalfES2_fLi2ELb1ELb0ELi64EEEvPT0_PKT_iiiPKbib.uses_vcc, 1
	.set _ZN12_GLOBAL__N_120softmax_warp_forwardIN3c104HalfES2_fLi2ELb1ELb0ELi64EEEvPT0_PKT_iiiPKbib.uses_flat_scratch, 0
	.set _ZN12_GLOBAL__N_120softmax_warp_forwardIN3c104HalfES2_fLi2ELb1ELb0ELi64EEEvPT0_PKT_iiiPKbib.has_dyn_sized_stack, 0
	.set _ZN12_GLOBAL__N_120softmax_warp_forwardIN3c104HalfES2_fLi2ELb1ELb0ELi64EEEvPT0_PKT_iiiPKbib.has_recursion, 0
	.set _ZN12_GLOBAL__N_120softmax_warp_forwardIN3c104HalfES2_fLi2ELb1ELb0ELi64EEEvPT0_PKT_iiiPKbib.has_indirect_call, 0
	.section	.AMDGPU.csdata,"",@progbits
; Kernel info:
; codeLenInByte = 976
; TotalNumSgprs: 18
; NumVgprs: 13
; ScratchSize: 0
; MemoryBound: 0
; FloatMode: 240
; IeeeMode: 1
; LDSByteSize: 0 bytes/workgroup (compile time only)
; SGPRBlocks: 0
; VGPRBlocks: 1
; NumSGPRsForWavesPerEU: 18
; NumVGPRsForWavesPerEU: 13
; Occupancy: 16
; WaveLimiterHint : 0
; COMPUTE_PGM_RSRC2:SCRATCH_EN: 0
; COMPUTE_PGM_RSRC2:USER_SGPR: 6
; COMPUTE_PGM_RSRC2:TRAP_HANDLER: 0
; COMPUTE_PGM_RSRC2:TGID_X_EN: 1
; COMPUTE_PGM_RSRC2:TGID_Y_EN: 0
; COMPUTE_PGM_RSRC2:TGID_Z_EN: 0
; COMPUTE_PGM_RSRC2:TIDIG_COMP_CNT: 1
	.section	.text._ZN12_GLOBAL__N_120softmax_warp_forwardIN3c104HalfES2_fLi2ELb1ELb0ELi32EEEvPT0_PKT_iiiPKbib,"axG",@progbits,_ZN12_GLOBAL__N_120softmax_warp_forwardIN3c104HalfES2_fLi2ELb1ELb0ELi32EEEvPT0_PKT_iiiPKbib,comdat
	.globl	_ZN12_GLOBAL__N_120softmax_warp_forwardIN3c104HalfES2_fLi2ELb1ELb0ELi32EEEvPT0_PKT_iiiPKbib ; -- Begin function _ZN12_GLOBAL__N_120softmax_warp_forwardIN3c104HalfES2_fLi2ELb1ELb0ELi32EEEvPT0_PKT_iiiPKbib
	.p2align	8
	.type	_ZN12_GLOBAL__N_120softmax_warp_forwardIN3c104HalfES2_fLi2ELb1ELb0ELi32EEEvPT0_PKT_iiiPKbib,@function
_ZN12_GLOBAL__N_120softmax_warp_forwardIN3c104HalfES2_fLi2ELb1ELb0ELi32EEEvPT0_PKT_iiiPKbib: ; @_ZN12_GLOBAL__N_120softmax_warp_forwardIN3c104HalfES2_fLi2ELb1ELb0ELi32EEEvPT0_PKT_iiiPKbib
; %bb.0:
	s_clause 0x1
	s_load_dword s0, s[4:5], 0x3c
	s_load_dwordx8 s[8:15], s[4:5], 0x0
	v_mov_b32_e32 v6, 0xff800000
	s_waitcnt lgkmcnt(0)
	s_lshr_b32 s0, s0, 16
	v_cmp_gt_i32_e32 vcc_lo, s14, v0
	s_and_b32 s0, s0, 0xffff
	s_mul_i32 s6, s6, s0
	v_add_lshl_u32 v3, s6, v1, 1
	v_mad_u64_u32 v[1:2], null, v3, s13, v[0:1]
	v_sub_nc_u32_e32 v5, s12, v3
	v_mov_b32_e32 v0, 0xff800000
	v_cmp_lt_i32_e64 s0, 0, v5
	v_ashrrev_i32_e32 v2, 31, v1
	s_and_b32 s2, vcc_lo, s0
	v_lshlrev_b64 v[1:2], 1, v[1:2]
	v_add_co_u32 v3, s1, s10, v1
	v_add_co_ci_u32_e64 v4, null, s11, v2, s1
	s_and_saveexec_b32 s1, s2
	s_cbranch_execz .LBB75_2
; %bb.1:
	global_load_ushort v0, v[3:4], off
	s_waitcnt vmcnt(0)
	v_cvt_f32_f16_e32 v0, v0
.LBB75_2:
	s_or_b32 exec_lo, exec_lo, s1
	v_cmp_lt_i32_e64 s1, 1, v5
	s_and_b32 s1, vcc_lo, s1
	s_and_saveexec_b32 s2, s1
	s_cbranch_execz .LBB75_4
; %bb.3:
	s_mov_b32 s15, 0
	s_lshl_b64 s[4:5], s[14:15], 1
	v_add_co_u32 v3, s1, v3, s4
	v_add_co_ci_u32_e64 v4, null, s5, v4, s1
	global_load_ushort v3, v[3:4], off
	s_waitcnt vmcnt(0)
	v_cvt_f32_f16_e32 v6, v3
.LBB75_4:
	s_or_b32 exec_lo, exec_lo, s2
	v_mbcnt_lo_u32_b32 v3, -1, 0
	v_and_b32_e32 v4, 28, v3
	v_xor_b32_e32 v7, 2, v3
	v_xor_b32_e32 v10, 1, v3
	v_add_nc_u32_e32 v4, 4, v4
	v_cmp_lt_i32_e64 s1, v7, v4
	v_cndmask_b32_e64 v7, v3, v7, s1
	v_cmp_lt_i32_e64 s1, v10, v4
	v_lshlrev_b32_e32 v7, 2, v7
	v_cndmask_b32_e64 v3, v3, v10, s1
	ds_bpermute_b32 v8, v7, v0
	ds_bpermute_b32 v9, v7, v6
	v_lshlrev_b32_e32 v10, 2, v3
	s_waitcnt lgkmcnt(1)
	v_cmp_lt_f32_e64 s1, v0, v8
	v_cndmask_b32_e64 v3, v0, v8, s1
	s_waitcnt lgkmcnt(0)
	v_cmp_lt_f32_e64 s1, v6, v9
	ds_bpermute_b32 v8, v10, v3
	v_cndmask_b32_e64 v4, v6, v9, s1
	ds_bpermute_b32 v9, v10, v4
	s_waitcnt lgkmcnt(1)
	v_cmp_lt_f32_e64 s1, v3, v8
	v_cndmask_b32_e64 v3, v3, v8, s1
	s_waitcnt lgkmcnt(0)
	v_cmp_lt_f32_e64 s1, v4, v9
	v_cndmask_b32_e64 v8, v4, v9, s1
	v_sub_f32_e32 v4, v0, v3
	v_sub_f32_e32 v3, v6, v8
	v_mul_f32_e32 v0, 0x3fb8aa3b, v4
	v_cmp_ngt_f32_e64 s1, 0xc2ce8ed0, v4
	v_mul_f32_e32 v6, 0x3fb8aa3b, v3
	v_fma_f32 v8, 0x3fb8aa3b, v4, -v0
	v_rndne_f32_e32 v9, v0
	v_fma_f32 v11, 0x3fb8aa3b, v3, -v6
	v_rndne_f32_e32 v12, v6
	v_fmac_f32_e32 v8, 0x32a5705f, v4
	v_sub_f32_e32 v0, v0, v9
	v_fmac_f32_e32 v11, 0x32a5705f, v3
	v_sub_f32_e32 v6, v6, v12
	v_add_f32_e32 v0, v0, v8
	v_cvt_i32_f32_e32 v8, v9
	v_cvt_i32_f32_e32 v9, v12
	v_add_f32_e32 v6, v6, v11
	v_exp_f32_e32 v0, v0
	v_exp_f32_e32 v6, v6
	v_ldexp_f32 v0, v0, v8
	v_ldexp_f32 v6, v6, v9
	v_cndmask_b32_e64 v0, 0, v0, s1
	v_cmp_ngt_f32_e64 s1, 0xc2ce8ed0, v3
	v_cndmask_b32_e64 v6, 0, v6, s1
	v_cmp_nlt_f32_e64 s1, 0x42b17218, v4
	v_cndmask_b32_e64 v0, 0x7f800000, v0, s1
	v_cmp_nlt_f32_e64 s1, 0x42b17218, v3
	ds_bpermute_b32 v8, v7, v0
	v_cndmask_b32_e64 v6, 0x7f800000, v6, s1
	ds_bpermute_b32 v7, v7, v6
	s_waitcnt lgkmcnt(1)
	v_add_f32_e32 v8, v0, v8
	ds_bpermute_b32 v9, v10, v8
	s_waitcnt lgkmcnt(1)
	v_add_f32_e32 v6, v6, v7
	ds_bpermute_b32 v7, v10, v6
	s_and_saveexec_b32 s1, s0
	s_cbranch_execz .LBB75_9
; %bb.5:
	v_add_co_u32 v0, s0, s8, v1
	v_add_co_ci_u32_e64 v1, null, s9, v2, s0
	s_and_saveexec_b32 s2, vcc_lo
	s_cbranch_execz .LBB75_7
; %bb.6:
	s_waitcnt lgkmcnt(1)
	v_add_f32_e32 v2, v8, v9
	v_cmp_gt_f32_e64 s0, 0x800000, v2
	v_cndmask_b32_e64 v8, 0, 32, s0
	v_ldexp_f32 v2, v2, v8
	v_log_f32_e32 v2, v2
	v_mul_f32_e32 v8, 0x3f317217, v2
	v_cmp_gt_f32_e64 s1, 0x7f800000, |v2|
	v_fma_f32 v8, 0x3f317217, v2, -v8
	v_fmamk_f32 v8, v2, 0x3377d1cf, v8
	v_fmac_f32_e32 v8, 0x3f317217, v2
	v_cndmask_b32_e64 v2, v2, v8, s1
	v_cndmask_b32_e64 v8, 0, 0x41b17218, s0
	v_sub_f32_e32 v2, v2, v8
	v_sub_f32_e32 v2, v4, v2
	v_cvt_f16_f32_e32 v2, v2
	global_store_short v[0:1], v2, off
.LBB75_7:
	s_or_b32 exec_lo, exec_lo, s2
	v_cmp_ne_u32_e64 s0, 1, v5
	s_and_b32 s0, s0, vcc_lo
	s_and_b32 exec_lo, exec_lo, s0
	s_cbranch_execz .LBB75_9
; %bb.8:
	s_waitcnt lgkmcnt(0)
	v_add_f32_e32 v2, v6, v7
	s_mov_b32 s15, 0
	s_lshl_b64 s[0:1], s[14:15], 1
	v_cmp_gt_f32_e32 vcc_lo, 0x800000, v2
	v_cndmask_b32_e64 v4, 0, 32, vcc_lo
	v_cndmask_b32_e64 v5, 0, 0x41b17218, vcc_lo
	v_ldexp_f32 v2, v2, v4
	v_log_f32_e32 v2, v2
	v_mul_f32_e32 v4, 0x3f317217, v2
	v_cmp_gt_f32_e64 vcc_lo, 0x7f800000, |v2|
	v_fma_f32 v4, 0x3f317217, v2, -v4
	v_fmamk_f32 v4, v2, 0x3377d1cf, v4
	v_fmac_f32_e32 v4, 0x3f317217, v2
	v_cndmask_b32_e32 v2, v2, v4, vcc_lo
	v_add_co_u32 v0, vcc_lo, v0, s0
	v_add_co_ci_u32_e64 v1, null, s1, v1, vcc_lo
	v_sub_f32_e32 v2, v2, v5
	v_sub_f32_e32 v2, v3, v2
	v_cvt_f16_f32_e32 v2, v2
	global_store_short v[0:1], v2, off
.LBB75_9:
	s_endpgm
	.section	.rodata,"a",@progbits
	.p2align	6, 0x0
	.amdhsa_kernel _ZN12_GLOBAL__N_120softmax_warp_forwardIN3c104HalfES2_fLi2ELb1ELb0ELi32EEEvPT0_PKT_iiiPKbib
		.amdhsa_group_segment_fixed_size 0
		.amdhsa_private_segment_fixed_size 0
		.amdhsa_kernarg_size 304
		.amdhsa_user_sgpr_count 6
		.amdhsa_user_sgpr_private_segment_buffer 1
		.amdhsa_user_sgpr_dispatch_ptr 0
		.amdhsa_user_sgpr_queue_ptr 0
		.amdhsa_user_sgpr_kernarg_segment_ptr 1
		.amdhsa_user_sgpr_dispatch_id 0
		.amdhsa_user_sgpr_flat_scratch_init 0
		.amdhsa_user_sgpr_private_segment_size 0
		.amdhsa_wavefront_size32 1
		.amdhsa_uses_dynamic_stack 0
		.amdhsa_system_sgpr_private_segment_wavefront_offset 0
		.amdhsa_system_sgpr_workgroup_id_x 1
		.amdhsa_system_sgpr_workgroup_id_y 0
		.amdhsa_system_sgpr_workgroup_id_z 0
		.amdhsa_system_sgpr_workgroup_info 0
		.amdhsa_system_vgpr_workitem_id 1
		.amdhsa_next_free_vgpr 13
		.amdhsa_next_free_sgpr 16
		.amdhsa_reserve_vcc 1
		.amdhsa_reserve_flat_scratch 0
		.amdhsa_float_round_mode_32 0
		.amdhsa_float_round_mode_16_64 0
		.amdhsa_float_denorm_mode_32 3
		.amdhsa_float_denorm_mode_16_64 3
		.amdhsa_dx10_clamp 1
		.amdhsa_ieee_mode 1
		.amdhsa_fp16_overflow 0
		.amdhsa_workgroup_processor_mode 1
		.amdhsa_memory_ordered 1
		.amdhsa_forward_progress 1
		.amdhsa_shared_vgpr_count 0
		.amdhsa_exception_fp_ieee_invalid_op 0
		.amdhsa_exception_fp_denorm_src 0
		.amdhsa_exception_fp_ieee_div_zero 0
		.amdhsa_exception_fp_ieee_overflow 0
		.amdhsa_exception_fp_ieee_underflow 0
		.amdhsa_exception_fp_ieee_inexact 0
		.amdhsa_exception_int_div_zero 0
	.end_amdhsa_kernel
	.section	.text._ZN12_GLOBAL__N_120softmax_warp_forwardIN3c104HalfES2_fLi2ELb1ELb0ELi32EEEvPT0_PKT_iiiPKbib,"axG",@progbits,_ZN12_GLOBAL__N_120softmax_warp_forwardIN3c104HalfES2_fLi2ELb1ELb0ELi32EEEvPT0_PKT_iiiPKbib,comdat
.Lfunc_end75:
	.size	_ZN12_GLOBAL__N_120softmax_warp_forwardIN3c104HalfES2_fLi2ELb1ELb0ELi32EEEvPT0_PKT_iiiPKbib, .Lfunc_end75-_ZN12_GLOBAL__N_120softmax_warp_forwardIN3c104HalfES2_fLi2ELb1ELb0ELi32EEEvPT0_PKT_iiiPKbib
                                        ; -- End function
	.set _ZN12_GLOBAL__N_120softmax_warp_forwardIN3c104HalfES2_fLi2ELb1ELb0ELi32EEEvPT0_PKT_iiiPKbib.num_vgpr, 13
	.set _ZN12_GLOBAL__N_120softmax_warp_forwardIN3c104HalfES2_fLi2ELb1ELb0ELi32EEEvPT0_PKT_iiiPKbib.num_agpr, 0
	.set _ZN12_GLOBAL__N_120softmax_warp_forwardIN3c104HalfES2_fLi2ELb1ELb0ELi32EEEvPT0_PKT_iiiPKbib.numbered_sgpr, 16
	.set _ZN12_GLOBAL__N_120softmax_warp_forwardIN3c104HalfES2_fLi2ELb1ELb0ELi32EEEvPT0_PKT_iiiPKbib.num_named_barrier, 0
	.set _ZN12_GLOBAL__N_120softmax_warp_forwardIN3c104HalfES2_fLi2ELb1ELb0ELi32EEEvPT0_PKT_iiiPKbib.private_seg_size, 0
	.set _ZN12_GLOBAL__N_120softmax_warp_forwardIN3c104HalfES2_fLi2ELb1ELb0ELi32EEEvPT0_PKT_iiiPKbib.uses_vcc, 1
	.set _ZN12_GLOBAL__N_120softmax_warp_forwardIN3c104HalfES2_fLi2ELb1ELb0ELi32EEEvPT0_PKT_iiiPKbib.uses_flat_scratch, 0
	.set _ZN12_GLOBAL__N_120softmax_warp_forwardIN3c104HalfES2_fLi2ELb1ELb0ELi32EEEvPT0_PKT_iiiPKbib.has_dyn_sized_stack, 0
	.set _ZN12_GLOBAL__N_120softmax_warp_forwardIN3c104HalfES2_fLi2ELb1ELb0ELi32EEEvPT0_PKT_iiiPKbib.has_recursion, 0
	.set _ZN12_GLOBAL__N_120softmax_warp_forwardIN3c104HalfES2_fLi2ELb1ELb0ELi32EEEvPT0_PKT_iiiPKbib.has_indirect_call, 0
	.section	.AMDGPU.csdata,"",@progbits
; Kernel info:
; codeLenInByte = 976
; TotalNumSgprs: 18
; NumVgprs: 13
; ScratchSize: 0
; MemoryBound: 0
; FloatMode: 240
; IeeeMode: 1
; LDSByteSize: 0 bytes/workgroup (compile time only)
; SGPRBlocks: 0
; VGPRBlocks: 1
; NumSGPRsForWavesPerEU: 18
; NumVGPRsForWavesPerEU: 13
; Occupancy: 16
; WaveLimiterHint : 0
; COMPUTE_PGM_RSRC2:SCRATCH_EN: 0
; COMPUTE_PGM_RSRC2:USER_SGPR: 6
; COMPUTE_PGM_RSRC2:TRAP_HANDLER: 0
; COMPUTE_PGM_RSRC2:TGID_X_EN: 1
; COMPUTE_PGM_RSRC2:TGID_Y_EN: 0
; COMPUTE_PGM_RSRC2:TGID_Z_EN: 0
; COMPUTE_PGM_RSRC2:TIDIG_COMP_CNT: 1
	.section	.text._ZN12_GLOBAL__N_120softmax_warp_forwardIN3c104HalfES2_fLi3ELb1ELb0ELi64EEEvPT0_PKT_iiiPKbib,"axG",@progbits,_ZN12_GLOBAL__N_120softmax_warp_forwardIN3c104HalfES2_fLi3ELb1ELb0ELi64EEEvPT0_PKT_iiiPKbib,comdat
	.globl	_ZN12_GLOBAL__N_120softmax_warp_forwardIN3c104HalfES2_fLi3ELb1ELb0ELi64EEEvPT0_PKT_iiiPKbib ; -- Begin function _ZN12_GLOBAL__N_120softmax_warp_forwardIN3c104HalfES2_fLi3ELb1ELb0ELi64EEEvPT0_PKT_iiiPKbib
	.p2align	8
	.type	_ZN12_GLOBAL__N_120softmax_warp_forwardIN3c104HalfES2_fLi3ELb1ELb0ELi64EEEvPT0_PKT_iiiPKbib,@function
_ZN12_GLOBAL__N_120softmax_warp_forwardIN3c104HalfES2_fLi3ELb1ELb0ELi64EEEvPT0_PKT_iiiPKbib: ; @_ZN12_GLOBAL__N_120softmax_warp_forwardIN3c104HalfES2_fLi3ELb1ELb0ELi64EEEvPT0_PKT_iiiPKbib
; %bb.0:
	s_clause 0x1
	s_load_dword s0, s[4:5], 0x3c
	s_load_dwordx8 s[8:15], s[4:5], 0x0
	v_mov_b32_e32 v6, 0xff800000
	s_waitcnt lgkmcnt(0)
	s_lshr_b32 s0, s0, 16
	v_cmp_gt_i32_e32 vcc_lo, s14, v0
	s_and_b32 s0, s0, 0xffff
	s_mul_i32 s6, s6, s0
	v_add_lshl_u32 v3, s6, v1, 1
	v_mad_u64_u32 v[1:2], null, v3, s13, v[0:1]
	v_sub_nc_u32_e32 v5, s12, v3
	v_mov_b32_e32 v0, 0xff800000
	v_cmp_lt_i32_e64 s0, 0, v5
	v_ashrrev_i32_e32 v2, 31, v1
	s_and_b32 s2, vcc_lo, s0
	v_lshlrev_b64 v[1:2], 1, v[1:2]
	v_add_co_u32 v3, s1, s10, v1
	v_add_co_ci_u32_e64 v4, null, s11, v2, s1
	s_and_saveexec_b32 s1, s2
	s_cbranch_execz .LBB76_2
; %bb.1:
	global_load_ushort v0, v[3:4], off
	s_waitcnt vmcnt(0)
	v_cvt_f32_f16_e32 v0, v0
.LBB76_2:
	s_or_b32 exec_lo, exec_lo, s1
	v_cmp_lt_i32_e64 s1, 1, v5
	s_and_b32 s1, vcc_lo, s1
	s_and_saveexec_b32 s2, s1
	s_cbranch_execz .LBB76_4
; %bb.3:
	s_mov_b32 s15, 0
	s_lshl_b64 s[4:5], s[14:15], 1
	v_add_co_u32 v3, s1, v3, s4
	v_add_co_ci_u32_e64 v4, null, s5, v4, s1
	global_load_ushort v3, v[3:4], off
	s_waitcnt vmcnt(0)
	v_cvt_f32_f16_e32 v6, v3
.LBB76_4:
	s_or_b32 exec_lo, exec_lo, s2
	v_mbcnt_lo_u32_b32 v3, -1, 0
	v_and_b32_e32 v4, 24, v3
	v_xor_b32_e32 v7, 4, v3
	v_xor_b32_e32 v10, 2, v3
	;; [unrolled: 1-line block ×3, first 2 shown]
	v_add_nc_u32_e32 v4, 8, v4
	v_cmp_lt_i32_e64 s1, v7, v4
	v_cndmask_b32_e64 v7, v3, v7, s1
	v_cmp_lt_i32_e64 s1, v10, v4
	v_lshlrev_b32_e32 v7, 2, v7
	v_cndmask_b32_e64 v10, v3, v10, s1
	ds_bpermute_b32 v8, v7, v0
	ds_bpermute_b32 v9, v7, v6
	v_lshlrev_b32_e32 v10, 2, v10
	s_waitcnt lgkmcnt(1)
	v_cmp_lt_f32_e64 s1, v0, v8
	v_cndmask_b32_e64 v8, v0, v8, s1
	s_waitcnt lgkmcnt(0)
	v_cmp_lt_f32_e64 s1, v6, v9
	ds_bpermute_b32 v11, v10, v8
	v_cndmask_b32_e64 v9, v6, v9, s1
	v_cmp_lt_i32_e64 s1, v13, v4
	ds_bpermute_b32 v12, v10, v9
	v_cndmask_b32_e64 v3, v3, v13, s1
	v_lshlrev_b32_e32 v13, 2, v3
	s_waitcnt lgkmcnt(1)
	v_cmp_lt_f32_e64 s1, v8, v11
	v_cndmask_b32_e64 v3, v8, v11, s1
	s_waitcnt lgkmcnt(0)
	v_cmp_lt_f32_e64 s1, v9, v12
	ds_bpermute_b32 v8, v13, v3
	v_cndmask_b32_e64 v4, v9, v12, s1
	ds_bpermute_b32 v9, v13, v4
	s_waitcnt lgkmcnt(1)
	v_cmp_lt_f32_e64 s1, v3, v8
	v_cndmask_b32_e64 v3, v3, v8, s1
	s_waitcnt lgkmcnt(0)
	v_cmp_lt_f32_e64 s1, v4, v9
	v_cndmask_b32_e64 v8, v4, v9, s1
	v_sub_f32_e32 v4, v0, v3
	v_sub_f32_e32 v3, v6, v8
	v_mul_f32_e32 v0, 0x3fb8aa3b, v4
	v_cmp_ngt_f32_e64 s1, 0xc2ce8ed0, v4
	v_mul_f32_e32 v6, 0x3fb8aa3b, v3
	v_fma_f32 v8, 0x3fb8aa3b, v4, -v0
	v_rndne_f32_e32 v9, v0
	v_fma_f32 v11, 0x3fb8aa3b, v3, -v6
	v_rndne_f32_e32 v12, v6
	v_fmac_f32_e32 v8, 0x32a5705f, v4
	v_sub_f32_e32 v0, v0, v9
	v_fmac_f32_e32 v11, 0x32a5705f, v3
	v_sub_f32_e32 v6, v6, v12
	v_add_f32_e32 v0, v0, v8
	v_cvt_i32_f32_e32 v8, v9
	v_cvt_i32_f32_e32 v9, v12
	v_add_f32_e32 v6, v6, v11
	v_exp_f32_e32 v0, v0
	v_exp_f32_e32 v6, v6
	v_ldexp_f32 v0, v0, v8
	v_ldexp_f32 v6, v6, v9
	v_cndmask_b32_e64 v0, 0, v0, s1
	v_cmp_ngt_f32_e64 s1, 0xc2ce8ed0, v3
	v_cndmask_b32_e64 v6, 0, v6, s1
	v_cmp_nlt_f32_e64 s1, 0x42b17218, v4
	v_cndmask_b32_e64 v0, 0x7f800000, v0, s1
	v_cmp_nlt_f32_e64 s1, 0x42b17218, v3
	ds_bpermute_b32 v8, v7, v0
	v_cndmask_b32_e64 v6, 0x7f800000, v6, s1
	ds_bpermute_b32 v7, v7, v6
	s_waitcnt lgkmcnt(1)
	v_add_f32_e32 v0, v0, v8
	s_waitcnt lgkmcnt(0)
	v_add_f32_e32 v6, v6, v7
	ds_bpermute_b32 v7, v10, v0
	ds_bpermute_b32 v9, v10, v6
	s_waitcnt lgkmcnt(1)
	v_add_f32_e32 v8, v0, v7
	s_waitcnt lgkmcnt(0)
	v_add_f32_e32 v6, v6, v9
	ds_bpermute_b32 v9, v13, v8
	ds_bpermute_b32 v7, v13, v6
	s_and_saveexec_b32 s1, s0
	s_cbranch_execz .LBB76_9
; %bb.5:
	v_add_co_u32 v0, s0, s8, v1
	v_add_co_ci_u32_e64 v1, null, s9, v2, s0
	s_and_saveexec_b32 s2, vcc_lo
	s_cbranch_execz .LBB76_7
; %bb.6:
	s_waitcnt lgkmcnt(1)
	v_add_f32_e32 v2, v8, v9
	v_cmp_gt_f32_e64 s0, 0x800000, v2
	v_cndmask_b32_e64 v8, 0, 32, s0
	v_ldexp_f32 v2, v2, v8
	v_log_f32_e32 v2, v2
	v_mul_f32_e32 v8, 0x3f317217, v2
	v_cmp_gt_f32_e64 s1, 0x7f800000, |v2|
	v_fma_f32 v8, 0x3f317217, v2, -v8
	v_fmamk_f32 v8, v2, 0x3377d1cf, v8
	v_fmac_f32_e32 v8, 0x3f317217, v2
	v_cndmask_b32_e64 v2, v2, v8, s1
	v_cndmask_b32_e64 v8, 0, 0x41b17218, s0
	v_sub_f32_e32 v2, v2, v8
	v_sub_f32_e32 v2, v4, v2
	v_cvt_f16_f32_e32 v2, v2
	global_store_short v[0:1], v2, off
.LBB76_7:
	s_or_b32 exec_lo, exec_lo, s2
	v_cmp_ne_u32_e64 s0, 1, v5
	s_and_b32 s0, s0, vcc_lo
	s_and_b32 exec_lo, exec_lo, s0
	s_cbranch_execz .LBB76_9
; %bb.8:
	s_waitcnt lgkmcnt(0)
	v_add_f32_e32 v2, v6, v7
	s_mov_b32 s15, 0
	s_lshl_b64 s[0:1], s[14:15], 1
	v_cmp_gt_f32_e32 vcc_lo, 0x800000, v2
	v_cndmask_b32_e64 v4, 0, 32, vcc_lo
	v_cndmask_b32_e64 v5, 0, 0x41b17218, vcc_lo
	v_ldexp_f32 v2, v2, v4
	v_log_f32_e32 v2, v2
	v_mul_f32_e32 v4, 0x3f317217, v2
	v_cmp_gt_f32_e64 vcc_lo, 0x7f800000, |v2|
	v_fma_f32 v4, 0x3f317217, v2, -v4
	v_fmamk_f32 v4, v2, 0x3377d1cf, v4
	v_fmac_f32_e32 v4, 0x3f317217, v2
	v_cndmask_b32_e32 v2, v2, v4, vcc_lo
	v_add_co_u32 v0, vcc_lo, v0, s0
	v_add_co_ci_u32_e64 v1, null, s1, v1, vcc_lo
	v_sub_f32_e32 v2, v2, v5
	v_sub_f32_e32 v2, v3, v2
	v_cvt_f16_f32_e32 v2, v2
	global_store_short v[0:1], v2, off
.LBB76_9:
	s_endpgm
	.section	.rodata,"a",@progbits
	.p2align	6, 0x0
	.amdhsa_kernel _ZN12_GLOBAL__N_120softmax_warp_forwardIN3c104HalfES2_fLi3ELb1ELb0ELi64EEEvPT0_PKT_iiiPKbib
		.amdhsa_group_segment_fixed_size 0
		.amdhsa_private_segment_fixed_size 0
		.amdhsa_kernarg_size 304
		.amdhsa_user_sgpr_count 6
		.amdhsa_user_sgpr_private_segment_buffer 1
		.amdhsa_user_sgpr_dispatch_ptr 0
		.amdhsa_user_sgpr_queue_ptr 0
		.amdhsa_user_sgpr_kernarg_segment_ptr 1
		.amdhsa_user_sgpr_dispatch_id 0
		.amdhsa_user_sgpr_flat_scratch_init 0
		.amdhsa_user_sgpr_private_segment_size 0
		.amdhsa_wavefront_size32 1
		.amdhsa_uses_dynamic_stack 0
		.amdhsa_system_sgpr_private_segment_wavefront_offset 0
		.amdhsa_system_sgpr_workgroup_id_x 1
		.amdhsa_system_sgpr_workgroup_id_y 0
		.amdhsa_system_sgpr_workgroup_id_z 0
		.amdhsa_system_sgpr_workgroup_info 0
		.amdhsa_system_vgpr_workitem_id 1
		.amdhsa_next_free_vgpr 14
		.amdhsa_next_free_sgpr 16
		.amdhsa_reserve_vcc 1
		.amdhsa_reserve_flat_scratch 0
		.amdhsa_float_round_mode_32 0
		.amdhsa_float_round_mode_16_64 0
		.amdhsa_float_denorm_mode_32 3
		.amdhsa_float_denorm_mode_16_64 3
		.amdhsa_dx10_clamp 1
		.amdhsa_ieee_mode 1
		.amdhsa_fp16_overflow 0
		.amdhsa_workgroup_processor_mode 1
		.amdhsa_memory_ordered 1
		.amdhsa_forward_progress 1
		.amdhsa_shared_vgpr_count 0
		.amdhsa_exception_fp_ieee_invalid_op 0
		.amdhsa_exception_fp_denorm_src 0
		.amdhsa_exception_fp_ieee_div_zero 0
		.amdhsa_exception_fp_ieee_overflow 0
		.amdhsa_exception_fp_ieee_underflow 0
		.amdhsa_exception_fp_ieee_inexact 0
		.amdhsa_exception_int_div_zero 0
	.end_amdhsa_kernel
	.section	.text._ZN12_GLOBAL__N_120softmax_warp_forwardIN3c104HalfES2_fLi3ELb1ELb0ELi64EEEvPT0_PKT_iiiPKbib,"axG",@progbits,_ZN12_GLOBAL__N_120softmax_warp_forwardIN3c104HalfES2_fLi3ELb1ELb0ELi64EEEvPT0_PKT_iiiPKbib,comdat
.Lfunc_end76:
	.size	_ZN12_GLOBAL__N_120softmax_warp_forwardIN3c104HalfES2_fLi3ELb1ELb0ELi64EEEvPT0_PKT_iiiPKbib, .Lfunc_end76-_ZN12_GLOBAL__N_120softmax_warp_forwardIN3c104HalfES2_fLi3ELb1ELb0ELi64EEEvPT0_PKT_iiiPKbib
                                        ; -- End function
	.set _ZN12_GLOBAL__N_120softmax_warp_forwardIN3c104HalfES2_fLi3ELb1ELb0ELi64EEEvPT0_PKT_iiiPKbib.num_vgpr, 14
	.set _ZN12_GLOBAL__N_120softmax_warp_forwardIN3c104HalfES2_fLi3ELb1ELb0ELi64EEEvPT0_PKT_iiiPKbib.num_agpr, 0
	.set _ZN12_GLOBAL__N_120softmax_warp_forwardIN3c104HalfES2_fLi3ELb1ELb0ELi64EEEvPT0_PKT_iiiPKbib.numbered_sgpr, 16
	.set _ZN12_GLOBAL__N_120softmax_warp_forwardIN3c104HalfES2_fLi3ELb1ELb0ELi64EEEvPT0_PKT_iiiPKbib.num_named_barrier, 0
	.set _ZN12_GLOBAL__N_120softmax_warp_forwardIN3c104HalfES2_fLi3ELb1ELb0ELi64EEEvPT0_PKT_iiiPKbib.private_seg_size, 0
	.set _ZN12_GLOBAL__N_120softmax_warp_forwardIN3c104HalfES2_fLi3ELb1ELb0ELi64EEEvPT0_PKT_iiiPKbib.uses_vcc, 1
	.set _ZN12_GLOBAL__N_120softmax_warp_forwardIN3c104HalfES2_fLi3ELb1ELb0ELi64EEEvPT0_PKT_iiiPKbib.uses_flat_scratch, 0
	.set _ZN12_GLOBAL__N_120softmax_warp_forwardIN3c104HalfES2_fLi3ELb1ELb0ELi64EEEvPT0_PKT_iiiPKbib.has_dyn_sized_stack, 0
	.set _ZN12_GLOBAL__N_120softmax_warp_forwardIN3c104HalfES2_fLi3ELb1ELb0ELi64EEEvPT0_PKT_iiiPKbib.has_recursion, 0
	.set _ZN12_GLOBAL__N_120softmax_warp_forwardIN3c104HalfES2_fLi3ELb1ELb0ELi64EEEvPT0_PKT_iiiPKbib.has_indirect_call, 0
	.section	.AMDGPU.csdata,"",@progbits
; Kernel info:
; codeLenInByte = 1088
; TotalNumSgprs: 18
; NumVgprs: 14
; ScratchSize: 0
; MemoryBound: 0
; FloatMode: 240
; IeeeMode: 1
; LDSByteSize: 0 bytes/workgroup (compile time only)
; SGPRBlocks: 0
; VGPRBlocks: 1
; NumSGPRsForWavesPerEU: 18
; NumVGPRsForWavesPerEU: 14
; Occupancy: 16
; WaveLimiterHint : 0
; COMPUTE_PGM_RSRC2:SCRATCH_EN: 0
; COMPUTE_PGM_RSRC2:USER_SGPR: 6
; COMPUTE_PGM_RSRC2:TRAP_HANDLER: 0
; COMPUTE_PGM_RSRC2:TGID_X_EN: 1
; COMPUTE_PGM_RSRC2:TGID_Y_EN: 0
; COMPUTE_PGM_RSRC2:TGID_Z_EN: 0
; COMPUTE_PGM_RSRC2:TIDIG_COMP_CNT: 1
	.section	.text._ZN12_GLOBAL__N_120softmax_warp_forwardIN3c104HalfES2_fLi3ELb1ELb0ELi32EEEvPT0_PKT_iiiPKbib,"axG",@progbits,_ZN12_GLOBAL__N_120softmax_warp_forwardIN3c104HalfES2_fLi3ELb1ELb0ELi32EEEvPT0_PKT_iiiPKbib,comdat
	.globl	_ZN12_GLOBAL__N_120softmax_warp_forwardIN3c104HalfES2_fLi3ELb1ELb0ELi32EEEvPT0_PKT_iiiPKbib ; -- Begin function _ZN12_GLOBAL__N_120softmax_warp_forwardIN3c104HalfES2_fLi3ELb1ELb0ELi32EEEvPT0_PKT_iiiPKbib
	.p2align	8
	.type	_ZN12_GLOBAL__N_120softmax_warp_forwardIN3c104HalfES2_fLi3ELb1ELb0ELi32EEEvPT0_PKT_iiiPKbib,@function
_ZN12_GLOBAL__N_120softmax_warp_forwardIN3c104HalfES2_fLi3ELb1ELb0ELi32EEEvPT0_PKT_iiiPKbib: ; @_ZN12_GLOBAL__N_120softmax_warp_forwardIN3c104HalfES2_fLi3ELb1ELb0ELi32EEEvPT0_PKT_iiiPKbib
; %bb.0:
	s_clause 0x1
	s_load_dword s0, s[4:5], 0x3c
	s_load_dwordx8 s[8:15], s[4:5], 0x0
	v_mov_b32_e32 v6, 0xff800000
	s_waitcnt lgkmcnt(0)
	s_lshr_b32 s0, s0, 16
	v_cmp_gt_i32_e32 vcc_lo, s14, v0
	s_and_b32 s0, s0, 0xffff
	s_mul_i32 s6, s6, s0
	v_add_lshl_u32 v3, s6, v1, 1
	v_mad_u64_u32 v[1:2], null, v3, s13, v[0:1]
	v_sub_nc_u32_e32 v5, s12, v3
	v_mov_b32_e32 v0, 0xff800000
	v_cmp_lt_i32_e64 s0, 0, v5
	v_ashrrev_i32_e32 v2, 31, v1
	s_and_b32 s2, vcc_lo, s0
	v_lshlrev_b64 v[1:2], 1, v[1:2]
	v_add_co_u32 v3, s1, s10, v1
	v_add_co_ci_u32_e64 v4, null, s11, v2, s1
	s_and_saveexec_b32 s1, s2
	s_cbranch_execz .LBB77_2
; %bb.1:
	global_load_ushort v0, v[3:4], off
	s_waitcnt vmcnt(0)
	v_cvt_f32_f16_e32 v0, v0
.LBB77_2:
	s_or_b32 exec_lo, exec_lo, s1
	v_cmp_lt_i32_e64 s1, 1, v5
	s_and_b32 s1, vcc_lo, s1
	s_and_saveexec_b32 s2, s1
	s_cbranch_execz .LBB77_4
; %bb.3:
	s_mov_b32 s15, 0
	s_lshl_b64 s[4:5], s[14:15], 1
	v_add_co_u32 v3, s1, v3, s4
	v_add_co_ci_u32_e64 v4, null, s5, v4, s1
	global_load_ushort v3, v[3:4], off
	s_waitcnt vmcnt(0)
	v_cvt_f32_f16_e32 v6, v3
.LBB77_4:
	s_or_b32 exec_lo, exec_lo, s2
	v_mbcnt_lo_u32_b32 v3, -1, 0
	v_and_b32_e32 v4, 24, v3
	v_xor_b32_e32 v7, 4, v3
	v_xor_b32_e32 v10, 2, v3
	;; [unrolled: 1-line block ×3, first 2 shown]
	v_add_nc_u32_e32 v4, 8, v4
	v_cmp_lt_i32_e64 s1, v7, v4
	v_cndmask_b32_e64 v7, v3, v7, s1
	v_cmp_lt_i32_e64 s1, v10, v4
	v_lshlrev_b32_e32 v7, 2, v7
	v_cndmask_b32_e64 v10, v3, v10, s1
	ds_bpermute_b32 v8, v7, v0
	ds_bpermute_b32 v9, v7, v6
	v_lshlrev_b32_e32 v10, 2, v10
	s_waitcnt lgkmcnt(1)
	v_cmp_lt_f32_e64 s1, v0, v8
	v_cndmask_b32_e64 v8, v0, v8, s1
	s_waitcnt lgkmcnt(0)
	v_cmp_lt_f32_e64 s1, v6, v9
	ds_bpermute_b32 v11, v10, v8
	v_cndmask_b32_e64 v9, v6, v9, s1
	v_cmp_lt_i32_e64 s1, v13, v4
	ds_bpermute_b32 v12, v10, v9
	v_cndmask_b32_e64 v3, v3, v13, s1
	v_lshlrev_b32_e32 v13, 2, v3
	s_waitcnt lgkmcnt(1)
	v_cmp_lt_f32_e64 s1, v8, v11
	v_cndmask_b32_e64 v3, v8, v11, s1
	s_waitcnt lgkmcnt(0)
	v_cmp_lt_f32_e64 s1, v9, v12
	ds_bpermute_b32 v8, v13, v3
	v_cndmask_b32_e64 v4, v9, v12, s1
	ds_bpermute_b32 v9, v13, v4
	s_waitcnt lgkmcnt(1)
	v_cmp_lt_f32_e64 s1, v3, v8
	v_cndmask_b32_e64 v3, v3, v8, s1
	s_waitcnt lgkmcnt(0)
	v_cmp_lt_f32_e64 s1, v4, v9
	v_cndmask_b32_e64 v8, v4, v9, s1
	v_sub_f32_e32 v4, v0, v3
	v_sub_f32_e32 v3, v6, v8
	v_mul_f32_e32 v0, 0x3fb8aa3b, v4
	v_cmp_ngt_f32_e64 s1, 0xc2ce8ed0, v4
	v_mul_f32_e32 v6, 0x3fb8aa3b, v3
	v_fma_f32 v8, 0x3fb8aa3b, v4, -v0
	v_rndne_f32_e32 v9, v0
	v_fma_f32 v11, 0x3fb8aa3b, v3, -v6
	v_rndne_f32_e32 v12, v6
	v_fmac_f32_e32 v8, 0x32a5705f, v4
	v_sub_f32_e32 v0, v0, v9
	v_fmac_f32_e32 v11, 0x32a5705f, v3
	v_sub_f32_e32 v6, v6, v12
	v_add_f32_e32 v0, v0, v8
	v_cvt_i32_f32_e32 v8, v9
	v_cvt_i32_f32_e32 v9, v12
	v_add_f32_e32 v6, v6, v11
	v_exp_f32_e32 v0, v0
	v_exp_f32_e32 v6, v6
	v_ldexp_f32 v0, v0, v8
	v_ldexp_f32 v6, v6, v9
	v_cndmask_b32_e64 v0, 0, v0, s1
	v_cmp_ngt_f32_e64 s1, 0xc2ce8ed0, v3
	v_cndmask_b32_e64 v6, 0, v6, s1
	v_cmp_nlt_f32_e64 s1, 0x42b17218, v4
	v_cndmask_b32_e64 v0, 0x7f800000, v0, s1
	v_cmp_nlt_f32_e64 s1, 0x42b17218, v3
	ds_bpermute_b32 v8, v7, v0
	v_cndmask_b32_e64 v6, 0x7f800000, v6, s1
	ds_bpermute_b32 v7, v7, v6
	s_waitcnt lgkmcnt(1)
	v_add_f32_e32 v0, v0, v8
	s_waitcnt lgkmcnt(0)
	v_add_f32_e32 v6, v6, v7
	ds_bpermute_b32 v7, v10, v0
	ds_bpermute_b32 v9, v10, v6
	s_waitcnt lgkmcnt(1)
	v_add_f32_e32 v8, v0, v7
	s_waitcnt lgkmcnt(0)
	v_add_f32_e32 v6, v6, v9
	ds_bpermute_b32 v9, v13, v8
	ds_bpermute_b32 v7, v13, v6
	s_and_saveexec_b32 s1, s0
	s_cbranch_execz .LBB77_9
; %bb.5:
	v_add_co_u32 v0, s0, s8, v1
	v_add_co_ci_u32_e64 v1, null, s9, v2, s0
	s_and_saveexec_b32 s2, vcc_lo
	s_cbranch_execz .LBB77_7
; %bb.6:
	s_waitcnt lgkmcnt(1)
	v_add_f32_e32 v2, v8, v9
	v_cmp_gt_f32_e64 s0, 0x800000, v2
	v_cndmask_b32_e64 v8, 0, 32, s0
	v_ldexp_f32 v2, v2, v8
	v_log_f32_e32 v2, v2
	v_mul_f32_e32 v8, 0x3f317217, v2
	v_cmp_gt_f32_e64 s1, 0x7f800000, |v2|
	v_fma_f32 v8, 0x3f317217, v2, -v8
	v_fmamk_f32 v8, v2, 0x3377d1cf, v8
	v_fmac_f32_e32 v8, 0x3f317217, v2
	v_cndmask_b32_e64 v2, v2, v8, s1
	v_cndmask_b32_e64 v8, 0, 0x41b17218, s0
	v_sub_f32_e32 v2, v2, v8
	v_sub_f32_e32 v2, v4, v2
	v_cvt_f16_f32_e32 v2, v2
	global_store_short v[0:1], v2, off
.LBB77_7:
	s_or_b32 exec_lo, exec_lo, s2
	v_cmp_ne_u32_e64 s0, 1, v5
	s_and_b32 s0, s0, vcc_lo
	s_and_b32 exec_lo, exec_lo, s0
	s_cbranch_execz .LBB77_9
; %bb.8:
	s_waitcnt lgkmcnt(0)
	v_add_f32_e32 v2, v6, v7
	s_mov_b32 s15, 0
	s_lshl_b64 s[0:1], s[14:15], 1
	v_cmp_gt_f32_e32 vcc_lo, 0x800000, v2
	v_cndmask_b32_e64 v4, 0, 32, vcc_lo
	v_cndmask_b32_e64 v5, 0, 0x41b17218, vcc_lo
	v_ldexp_f32 v2, v2, v4
	v_log_f32_e32 v2, v2
	v_mul_f32_e32 v4, 0x3f317217, v2
	v_cmp_gt_f32_e64 vcc_lo, 0x7f800000, |v2|
	v_fma_f32 v4, 0x3f317217, v2, -v4
	v_fmamk_f32 v4, v2, 0x3377d1cf, v4
	v_fmac_f32_e32 v4, 0x3f317217, v2
	v_cndmask_b32_e32 v2, v2, v4, vcc_lo
	v_add_co_u32 v0, vcc_lo, v0, s0
	v_add_co_ci_u32_e64 v1, null, s1, v1, vcc_lo
	v_sub_f32_e32 v2, v2, v5
	v_sub_f32_e32 v2, v3, v2
	v_cvt_f16_f32_e32 v2, v2
	global_store_short v[0:1], v2, off
.LBB77_9:
	s_endpgm
	.section	.rodata,"a",@progbits
	.p2align	6, 0x0
	.amdhsa_kernel _ZN12_GLOBAL__N_120softmax_warp_forwardIN3c104HalfES2_fLi3ELb1ELb0ELi32EEEvPT0_PKT_iiiPKbib
		.amdhsa_group_segment_fixed_size 0
		.amdhsa_private_segment_fixed_size 0
		.amdhsa_kernarg_size 304
		.amdhsa_user_sgpr_count 6
		.amdhsa_user_sgpr_private_segment_buffer 1
		.amdhsa_user_sgpr_dispatch_ptr 0
		.amdhsa_user_sgpr_queue_ptr 0
		.amdhsa_user_sgpr_kernarg_segment_ptr 1
		.amdhsa_user_sgpr_dispatch_id 0
		.amdhsa_user_sgpr_flat_scratch_init 0
		.amdhsa_user_sgpr_private_segment_size 0
		.amdhsa_wavefront_size32 1
		.amdhsa_uses_dynamic_stack 0
		.amdhsa_system_sgpr_private_segment_wavefront_offset 0
		.amdhsa_system_sgpr_workgroup_id_x 1
		.amdhsa_system_sgpr_workgroup_id_y 0
		.amdhsa_system_sgpr_workgroup_id_z 0
		.amdhsa_system_sgpr_workgroup_info 0
		.amdhsa_system_vgpr_workitem_id 1
		.amdhsa_next_free_vgpr 14
		.amdhsa_next_free_sgpr 16
		.amdhsa_reserve_vcc 1
		.amdhsa_reserve_flat_scratch 0
		.amdhsa_float_round_mode_32 0
		.amdhsa_float_round_mode_16_64 0
		.amdhsa_float_denorm_mode_32 3
		.amdhsa_float_denorm_mode_16_64 3
		.amdhsa_dx10_clamp 1
		.amdhsa_ieee_mode 1
		.amdhsa_fp16_overflow 0
		.amdhsa_workgroup_processor_mode 1
		.amdhsa_memory_ordered 1
		.amdhsa_forward_progress 1
		.amdhsa_shared_vgpr_count 0
		.amdhsa_exception_fp_ieee_invalid_op 0
		.amdhsa_exception_fp_denorm_src 0
		.amdhsa_exception_fp_ieee_div_zero 0
		.amdhsa_exception_fp_ieee_overflow 0
		.amdhsa_exception_fp_ieee_underflow 0
		.amdhsa_exception_fp_ieee_inexact 0
		.amdhsa_exception_int_div_zero 0
	.end_amdhsa_kernel
	.section	.text._ZN12_GLOBAL__N_120softmax_warp_forwardIN3c104HalfES2_fLi3ELb1ELb0ELi32EEEvPT0_PKT_iiiPKbib,"axG",@progbits,_ZN12_GLOBAL__N_120softmax_warp_forwardIN3c104HalfES2_fLi3ELb1ELb0ELi32EEEvPT0_PKT_iiiPKbib,comdat
.Lfunc_end77:
	.size	_ZN12_GLOBAL__N_120softmax_warp_forwardIN3c104HalfES2_fLi3ELb1ELb0ELi32EEEvPT0_PKT_iiiPKbib, .Lfunc_end77-_ZN12_GLOBAL__N_120softmax_warp_forwardIN3c104HalfES2_fLi3ELb1ELb0ELi32EEEvPT0_PKT_iiiPKbib
                                        ; -- End function
	.set _ZN12_GLOBAL__N_120softmax_warp_forwardIN3c104HalfES2_fLi3ELb1ELb0ELi32EEEvPT0_PKT_iiiPKbib.num_vgpr, 14
	.set _ZN12_GLOBAL__N_120softmax_warp_forwardIN3c104HalfES2_fLi3ELb1ELb0ELi32EEEvPT0_PKT_iiiPKbib.num_agpr, 0
	.set _ZN12_GLOBAL__N_120softmax_warp_forwardIN3c104HalfES2_fLi3ELb1ELb0ELi32EEEvPT0_PKT_iiiPKbib.numbered_sgpr, 16
	.set _ZN12_GLOBAL__N_120softmax_warp_forwardIN3c104HalfES2_fLi3ELb1ELb0ELi32EEEvPT0_PKT_iiiPKbib.num_named_barrier, 0
	.set _ZN12_GLOBAL__N_120softmax_warp_forwardIN3c104HalfES2_fLi3ELb1ELb0ELi32EEEvPT0_PKT_iiiPKbib.private_seg_size, 0
	.set _ZN12_GLOBAL__N_120softmax_warp_forwardIN3c104HalfES2_fLi3ELb1ELb0ELi32EEEvPT0_PKT_iiiPKbib.uses_vcc, 1
	.set _ZN12_GLOBAL__N_120softmax_warp_forwardIN3c104HalfES2_fLi3ELb1ELb0ELi32EEEvPT0_PKT_iiiPKbib.uses_flat_scratch, 0
	.set _ZN12_GLOBAL__N_120softmax_warp_forwardIN3c104HalfES2_fLi3ELb1ELb0ELi32EEEvPT0_PKT_iiiPKbib.has_dyn_sized_stack, 0
	.set _ZN12_GLOBAL__N_120softmax_warp_forwardIN3c104HalfES2_fLi3ELb1ELb0ELi32EEEvPT0_PKT_iiiPKbib.has_recursion, 0
	.set _ZN12_GLOBAL__N_120softmax_warp_forwardIN3c104HalfES2_fLi3ELb1ELb0ELi32EEEvPT0_PKT_iiiPKbib.has_indirect_call, 0
	.section	.AMDGPU.csdata,"",@progbits
; Kernel info:
; codeLenInByte = 1088
; TotalNumSgprs: 18
; NumVgprs: 14
; ScratchSize: 0
; MemoryBound: 0
; FloatMode: 240
; IeeeMode: 1
; LDSByteSize: 0 bytes/workgroup (compile time only)
; SGPRBlocks: 0
; VGPRBlocks: 1
; NumSGPRsForWavesPerEU: 18
; NumVGPRsForWavesPerEU: 14
; Occupancy: 16
; WaveLimiterHint : 0
; COMPUTE_PGM_RSRC2:SCRATCH_EN: 0
; COMPUTE_PGM_RSRC2:USER_SGPR: 6
; COMPUTE_PGM_RSRC2:TRAP_HANDLER: 0
; COMPUTE_PGM_RSRC2:TGID_X_EN: 1
; COMPUTE_PGM_RSRC2:TGID_Y_EN: 0
; COMPUTE_PGM_RSRC2:TGID_Z_EN: 0
; COMPUTE_PGM_RSRC2:TIDIG_COMP_CNT: 1
	.section	.text._ZN12_GLOBAL__N_120softmax_warp_forwardIN3c104HalfES2_fLi4ELb1ELb0ELi64EEEvPT0_PKT_iiiPKbib,"axG",@progbits,_ZN12_GLOBAL__N_120softmax_warp_forwardIN3c104HalfES2_fLi4ELb1ELb0ELi64EEEvPT0_PKT_iiiPKbib,comdat
	.globl	_ZN12_GLOBAL__N_120softmax_warp_forwardIN3c104HalfES2_fLi4ELb1ELb0ELi64EEEvPT0_PKT_iiiPKbib ; -- Begin function _ZN12_GLOBAL__N_120softmax_warp_forwardIN3c104HalfES2_fLi4ELb1ELb0ELi64EEEvPT0_PKT_iiiPKbib
	.p2align	8
	.type	_ZN12_GLOBAL__N_120softmax_warp_forwardIN3c104HalfES2_fLi4ELb1ELb0ELi64EEEvPT0_PKT_iiiPKbib,@function
_ZN12_GLOBAL__N_120softmax_warp_forwardIN3c104HalfES2_fLi4ELb1ELb0ELi64EEEvPT0_PKT_iiiPKbib: ; @_ZN12_GLOBAL__N_120softmax_warp_forwardIN3c104HalfES2_fLi4ELb1ELb0ELi64EEEvPT0_PKT_iiiPKbib
; %bb.0:
	s_clause 0x1
	s_load_dword s0, s[4:5], 0x3c
	s_load_dwordx8 s[8:15], s[4:5], 0x0
	v_mov_b32_e32 v6, 0xff800000
	s_waitcnt lgkmcnt(0)
	s_lshr_b32 s0, s0, 16
	v_cmp_gt_i32_e32 vcc_lo, s14, v0
	s_and_b32 s0, s0, 0xffff
	s_mul_i32 s6, s6, s0
	v_add_lshl_u32 v3, s6, v1, 1
	v_mad_u64_u32 v[1:2], null, v3, s13, v[0:1]
	v_sub_nc_u32_e32 v5, s12, v3
	v_mov_b32_e32 v0, 0xff800000
	v_cmp_lt_i32_e64 s0, 0, v5
	v_ashrrev_i32_e32 v2, 31, v1
	s_and_b32 s2, vcc_lo, s0
	v_lshlrev_b64 v[1:2], 1, v[1:2]
	v_add_co_u32 v3, s1, s10, v1
	v_add_co_ci_u32_e64 v4, null, s11, v2, s1
	s_and_saveexec_b32 s1, s2
	s_cbranch_execz .LBB78_2
; %bb.1:
	global_load_ushort v0, v[3:4], off
	s_waitcnt vmcnt(0)
	v_cvt_f32_f16_e32 v0, v0
.LBB78_2:
	s_or_b32 exec_lo, exec_lo, s1
	v_cmp_lt_i32_e64 s1, 1, v5
	s_and_b32 s1, vcc_lo, s1
	s_and_saveexec_b32 s2, s1
	s_cbranch_execz .LBB78_4
; %bb.3:
	s_mov_b32 s15, 0
	s_lshl_b64 s[4:5], s[14:15], 1
	v_add_co_u32 v3, s1, v3, s4
	v_add_co_ci_u32_e64 v4, null, s5, v4, s1
	global_load_ushort v3, v[3:4], off
	s_waitcnt vmcnt(0)
	v_cvt_f32_f16_e32 v6, v3
.LBB78_4:
	s_or_b32 exec_lo, exec_lo, s2
	v_mbcnt_lo_u32_b32 v3, -1, 0
	v_and_b32_e32 v4, 16, v3
	v_xor_b32_e32 v7, 8, v3
	v_xor_b32_e32 v10, 4, v3
	v_xor_b32_e32 v13, 2, v3
	v_xor_b32_e32 v14, 1, v3
	v_add_nc_u32_e32 v4, 16, v4
	v_cmp_lt_i32_e64 s1, v7, v4
	v_cndmask_b32_e64 v7, v3, v7, s1
	v_cmp_lt_i32_e64 s1, v10, v4
	v_lshlrev_b32_e32 v7, 2, v7
	v_cndmask_b32_e64 v10, v3, v10, s1
	ds_bpermute_b32 v8, v7, v0
	ds_bpermute_b32 v9, v7, v6
	v_lshlrev_b32_e32 v10, 2, v10
	s_waitcnt lgkmcnt(1)
	v_cmp_lt_f32_e64 s1, v0, v8
	v_cndmask_b32_e64 v8, v0, v8, s1
	s_waitcnt lgkmcnt(0)
	v_cmp_lt_f32_e64 s1, v6, v9
	ds_bpermute_b32 v11, v10, v8
	v_cndmask_b32_e64 v9, v6, v9, s1
	v_cmp_lt_i32_e64 s1, v13, v4
	ds_bpermute_b32 v12, v10, v9
	v_cndmask_b32_e64 v13, v3, v13, s1
	v_lshlrev_b32_e32 v13, 2, v13
	s_waitcnt lgkmcnt(1)
	v_cmp_lt_f32_e64 s1, v8, v11
	v_cndmask_b32_e64 v8, v8, v11, s1
	s_waitcnt lgkmcnt(0)
	v_cmp_lt_f32_e64 s1, v9, v12
	ds_bpermute_b32 v11, v13, v8
	v_cndmask_b32_e64 v9, v9, v12, s1
	v_cmp_lt_i32_e64 s1, v14, v4
	ds_bpermute_b32 v12, v13, v9
	v_cndmask_b32_e64 v3, v3, v14, s1
	v_lshlrev_b32_e32 v14, 2, v3
	s_waitcnt lgkmcnt(1)
	v_cmp_lt_f32_e64 s1, v8, v11
	v_cndmask_b32_e64 v3, v8, v11, s1
	s_waitcnt lgkmcnt(0)
	v_cmp_lt_f32_e64 s1, v9, v12
	ds_bpermute_b32 v8, v14, v3
	v_cndmask_b32_e64 v4, v9, v12, s1
	ds_bpermute_b32 v9, v14, v4
	s_waitcnt lgkmcnt(1)
	v_cmp_lt_f32_e64 s1, v3, v8
	v_cndmask_b32_e64 v3, v3, v8, s1
	s_waitcnt lgkmcnt(0)
	v_cmp_lt_f32_e64 s1, v4, v9
	v_cndmask_b32_e64 v8, v4, v9, s1
	v_sub_f32_e32 v4, v0, v3
	v_sub_f32_e32 v3, v6, v8
	v_mul_f32_e32 v0, 0x3fb8aa3b, v4
	v_cmp_ngt_f32_e64 s1, 0xc2ce8ed0, v4
	v_mul_f32_e32 v6, 0x3fb8aa3b, v3
	v_fma_f32 v8, 0x3fb8aa3b, v4, -v0
	v_rndne_f32_e32 v9, v0
	v_fma_f32 v11, 0x3fb8aa3b, v3, -v6
	v_rndne_f32_e32 v12, v6
	v_fmac_f32_e32 v8, 0x32a5705f, v4
	v_sub_f32_e32 v0, v0, v9
	v_fmac_f32_e32 v11, 0x32a5705f, v3
	v_sub_f32_e32 v6, v6, v12
	v_add_f32_e32 v0, v0, v8
	v_cvt_i32_f32_e32 v8, v9
	v_cvt_i32_f32_e32 v9, v12
	v_add_f32_e32 v6, v6, v11
	v_exp_f32_e32 v0, v0
	v_exp_f32_e32 v6, v6
	v_ldexp_f32 v0, v0, v8
	v_ldexp_f32 v6, v6, v9
	v_cndmask_b32_e64 v0, 0, v0, s1
	v_cmp_ngt_f32_e64 s1, 0xc2ce8ed0, v3
	v_cndmask_b32_e64 v6, 0, v6, s1
	v_cmp_nlt_f32_e64 s1, 0x42b17218, v4
	v_cndmask_b32_e64 v0, 0x7f800000, v0, s1
	v_cmp_nlt_f32_e64 s1, 0x42b17218, v3
	ds_bpermute_b32 v8, v7, v0
	v_cndmask_b32_e64 v6, 0x7f800000, v6, s1
	ds_bpermute_b32 v7, v7, v6
	s_waitcnt lgkmcnt(1)
	v_add_f32_e32 v0, v0, v8
	s_waitcnt lgkmcnt(0)
	v_add_f32_e32 v6, v6, v7
	ds_bpermute_b32 v7, v10, v0
	ds_bpermute_b32 v8, v10, v6
	s_waitcnt lgkmcnt(1)
	v_add_f32_e32 v0, v0, v7
	s_waitcnt lgkmcnt(0)
	v_add_f32_e32 v6, v6, v8
	ds_bpermute_b32 v7, v13, v0
	;; [unrolled: 6-line block ×3, first 2 shown]
	ds_bpermute_b32 v7, v14, v6
	s_and_saveexec_b32 s1, s0
	s_cbranch_execz .LBB78_9
; %bb.5:
	v_add_co_u32 v0, s0, s8, v1
	v_add_co_ci_u32_e64 v1, null, s9, v2, s0
	s_and_saveexec_b32 s2, vcc_lo
	s_cbranch_execz .LBB78_7
; %bb.6:
	s_waitcnt lgkmcnt(1)
	v_add_f32_e32 v2, v8, v9
	v_cmp_gt_f32_e64 s0, 0x800000, v2
	v_cndmask_b32_e64 v8, 0, 32, s0
	v_ldexp_f32 v2, v2, v8
	v_log_f32_e32 v2, v2
	v_mul_f32_e32 v8, 0x3f317217, v2
	v_cmp_gt_f32_e64 s1, 0x7f800000, |v2|
	v_fma_f32 v8, 0x3f317217, v2, -v8
	v_fmamk_f32 v8, v2, 0x3377d1cf, v8
	v_fmac_f32_e32 v8, 0x3f317217, v2
	v_cndmask_b32_e64 v2, v2, v8, s1
	v_cndmask_b32_e64 v8, 0, 0x41b17218, s0
	v_sub_f32_e32 v2, v2, v8
	v_sub_f32_e32 v2, v4, v2
	v_cvt_f16_f32_e32 v2, v2
	global_store_short v[0:1], v2, off
.LBB78_7:
	s_or_b32 exec_lo, exec_lo, s2
	v_cmp_ne_u32_e64 s0, 1, v5
	s_and_b32 s0, s0, vcc_lo
	s_and_b32 exec_lo, exec_lo, s0
	s_cbranch_execz .LBB78_9
; %bb.8:
	s_waitcnt lgkmcnt(0)
	v_add_f32_e32 v2, v6, v7
	s_mov_b32 s15, 0
	s_lshl_b64 s[0:1], s[14:15], 1
	v_cmp_gt_f32_e32 vcc_lo, 0x800000, v2
	v_cndmask_b32_e64 v4, 0, 32, vcc_lo
	v_cndmask_b32_e64 v5, 0, 0x41b17218, vcc_lo
	v_ldexp_f32 v2, v2, v4
	v_log_f32_e32 v2, v2
	v_mul_f32_e32 v4, 0x3f317217, v2
	v_cmp_gt_f32_e64 vcc_lo, 0x7f800000, |v2|
	v_fma_f32 v4, 0x3f317217, v2, -v4
	v_fmamk_f32 v4, v2, 0x3377d1cf, v4
	v_fmac_f32_e32 v4, 0x3f317217, v2
	v_cndmask_b32_e32 v2, v2, v4, vcc_lo
	v_add_co_u32 v0, vcc_lo, v0, s0
	v_add_co_ci_u32_e64 v1, null, s1, v1, vcc_lo
	v_sub_f32_e32 v2, v2, v5
	v_sub_f32_e32 v2, v3, v2
	v_cvt_f16_f32_e32 v2, v2
	global_store_short v[0:1], v2, off
.LBB78_9:
	s_endpgm
	.section	.rodata,"a",@progbits
	.p2align	6, 0x0
	.amdhsa_kernel _ZN12_GLOBAL__N_120softmax_warp_forwardIN3c104HalfES2_fLi4ELb1ELb0ELi64EEEvPT0_PKT_iiiPKbib
		.amdhsa_group_segment_fixed_size 0
		.amdhsa_private_segment_fixed_size 0
		.amdhsa_kernarg_size 304
		.amdhsa_user_sgpr_count 6
		.amdhsa_user_sgpr_private_segment_buffer 1
		.amdhsa_user_sgpr_dispatch_ptr 0
		.amdhsa_user_sgpr_queue_ptr 0
		.amdhsa_user_sgpr_kernarg_segment_ptr 1
		.amdhsa_user_sgpr_dispatch_id 0
		.amdhsa_user_sgpr_flat_scratch_init 0
		.amdhsa_user_sgpr_private_segment_size 0
		.amdhsa_wavefront_size32 1
		.amdhsa_uses_dynamic_stack 0
		.amdhsa_system_sgpr_private_segment_wavefront_offset 0
		.amdhsa_system_sgpr_workgroup_id_x 1
		.amdhsa_system_sgpr_workgroup_id_y 0
		.amdhsa_system_sgpr_workgroup_id_z 0
		.amdhsa_system_sgpr_workgroup_info 0
		.amdhsa_system_vgpr_workitem_id 1
		.amdhsa_next_free_vgpr 15
		.amdhsa_next_free_sgpr 16
		.amdhsa_reserve_vcc 1
		.amdhsa_reserve_flat_scratch 0
		.amdhsa_float_round_mode_32 0
		.amdhsa_float_round_mode_16_64 0
		.amdhsa_float_denorm_mode_32 3
		.amdhsa_float_denorm_mode_16_64 3
		.amdhsa_dx10_clamp 1
		.amdhsa_ieee_mode 1
		.amdhsa_fp16_overflow 0
		.amdhsa_workgroup_processor_mode 1
		.amdhsa_memory_ordered 1
		.amdhsa_forward_progress 1
		.amdhsa_shared_vgpr_count 0
		.amdhsa_exception_fp_ieee_invalid_op 0
		.amdhsa_exception_fp_denorm_src 0
		.amdhsa_exception_fp_ieee_div_zero 0
		.amdhsa_exception_fp_ieee_overflow 0
		.amdhsa_exception_fp_ieee_underflow 0
		.amdhsa_exception_fp_ieee_inexact 0
		.amdhsa_exception_int_div_zero 0
	.end_amdhsa_kernel
	.section	.text._ZN12_GLOBAL__N_120softmax_warp_forwardIN3c104HalfES2_fLi4ELb1ELb0ELi64EEEvPT0_PKT_iiiPKbib,"axG",@progbits,_ZN12_GLOBAL__N_120softmax_warp_forwardIN3c104HalfES2_fLi4ELb1ELb0ELi64EEEvPT0_PKT_iiiPKbib,comdat
.Lfunc_end78:
	.size	_ZN12_GLOBAL__N_120softmax_warp_forwardIN3c104HalfES2_fLi4ELb1ELb0ELi64EEEvPT0_PKT_iiiPKbib, .Lfunc_end78-_ZN12_GLOBAL__N_120softmax_warp_forwardIN3c104HalfES2_fLi4ELb1ELb0ELi64EEEvPT0_PKT_iiiPKbib
                                        ; -- End function
	.set _ZN12_GLOBAL__N_120softmax_warp_forwardIN3c104HalfES2_fLi4ELb1ELb0ELi64EEEvPT0_PKT_iiiPKbib.num_vgpr, 15
	.set _ZN12_GLOBAL__N_120softmax_warp_forwardIN3c104HalfES2_fLi4ELb1ELb0ELi64EEEvPT0_PKT_iiiPKbib.num_agpr, 0
	.set _ZN12_GLOBAL__N_120softmax_warp_forwardIN3c104HalfES2_fLi4ELb1ELb0ELi64EEEvPT0_PKT_iiiPKbib.numbered_sgpr, 16
	.set _ZN12_GLOBAL__N_120softmax_warp_forwardIN3c104HalfES2_fLi4ELb1ELb0ELi64EEEvPT0_PKT_iiiPKbib.num_named_barrier, 0
	.set _ZN12_GLOBAL__N_120softmax_warp_forwardIN3c104HalfES2_fLi4ELb1ELb0ELi64EEEvPT0_PKT_iiiPKbib.private_seg_size, 0
	.set _ZN12_GLOBAL__N_120softmax_warp_forwardIN3c104HalfES2_fLi4ELb1ELb0ELi64EEEvPT0_PKT_iiiPKbib.uses_vcc, 1
	.set _ZN12_GLOBAL__N_120softmax_warp_forwardIN3c104HalfES2_fLi4ELb1ELb0ELi64EEEvPT0_PKT_iiiPKbib.uses_flat_scratch, 0
	.set _ZN12_GLOBAL__N_120softmax_warp_forwardIN3c104HalfES2_fLi4ELb1ELb0ELi64EEEvPT0_PKT_iiiPKbib.has_dyn_sized_stack, 0
	.set _ZN12_GLOBAL__N_120softmax_warp_forwardIN3c104HalfES2_fLi4ELb1ELb0ELi64EEEvPT0_PKT_iiiPKbib.has_recursion, 0
	.set _ZN12_GLOBAL__N_120softmax_warp_forwardIN3c104HalfES2_fLi4ELb1ELb0ELi64EEEvPT0_PKT_iiiPKbib.has_indirect_call, 0
	.section	.AMDGPU.csdata,"",@progbits
; Kernel info:
; codeLenInByte = 1200
; TotalNumSgprs: 18
; NumVgprs: 15
; ScratchSize: 0
; MemoryBound: 0
; FloatMode: 240
; IeeeMode: 1
; LDSByteSize: 0 bytes/workgroup (compile time only)
; SGPRBlocks: 0
; VGPRBlocks: 1
; NumSGPRsForWavesPerEU: 18
; NumVGPRsForWavesPerEU: 15
; Occupancy: 16
; WaveLimiterHint : 0
; COMPUTE_PGM_RSRC2:SCRATCH_EN: 0
; COMPUTE_PGM_RSRC2:USER_SGPR: 6
; COMPUTE_PGM_RSRC2:TRAP_HANDLER: 0
; COMPUTE_PGM_RSRC2:TGID_X_EN: 1
; COMPUTE_PGM_RSRC2:TGID_Y_EN: 0
; COMPUTE_PGM_RSRC2:TGID_Z_EN: 0
; COMPUTE_PGM_RSRC2:TIDIG_COMP_CNT: 1
	.section	.text._ZN12_GLOBAL__N_120softmax_warp_forwardIN3c104HalfES2_fLi4ELb1ELb0ELi32EEEvPT0_PKT_iiiPKbib,"axG",@progbits,_ZN12_GLOBAL__N_120softmax_warp_forwardIN3c104HalfES2_fLi4ELb1ELb0ELi32EEEvPT0_PKT_iiiPKbib,comdat
	.globl	_ZN12_GLOBAL__N_120softmax_warp_forwardIN3c104HalfES2_fLi4ELb1ELb0ELi32EEEvPT0_PKT_iiiPKbib ; -- Begin function _ZN12_GLOBAL__N_120softmax_warp_forwardIN3c104HalfES2_fLi4ELb1ELb0ELi32EEEvPT0_PKT_iiiPKbib
	.p2align	8
	.type	_ZN12_GLOBAL__N_120softmax_warp_forwardIN3c104HalfES2_fLi4ELb1ELb0ELi32EEEvPT0_PKT_iiiPKbib,@function
_ZN12_GLOBAL__N_120softmax_warp_forwardIN3c104HalfES2_fLi4ELb1ELb0ELi32EEEvPT0_PKT_iiiPKbib: ; @_ZN12_GLOBAL__N_120softmax_warp_forwardIN3c104HalfES2_fLi4ELb1ELb0ELi32EEEvPT0_PKT_iiiPKbib
; %bb.0:
	s_clause 0x1
	s_load_dword s0, s[4:5], 0x3c
	s_load_dwordx8 s[8:15], s[4:5], 0x0
	v_mov_b32_e32 v6, 0xff800000
	s_waitcnt lgkmcnt(0)
	s_lshr_b32 s0, s0, 16
	v_cmp_gt_i32_e32 vcc_lo, s14, v0
	s_and_b32 s0, s0, 0xffff
	s_mul_i32 s6, s6, s0
	v_add_lshl_u32 v3, s6, v1, 1
	v_mad_u64_u32 v[1:2], null, v3, s13, v[0:1]
	v_sub_nc_u32_e32 v5, s12, v3
	v_mov_b32_e32 v0, 0xff800000
	v_cmp_lt_i32_e64 s0, 0, v5
	v_ashrrev_i32_e32 v2, 31, v1
	s_and_b32 s2, vcc_lo, s0
	v_lshlrev_b64 v[1:2], 1, v[1:2]
	v_add_co_u32 v3, s1, s10, v1
	v_add_co_ci_u32_e64 v4, null, s11, v2, s1
	s_and_saveexec_b32 s1, s2
	s_cbranch_execz .LBB79_2
; %bb.1:
	global_load_ushort v0, v[3:4], off
	s_waitcnt vmcnt(0)
	v_cvt_f32_f16_e32 v0, v0
.LBB79_2:
	s_or_b32 exec_lo, exec_lo, s1
	v_cmp_lt_i32_e64 s1, 1, v5
	s_and_b32 s1, vcc_lo, s1
	s_and_saveexec_b32 s2, s1
	s_cbranch_execz .LBB79_4
; %bb.3:
	s_mov_b32 s15, 0
	s_lshl_b64 s[4:5], s[14:15], 1
	v_add_co_u32 v3, s1, v3, s4
	v_add_co_ci_u32_e64 v4, null, s5, v4, s1
	global_load_ushort v3, v[3:4], off
	s_waitcnt vmcnt(0)
	v_cvt_f32_f16_e32 v6, v3
.LBB79_4:
	s_or_b32 exec_lo, exec_lo, s2
	v_mbcnt_lo_u32_b32 v3, -1, 0
	v_and_b32_e32 v4, 16, v3
	v_xor_b32_e32 v7, 8, v3
	v_xor_b32_e32 v10, 4, v3
	;; [unrolled: 1-line block ×4, first 2 shown]
	v_add_nc_u32_e32 v4, 16, v4
	v_cmp_lt_i32_e64 s1, v7, v4
	v_cndmask_b32_e64 v7, v3, v7, s1
	v_cmp_lt_i32_e64 s1, v10, v4
	v_lshlrev_b32_e32 v7, 2, v7
	v_cndmask_b32_e64 v10, v3, v10, s1
	ds_bpermute_b32 v8, v7, v0
	ds_bpermute_b32 v9, v7, v6
	v_lshlrev_b32_e32 v10, 2, v10
	s_waitcnt lgkmcnt(1)
	v_cmp_lt_f32_e64 s1, v0, v8
	v_cndmask_b32_e64 v8, v0, v8, s1
	s_waitcnt lgkmcnt(0)
	v_cmp_lt_f32_e64 s1, v6, v9
	ds_bpermute_b32 v11, v10, v8
	v_cndmask_b32_e64 v9, v6, v9, s1
	v_cmp_lt_i32_e64 s1, v13, v4
	ds_bpermute_b32 v12, v10, v9
	v_cndmask_b32_e64 v13, v3, v13, s1
	v_lshlrev_b32_e32 v13, 2, v13
	s_waitcnt lgkmcnt(1)
	v_cmp_lt_f32_e64 s1, v8, v11
	v_cndmask_b32_e64 v8, v8, v11, s1
	s_waitcnt lgkmcnt(0)
	v_cmp_lt_f32_e64 s1, v9, v12
	ds_bpermute_b32 v11, v13, v8
	v_cndmask_b32_e64 v9, v9, v12, s1
	v_cmp_lt_i32_e64 s1, v14, v4
	ds_bpermute_b32 v12, v13, v9
	v_cndmask_b32_e64 v3, v3, v14, s1
	v_lshlrev_b32_e32 v14, 2, v3
	s_waitcnt lgkmcnt(1)
	v_cmp_lt_f32_e64 s1, v8, v11
	v_cndmask_b32_e64 v3, v8, v11, s1
	s_waitcnt lgkmcnt(0)
	v_cmp_lt_f32_e64 s1, v9, v12
	ds_bpermute_b32 v8, v14, v3
	v_cndmask_b32_e64 v4, v9, v12, s1
	ds_bpermute_b32 v9, v14, v4
	s_waitcnt lgkmcnt(1)
	v_cmp_lt_f32_e64 s1, v3, v8
	v_cndmask_b32_e64 v3, v3, v8, s1
	s_waitcnt lgkmcnt(0)
	v_cmp_lt_f32_e64 s1, v4, v9
	v_cndmask_b32_e64 v8, v4, v9, s1
	v_sub_f32_e32 v4, v0, v3
	v_sub_f32_e32 v3, v6, v8
	v_mul_f32_e32 v0, 0x3fb8aa3b, v4
	v_cmp_ngt_f32_e64 s1, 0xc2ce8ed0, v4
	v_mul_f32_e32 v6, 0x3fb8aa3b, v3
	v_fma_f32 v8, 0x3fb8aa3b, v4, -v0
	v_rndne_f32_e32 v9, v0
	v_fma_f32 v11, 0x3fb8aa3b, v3, -v6
	v_rndne_f32_e32 v12, v6
	v_fmac_f32_e32 v8, 0x32a5705f, v4
	v_sub_f32_e32 v0, v0, v9
	v_fmac_f32_e32 v11, 0x32a5705f, v3
	v_sub_f32_e32 v6, v6, v12
	v_add_f32_e32 v0, v0, v8
	v_cvt_i32_f32_e32 v8, v9
	v_cvt_i32_f32_e32 v9, v12
	v_add_f32_e32 v6, v6, v11
	v_exp_f32_e32 v0, v0
	v_exp_f32_e32 v6, v6
	v_ldexp_f32 v0, v0, v8
	v_ldexp_f32 v6, v6, v9
	v_cndmask_b32_e64 v0, 0, v0, s1
	v_cmp_ngt_f32_e64 s1, 0xc2ce8ed0, v3
	v_cndmask_b32_e64 v6, 0, v6, s1
	v_cmp_nlt_f32_e64 s1, 0x42b17218, v4
	v_cndmask_b32_e64 v0, 0x7f800000, v0, s1
	v_cmp_nlt_f32_e64 s1, 0x42b17218, v3
	ds_bpermute_b32 v8, v7, v0
	v_cndmask_b32_e64 v6, 0x7f800000, v6, s1
	ds_bpermute_b32 v7, v7, v6
	s_waitcnt lgkmcnt(1)
	v_add_f32_e32 v0, v0, v8
	s_waitcnt lgkmcnt(0)
	v_add_f32_e32 v6, v6, v7
	ds_bpermute_b32 v7, v10, v0
	ds_bpermute_b32 v8, v10, v6
	s_waitcnt lgkmcnt(1)
	v_add_f32_e32 v0, v0, v7
	s_waitcnt lgkmcnt(0)
	v_add_f32_e32 v6, v6, v8
	ds_bpermute_b32 v7, v13, v0
	ds_bpermute_b32 v9, v13, v6
	s_waitcnt lgkmcnt(1)
	v_add_f32_e32 v8, v0, v7
	s_waitcnt lgkmcnt(0)
	v_add_f32_e32 v6, v6, v9
	ds_bpermute_b32 v9, v14, v8
	ds_bpermute_b32 v7, v14, v6
	s_and_saveexec_b32 s1, s0
	s_cbranch_execz .LBB79_9
; %bb.5:
	v_add_co_u32 v0, s0, s8, v1
	v_add_co_ci_u32_e64 v1, null, s9, v2, s0
	s_and_saveexec_b32 s2, vcc_lo
	s_cbranch_execz .LBB79_7
; %bb.6:
	s_waitcnt lgkmcnt(1)
	v_add_f32_e32 v2, v8, v9
	v_cmp_gt_f32_e64 s0, 0x800000, v2
	v_cndmask_b32_e64 v8, 0, 32, s0
	v_ldexp_f32 v2, v2, v8
	v_log_f32_e32 v2, v2
	v_mul_f32_e32 v8, 0x3f317217, v2
	v_cmp_gt_f32_e64 s1, 0x7f800000, |v2|
	v_fma_f32 v8, 0x3f317217, v2, -v8
	v_fmamk_f32 v8, v2, 0x3377d1cf, v8
	v_fmac_f32_e32 v8, 0x3f317217, v2
	v_cndmask_b32_e64 v2, v2, v8, s1
	v_cndmask_b32_e64 v8, 0, 0x41b17218, s0
	v_sub_f32_e32 v2, v2, v8
	v_sub_f32_e32 v2, v4, v2
	v_cvt_f16_f32_e32 v2, v2
	global_store_short v[0:1], v2, off
.LBB79_7:
	s_or_b32 exec_lo, exec_lo, s2
	v_cmp_ne_u32_e64 s0, 1, v5
	s_and_b32 s0, s0, vcc_lo
	s_and_b32 exec_lo, exec_lo, s0
	s_cbranch_execz .LBB79_9
; %bb.8:
	s_waitcnt lgkmcnt(0)
	v_add_f32_e32 v2, v6, v7
	s_mov_b32 s15, 0
	s_lshl_b64 s[0:1], s[14:15], 1
	v_cmp_gt_f32_e32 vcc_lo, 0x800000, v2
	v_cndmask_b32_e64 v4, 0, 32, vcc_lo
	v_cndmask_b32_e64 v5, 0, 0x41b17218, vcc_lo
	v_ldexp_f32 v2, v2, v4
	v_log_f32_e32 v2, v2
	v_mul_f32_e32 v4, 0x3f317217, v2
	v_cmp_gt_f32_e64 vcc_lo, 0x7f800000, |v2|
	v_fma_f32 v4, 0x3f317217, v2, -v4
	v_fmamk_f32 v4, v2, 0x3377d1cf, v4
	v_fmac_f32_e32 v4, 0x3f317217, v2
	v_cndmask_b32_e32 v2, v2, v4, vcc_lo
	v_add_co_u32 v0, vcc_lo, v0, s0
	v_add_co_ci_u32_e64 v1, null, s1, v1, vcc_lo
	v_sub_f32_e32 v2, v2, v5
	v_sub_f32_e32 v2, v3, v2
	v_cvt_f16_f32_e32 v2, v2
	global_store_short v[0:1], v2, off
.LBB79_9:
	s_endpgm
	.section	.rodata,"a",@progbits
	.p2align	6, 0x0
	.amdhsa_kernel _ZN12_GLOBAL__N_120softmax_warp_forwardIN3c104HalfES2_fLi4ELb1ELb0ELi32EEEvPT0_PKT_iiiPKbib
		.amdhsa_group_segment_fixed_size 0
		.amdhsa_private_segment_fixed_size 0
		.amdhsa_kernarg_size 304
		.amdhsa_user_sgpr_count 6
		.amdhsa_user_sgpr_private_segment_buffer 1
		.amdhsa_user_sgpr_dispatch_ptr 0
		.amdhsa_user_sgpr_queue_ptr 0
		.amdhsa_user_sgpr_kernarg_segment_ptr 1
		.amdhsa_user_sgpr_dispatch_id 0
		.amdhsa_user_sgpr_flat_scratch_init 0
		.amdhsa_user_sgpr_private_segment_size 0
		.amdhsa_wavefront_size32 1
		.amdhsa_uses_dynamic_stack 0
		.amdhsa_system_sgpr_private_segment_wavefront_offset 0
		.amdhsa_system_sgpr_workgroup_id_x 1
		.amdhsa_system_sgpr_workgroup_id_y 0
		.amdhsa_system_sgpr_workgroup_id_z 0
		.amdhsa_system_sgpr_workgroup_info 0
		.amdhsa_system_vgpr_workitem_id 1
		.amdhsa_next_free_vgpr 15
		.amdhsa_next_free_sgpr 16
		.amdhsa_reserve_vcc 1
		.amdhsa_reserve_flat_scratch 0
		.amdhsa_float_round_mode_32 0
		.amdhsa_float_round_mode_16_64 0
		.amdhsa_float_denorm_mode_32 3
		.amdhsa_float_denorm_mode_16_64 3
		.amdhsa_dx10_clamp 1
		.amdhsa_ieee_mode 1
		.amdhsa_fp16_overflow 0
		.amdhsa_workgroup_processor_mode 1
		.amdhsa_memory_ordered 1
		.amdhsa_forward_progress 1
		.amdhsa_shared_vgpr_count 0
		.amdhsa_exception_fp_ieee_invalid_op 0
		.amdhsa_exception_fp_denorm_src 0
		.amdhsa_exception_fp_ieee_div_zero 0
		.amdhsa_exception_fp_ieee_overflow 0
		.amdhsa_exception_fp_ieee_underflow 0
		.amdhsa_exception_fp_ieee_inexact 0
		.amdhsa_exception_int_div_zero 0
	.end_amdhsa_kernel
	.section	.text._ZN12_GLOBAL__N_120softmax_warp_forwardIN3c104HalfES2_fLi4ELb1ELb0ELi32EEEvPT0_PKT_iiiPKbib,"axG",@progbits,_ZN12_GLOBAL__N_120softmax_warp_forwardIN3c104HalfES2_fLi4ELb1ELb0ELi32EEEvPT0_PKT_iiiPKbib,comdat
.Lfunc_end79:
	.size	_ZN12_GLOBAL__N_120softmax_warp_forwardIN3c104HalfES2_fLi4ELb1ELb0ELi32EEEvPT0_PKT_iiiPKbib, .Lfunc_end79-_ZN12_GLOBAL__N_120softmax_warp_forwardIN3c104HalfES2_fLi4ELb1ELb0ELi32EEEvPT0_PKT_iiiPKbib
                                        ; -- End function
	.set _ZN12_GLOBAL__N_120softmax_warp_forwardIN3c104HalfES2_fLi4ELb1ELb0ELi32EEEvPT0_PKT_iiiPKbib.num_vgpr, 15
	.set _ZN12_GLOBAL__N_120softmax_warp_forwardIN3c104HalfES2_fLi4ELb1ELb0ELi32EEEvPT0_PKT_iiiPKbib.num_agpr, 0
	.set _ZN12_GLOBAL__N_120softmax_warp_forwardIN3c104HalfES2_fLi4ELb1ELb0ELi32EEEvPT0_PKT_iiiPKbib.numbered_sgpr, 16
	.set _ZN12_GLOBAL__N_120softmax_warp_forwardIN3c104HalfES2_fLi4ELb1ELb0ELi32EEEvPT0_PKT_iiiPKbib.num_named_barrier, 0
	.set _ZN12_GLOBAL__N_120softmax_warp_forwardIN3c104HalfES2_fLi4ELb1ELb0ELi32EEEvPT0_PKT_iiiPKbib.private_seg_size, 0
	.set _ZN12_GLOBAL__N_120softmax_warp_forwardIN3c104HalfES2_fLi4ELb1ELb0ELi32EEEvPT0_PKT_iiiPKbib.uses_vcc, 1
	.set _ZN12_GLOBAL__N_120softmax_warp_forwardIN3c104HalfES2_fLi4ELb1ELb0ELi32EEEvPT0_PKT_iiiPKbib.uses_flat_scratch, 0
	.set _ZN12_GLOBAL__N_120softmax_warp_forwardIN3c104HalfES2_fLi4ELb1ELb0ELi32EEEvPT0_PKT_iiiPKbib.has_dyn_sized_stack, 0
	.set _ZN12_GLOBAL__N_120softmax_warp_forwardIN3c104HalfES2_fLi4ELb1ELb0ELi32EEEvPT0_PKT_iiiPKbib.has_recursion, 0
	.set _ZN12_GLOBAL__N_120softmax_warp_forwardIN3c104HalfES2_fLi4ELb1ELb0ELi32EEEvPT0_PKT_iiiPKbib.has_indirect_call, 0
	.section	.AMDGPU.csdata,"",@progbits
; Kernel info:
; codeLenInByte = 1200
; TotalNumSgprs: 18
; NumVgprs: 15
; ScratchSize: 0
; MemoryBound: 0
; FloatMode: 240
; IeeeMode: 1
; LDSByteSize: 0 bytes/workgroup (compile time only)
; SGPRBlocks: 0
; VGPRBlocks: 1
; NumSGPRsForWavesPerEU: 18
; NumVGPRsForWavesPerEU: 15
; Occupancy: 16
; WaveLimiterHint : 0
; COMPUTE_PGM_RSRC2:SCRATCH_EN: 0
; COMPUTE_PGM_RSRC2:USER_SGPR: 6
; COMPUTE_PGM_RSRC2:TRAP_HANDLER: 0
; COMPUTE_PGM_RSRC2:TGID_X_EN: 1
; COMPUTE_PGM_RSRC2:TGID_Y_EN: 0
; COMPUTE_PGM_RSRC2:TGID_Z_EN: 0
; COMPUTE_PGM_RSRC2:TIDIG_COMP_CNT: 1
	.section	.text._ZN12_GLOBAL__N_120softmax_warp_forwardIN3c104HalfES2_fLi5ELb1ELb0ELi64EEEvPT0_PKT_iiiPKbib,"axG",@progbits,_ZN12_GLOBAL__N_120softmax_warp_forwardIN3c104HalfES2_fLi5ELb1ELb0ELi64EEEvPT0_PKT_iiiPKbib,comdat
	.globl	_ZN12_GLOBAL__N_120softmax_warp_forwardIN3c104HalfES2_fLi5ELb1ELb0ELi64EEEvPT0_PKT_iiiPKbib ; -- Begin function _ZN12_GLOBAL__N_120softmax_warp_forwardIN3c104HalfES2_fLi5ELb1ELb0ELi64EEEvPT0_PKT_iiiPKbib
	.p2align	8
	.type	_ZN12_GLOBAL__N_120softmax_warp_forwardIN3c104HalfES2_fLi5ELb1ELb0ELi64EEEvPT0_PKT_iiiPKbib,@function
_ZN12_GLOBAL__N_120softmax_warp_forwardIN3c104HalfES2_fLi5ELb1ELb0ELi64EEEvPT0_PKT_iiiPKbib: ; @_ZN12_GLOBAL__N_120softmax_warp_forwardIN3c104HalfES2_fLi5ELb1ELb0ELi64EEEvPT0_PKT_iiiPKbib
; %bb.0:
	s_clause 0x1
	s_load_dword s0, s[4:5], 0x3c
	s_load_dwordx8 s[8:15], s[4:5], 0x0
	v_mov_b32_e32 v6, 0xff800000
	s_waitcnt lgkmcnt(0)
	s_lshr_b32 s0, s0, 16
	v_cmp_gt_i32_e32 vcc_lo, s14, v0
	s_and_b32 s0, s0, 0xffff
	s_mul_i32 s6, s6, s0
	v_add_lshl_u32 v3, s6, v1, 1
	v_mad_u64_u32 v[1:2], null, v3, s13, v[0:1]
	v_sub_nc_u32_e32 v5, s12, v3
	v_mov_b32_e32 v0, 0xff800000
	v_cmp_lt_i32_e64 s0, 0, v5
	v_ashrrev_i32_e32 v2, 31, v1
	s_and_b32 s2, vcc_lo, s0
	v_lshlrev_b64 v[1:2], 1, v[1:2]
	v_add_co_u32 v3, s1, s10, v1
	v_add_co_ci_u32_e64 v4, null, s11, v2, s1
	s_and_saveexec_b32 s1, s2
	s_cbranch_execz .LBB80_2
; %bb.1:
	global_load_ushort v0, v[3:4], off
	s_waitcnt vmcnt(0)
	v_cvt_f32_f16_e32 v0, v0
.LBB80_2:
	s_or_b32 exec_lo, exec_lo, s1
	v_cmp_lt_i32_e64 s1, 1, v5
	s_and_b32 s1, vcc_lo, s1
	s_and_saveexec_b32 s2, s1
	s_cbranch_execz .LBB80_4
; %bb.3:
	s_mov_b32 s15, 0
	s_lshl_b64 s[4:5], s[14:15], 1
	v_add_co_u32 v3, s1, v3, s4
	v_add_co_ci_u32_e64 v4, null, s5, v4, s1
	global_load_ushort v3, v[3:4], off
	s_waitcnt vmcnt(0)
	v_cvt_f32_f16_e32 v6, v3
.LBB80_4:
	s_or_b32 exec_lo, exec_lo, s2
	v_mbcnt_lo_u32_b32 v3, -1, 0
	v_xor_b32_e32 v4, 16, v3
	v_xor_b32_e32 v9, 8, v3
	;; [unrolled: 1-line block ×5, first 2 shown]
	v_cmp_gt_i32_e64 s1, 32, v4
	v_cndmask_b32_e64 v4, v3, v4, s1
	v_cmp_gt_i32_e64 s1, 32, v9
	v_lshlrev_b32_e32 v7, 2, v4
	v_cndmask_b32_e64 v9, v3, v9, s1
	ds_bpermute_b32 v4, v7, v0
	ds_bpermute_b32 v8, v7, v6
	v_lshlrev_b32_e32 v9, 2, v9
	s_waitcnt lgkmcnt(1)
	v_cmp_lt_f32_e64 s1, v0, v4
	v_cndmask_b32_e64 v4, v0, v4, s1
	s_waitcnt lgkmcnt(0)
	v_cmp_lt_f32_e64 s1, v6, v8
	ds_bpermute_b32 v10, v9, v4
	v_cndmask_b32_e64 v8, v6, v8, s1
	v_cmp_gt_i32_e64 s1, 32, v12
	ds_bpermute_b32 v11, v9, v8
	v_cndmask_b32_e64 v12, v3, v12, s1
	v_lshlrev_b32_e32 v12, 2, v12
	s_waitcnt lgkmcnt(1)
	v_cmp_lt_f32_e64 s1, v4, v10
	v_cndmask_b32_e64 v4, v4, v10, s1
	s_waitcnt lgkmcnt(0)
	v_cmp_lt_f32_e64 s1, v8, v11
	ds_bpermute_b32 v10, v12, v4
	v_cndmask_b32_e64 v8, v8, v11, s1
	v_cmp_gt_i32_e64 s1, 32, v13
	ds_bpermute_b32 v11, v12, v8
	v_cndmask_b32_e64 v13, v3, v13, s1
	;; [unrolled: 11-line block ×3, first 2 shown]
	v_lshlrev_b32_e32 v14, 2, v3
	s_waitcnt lgkmcnt(1)
	v_cmp_lt_f32_e64 s1, v4, v10
	v_cndmask_b32_e64 v3, v4, v10, s1
	s_waitcnt lgkmcnt(0)
	v_cmp_lt_f32_e64 s1, v8, v11
	v_cndmask_b32_e64 v4, v8, v11, s1
	ds_bpermute_b32 v8, v14, v3
	ds_bpermute_b32 v10, v14, v4
	s_waitcnt lgkmcnt(1)
	v_cmp_lt_f32_e64 s1, v3, v8
	v_cndmask_b32_e64 v3, v3, v8, s1
	s_waitcnt lgkmcnt(0)
	v_cmp_lt_f32_e64 s1, v4, v10
	v_cndmask_b32_e64 v8, v4, v10, s1
	v_sub_f32_e32 v4, v0, v3
	v_sub_f32_e32 v3, v6, v8
	v_mul_f32_e32 v0, 0x3fb8aa3b, v4
	v_cmp_ngt_f32_e64 s1, 0xc2ce8ed0, v4
	v_mul_f32_e32 v6, 0x3fb8aa3b, v3
	v_fma_f32 v8, 0x3fb8aa3b, v4, -v0
	v_rndne_f32_e32 v10, v0
	v_fma_f32 v11, 0x3fb8aa3b, v3, -v6
	v_rndne_f32_e32 v15, v6
	v_fmac_f32_e32 v8, 0x32a5705f, v4
	v_sub_f32_e32 v0, v0, v10
	v_fmac_f32_e32 v11, 0x32a5705f, v3
	v_sub_f32_e32 v6, v6, v15
	v_add_f32_e32 v0, v0, v8
	v_cvt_i32_f32_e32 v8, v10
	v_cvt_i32_f32_e32 v10, v15
	v_add_f32_e32 v6, v6, v11
	v_exp_f32_e32 v0, v0
	v_exp_f32_e32 v6, v6
	v_ldexp_f32 v0, v0, v8
	v_ldexp_f32 v6, v6, v10
	v_cndmask_b32_e64 v0, 0, v0, s1
	v_cmp_ngt_f32_e64 s1, 0xc2ce8ed0, v3
	v_cndmask_b32_e64 v6, 0, v6, s1
	v_cmp_nlt_f32_e64 s1, 0x42b17218, v4
	v_cndmask_b32_e64 v0, 0x7f800000, v0, s1
	v_cmp_nlt_f32_e64 s1, 0x42b17218, v3
	ds_bpermute_b32 v8, v7, v0
	v_cndmask_b32_e64 v6, 0x7f800000, v6, s1
	ds_bpermute_b32 v7, v7, v6
	s_waitcnt lgkmcnt(1)
	v_add_f32_e32 v0, v0, v8
	s_waitcnt lgkmcnt(0)
	v_add_f32_e32 v6, v6, v7
	ds_bpermute_b32 v7, v9, v0
	ds_bpermute_b32 v8, v9, v6
	s_waitcnt lgkmcnt(1)
	v_add_f32_e32 v0, v0, v7
	s_waitcnt lgkmcnt(0)
	v_add_f32_e32 v6, v6, v8
	ds_bpermute_b32 v7, v12, v0
	;; [unrolled: 6-line block ×4, first 2 shown]
	ds_bpermute_b32 v7, v14, v6
	s_and_saveexec_b32 s1, s0
	s_cbranch_execz .LBB80_9
; %bb.5:
	v_add_co_u32 v0, s0, s8, v1
	v_add_co_ci_u32_e64 v1, null, s9, v2, s0
	s_and_saveexec_b32 s2, vcc_lo
	s_cbranch_execz .LBB80_7
; %bb.6:
	s_waitcnt lgkmcnt(1)
	v_add_f32_e32 v2, v8, v9
	v_cmp_gt_f32_e64 s0, 0x800000, v2
	v_cndmask_b32_e64 v8, 0, 32, s0
	v_ldexp_f32 v2, v2, v8
	v_log_f32_e32 v2, v2
	v_mul_f32_e32 v8, 0x3f317217, v2
	v_cmp_gt_f32_e64 s1, 0x7f800000, |v2|
	v_fma_f32 v8, 0x3f317217, v2, -v8
	v_fmamk_f32 v8, v2, 0x3377d1cf, v8
	v_fmac_f32_e32 v8, 0x3f317217, v2
	v_cndmask_b32_e64 v2, v2, v8, s1
	v_cndmask_b32_e64 v8, 0, 0x41b17218, s0
	v_sub_f32_e32 v2, v2, v8
	v_sub_f32_e32 v2, v4, v2
	v_cvt_f16_f32_e32 v2, v2
	global_store_short v[0:1], v2, off
.LBB80_7:
	s_or_b32 exec_lo, exec_lo, s2
	v_cmp_ne_u32_e64 s0, 1, v5
	s_and_b32 s0, s0, vcc_lo
	s_and_b32 exec_lo, exec_lo, s0
	s_cbranch_execz .LBB80_9
; %bb.8:
	s_waitcnt lgkmcnt(0)
	v_add_f32_e32 v2, v6, v7
	s_mov_b32 s15, 0
	s_lshl_b64 s[0:1], s[14:15], 1
	v_cmp_gt_f32_e32 vcc_lo, 0x800000, v2
	v_cndmask_b32_e64 v4, 0, 32, vcc_lo
	v_cndmask_b32_e64 v5, 0, 0x41b17218, vcc_lo
	v_ldexp_f32 v2, v2, v4
	v_log_f32_e32 v2, v2
	v_mul_f32_e32 v4, 0x3f317217, v2
	v_cmp_gt_f32_e64 vcc_lo, 0x7f800000, |v2|
	v_fma_f32 v4, 0x3f317217, v2, -v4
	v_fmamk_f32 v4, v2, 0x3377d1cf, v4
	v_fmac_f32_e32 v4, 0x3f317217, v2
	v_cndmask_b32_e32 v2, v2, v4, vcc_lo
	v_add_co_u32 v0, vcc_lo, v0, s0
	v_add_co_ci_u32_e64 v1, null, s1, v1, vcc_lo
	v_sub_f32_e32 v2, v2, v5
	v_sub_f32_e32 v2, v3, v2
	v_cvt_f16_f32_e32 v2, v2
	global_store_short v[0:1], v2, off
.LBB80_9:
	s_endpgm
	.section	.rodata,"a",@progbits
	.p2align	6, 0x0
	.amdhsa_kernel _ZN12_GLOBAL__N_120softmax_warp_forwardIN3c104HalfES2_fLi5ELb1ELb0ELi64EEEvPT0_PKT_iiiPKbib
		.amdhsa_group_segment_fixed_size 0
		.amdhsa_private_segment_fixed_size 0
		.amdhsa_kernarg_size 304
		.amdhsa_user_sgpr_count 6
		.amdhsa_user_sgpr_private_segment_buffer 1
		.amdhsa_user_sgpr_dispatch_ptr 0
		.amdhsa_user_sgpr_queue_ptr 0
		.amdhsa_user_sgpr_kernarg_segment_ptr 1
		.amdhsa_user_sgpr_dispatch_id 0
		.amdhsa_user_sgpr_flat_scratch_init 0
		.amdhsa_user_sgpr_private_segment_size 0
		.amdhsa_wavefront_size32 1
		.amdhsa_uses_dynamic_stack 0
		.amdhsa_system_sgpr_private_segment_wavefront_offset 0
		.amdhsa_system_sgpr_workgroup_id_x 1
		.amdhsa_system_sgpr_workgroup_id_y 0
		.amdhsa_system_sgpr_workgroup_id_z 0
		.amdhsa_system_sgpr_workgroup_info 0
		.amdhsa_system_vgpr_workitem_id 1
		.amdhsa_next_free_vgpr 16
		.amdhsa_next_free_sgpr 16
		.amdhsa_reserve_vcc 1
		.amdhsa_reserve_flat_scratch 0
		.amdhsa_float_round_mode_32 0
		.amdhsa_float_round_mode_16_64 0
		.amdhsa_float_denorm_mode_32 3
		.amdhsa_float_denorm_mode_16_64 3
		.amdhsa_dx10_clamp 1
		.amdhsa_ieee_mode 1
		.amdhsa_fp16_overflow 0
		.amdhsa_workgroup_processor_mode 1
		.amdhsa_memory_ordered 1
		.amdhsa_forward_progress 1
		.amdhsa_shared_vgpr_count 0
		.amdhsa_exception_fp_ieee_invalid_op 0
		.amdhsa_exception_fp_denorm_src 0
		.amdhsa_exception_fp_ieee_div_zero 0
		.amdhsa_exception_fp_ieee_overflow 0
		.amdhsa_exception_fp_ieee_underflow 0
		.amdhsa_exception_fp_ieee_inexact 0
		.amdhsa_exception_int_div_zero 0
	.end_amdhsa_kernel
	.section	.text._ZN12_GLOBAL__N_120softmax_warp_forwardIN3c104HalfES2_fLi5ELb1ELb0ELi64EEEvPT0_PKT_iiiPKbib,"axG",@progbits,_ZN12_GLOBAL__N_120softmax_warp_forwardIN3c104HalfES2_fLi5ELb1ELb0ELi64EEEvPT0_PKT_iiiPKbib,comdat
.Lfunc_end80:
	.size	_ZN12_GLOBAL__N_120softmax_warp_forwardIN3c104HalfES2_fLi5ELb1ELb0ELi64EEEvPT0_PKT_iiiPKbib, .Lfunc_end80-_ZN12_GLOBAL__N_120softmax_warp_forwardIN3c104HalfES2_fLi5ELb1ELb0ELi64EEEvPT0_PKT_iiiPKbib
                                        ; -- End function
	.set _ZN12_GLOBAL__N_120softmax_warp_forwardIN3c104HalfES2_fLi5ELb1ELb0ELi64EEEvPT0_PKT_iiiPKbib.num_vgpr, 16
	.set _ZN12_GLOBAL__N_120softmax_warp_forwardIN3c104HalfES2_fLi5ELb1ELb0ELi64EEEvPT0_PKT_iiiPKbib.num_agpr, 0
	.set _ZN12_GLOBAL__N_120softmax_warp_forwardIN3c104HalfES2_fLi5ELb1ELb0ELi64EEEvPT0_PKT_iiiPKbib.numbered_sgpr, 16
	.set _ZN12_GLOBAL__N_120softmax_warp_forwardIN3c104HalfES2_fLi5ELb1ELb0ELi64EEEvPT0_PKT_iiiPKbib.num_named_barrier, 0
	.set _ZN12_GLOBAL__N_120softmax_warp_forwardIN3c104HalfES2_fLi5ELb1ELb0ELi64EEEvPT0_PKT_iiiPKbib.private_seg_size, 0
	.set _ZN12_GLOBAL__N_120softmax_warp_forwardIN3c104HalfES2_fLi5ELb1ELb0ELi64EEEvPT0_PKT_iiiPKbib.uses_vcc, 1
	.set _ZN12_GLOBAL__N_120softmax_warp_forwardIN3c104HalfES2_fLi5ELb1ELb0ELi64EEEvPT0_PKT_iiiPKbib.uses_flat_scratch, 0
	.set _ZN12_GLOBAL__N_120softmax_warp_forwardIN3c104HalfES2_fLi5ELb1ELb0ELi64EEEvPT0_PKT_iiiPKbib.has_dyn_sized_stack, 0
	.set _ZN12_GLOBAL__N_120softmax_warp_forwardIN3c104HalfES2_fLi5ELb1ELb0ELi64EEEvPT0_PKT_iiiPKbib.has_recursion, 0
	.set _ZN12_GLOBAL__N_120softmax_warp_forwardIN3c104HalfES2_fLi5ELb1ELb0ELi64EEEvPT0_PKT_iiiPKbib.has_indirect_call, 0
	.section	.AMDGPU.csdata,"",@progbits
; Kernel info:
; codeLenInByte = 1304
; TotalNumSgprs: 18
; NumVgprs: 16
; ScratchSize: 0
; MemoryBound: 0
; FloatMode: 240
; IeeeMode: 1
; LDSByteSize: 0 bytes/workgroup (compile time only)
; SGPRBlocks: 0
; VGPRBlocks: 1
; NumSGPRsForWavesPerEU: 18
; NumVGPRsForWavesPerEU: 16
; Occupancy: 16
; WaveLimiterHint : 0
; COMPUTE_PGM_RSRC2:SCRATCH_EN: 0
; COMPUTE_PGM_RSRC2:USER_SGPR: 6
; COMPUTE_PGM_RSRC2:TRAP_HANDLER: 0
; COMPUTE_PGM_RSRC2:TGID_X_EN: 1
; COMPUTE_PGM_RSRC2:TGID_Y_EN: 0
; COMPUTE_PGM_RSRC2:TGID_Z_EN: 0
; COMPUTE_PGM_RSRC2:TIDIG_COMP_CNT: 1
	.section	.text._ZN12_GLOBAL__N_120softmax_warp_forwardIN3c104HalfES2_fLi5ELb1ELb0ELi32EEEvPT0_PKT_iiiPKbib,"axG",@progbits,_ZN12_GLOBAL__N_120softmax_warp_forwardIN3c104HalfES2_fLi5ELb1ELb0ELi32EEEvPT0_PKT_iiiPKbib,comdat
	.globl	_ZN12_GLOBAL__N_120softmax_warp_forwardIN3c104HalfES2_fLi5ELb1ELb0ELi32EEEvPT0_PKT_iiiPKbib ; -- Begin function _ZN12_GLOBAL__N_120softmax_warp_forwardIN3c104HalfES2_fLi5ELb1ELb0ELi32EEEvPT0_PKT_iiiPKbib
	.p2align	8
	.type	_ZN12_GLOBAL__N_120softmax_warp_forwardIN3c104HalfES2_fLi5ELb1ELb0ELi32EEEvPT0_PKT_iiiPKbib,@function
_ZN12_GLOBAL__N_120softmax_warp_forwardIN3c104HalfES2_fLi5ELb1ELb0ELi32EEEvPT0_PKT_iiiPKbib: ; @_ZN12_GLOBAL__N_120softmax_warp_forwardIN3c104HalfES2_fLi5ELb1ELb0ELi32EEEvPT0_PKT_iiiPKbib
; %bb.0:
	s_clause 0x1
	s_load_dword s0, s[4:5], 0x3c
	s_load_dwordx8 s[8:15], s[4:5], 0x0
	v_mov_b32_e32 v6, 0xff800000
	s_waitcnt lgkmcnt(0)
	s_lshr_b32 s0, s0, 16
	v_cmp_gt_i32_e32 vcc_lo, s14, v0
	s_and_b32 s0, s0, 0xffff
	s_mul_i32 s6, s6, s0
	v_add_lshl_u32 v3, s6, v1, 1
	v_mad_u64_u32 v[1:2], null, v3, s13, v[0:1]
	v_sub_nc_u32_e32 v5, s12, v3
	v_mov_b32_e32 v0, 0xff800000
	v_cmp_lt_i32_e64 s0, 0, v5
	v_ashrrev_i32_e32 v2, 31, v1
	s_and_b32 s2, vcc_lo, s0
	v_lshlrev_b64 v[1:2], 1, v[1:2]
	v_add_co_u32 v3, s1, s10, v1
	v_add_co_ci_u32_e64 v4, null, s11, v2, s1
	s_and_saveexec_b32 s1, s2
	s_cbranch_execz .LBB81_2
; %bb.1:
	global_load_ushort v0, v[3:4], off
	s_waitcnt vmcnt(0)
	v_cvt_f32_f16_e32 v0, v0
.LBB81_2:
	s_or_b32 exec_lo, exec_lo, s1
	v_cmp_lt_i32_e64 s1, 1, v5
	s_and_b32 s1, vcc_lo, s1
	s_and_saveexec_b32 s2, s1
	s_cbranch_execz .LBB81_4
; %bb.3:
	s_mov_b32 s15, 0
	s_lshl_b64 s[4:5], s[14:15], 1
	v_add_co_u32 v3, s1, v3, s4
	v_add_co_ci_u32_e64 v4, null, s5, v4, s1
	global_load_ushort v3, v[3:4], off
	s_waitcnt vmcnt(0)
	v_cvt_f32_f16_e32 v6, v3
.LBB81_4:
	s_or_b32 exec_lo, exec_lo, s2
	v_mbcnt_lo_u32_b32 v3, -1, 0
	v_xor_b32_e32 v4, 16, v3
	v_xor_b32_e32 v9, 8, v3
	v_xor_b32_e32 v12, 4, v3
	v_xor_b32_e32 v13, 2, v3
	v_xor_b32_e32 v14, 1, v3
	v_cmp_gt_i32_e64 s1, 32, v4
	v_cndmask_b32_e64 v4, v3, v4, s1
	v_cmp_gt_i32_e64 s1, 32, v9
	v_lshlrev_b32_e32 v7, 2, v4
	v_cndmask_b32_e64 v9, v3, v9, s1
	ds_bpermute_b32 v4, v7, v0
	ds_bpermute_b32 v8, v7, v6
	v_lshlrev_b32_e32 v9, 2, v9
	s_waitcnt lgkmcnt(1)
	v_cmp_lt_f32_e64 s1, v0, v4
	v_cndmask_b32_e64 v4, v0, v4, s1
	s_waitcnt lgkmcnt(0)
	v_cmp_lt_f32_e64 s1, v6, v8
	ds_bpermute_b32 v10, v9, v4
	v_cndmask_b32_e64 v8, v6, v8, s1
	v_cmp_gt_i32_e64 s1, 32, v12
	ds_bpermute_b32 v11, v9, v8
	v_cndmask_b32_e64 v12, v3, v12, s1
	v_lshlrev_b32_e32 v12, 2, v12
	s_waitcnt lgkmcnt(1)
	v_cmp_lt_f32_e64 s1, v4, v10
	v_cndmask_b32_e64 v4, v4, v10, s1
	s_waitcnt lgkmcnt(0)
	v_cmp_lt_f32_e64 s1, v8, v11
	ds_bpermute_b32 v10, v12, v4
	v_cndmask_b32_e64 v8, v8, v11, s1
	v_cmp_gt_i32_e64 s1, 32, v13
	ds_bpermute_b32 v11, v12, v8
	v_cndmask_b32_e64 v13, v3, v13, s1
	;; [unrolled: 11-line block ×3, first 2 shown]
	v_lshlrev_b32_e32 v14, 2, v3
	s_waitcnt lgkmcnt(1)
	v_cmp_lt_f32_e64 s1, v4, v10
	v_cndmask_b32_e64 v3, v4, v10, s1
	s_waitcnt lgkmcnt(0)
	v_cmp_lt_f32_e64 s1, v8, v11
	v_cndmask_b32_e64 v4, v8, v11, s1
	ds_bpermute_b32 v8, v14, v3
	ds_bpermute_b32 v10, v14, v4
	s_waitcnt lgkmcnt(1)
	v_cmp_lt_f32_e64 s1, v3, v8
	v_cndmask_b32_e64 v3, v3, v8, s1
	s_waitcnt lgkmcnt(0)
	v_cmp_lt_f32_e64 s1, v4, v10
	v_cndmask_b32_e64 v8, v4, v10, s1
	v_sub_f32_e32 v4, v0, v3
	v_sub_f32_e32 v3, v6, v8
	v_mul_f32_e32 v0, 0x3fb8aa3b, v4
	v_cmp_ngt_f32_e64 s1, 0xc2ce8ed0, v4
	v_mul_f32_e32 v6, 0x3fb8aa3b, v3
	v_fma_f32 v8, 0x3fb8aa3b, v4, -v0
	v_rndne_f32_e32 v10, v0
	v_fma_f32 v11, 0x3fb8aa3b, v3, -v6
	v_rndne_f32_e32 v15, v6
	v_fmac_f32_e32 v8, 0x32a5705f, v4
	v_sub_f32_e32 v0, v0, v10
	v_fmac_f32_e32 v11, 0x32a5705f, v3
	v_sub_f32_e32 v6, v6, v15
	v_add_f32_e32 v0, v0, v8
	v_cvt_i32_f32_e32 v8, v10
	v_cvt_i32_f32_e32 v10, v15
	v_add_f32_e32 v6, v6, v11
	v_exp_f32_e32 v0, v0
	v_exp_f32_e32 v6, v6
	v_ldexp_f32 v0, v0, v8
	v_ldexp_f32 v6, v6, v10
	v_cndmask_b32_e64 v0, 0, v0, s1
	v_cmp_ngt_f32_e64 s1, 0xc2ce8ed0, v3
	v_cndmask_b32_e64 v6, 0, v6, s1
	v_cmp_nlt_f32_e64 s1, 0x42b17218, v4
	v_cndmask_b32_e64 v0, 0x7f800000, v0, s1
	v_cmp_nlt_f32_e64 s1, 0x42b17218, v3
	ds_bpermute_b32 v8, v7, v0
	v_cndmask_b32_e64 v6, 0x7f800000, v6, s1
	ds_bpermute_b32 v7, v7, v6
	s_waitcnt lgkmcnt(1)
	v_add_f32_e32 v0, v0, v8
	s_waitcnt lgkmcnt(0)
	v_add_f32_e32 v6, v6, v7
	ds_bpermute_b32 v7, v9, v0
	ds_bpermute_b32 v8, v9, v6
	s_waitcnt lgkmcnt(1)
	v_add_f32_e32 v0, v0, v7
	s_waitcnt lgkmcnt(0)
	v_add_f32_e32 v6, v6, v8
	ds_bpermute_b32 v7, v12, v0
	ds_bpermute_b32 v8, v12, v6
	s_waitcnt lgkmcnt(1)
	v_add_f32_e32 v0, v0, v7
	s_waitcnt lgkmcnt(0)
	v_add_f32_e32 v6, v6, v8
	ds_bpermute_b32 v7, v13, v0
	ds_bpermute_b32 v9, v13, v6
	s_waitcnt lgkmcnt(1)
	v_add_f32_e32 v8, v0, v7
	s_waitcnt lgkmcnt(0)
	v_add_f32_e32 v6, v6, v9
	ds_bpermute_b32 v9, v14, v8
	ds_bpermute_b32 v7, v14, v6
	s_and_saveexec_b32 s1, s0
	s_cbranch_execz .LBB81_9
; %bb.5:
	v_add_co_u32 v0, s0, s8, v1
	v_add_co_ci_u32_e64 v1, null, s9, v2, s0
	s_and_saveexec_b32 s2, vcc_lo
	s_cbranch_execz .LBB81_7
; %bb.6:
	s_waitcnt lgkmcnt(1)
	v_add_f32_e32 v2, v8, v9
	v_cmp_gt_f32_e64 s0, 0x800000, v2
	v_cndmask_b32_e64 v8, 0, 32, s0
	v_ldexp_f32 v2, v2, v8
	v_log_f32_e32 v2, v2
	v_mul_f32_e32 v8, 0x3f317217, v2
	v_cmp_gt_f32_e64 s1, 0x7f800000, |v2|
	v_fma_f32 v8, 0x3f317217, v2, -v8
	v_fmamk_f32 v8, v2, 0x3377d1cf, v8
	v_fmac_f32_e32 v8, 0x3f317217, v2
	v_cndmask_b32_e64 v2, v2, v8, s1
	v_cndmask_b32_e64 v8, 0, 0x41b17218, s0
	v_sub_f32_e32 v2, v2, v8
	v_sub_f32_e32 v2, v4, v2
	v_cvt_f16_f32_e32 v2, v2
	global_store_short v[0:1], v2, off
.LBB81_7:
	s_or_b32 exec_lo, exec_lo, s2
	v_cmp_ne_u32_e64 s0, 1, v5
	s_and_b32 s0, s0, vcc_lo
	s_and_b32 exec_lo, exec_lo, s0
	s_cbranch_execz .LBB81_9
; %bb.8:
	s_waitcnt lgkmcnt(0)
	v_add_f32_e32 v2, v6, v7
	s_mov_b32 s15, 0
	s_lshl_b64 s[0:1], s[14:15], 1
	v_cmp_gt_f32_e32 vcc_lo, 0x800000, v2
	v_cndmask_b32_e64 v4, 0, 32, vcc_lo
	v_cndmask_b32_e64 v5, 0, 0x41b17218, vcc_lo
	v_ldexp_f32 v2, v2, v4
	v_log_f32_e32 v2, v2
	v_mul_f32_e32 v4, 0x3f317217, v2
	v_cmp_gt_f32_e64 vcc_lo, 0x7f800000, |v2|
	v_fma_f32 v4, 0x3f317217, v2, -v4
	v_fmamk_f32 v4, v2, 0x3377d1cf, v4
	v_fmac_f32_e32 v4, 0x3f317217, v2
	v_cndmask_b32_e32 v2, v2, v4, vcc_lo
	v_add_co_u32 v0, vcc_lo, v0, s0
	v_add_co_ci_u32_e64 v1, null, s1, v1, vcc_lo
	v_sub_f32_e32 v2, v2, v5
	v_sub_f32_e32 v2, v3, v2
	v_cvt_f16_f32_e32 v2, v2
	global_store_short v[0:1], v2, off
.LBB81_9:
	s_endpgm
	.section	.rodata,"a",@progbits
	.p2align	6, 0x0
	.amdhsa_kernel _ZN12_GLOBAL__N_120softmax_warp_forwardIN3c104HalfES2_fLi5ELb1ELb0ELi32EEEvPT0_PKT_iiiPKbib
		.amdhsa_group_segment_fixed_size 0
		.amdhsa_private_segment_fixed_size 0
		.amdhsa_kernarg_size 304
		.amdhsa_user_sgpr_count 6
		.amdhsa_user_sgpr_private_segment_buffer 1
		.amdhsa_user_sgpr_dispatch_ptr 0
		.amdhsa_user_sgpr_queue_ptr 0
		.amdhsa_user_sgpr_kernarg_segment_ptr 1
		.amdhsa_user_sgpr_dispatch_id 0
		.amdhsa_user_sgpr_flat_scratch_init 0
		.amdhsa_user_sgpr_private_segment_size 0
		.amdhsa_wavefront_size32 1
		.amdhsa_uses_dynamic_stack 0
		.amdhsa_system_sgpr_private_segment_wavefront_offset 0
		.amdhsa_system_sgpr_workgroup_id_x 1
		.amdhsa_system_sgpr_workgroup_id_y 0
		.amdhsa_system_sgpr_workgroup_id_z 0
		.amdhsa_system_sgpr_workgroup_info 0
		.amdhsa_system_vgpr_workitem_id 1
		.amdhsa_next_free_vgpr 16
		.amdhsa_next_free_sgpr 16
		.amdhsa_reserve_vcc 1
		.amdhsa_reserve_flat_scratch 0
		.amdhsa_float_round_mode_32 0
		.amdhsa_float_round_mode_16_64 0
		.amdhsa_float_denorm_mode_32 3
		.amdhsa_float_denorm_mode_16_64 3
		.amdhsa_dx10_clamp 1
		.amdhsa_ieee_mode 1
		.amdhsa_fp16_overflow 0
		.amdhsa_workgroup_processor_mode 1
		.amdhsa_memory_ordered 1
		.amdhsa_forward_progress 1
		.amdhsa_shared_vgpr_count 0
		.amdhsa_exception_fp_ieee_invalid_op 0
		.amdhsa_exception_fp_denorm_src 0
		.amdhsa_exception_fp_ieee_div_zero 0
		.amdhsa_exception_fp_ieee_overflow 0
		.amdhsa_exception_fp_ieee_underflow 0
		.amdhsa_exception_fp_ieee_inexact 0
		.amdhsa_exception_int_div_zero 0
	.end_amdhsa_kernel
	.section	.text._ZN12_GLOBAL__N_120softmax_warp_forwardIN3c104HalfES2_fLi5ELb1ELb0ELi32EEEvPT0_PKT_iiiPKbib,"axG",@progbits,_ZN12_GLOBAL__N_120softmax_warp_forwardIN3c104HalfES2_fLi5ELb1ELb0ELi32EEEvPT0_PKT_iiiPKbib,comdat
.Lfunc_end81:
	.size	_ZN12_GLOBAL__N_120softmax_warp_forwardIN3c104HalfES2_fLi5ELb1ELb0ELi32EEEvPT0_PKT_iiiPKbib, .Lfunc_end81-_ZN12_GLOBAL__N_120softmax_warp_forwardIN3c104HalfES2_fLi5ELb1ELb0ELi32EEEvPT0_PKT_iiiPKbib
                                        ; -- End function
	.set _ZN12_GLOBAL__N_120softmax_warp_forwardIN3c104HalfES2_fLi5ELb1ELb0ELi32EEEvPT0_PKT_iiiPKbib.num_vgpr, 16
	.set _ZN12_GLOBAL__N_120softmax_warp_forwardIN3c104HalfES2_fLi5ELb1ELb0ELi32EEEvPT0_PKT_iiiPKbib.num_agpr, 0
	.set _ZN12_GLOBAL__N_120softmax_warp_forwardIN3c104HalfES2_fLi5ELb1ELb0ELi32EEEvPT0_PKT_iiiPKbib.numbered_sgpr, 16
	.set _ZN12_GLOBAL__N_120softmax_warp_forwardIN3c104HalfES2_fLi5ELb1ELb0ELi32EEEvPT0_PKT_iiiPKbib.num_named_barrier, 0
	.set _ZN12_GLOBAL__N_120softmax_warp_forwardIN3c104HalfES2_fLi5ELb1ELb0ELi32EEEvPT0_PKT_iiiPKbib.private_seg_size, 0
	.set _ZN12_GLOBAL__N_120softmax_warp_forwardIN3c104HalfES2_fLi5ELb1ELb0ELi32EEEvPT0_PKT_iiiPKbib.uses_vcc, 1
	.set _ZN12_GLOBAL__N_120softmax_warp_forwardIN3c104HalfES2_fLi5ELb1ELb0ELi32EEEvPT0_PKT_iiiPKbib.uses_flat_scratch, 0
	.set _ZN12_GLOBAL__N_120softmax_warp_forwardIN3c104HalfES2_fLi5ELb1ELb0ELi32EEEvPT0_PKT_iiiPKbib.has_dyn_sized_stack, 0
	.set _ZN12_GLOBAL__N_120softmax_warp_forwardIN3c104HalfES2_fLi5ELb1ELb0ELi32EEEvPT0_PKT_iiiPKbib.has_recursion, 0
	.set _ZN12_GLOBAL__N_120softmax_warp_forwardIN3c104HalfES2_fLi5ELb1ELb0ELi32EEEvPT0_PKT_iiiPKbib.has_indirect_call, 0
	.section	.AMDGPU.csdata,"",@progbits
; Kernel info:
; codeLenInByte = 1304
; TotalNumSgprs: 18
; NumVgprs: 16
; ScratchSize: 0
; MemoryBound: 0
; FloatMode: 240
; IeeeMode: 1
; LDSByteSize: 0 bytes/workgroup (compile time only)
; SGPRBlocks: 0
; VGPRBlocks: 1
; NumSGPRsForWavesPerEU: 18
; NumVGPRsForWavesPerEU: 16
; Occupancy: 16
; WaveLimiterHint : 0
; COMPUTE_PGM_RSRC2:SCRATCH_EN: 0
; COMPUTE_PGM_RSRC2:USER_SGPR: 6
; COMPUTE_PGM_RSRC2:TRAP_HANDLER: 0
; COMPUTE_PGM_RSRC2:TGID_X_EN: 1
; COMPUTE_PGM_RSRC2:TGID_Y_EN: 0
; COMPUTE_PGM_RSRC2:TGID_Z_EN: 0
; COMPUTE_PGM_RSRC2:TIDIG_COMP_CNT: 1
	.section	.text._ZN12_GLOBAL__N_120softmax_warp_forwardIN3c104HalfES2_fLi6ELb1ELb0ELi64EEEvPT0_PKT_iiiPKbib,"axG",@progbits,_ZN12_GLOBAL__N_120softmax_warp_forwardIN3c104HalfES2_fLi6ELb1ELb0ELi64EEEvPT0_PKT_iiiPKbib,comdat
	.globl	_ZN12_GLOBAL__N_120softmax_warp_forwardIN3c104HalfES2_fLi6ELb1ELb0ELi64EEEvPT0_PKT_iiiPKbib ; -- Begin function _ZN12_GLOBAL__N_120softmax_warp_forwardIN3c104HalfES2_fLi6ELb1ELb0ELi64EEEvPT0_PKT_iiiPKbib
	.p2align	8
	.type	_ZN12_GLOBAL__N_120softmax_warp_forwardIN3c104HalfES2_fLi6ELb1ELb0ELi64EEEvPT0_PKT_iiiPKbib,@function
_ZN12_GLOBAL__N_120softmax_warp_forwardIN3c104HalfES2_fLi6ELb1ELb0ELi64EEEvPT0_PKT_iiiPKbib: ; @_ZN12_GLOBAL__N_120softmax_warp_forwardIN3c104HalfES2_fLi6ELb1ELb0ELi64EEEvPT0_PKT_iiiPKbib
; %bb.0:
	s_clause 0x1
	s_load_dword s0, s[4:5], 0x3c
	s_load_dwordx8 s[8:15], s[4:5], 0x0
	v_mov_b32_e32 v6, 0xff800000
	s_waitcnt lgkmcnt(0)
	s_lshr_b32 s0, s0, 16
	v_cmp_gt_i32_e32 vcc_lo, s14, v0
	s_and_b32 s0, s0, 0xffff
	s_mul_i32 s6, s6, s0
	v_add_lshl_u32 v3, s6, v1, 1
	v_mad_u64_u32 v[1:2], null, v3, s13, v[0:1]
	v_sub_nc_u32_e32 v5, s12, v3
	v_mov_b32_e32 v0, 0xff800000
	v_cmp_lt_i32_e64 s0, 0, v5
	v_ashrrev_i32_e32 v2, 31, v1
	s_and_b32 s2, vcc_lo, s0
	v_lshlrev_b64 v[1:2], 1, v[1:2]
	v_add_co_u32 v3, s1, s10, v1
	v_add_co_ci_u32_e64 v4, null, s11, v2, s1
	s_and_saveexec_b32 s1, s2
	s_cbranch_execz .LBB82_2
; %bb.1:
	global_load_ushort v0, v[3:4], off
	s_waitcnt vmcnt(0)
	v_cvt_f32_f16_e32 v0, v0
.LBB82_2:
	s_or_b32 exec_lo, exec_lo, s1
	v_cmp_lt_i32_e64 s1, 1, v5
	s_and_b32 s1, vcc_lo, s1
	s_and_saveexec_b32 s2, s1
	s_cbranch_execz .LBB82_4
; %bb.3:
	s_mov_b32 s15, 0
	s_lshl_b64 s[4:5], s[14:15], 1
	v_add_co_u32 v3, s1, v3, s4
	v_add_co_ci_u32_e64 v4, null, s5, v4, s1
	global_load_ushort v3, v[3:4], off
	s_waitcnt vmcnt(0)
	v_cvt_f32_f16_e32 v6, v3
.LBB82_4:
	s_or_b32 exec_lo, exec_lo, s2
	v_mbcnt_lo_u32_b32 v3, -1, 0
	v_or_b32_e32 v4, 32, v3
	v_xor_b32_e32 v9, 16, v3
	v_xor_b32_e32 v12, 8, v3
	;; [unrolled: 1-line block ×4, first 2 shown]
	v_cmp_gt_i32_e64 s1, 64, v4
	v_xor_b32_e32 v15, 1, v3
	v_cndmask_b32_e64 v4, v3, v4, s1
	v_cmp_gt_i32_e64 s1, 64, v9
	v_lshlrev_b32_e32 v7, 2, v4
	v_cndmask_b32_e64 v9, v3, v9, s1
	ds_bpermute_b32 v4, v7, v0
	ds_bpermute_b32 v8, v7, v6
	v_lshlrev_b32_e32 v9, 2, v9
	s_waitcnt lgkmcnt(1)
	v_cmp_lt_f32_e64 s1, v0, v4
	v_cndmask_b32_e64 v4, v0, v4, s1
	s_waitcnt lgkmcnt(0)
	v_cmp_lt_f32_e64 s1, v6, v8
	ds_bpermute_b32 v10, v9, v4
	v_cndmask_b32_e64 v8, v6, v8, s1
	v_cmp_gt_i32_e64 s1, 64, v12
	ds_bpermute_b32 v11, v9, v8
	v_cndmask_b32_e64 v12, v3, v12, s1
	v_lshlrev_b32_e32 v12, 2, v12
	s_waitcnt lgkmcnt(1)
	v_cmp_lt_f32_e64 s1, v4, v10
	v_cndmask_b32_e64 v4, v4, v10, s1
	s_waitcnt lgkmcnt(0)
	v_cmp_lt_f32_e64 s1, v8, v11
	ds_bpermute_b32 v10, v12, v4
	v_cndmask_b32_e64 v8, v8, v11, s1
	v_cmp_gt_i32_e64 s1, 64, v13
	ds_bpermute_b32 v11, v12, v8
	v_cndmask_b32_e64 v13, v3, v13, s1
	v_lshlrev_b32_e32 v13, 2, v13
	s_waitcnt lgkmcnt(1)
	v_cmp_lt_f32_e64 s1, v4, v10
	v_cndmask_b32_e64 v4, v4, v10, s1
	s_waitcnt lgkmcnt(0)
	v_cmp_lt_f32_e64 s1, v8, v11
	ds_bpermute_b32 v10, v13, v4
	v_cndmask_b32_e64 v8, v8, v11, s1
	v_cmp_gt_i32_e64 s1, 64, v14
	ds_bpermute_b32 v11, v13, v8
	v_cndmask_b32_e64 v14, v3, v14, s1
	v_lshlrev_b32_e32 v14, 2, v14
	s_waitcnt lgkmcnt(1)
	v_cmp_lt_f32_e64 s1, v4, v10
	v_cndmask_b32_e64 v4, v4, v10, s1
	s_waitcnt lgkmcnt(0)
	v_cmp_lt_f32_e64 s1, v8, v11
	ds_bpermute_b32 v10, v14, v4
	v_cndmask_b32_e64 v8, v8, v11, s1
	v_cmp_gt_i32_e64 s1, 64, v15
	ds_bpermute_b32 v11, v14, v8
	v_cndmask_b32_e64 v3, v3, v15, s1
	v_lshlrev_b32_e32 v15, 2, v3
	s_waitcnt lgkmcnt(1)
	v_cmp_lt_f32_e64 s1, v4, v10
	v_cndmask_b32_e64 v3, v4, v10, s1
	s_waitcnt lgkmcnt(0)
	v_cmp_lt_f32_e64 s1, v8, v11
	v_cndmask_b32_e64 v4, v8, v11, s1
	ds_bpermute_b32 v8, v15, v3
	ds_bpermute_b32 v10, v15, v4
	s_waitcnt lgkmcnt(1)
	v_cmp_lt_f32_e64 s1, v3, v8
	v_cndmask_b32_e64 v3, v3, v8, s1
	s_waitcnt lgkmcnt(0)
	v_cmp_lt_f32_e64 s1, v4, v10
	v_cndmask_b32_e64 v8, v4, v10, s1
	v_sub_f32_e32 v4, v0, v3
	v_sub_f32_e32 v3, v6, v8
	v_mul_f32_e32 v0, 0x3fb8aa3b, v4
	v_cmp_ngt_f32_e64 s1, 0xc2ce8ed0, v4
	v_mul_f32_e32 v6, 0x3fb8aa3b, v3
	v_fma_f32 v8, 0x3fb8aa3b, v4, -v0
	v_rndne_f32_e32 v10, v0
	v_fma_f32 v11, 0x3fb8aa3b, v3, -v6
	v_rndne_f32_e32 v16, v6
	v_fmac_f32_e32 v8, 0x32a5705f, v4
	v_sub_f32_e32 v0, v0, v10
	v_fmac_f32_e32 v11, 0x32a5705f, v3
	v_sub_f32_e32 v6, v6, v16
	v_add_f32_e32 v0, v0, v8
	v_cvt_i32_f32_e32 v8, v10
	v_cvt_i32_f32_e32 v10, v16
	v_add_f32_e32 v6, v6, v11
	v_exp_f32_e32 v0, v0
	v_exp_f32_e32 v6, v6
	v_ldexp_f32 v0, v0, v8
	v_ldexp_f32 v6, v6, v10
	v_cndmask_b32_e64 v0, 0, v0, s1
	v_cmp_ngt_f32_e64 s1, 0xc2ce8ed0, v3
	v_cndmask_b32_e64 v6, 0, v6, s1
	v_cmp_nlt_f32_e64 s1, 0x42b17218, v4
	v_cndmask_b32_e64 v0, 0x7f800000, v0, s1
	v_cmp_nlt_f32_e64 s1, 0x42b17218, v3
	ds_bpermute_b32 v8, v7, v0
	v_cndmask_b32_e64 v6, 0x7f800000, v6, s1
	ds_bpermute_b32 v7, v7, v6
	s_waitcnt lgkmcnt(1)
	v_add_f32_e32 v0, v0, v8
	s_waitcnt lgkmcnt(0)
	v_add_f32_e32 v6, v6, v7
	ds_bpermute_b32 v7, v9, v0
	ds_bpermute_b32 v8, v9, v6
	s_waitcnt lgkmcnt(1)
	v_add_f32_e32 v0, v0, v7
	s_waitcnt lgkmcnt(0)
	v_add_f32_e32 v6, v6, v8
	ds_bpermute_b32 v7, v12, v0
	;; [unrolled: 6-line block ×5, first 2 shown]
	ds_bpermute_b32 v7, v15, v6
	s_and_saveexec_b32 s1, s0
	s_cbranch_execz .LBB82_9
; %bb.5:
	v_add_co_u32 v0, s0, s8, v1
	v_add_co_ci_u32_e64 v1, null, s9, v2, s0
	s_and_saveexec_b32 s2, vcc_lo
	s_cbranch_execz .LBB82_7
; %bb.6:
	s_waitcnt lgkmcnt(1)
	v_add_f32_e32 v2, v8, v9
	v_cmp_gt_f32_e64 s0, 0x800000, v2
	v_cndmask_b32_e64 v8, 0, 32, s0
	v_ldexp_f32 v2, v2, v8
	v_log_f32_e32 v2, v2
	v_mul_f32_e32 v8, 0x3f317217, v2
	v_cmp_gt_f32_e64 s1, 0x7f800000, |v2|
	v_fma_f32 v8, 0x3f317217, v2, -v8
	v_fmamk_f32 v8, v2, 0x3377d1cf, v8
	v_fmac_f32_e32 v8, 0x3f317217, v2
	v_cndmask_b32_e64 v2, v2, v8, s1
	v_cndmask_b32_e64 v8, 0, 0x41b17218, s0
	v_sub_f32_e32 v2, v2, v8
	v_sub_f32_e32 v2, v4, v2
	v_cvt_f16_f32_e32 v2, v2
	global_store_short v[0:1], v2, off
.LBB82_7:
	s_or_b32 exec_lo, exec_lo, s2
	v_cmp_ne_u32_e64 s0, 1, v5
	s_and_b32 s0, s0, vcc_lo
	s_and_b32 exec_lo, exec_lo, s0
	s_cbranch_execz .LBB82_9
; %bb.8:
	s_waitcnt lgkmcnt(0)
	v_add_f32_e32 v2, v6, v7
	s_mov_b32 s15, 0
	s_lshl_b64 s[0:1], s[14:15], 1
	v_cmp_gt_f32_e32 vcc_lo, 0x800000, v2
	v_cndmask_b32_e64 v4, 0, 32, vcc_lo
	v_cndmask_b32_e64 v5, 0, 0x41b17218, vcc_lo
	v_ldexp_f32 v2, v2, v4
	v_log_f32_e32 v2, v2
	v_mul_f32_e32 v4, 0x3f317217, v2
	v_cmp_gt_f32_e64 vcc_lo, 0x7f800000, |v2|
	v_fma_f32 v4, 0x3f317217, v2, -v4
	v_fmamk_f32 v4, v2, 0x3377d1cf, v4
	v_fmac_f32_e32 v4, 0x3f317217, v2
	v_cndmask_b32_e32 v2, v2, v4, vcc_lo
	v_add_co_u32 v0, vcc_lo, v0, s0
	v_add_co_ci_u32_e64 v1, null, s1, v1, vcc_lo
	v_sub_f32_e32 v2, v2, v5
	v_sub_f32_e32 v2, v3, v2
	v_cvt_f16_f32_e32 v2, v2
	global_store_short v[0:1], v2, off
.LBB82_9:
	s_endpgm
	.section	.rodata,"a",@progbits
	.p2align	6, 0x0
	.amdhsa_kernel _ZN12_GLOBAL__N_120softmax_warp_forwardIN3c104HalfES2_fLi6ELb1ELb0ELi64EEEvPT0_PKT_iiiPKbib
		.amdhsa_group_segment_fixed_size 0
		.amdhsa_private_segment_fixed_size 0
		.amdhsa_kernarg_size 304
		.amdhsa_user_sgpr_count 6
		.amdhsa_user_sgpr_private_segment_buffer 1
		.amdhsa_user_sgpr_dispatch_ptr 0
		.amdhsa_user_sgpr_queue_ptr 0
		.amdhsa_user_sgpr_kernarg_segment_ptr 1
		.amdhsa_user_sgpr_dispatch_id 0
		.amdhsa_user_sgpr_flat_scratch_init 0
		.amdhsa_user_sgpr_private_segment_size 0
		.amdhsa_wavefront_size32 1
		.amdhsa_uses_dynamic_stack 0
		.amdhsa_system_sgpr_private_segment_wavefront_offset 0
		.amdhsa_system_sgpr_workgroup_id_x 1
		.amdhsa_system_sgpr_workgroup_id_y 0
		.amdhsa_system_sgpr_workgroup_id_z 0
		.amdhsa_system_sgpr_workgroup_info 0
		.amdhsa_system_vgpr_workitem_id 1
		.amdhsa_next_free_vgpr 17
		.amdhsa_next_free_sgpr 16
		.amdhsa_reserve_vcc 1
		.amdhsa_reserve_flat_scratch 0
		.amdhsa_float_round_mode_32 0
		.amdhsa_float_round_mode_16_64 0
		.amdhsa_float_denorm_mode_32 3
		.amdhsa_float_denorm_mode_16_64 3
		.amdhsa_dx10_clamp 1
		.amdhsa_ieee_mode 1
		.amdhsa_fp16_overflow 0
		.amdhsa_workgroup_processor_mode 1
		.amdhsa_memory_ordered 1
		.amdhsa_forward_progress 1
		.amdhsa_shared_vgpr_count 0
		.amdhsa_exception_fp_ieee_invalid_op 0
		.amdhsa_exception_fp_denorm_src 0
		.amdhsa_exception_fp_ieee_div_zero 0
		.amdhsa_exception_fp_ieee_overflow 0
		.amdhsa_exception_fp_ieee_underflow 0
		.amdhsa_exception_fp_ieee_inexact 0
		.amdhsa_exception_int_div_zero 0
	.end_amdhsa_kernel
	.section	.text._ZN12_GLOBAL__N_120softmax_warp_forwardIN3c104HalfES2_fLi6ELb1ELb0ELi64EEEvPT0_PKT_iiiPKbib,"axG",@progbits,_ZN12_GLOBAL__N_120softmax_warp_forwardIN3c104HalfES2_fLi6ELb1ELb0ELi64EEEvPT0_PKT_iiiPKbib,comdat
.Lfunc_end82:
	.size	_ZN12_GLOBAL__N_120softmax_warp_forwardIN3c104HalfES2_fLi6ELb1ELb0ELi64EEEvPT0_PKT_iiiPKbib, .Lfunc_end82-_ZN12_GLOBAL__N_120softmax_warp_forwardIN3c104HalfES2_fLi6ELb1ELb0ELi64EEEvPT0_PKT_iiiPKbib
                                        ; -- End function
	.set _ZN12_GLOBAL__N_120softmax_warp_forwardIN3c104HalfES2_fLi6ELb1ELb0ELi64EEEvPT0_PKT_iiiPKbib.num_vgpr, 17
	.set _ZN12_GLOBAL__N_120softmax_warp_forwardIN3c104HalfES2_fLi6ELb1ELb0ELi64EEEvPT0_PKT_iiiPKbib.num_agpr, 0
	.set _ZN12_GLOBAL__N_120softmax_warp_forwardIN3c104HalfES2_fLi6ELb1ELb0ELi64EEEvPT0_PKT_iiiPKbib.numbered_sgpr, 16
	.set _ZN12_GLOBAL__N_120softmax_warp_forwardIN3c104HalfES2_fLi6ELb1ELb0ELi64EEEvPT0_PKT_iiiPKbib.num_named_barrier, 0
	.set _ZN12_GLOBAL__N_120softmax_warp_forwardIN3c104HalfES2_fLi6ELb1ELb0ELi64EEEvPT0_PKT_iiiPKbib.private_seg_size, 0
	.set _ZN12_GLOBAL__N_120softmax_warp_forwardIN3c104HalfES2_fLi6ELb1ELb0ELi64EEEvPT0_PKT_iiiPKbib.uses_vcc, 1
	.set _ZN12_GLOBAL__N_120softmax_warp_forwardIN3c104HalfES2_fLi6ELb1ELb0ELi64EEEvPT0_PKT_iiiPKbib.uses_flat_scratch, 0
	.set _ZN12_GLOBAL__N_120softmax_warp_forwardIN3c104HalfES2_fLi6ELb1ELb0ELi64EEEvPT0_PKT_iiiPKbib.has_dyn_sized_stack, 0
	.set _ZN12_GLOBAL__N_120softmax_warp_forwardIN3c104HalfES2_fLi6ELb1ELb0ELi64EEEvPT0_PKT_iiiPKbib.has_recursion, 0
	.set _ZN12_GLOBAL__N_120softmax_warp_forwardIN3c104HalfES2_fLi6ELb1ELb0ELi64EEEvPT0_PKT_iiiPKbib.has_indirect_call, 0
	.section	.AMDGPU.csdata,"",@progbits
; Kernel info:
; codeLenInByte = 1416
; TotalNumSgprs: 18
; NumVgprs: 17
; ScratchSize: 0
; MemoryBound: 0
; FloatMode: 240
; IeeeMode: 1
; LDSByteSize: 0 bytes/workgroup (compile time only)
; SGPRBlocks: 0
; VGPRBlocks: 2
; NumSGPRsForWavesPerEU: 18
; NumVGPRsForWavesPerEU: 17
; Occupancy: 16
; WaveLimiterHint : 0
; COMPUTE_PGM_RSRC2:SCRATCH_EN: 0
; COMPUTE_PGM_RSRC2:USER_SGPR: 6
; COMPUTE_PGM_RSRC2:TRAP_HANDLER: 0
; COMPUTE_PGM_RSRC2:TGID_X_EN: 1
; COMPUTE_PGM_RSRC2:TGID_Y_EN: 0
; COMPUTE_PGM_RSRC2:TGID_Z_EN: 0
; COMPUTE_PGM_RSRC2:TIDIG_COMP_CNT: 1
	.section	.text._ZN12_GLOBAL__N_120softmax_warp_forwardIN3c104HalfES2_fLi6ELb1ELb0ELi32EEEvPT0_PKT_iiiPKbib,"axG",@progbits,_ZN12_GLOBAL__N_120softmax_warp_forwardIN3c104HalfES2_fLi6ELb1ELb0ELi32EEEvPT0_PKT_iiiPKbib,comdat
	.globl	_ZN12_GLOBAL__N_120softmax_warp_forwardIN3c104HalfES2_fLi6ELb1ELb0ELi32EEEvPT0_PKT_iiiPKbib ; -- Begin function _ZN12_GLOBAL__N_120softmax_warp_forwardIN3c104HalfES2_fLi6ELb1ELb0ELi32EEEvPT0_PKT_iiiPKbib
	.p2align	8
	.type	_ZN12_GLOBAL__N_120softmax_warp_forwardIN3c104HalfES2_fLi6ELb1ELb0ELi32EEEvPT0_PKT_iiiPKbib,@function
_ZN12_GLOBAL__N_120softmax_warp_forwardIN3c104HalfES2_fLi6ELb1ELb0ELi32EEEvPT0_PKT_iiiPKbib: ; @_ZN12_GLOBAL__N_120softmax_warp_forwardIN3c104HalfES2_fLi6ELb1ELb0ELi32EEEvPT0_PKT_iiiPKbib
; %bb.0:
	s_clause 0x1
	s_load_dword s0, s[4:5], 0x3c
	s_load_dwordx8 s[8:15], s[4:5], 0x0
	v_mov_b32_e32 v6, 0xff800000
	v_mov_b32_e32 v7, 0xff800000
	s_waitcnt lgkmcnt(0)
	s_lshr_b32 s0, s0, 16
	s_and_b32 s0, s0, 0xffff
	s_mul_i32 s6, s6, s0
	v_cmp_gt_i32_e64 s0, s14, v0
	v_add_lshl_u32 v3, s6, v1, 1
	v_mad_u64_u32 v[1:2], null, v3, s13, v[0:1]
	v_sub_nc_u32_e32 v5, s12, v3
	v_cmp_lt_i32_e64 s1, 0, v5
	v_ashrrev_i32_e32 v2, 31, v1
	s_and_b32 s3, s1, s0
	v_lshlrev_b64 v[1:2], 1, v[1:2]
	v_add_co_u32 v3, vcc_lo, s10, v1
	v_add_co_ci_u32_e64 v4, null, s11, v2, vcc_lo
	s_and_saveexec_b32 s2, s3
	s_cbranch_execz .LBB83_2
; %bb.1:
	global_load_ushort v7, v[3:4], off
	s_waitcnt vmcnt(0)
	v_cvt_f32_f16_e32 v7, v7
.LBB83_2:
	s_or_b32 exec_lo, exec_lo, s2
	v_add_nc_u32_e32 v0, 32, v0
	v_cmp_gt_i32_e32 vcc_lo, s14, v0
	s_and_b32 s3, s1, vcc_lo
	s_and_saveexec_b32 s2, s3
	s_cbranch_execz .LBB83_4
; %bb.3:
	global_load_ushort v0, v[3:4], off offset:64
	s_waitcnt vmcnt(0)
	v_cvt_f32_f16_e32 v6, v0
.LBB83_4:
	s_or_b32 exec_lo, exec_lo, s2
	v_cmp_lt_i32_e64 s2, 1, v5
	v_mov_b32_e32 v0, 0xff800000
	v_mov_b32_e32 v8, 0xff800000
	s_and_b32 s3, s2, s0
	s_and_saveexec_b32 s4, s3
	s_cbranch_execz .LBB83_6
; %bb.5:
	s_mov_b32 s15, 0
	s_lshl_b64 s[6:7], s[14:15], 1
	v_add_co_u32 v8, s3, v3, s6
	v_add_co_ci_u32_e64 v9, null, s7, v4, s3
	global_load_ushort v8, v[8:9], off
	s_waitcnt vmcnt(0)
	v_cvt_f32_f16_e32 v8, v8
.LBB83_6:
	s_or_b32 exec_lo, exec_lo, s4
	s_and_b32 s2, s2, vcc_lo
	s_and_saveexec_b32 s3, s2
	s_cbranch_execz .LBB83_8
; %bb.7:
	s_mov_b32 s15, 0
	s_lshl_b64 s[4:5], s[14:15], 1
	v_add_co_u32 v3, s2, v3, s4
	v_add_co_ci_u32_e64 v4, null, s5, v4, s2
	global_load_ushort v0, v[3:4], off offset:64
	s_waitcnt vmcnt(0)
	v_cvt_f32_f16_e32 v0, v0
.LBB83_8:
	s_or_b32 exec_lo, exec_lo, s3
	v_mbcnt_lo_u32_b32 v3, -1, 0
	v_xor_b32_e32 v4, 16, v3
	v_xor_b32_e32 v13, 8, v3
	;; [unrolled: 1-line block ×5, first 2 shown]
	v_cmp_gt_i32_e64 s2, 32, v4
	v_cndmask_b32_e64 v4, v3, v4, s2
	v_cmp_gt_f32_e64 s2, v7, v6
	v_lshlrev_b32_e32 v10, 2, v4
	v_cndmask_b32_e64 v9, v6, v7, s2
	v_cmp_gt_f32_e64 s2, v8, v0
	ds_bpermute_b32 v11, v10, v9
	v_cndmask_b32_e64 v4, v0, v8, s2
	v_cmp_gt_i32_e64 s2, 32, v13
	ds_bpermute_b32 v12, v10, v4
	v_cndmask_b32_e64 v13, v3, v13, s2
	v_lshlrev_b32_e32 v13, 2, v13
	s_waitcnt lgkmcnt(1)
	v_cmp_lt_f32_e64 s2, v9, v11
	v_cndmask_b32_e64 v9, v9, v11, s2
	s_waitcnt lgkmcnt(0)
	v_cmp_lt_f32_e64 s2, v4, v12
	ds_bpermute_b32 v11, v13, v9
	v_cndmask_b32_e64 v4, v4, v12, s2
	v_cmp_gt_i32_e64 s2, 32, v14
	ds_bpermute_b32 v12, v13, v4
	v_cndmask_b32_e64 v14, v3, v14, s2
	v_lshlrev_b32_e32 v14, 2, v14
	s_waitcnt lgkmcnt(1)
	v_cmp_lt_f32_e64 s2, v9, v11
	v_cndmask_b32_e64 v9, v9, v11, s2
	s_waitcnt lgkmcnt(0)
	v_cmp_lt_f32_e64 s2, v4, v12
	;; [unrolled: 11-line block ×4, first 2 shown]
	ds_bpermute_b32 v9, v16, v3
	v_cndmask_b32_e64 v4, v4, v12, s2
	ds_bpermute_b32 v11, v16, v4
	s_waitcnt lgkmcnt(1)
	v_cmp_lt_f32_e64 s2, v3, v9
	v_cndmask_b32_e64 v3, v3, v9, s2
	s_waitcnt lgkmcnt(0)
	v_cmp_lt_f32_e64 s2, v4, v11
	v_sub_f32_e32 v7, v7, v3
	v_cndmask_b32_e64 v9, v4, v11, s2
	v_sub_f32_e32 v6, v6, v3
	v_cmp_ngt_f32_e64 s2, 0xc2ce8ed0, v7
	v_sub_f32_e32 v3, v0, v9
	v_mul_f32_e32 v0, 0x3fb8aa3b, v7
	v_sub_f32_e32 v4, v8, v9
	v_mul_f32_e32 v8, 0x3fb8aa3b, v6
	v_mul_f32_e32 v11, 0x3fb8aa3b, v3
	v_fma_f32 v12, 0x3fb8aa3b, v7, -v0
	v_rndne_f32_e32 v17, v0
	v_mul_f32_e32 v9, 0x3fb8aa3b, v4
	v_fma_f32 v18, 0x3fb8aa3b, v6, -v8
	v_rndne_f32_e32 v19, v8
	v_fmac_f32_e32 v12, 0x32a5705f, v7
	v_sub_f32_e32 v0, v0, v17
	v_fma_f32 v20, 0x3fb8aa3b, v4, -v9
	v_rndne_f32_e32 v21, v9
	v_fmac_f32_e32 v18, 0x32a5705f, v6
	v_sub_f32_e32 v8, v8, v19
	v_add_f32_e32 v0, v0, v12
	v_fma_f32 v22, 0x3fb8aa3b, v3, -v11
	v_rndne_f32_e32 v23, v11
	v_fmac_f32_e32 v20, 0x32a5705f, v4
	v_sub_f32_e32 v9, v9, v21
	v_add_f32_e32 v8, v8, v18
	v_exp_f32_e32 v0, v0
	v_fmac_f32_e32 v22, 0x32a5705f, v3
	v_sub_f32_e32 v11, v11, v23
	v_add_f32_e32 v9, v9, v20
	v_exp_f32_e32 v8, v8
	v_cvt_i32_f32_e32 v12, v17
	v_cvt_i32_f32_e32 v17, v19
	v_add_f32_e32 v11, v11, v22
	v_exp_f32_e32 v9, v9
	v_cvt_i32_f32_e32 v18, v21
	v_ldexp_f32 v0, v0, v12
	v_cvt_i32_f32_e32 v19, v23
	v_exp_f32_e32 v11, v11
	v_ldexp_f32 v8, v8, v17
	v_cndmask_b32_e64 v0, 0, v0, s2
	v_cmp_ngt_f32_e64 s2, 0xc2ce8ed0, v6
	v_ldexp_f32 v9, v9, v18
	v_cndmask_b32_e64 v8, 0, v8, s2
	v_cmp_ngt_f32_e64 s2, 0xc2ce8ed0, v4
	;; [unrolled: 3-line block ×3, first 2 shown]
	v_cndmask_b32_e64 v11, 0, v11, s2
	v_cmp_nlt_f32_e64 s2, 0x42b17218, v7
	v_cndmask_b32_e64 v0, 0x7f800000, v0, s2
	v_cmp_nlt_f32_e64 s2, 0x42b17218, v6
	;; [unrolled: 2-line block ×3, first 2 shown]
	v_add_f32_e32 v0, v0, v8
	v_cndmask_b32_e64 v9, 0x7f800000, v9, s2
	v_cmp_nlt_f32_e64 s2, 0x42b17218, v3
	v_cndmask_b32_e64 v11, 0x7f800000, v11, s2
	v_add_f32_e32 v8, v9, v11
	ds_bpermute_b32 v9, v10, v0
	ds_bpermute_b32 v10, v10, v8
	s_waitcnt lgkmcnt(1)
	v_add_f32_e32 v0, v0, v9
	s_waitcnt lgkmcnt(0)
	v_add_f32_e32 v8, v8, v10
	ds_bpermute_b32 v9, v13, v0
	ds_bpermute_b32 v10, v13, v8
	s_waitcnt lgkmcnt(1)
	v_add_f32_e32 v0, v0, v9
	s_waitcnt lgkmcnt(0)
	;; [unrolled: 6-line block ×4, first 2 shown]
	v_add_f32_e32 v8, v8, v11
	ds_bpermute_b32 v11, v16, v10
	ds_bpermute_b32 v9, v16, v8
	s_and_saveexec_b32 s2, s1
	s_cbranch_execz .LBB83_16
; %bb.9:
	v_add_co_u32 v0, s1, s8, v1
	v_add_co_ci_u32_e64 v1, null, s9, v2, s1
	s_and_saveexec_b32 s3, s0
	s_cbranch_execz .LBB83_12
; %bb.10:
	s_waitcnt lgkmcnt(1)
	v_add_f32_e32 v2, v10, v11
	v_cmp_gt_f32_e64 s1, 0x800000, v2
	v_cndmask_b32_e64 v10, 0, 32, s1
	v_ldexp_f32 v2, v2, v10
	v_log_f32_e32 v2, v2
	v_mul_f32_e32 v10, 0x3f317217, v2
	v_cmp_gt_f32_e64 s2, 0x7f800000, |v2|
	v_fma_f32 v10, 0x3f317217, v2, -v10
	v_fmamk_f32 v10, v2, 0x3377d1cf, v10
	v_fmac_f32_e32 v10, 0x3f317217, v2
	v_cndmask_b32_e64 v2, v2, v10, s2
	v_cndmask_b32_e64 v10, 0, 0x41b17218, s1
	v_sub_f32_e32 v2, v2, v10
	v_sub_f32_e32 v7, v7, v2
	v_cvt_f16_f32_e32 v7, v7
	global_store_short v[0:1], v7, off
	s_and_b32 exec_lo, exec_lo, vcc_lo
	s_cbranch_execz .LBB83_12
; %bb.11:
	v_sub_f32_e32 v2, v6, v2
	v_cvt_f16_f32_e32 v2, v2
	global_store_short v[0:1], v2, off offset:64
.LBB83_12:
	s_or_b32 exec_lo, exec_lo, s3
	v_cmp_ne_u32_e64 s1, 1, v5
	s_and_b32 exec_lo, exec_lo, s1
	s_cbranch_execz .LBB83_16
; %bb.13:
	s_and_b32 exec_lo, exec_lo, s0
	s_cbranch_execz .LBB83_16
; %bb.14:
	s_waitcnt lgkmcnt(0)
	v_add_f32_e32 v2, v8, v9
	s_mov_b32 s15, 0
	v_cmp_gt_f32_e64 s0, 0x800000, v2
	v_cndmask_b32_e64 v5, 0, 32, s0
	v_cndmask_b32_e64 v6, 0, 0x41b17218, s0
	v_ldexp_f32 v2, v2, v5
	v_log_f32_e32 v2, v2
	v_mul_f32_e32 v5, 0x3f317217, v2
	v_cmp_gt_f32_e64 s0, 0x7f800000, |v2|
	v_fma_f32 v5, 0x3f317217, v2, -v5
	v_fmamk_f32 v5, v2, 0x3377d1cf, v5
	v_fmac_f32_e32 v5, 0x3f317217, v2
	v_cndmask_b32_e64 v2, v2, v5, s0
	s_lshl_b64 s[0:1], s[14:15], 1
	v_add_co_u32 v0, s0, v0, s0
	v_sub_f32_e32 v2, v2, v6
	v_add_co_ci_u32_e64 v1, null, s1, v1, s0
	v_sub_f32_e32 v4, v4, v2
	v_cvt_f16_f32_e32 v4, v4
	global_store_short v[0:1], v4, off
	s_and_b32 exec_lo, exec_lo, vcc_lo
	s_cbranch_execz .LBB83_16
; %bb.15:
	v_sub_f32_e32 v2, v3, v2
	v_cvt_f16_f32_e32 v2, v2
	global_store_short v[0:1], v2, off offset:64
.LBB83_16:
	s_endpgm
	.section	.rodata,"a",@progbits
	.p2align	6, 0x0
	.amdhsa_kernel _ZN12_GLOBAL__N_120softmax_warp_forwardIN3c104HalfES2_fLi6ELb1ELb0ELi32EEEvPT0_PKT_iiiPKbib
		.amdhsa_group_segment_fixed_size 0
		.amdhsa_private_segment_fixed_size 0
		.amdhsa_kernarg_size 304
		.amdhsa_user_sgpr_count 6
		.amdhsa_user_sgpr_private_segment_buffer 1
		.amdhsa_user_sgpr_dispatch_ptr 0
		.amdhsa_user_sgpr_queue_ptr 0
		.amdhsa_user_sgpr_kernarg_segment_ptr 1
		.amdhsa_user_sgpr_dispatch_id 0
		.amdhsa_user_sgpr_flat_scratch_init 0
		.amdhsa_user_sgpr_private_segment_size 0
		.amdhsa_wavefront_size32 1
		.amdhsa_uses_dynamic_stack 0
		.amdhsa_system_sgpr_private_segment_wavefront_offset 0
		.amdhsa_system_sgpr_workgroup_id_x 1
		.amdhsa_system_sgpr_workgroup_id_y 0
		.amdhsa_system_sgpr_workgroup_id_z 0
		.amdhsa_system_sgpr_workgroup_info 0
		.amdhsa_system_vgpr_workitem_id 1
		.amdhsa_next_free_vgpr 24
		.amdhsa_next_free_sgpr 16
		.amdhsa_reserve_vcc 1
		.amdhsa_reserve_flat_scratch 0
		.amdhsa_float_round_mode_32 0
		.amdhsa_float_round_mode_16_64 0
		.amdhsa_float_denorm_mode_32 3
		.amdhsa_float_denorm_mode_16_64 3
		.amdhsa_dx10_clamp 1
		.amdhsa_ieee_mode 1
		.amdhsa_fp16_overflow 0
		.amdhsa_workgroup_processor_mode 1
		.amdhsa_memory_ordered 1
		.amdhsa_forward_progress 1
		.amdhsa_shared_vgpr_count 0
		.amdhsa_exception_fp_ieee_invalid_op 0
		.amdhsa_exception_fp_denorm_src 0
		.amdhsa_exception_fp_ieee_div_zero 0
		.amdhsa_exception_fp_ieee_overflow 0
		.amdhsa_exception_fp_ieee_underflow 0
		.amdhsa_exception_fp_ieee_inexact 0
		.amdhsa_exception_int_div_zero 0
	.end_amdhsa_kernel
	.section	.text._ZN12_GLOBAL__N_120softmax_warp_forwardIN3c104HalfES2_fLi6ELb1ELb0ELi32EEEvPT0_PKT_iiiPKbib,"axG",@progbits,_ZN12_GLOBAL__N_120softmax_warp_forwardIN3c104HalfES2_fLi6ELb1ELb0ELi32EEEvPT0_PKT_iiiPKbib,comdat
.Lfunc_end83:
	.size	_ZN12_GLOBAL__N_120softmax_warp_forwardIN3c104HalfES2_fLi6ELb1ELb0ELi32EEEvPT0_PKT_iiiPKbib, .Lfunc_end83-_ZN12_GLOBAL__N_120softmax_warp_forwardIN3c104HalfES2_fLi6ELb1ELb0ELi32EEEvPT0_PKT_iiiPKbib
                                        ; -- End function
	.set _ZN12_GLOBAL__N_120softmax_warp_forwardIN3c104HalfES2_fLi6ELb1ELb0ELi32EEEvPT0_PKT_iiiPKbib.num_vgpr, 24
	.set _ZN12_GLOBAL__N_120softmax_warp_forwardIN3c104HalfES2_fLi6ELb1ELb0ELi32EEEvPT0_PKT_iiiPKbib.num_agpr, 0
	.set _ZN12_GLOBAL__N_120softmax_warp_forwardIN3c104HalfES2_fLi6ELb1ELb0ELi32EEEvPT0_PKT_iiiPKbib.numbered_sgpr, 16
	.set _ZN12_GLOBAL__N_120softmax_warp_forwardIN3c104HalfES2_fLi6ELb1ELb0ELi32EEEvPT0_PKT_iiiPKbib.num_named_barrier, 0
	.set _ZN12_GLOBAL__N_120softmax_warp_forwardIN3c104HalfES2_fLi6ELb1ELb0ELi32EEEvPT0_PKT_iiiPKbib.private_seg_size, 0
	.set _ZN12_GLOBAL__N_120softmax_warp_forwardIN3c104HalfES2_fLi6ELb1ELb0ELi32EEEvPT0_PKT_iiiPKbib.uses_vcc, 1
	.set _ZN12_GLOBAL__N_120softmax_warp_forwardIN3c104HalfES2_fLi6ELb1ELb0ELi32EEEvPT0_PKT_iiiPKbib.uses_flat_scratch, 0
	.set _ZN12_GLOBAL__N_120softmax_warp_forwardIN3c104HalfES2_fLi6ELb1ELb0ELi32EEEvPT0_PKT_iiiPKbib.has_dyn_sized_stack, 0
	.set _ZN12_GLOBAL__N_120softmax_warp_forwardIN3c104HalfES2_fLi6ELb1ELb0ELi32EEEvPT0_PKT_iiiPKbib.has_recursion, 0
	.set _ZN12_GLOBAL__N_120softmax_warp_forwardIN3c104HalfES2_fLi6ELb1ELb0ELi32EEEvPT0_PKT_iiiPKbib.has_indirect_call, 0
	.section	.AMDGPU.csdata,"",@progbits
; Kernel info:
; codeLenInByte = 1728
; TotalNumSgprs: 18
; NumVgprs: 24
; ScratchSize: 0
; MemoryBound: 0
; FloatMode: 240
; IeeeMode: 1
; LDSByteSize: 0 bytes/workgroup (compile time only)
; SGPRBlocks: 0
; VGPRBlocks: 2
; NumSGPRsForWavesPerEU: 18
; NumVGPRsForWavesPerEU: 24
; Occupancy: 16
; WaveLimiterHint : 0
; COMPUTE_PGM_RSRC2:SCRATCH_EN: 0
; COMPUTE_PGM_RSRC2:USER_SGPR: 6
; COMPUTE_PGM_RSRC2:TRAP_HANDLER: 0
; COMPUTE_PGM_RSRC2:TGID_X_EN: 1
; COMPUTE_PGM_RSRC2:TGID_Y_EN: 0
; COMPUTE_PGM_RSRC2:TGID_Z_EN: 0
; COMPUTE_PGM_RSRC2:TIDIG_COMP_CNT: 1
	.section	.text._ZN12_GLOBAL__N_120softmax_warp_forwardIN3c104HalfES2_fLi7ELb1ELb0ELi64EEEvPT0_PKT_iiiPKbib,"axG",@progbits,_ZN12_GLOBAL__N_120softmax_warp_forwardIN3c104HalfES2_fLi7ELb1ELb0ELi64EEEvPT0_PKT_iiiPKbib,comdat
	.globl	_ZN12_GLOBAL__N_120softmax_warp_forwardIN3c104HalfES2_fLi7ELb1ELb0ELi64EEEvPT0_PKT_iiiPKbib ; -- Begin function _ZN12_GLOBAL__N_120softmax_warp_forwardIN3c104HalfES2_fLi7ELb1ELb0ELi64EEEvPT0_PKT_iiiPKbib
	.p2align	8
	.type	_ZN12_GLOBAL__N_120softmax_warp_forwardIN3c104HalfES2_fLi7ELb1ELb0ELi64EEEvPT0_PKT_iiiPKbib,@function
_ZN12_GLOBAL__N_120softmax_warp_forwardIN3c104HalfES2_fLi7ELb1ELb0ELi64EEEvPT0_PKT_iiiPKbib: ; @_ZN12_GLOBAL__N_120softmax_warp_forwardIN3c104HalfES2_fLi7ELb1ELb0ELi64EEEvPT0_PKT_iiiPKbib
; %bb.0:
	s_clause 0x1
	s_load_dword s0, s[4:5], 0x3c
	s_load_dwordx8 s[8:15], s[4:5], 0x0
	v_mov_b32_e32 v6, 0xff800000
	v_mov_b32_e32 v7, 0xff800000
	s_waitcnt lgkmcnt(0)
	s_lshr_b32 s0, s0, 16
	s_and_b32 s0, s0, 0xffff
	s_mul_i32 s6, s6, s0
	v_cmp_gt_i32_e64 s0, s14, v0
	v_add_lshl_u32 v3, s6, v1, 1
	v_mad_u64_u32 v[1:2], null, v3, s13, v[0:1]
	v_sub_nc_u32_e32 v5, s12, v3
	v_cmp_lt_i32_e64 s1, 0, v5
	v_ashrrev_i32_e32 v2, 31, v1
	s_and_b32 s3, s1, s0
	v_lshlrev_b64 v[1:2], 1, v[1:2]
	v_add_co_u32 v3, vcc_lo, s10, v1
	v_add_co_ci_u32_e64 v4, null, s11, v2, vcc_lo
	s_and_saveexec_b32 s2, s3
	s_cbranch_execz .LBB84_2
; %bb.1:
	global_load_ushort v7, v[3:4], off
	s_waitcnt vmcnt(0)
	v_cvt_f32_f16_e32 v7, v7
.LBB84_2:
	s_or_b32 exec_lo, exec_lo, s2
	v_add_nc_u32_e32 v0, 64, v0
	v_cmp_gt_i32_e32 vcc_lo, s14, v0
	s_and_b32 s3, s1, vcc_lo
	s_and_saveexec_b32 s2, s3
	s_cbranch_execz .LBB84_4
; %bb.3:
	global_load_ushort v0, v[3:4], off offset:128
	s_waitcnt vmcnt(0)
	v_cvt_f32_f16_e32 v6, v0
.LBB84_4:
	s_or_b32 exec_lo, exec_lo, s2
	v_cmp_lt_i32_e64 s2, 1, v5
	v_mov_b32_e32 v0, 0xff800000
	v_mov_b32_e32 v8, 0xff800000
	s_and_b32 s3, s2, s0
	s_and_saveexec_b32 s4, s3
	s_cbranch_execz .LBB84_6
; %bb.5:
	s_mov_b32 s15, 0
	s_lshl_b64 s[6:7], s[14:15], 1
	v_add_co_u32 v8, s3, v3, s6
	v_add_co_ci_u32_e64 v9, null, s7, v4, s3
	global_load_ushort v8, v[8:9], off
	s_waitcnt vmcnt(0)
	v_cvt_f32_f16_e32 v8, v8
.LBB84_6:
	s_or_b32 exec_lo, exec_lo, s4
	s_and_b32 s2, s2, vcc_lo
	s_and_saveexec_b32 s3, s2
	s_cbranch_execz .LBB84_8
; %bb.7:
	s_mov_b32 s15, 0
	s_lshl_b64 s[4:5], s[14:15], 1
	v_add_co_u32 v3, s2, v3, s4
	v_add_co_ci_u32_e64 v4, null, s5, v4, s2
	global_load_ushort v0, v[3:4], off offset:128
	s_waitcnt vmcnt(0)
	v_cvt_f32_f16_e32 v0, v0
.LBB84_8:
	s_or_b32 exec_lo, exec_lo, s3
	v_mbcnt_lo_u32_b32 v3, -1, 0
	v_or_b32_e32 v4, 32, v3
	v_xor_b32_e32 v13, 16, v3
	v_xor_b32_e32 v14, 8, v3
	;; [unrolled: 1-line block ×4, first 2 shown]
	v_cmp_gt_i32_e64 s2, 64, v4
	v_xor_b32_e32 v17, 1, v3
	v_cndmask_b32_e64 v4, v3, v4, s2
	v_cmp_gt_f32_e64 s2, v7, v6
	v_lshlrev_b32_e32 v10, 2, v4
	v_cndmask_b32_e64 v9, v6, v7, s2
	v_cmp_gt_f32_e64 s2, v8, v0
	ds_bpermute_b32 v11, v10, v9
	v_cndmask_b32_e64 v4, v0, v8, s2
	v_cmp_gt_i32_e64 s2, 64, v13
	ds_bpermute_b32 v12, v10, v4
	v_cndmask_b32_e64 v13, v3, v13, s2
	v_lshlrev_b32_e32 v13, 2, v13
	s_waitcnt lgkmcnt(1)
	v_cmp_lt_f32_e64 s2, v9, v11
	v_cndmask_b32_e64 v9, v9, v11, s2
	s_waitcnt lgkmcnt(0)
	v_cmp_lt_f32_e64 s2, v4, v12
	ds_bpermute_b32 v11, v13, v9
	v_cndmask_b32_e64 v4, v4, v12, s2
	v_cmp_gt_i32_e64 s2, 64, v14
	ds_bpermute_b32 v12, v13, v4
	v_cndmask_b32_e64 v14, v3, v14, s2
	v_lshlrev_b32_e32 v14, 2, v14
	s_waitcnt lgkmcnt(1)
	v_cmp_lt_f32_e64 s2, v9, v11
	v_cndmask_b32_e64 v9, v9, v11, s2
	s_waitcnt lgkmcnt(0)
	v_cmp_lt_f32_e64 s2, v4, v12
	;; [unrolled: 11-line block ×5, first 2 shown]
	ds_bpermute_b32 v9, v17, v3
	v_cndmask_b32_e64 v4, v4, v12, s2
	ds_bpermute_b32 v11, v17, v4
	s_waitcnt lgkmcnt(1)
	v_cmp_lt_f32_e64 s2, v3, v9
	v_cndmask_b32_e64 v3, v3, v9, s2
	s_waitcnt lgkmcnt(0)
	v_cmp_lt_f32_e64 s2, v4, v11
	v_sub_f32_e32 v7, v7, v3
	v_cndmask_b32_e64 v9, v4, v11, s2
	v_sub_f32_e32 v6, v6, v3
	v_cmp_ngt_f32_e64 s2, 0xc2ce8ed0, v7
	v_sub_f32_e32 v3, v0, v9
	v_mul_f32_e32 v0, 0x3fb8aa3b, v7
	v_sub_f32_e32 v4, v8, v9
	v_mul_f32_e32 v8, 0x3fb8aa3b, v6
	v_mul_f32_e32 v11, 0x3fb8aa3b, v3
	v_fma_f32 v12, 0x3fb8aa3b, v7, -v0
	v_rndne_f32_e32 v18, v0
	v_mul_f32_e32 v9, 0x3fb8aa3b, v4
	v_fma_f32 v19, 0x3fb8aa3b, v6, -v8
	v_rndne_f32_e32 v20, v8
	v_fmac_f32_e32 v12, 0x32a5705f, v7
	v_sub_f32_e32 v0, v0, v18
	v_fma_f32 v21, 0x3fb8aa3b, v4, -v9
	v_rndne_f32_e32 v22, v9
	v_fmac_f32_e32 v19, 0x32a5705f, v6
	v_sub_f32_e32 v8, v8, v20
	v_add_f32_e32 v0, v0, v12
	v_fma_f32 v23, 0x3fb8aa3b, v3, -v11
	v_rndne_f32_e32 v24, v11
	v_fmac_f32_e32 v21, 0x32a5705f, v4
	v_sub_f32_e32 v9, v9, v22
	v_add_f32_e32 v8, v8, v19
	v_exp_f32_e32 v0, v0
	v_fmac_f32_e32 v23, 0x32a5705f, v3
	v_sub_f32_e32 v11, v11, v24
	v_add_f32_e32 v9, v9, v21
	v_exp_f32_e32 v8, v8
	v_cvt_i32_f32_e32 v12, v18
	v_cvt_i32_f32_e32 v18, v20
	v_add_f32_e32 v11, v11, v23
	v_exp_f32_e32 v9, v9
	v_cvt_i32_f32_e32 v19, v22
	v_ldexp_f32 v0, v0, v12
	v_cvt_i32_f32_e32 v20, v24
	v_exp_f32_e32 v11, v11
	v_ldexp_f32 v8, v8, v18
	v_cndmask_b32_e64 v0, 0, v0, s2
	v_cmp_ngt_f32_e64 s2, 0xc2ce8ed0, v6
	v_ldexp_f32 v9, v9, v19
	v_cndmask_b32_e64 v8, 0, v8, s2
	v_cmp_ngt_f32_e64 s2, 0xc2ce8ed0, v4
	;; [unrolled: 3-line block ×3, first 2 shown]
	v_cndmask_b32_e64 v11, 0, v11, s2
	v_cmp_nlt_f32_e64 s2, 0x42b17218, v7
	v_cndmask_b32_e64 v0, 0x7f800000, v0, s2
	v_cmp_nlt_f32_e64 s2, 0x42b17218, v6
	;; [unrolled: 2-line block ×3, first 2 shown]
	v_add_f32_e32 v0, v0, v8
	v_cndmask_b32_e64 v9, 0x7f800000, v9, s2
	v_cmp_nlt_f32_e64 s2, 0x42b17218, v3
	v_cndmask_b32_e64 v11, 0x7f800000, v11, s2
	v_add_f32_e32 v8, v9, v11
	ds_bpermute_b32 v9, v10, v0
	ds_bpermute_b32 v10, v10, v8
	s_waitcnt lgkmcnt(1)
	v_add_f32_e32 v0, v0, v9
	s_waitcnt lgkmcnt(0)
	v_add_f32_e32 v8, v8, v10
	ds_bpermute_b32 v9, v13, v0
	ds_bpermute_b32 v10, v13, v8
	s_waitcnt lgkmcnt(1)
	v_add_f32_e32 v0, v0, v9
	s_waitcnt lgkmcnt(0)
	;; [unrolled: 6-line block ×5, first 2 shown]
	v_add_f32_e32 v8, v8, v11
	ds_bpermute_b32 v11, v17, v10
	ds_bpermute_b32 v9, v17, v8
	s_and_saveexec_b32 s2, s1
	s_cbranch_execz .LBB84_16
; %bb.9:
	v_add_co_u32 v0, s1, s8, v1
	v_add_co_ci_u32_e64 v1, null, s9, v2, s1
	s_and_saveexec_b32 s3, s0
	s_cbranch_execz .LBB84_12
; %bb.10:
	s_waitcnt lgkmcnt(1)
	v_add_f32_e32 v2, v10, v11
	v_cmp_gt_f32_e64 s1, 0x800000, v2
	v_cndmask_b32_e64 v10, 0, 32, s1
	v_ldexp_f32 v2, v2, v10
	v_log_f32_e32 v2, v2
	v_mul_f32_e32 v10, 0x3f317217, v2
	v_cmp_gt_f32_e64 s2, 0x7f800000, |v2|
	v_fma_f32 v10, 0x3f317217, v2, -v10
	v_fmamk_f32 v10, v2, 0x3377d1cf, v10
	v_fmac_f32_e32 v10, 0x3f317217, v2
	v_cndmask_b32_e64 v2, v2, v10, s2
	v_cndmask_b32_e64 v10, 0, 0x41b17218, s1
	v_sub_f32_e32 v2, v2, v10
	v_sub_f32_e32 v7, v7, v2
	v_cvt_f16_f32_e32 v7, v7
	global_store_short v[0:1], v7, off
	s_and_b32 exec_lo, exec_lo, vcc_lo
	s_cbranch_execz .LBB84_12
; %bb.11:
	v_sub_f32_e32 v2, v6, v2
	v_cvt_f16_f32_e32 v2, v2
	global_store_short v[0:1], v2, off offset:128
.LBB84_12:
	s_or_b32 exec_lo, exec_lo, s3
	v_cmp_ne_u32_e64 s1, 1, v5
	s_and_b32 exec_lo, exec_lo, s1
	s_cbranch_execz .LBB84_16
; %bb.13:
	s_and_b32 exec_lo, exec_lo, s0
	s_cbranch_execz .LBB84_16
; %bb.14:
	s_waitcnt lgkmcnt(0)
	v_add_f32_e32 v2, v8, v9
	s_mov_b32 s15, 0
	v_cmp_gt_f32_e64 s0, 0x800000, v2
	v_cndmask_b32_e64 v5, 0, 32, s0
	v_cndmask_b32_e64 v6, 0, 0x41b17218, s0
	v_ldexp_f32 v2, v2, v5
	v_log_f32_e32 v2, v2
	v_mul_f32_e32 v5, 0x3f317217, v2
	v_cmp_gt_f32_e64 s0, 0x7f800000, |v2|
	v_fma_f32 v5, 0x3f317217, v2, -v5
	v_fmamk_f32 v5, v2, 0x3377d1cf, v5
	v_fmac_f32_e32 v5, 0x3f317217, v2
	v_cndmask_b32_e64 v2, v2, v5, s0
	s_lshl_b64 s[0:1], s[14:15], 1
	v_add_co_u32 v0, s0, v0, s0
	v_sub_f32_e32 v2, v2, v6
	v_add_co_ci_u32_e64 v1, null, s1, v1, s0
	v_sub_f32_e32 v4, v4, v2
	v_cvt_f16_f32_e32 v4, v4
	global_store_short v[0:1], v4, off
	s_and_b32 exec_lo, exec_lo, vcc_lo
	s_cbranch_execz .LBB84_16
; %bb.15:
	v_sub_f32_e32 v2, v3, v2
	v_cvt_f16_f32_e32 v2, v2
	global_store_short v[0:1], v2, off offset:128
.LBB84_16:
	s_endpgm
	.section	.rodata,"a",@progbits
	.p2align	6, 0x0
	.amdhsa_kernel _ZN12_GLOBAL__N_120softmax_warp_forwardIN3c104HalfES2_fLi7ELb1ELb0ELi64EEEvPT0_PKT_iiiPKbib
		.amdhsa_group_segment_fixed_size 0
		.amdhsa_private_segment_fixed_size 0
		.amdhsa_kernarg_size 304
		.amdhsa_user_sgpr_count 6
		.amdhsa_user_sgpr_private_segment_buffer 1
		.amdhsa_user_sgpr_dispatch_ptr 0
		.amdhsa_user_sgpr_queue_ptr 0
		.amdhsa_user_sgpr_kernarg_segment_ptr 1
		.amdhsa_user_sgpr_dispatch_id 0
		.amdhsa_user_sgpr_flat_scratch_init 0
		.amdhsa_user_sgpr_private_segment_size 0
		.amdhsa_wavefront_size32 1
		.amdhsa_uses_dynamic_stack 0
		.amdhsa_system_sgpr_private_segment_wavefront_offset 0
		.amdhsa_system_sgpr_workgroup_id_x 1
		.amdhsa_system_sgpr_workgroup_id_y 0
		.amdhsa_system_sgpr_workgroup_id_z 0
		.amdhsa_system_sgpr_workgroup_info 0
		.amdhsa_system_vgpr_workitem_id 1
		.amdhsa_next_free_vgpr 25
		.amdhsa_next_free_sgpr 16
		.amdhsa_reserve_vcc 1
		.amdhsa_reserve_flat_scratch 0
		.amdhsa_float_round_mode_32 0
		.amdhsa_float_round_mode_16_64 0
		.amdhsa_float_denorm_mode_32 3
		.amdhsa_float_denorm_mode_16_64 3
		.amdhsa_dx10_clamp 1
		.amdhsa_ieee_mode 1
		.amdhsa_fp16_overflow 0
		.amdhsa_workgroup_processor_mode 1
		.amdhsa_memory_ordered 1
		.amdhsa_forward_progress 1
		.amdhsa_shared_vgpr_count 0
		.amdhsa_exception_fp_ieee_invalid_op 0
		.amdhsa_exception_fp_denorm_src 0
		.amdhsa_exception_fp_ieee_div_zero 0
		.amdhsa_exception_fp_ieee_overflow 0
		.amdhsa_exception_fp_ieee_underflow 0
		.amdhsa_exception_fp_ieee_inexact 0
		.amdhsa_exception_int_div_zero 0
	.end_amdhsa_kernel
	.section	.text._ZN12_GLOBAL__N_120softmax_warp_forwardIN3c104HalfES2_fLi7ELb1ELb0ELi64EEEvPT0_PKT_iiiPKbib,"axG",@progbits,_ZN12_GLOBAL__N_120softmax_warp_forwardIN3c104HalfES2_fLi7ELb1ELb0ELi64EEEvPT0_PKT_iiiPKbib,comdat
.Lfunc_end84:
	.size	_ZN12_GLOBAL__N_120softmax_warp_forwardIN3c104HalfES2_fLi7ELb1ELb0ELi64EEEvPT0_PKT_iiiPKbib, .Lfunc_end84-_ZN12_GLOBAL__N_120softmax_warp_forwardIN3c104HalfES2_fLi7ELb1ELb0ELi64EEEvPT0_PKT_iiiPKbib
                                        ; -- End function
	.set _ZN12_GLOBAL__N_120softmax_warp_forwardIN3c104HalfES2_fLi7ELb1ELb0ELi64EEEvPT0_PKT_iiiPKbib.num_vgpr, 25
	.set _ZN12_GLOBAL__N_120softmax_warp_forwardIN3c104HalfES2_fLi7ELb1ELb0ELi64EEEvPT0_PKT_iiiPKbib.num_agpr, 0
	.set _ZN12_GLOBAL__N_120softmax_warp_forwardIN3c104HalfES2_fLi7ELb1ELb0ELi64EEEvPT0_PKT_iiiPKbib.numbered_sgpr, 16
	.set _ZN12_GLOBAL__N_120softmax_warp_forwardIN3c104HalfES2_fLi7ELb1ELb0ELi64EEEvPT0_PKT_iiiPKbib.num_named_barrier, 0
	.set _ZN12_GLOBAL__N_120softmax_warp_forwardIN3c104HalfES2_fLi7ELb1ELb0ELi64EEEvPT0_PKT_iiiPKbib.private_seg_size, 0
	.set _ZN12_GLOBAL__N_120softmax_warp_forwardIN3c104HalfES2_fLi7ELb1ELb0ELi64EEEvPT0_PKT_iiiPKbib.uses_vcc, 1
	.set _ZN12_GLOBAL__N_120softmax_warp_forwardIN3c104HalfES2_fLi7ELb1ELb0ELi64EEEvPT0_PKT_iiiPKbib.uses_flat_scratch, 0
	.set _ZN12_GLOBAL__N_120softmax_warp_forwardIN3c104HalfES2_fLi7ELb1ELb0ELi64EEEvPT0_PKT_iiiPKbib.has_dyn_sized_stack, 0
	.set _ZN12_GLOBAL__N_120softmax_warp_forwardIN3c104HalfES2_fLi7ELb1ELb0ELi64EEEvPT0_PKT_iiiPKbib.has_recursion, 0
	.set _ZN12_GLOBAL__N_120softmax_warp_forwardIN3c104HalfES2_fLi7ELb1ELb0ELi64EEEvPT0_PKT_iiiPKbib.has_indirect_call, 0
	.section	.AMDGPU.csdata,"",@progbits
; Kernel info:
; codeLenInByte = 1840
; TotalNumSgprs: 18
; NumVgprs: 25
; ScratchSize: 0
; MemoryBound: 0
; FloatMode: 240
; IeeeMode: 1
; LDSByteSize: 0 bytes/workgroup (compile time only)
; SGPRBlocks: 0
; VGPRBlocks: 3
; NumSGPRsForWavesPerEU: 18
; NumVGPRsForWavesPerEU: 25
; Occupancy: 16
; WaveLimiterHint : 0
; COMPUTE_PGM_RSRC2:SCRATCH_EN: 0
; COMPUTE_PGM_RSRC2:USER_SGPR: 6
; COMPUTE_PGM_RSRC2:TRAP_HANDLER: 0
; COMPUTE_PGM_RSRC2:TGID_X_EN: 1
; COMPUTE_PGM_RSRC2:TGID_Y_EN: 0
; COMPUTE_PGM_RSRC2:TGID_Z_EN: 0
; COMPUTE_PGM_RSRC2:TIDIG_COMP_CNT: 1
	.section	.text._ZN12_GLOBAL__N_120softmax_warp_forwardIN3c104HalfES2_fLi7ELb1ELb0ELi32EEEvPT0_PKT_iiiPKbib,"axG",@progbits,_ZN12_GLOBAL__N_120softmax_warp_forwardIN3c104HalfES2_fLi7ELb1ELb0ELi32EEEvPT0_PKT_iiiPKbib,comdat
	.globl	_ZN12_GLOBAL__N_120softmax_warp_forwardIN3c104HalfES2_fLi7ELb1ELb0ELi32EEEvPT0_PKT_iiiPKbib ; -- Begin function _ZN12_GLOBAL__N_120softmax_warp_forwardIN3c104HalfES2_fLi7ELb1ELb0ELi32EEEvPT0_PKT_iiiPKbib
	.p2align	8
	.type	_ZN12_GLOBAL__N_120softmax_warp_forwardIN3c104HalfES2_fLi7ELb1ELb0ELi32EEEvPT0_PKT_iiiPKbib,@function
_ZN12_GLOBAL__N_120softmax_warp_forwardIN3c104HalfES2_fLi7ELb1ELb0ELi32EEEvPT0_PKT_iiiPKbib: ; @_ZN12_GLOBAL__N_120softmax_warp_forwardIN3c104HalfES2_fLi7ELb1ELb0ELi32EEEvPT0_PKT_iiiPKbib
; %bb.0:
	s_clause 0x1
	s_load_dword s0, s[4:5], 0x3c
	s_load_dwordx8 s[8:15], s[4:5], 0x0
	v_mov_b32_e32 v8, 0xff800000
	v_mov_b32_e32 v7, 0xff800000
	s_waitcnt lgkmcnt(0)
	s_lshr_b32 s0, s0, 16
	v_cmp_gt_i32_e64 s1, s14, v0
	s_and_b32 s0, s0, 0xffff
	s_mul_i32 s6, s6, s0
	v_add_lshl_u32 v3, s6, v1, 1
	v_mad_u64_u32 v[1:2], null, v3, s13, v[0:1]
	v_sub_nc_u32_e32 v5, s12, v3
	v_cmp_lt_i32_e64 s3, 0, v5
	v_ashrrev_i32_e32 v2, 31, v1
	s_and_b32 s2, s3, s1
	v_lshlrev_b64 v[1:2], 1, v[1:2]
	v_add_co_u32 v3, vcc_lo, s10, v1
	v_add_co_ci_u32_e64 v4, null, s11, v2, vcc_lo
	s_and_saveexec_b32 s0, s2
	s_cbranch_execz .LBB85_2
; %bb.1:
	global_load_ushort v6, v[3:4], off
	s_waitcnt vmcnt(0)
	v_cvt_f32_f16_e32 v7, v6
.LBB85_2:
	s_or_b32 exec_lo, exec_lo, s0
	v_add_nc_u32_e32 v6, 32, v0
	v_cmp_gt_i32_e32 vcc_lo, s14, v6
	s_and_b32 s2, s3, vcc_lo
	s_and_saveexec_b32 s0, s2
	s_cbranch_execz .LBB85_4
; %bb.3:
	global_load_ushort v6, v[3:4], off offset:64
	s_waitcnt vmcnt(0)
	v_cvt_f32_f16_e32 v8, v6
.LBB85_4:
	s_or_b32 exec_lo, exec_lo, s0
	v_add_nc_u32_e32 v6, 64, v0
	v_mov_b32_e32 v9, 0xff800000
	v_mov_b32_e32 v13, 0xff800000
	v_cmp_gt_i32_e64 s0, s14, v6
	s_and_b32 s4, s3, s0
	s_and_saveexec_b32 s2, s4
	s_cbranch_execz .LBB85_6
; %bb.5:
	global_load_ushort v6, v[3:4], off offset:128
	s_waitcnt vmcnt(0)
	v_cvt_f32_f16_e32 v13, v6
.LBB85_6:
	s_or_b32 exec_lo, exec_lo, s2
	v_add_nc_u32_e32 v0, 0x60, v0
	v_cmp_gt_i32_e64 s2, s14, v0
	s_and_b32 s5, s3, s2
	s_and_saveexec_b32 s4, s5
	s_cbranch_execz .LBB85_8
; %bb.7:
	global_load_ushort v0, v[3:4], off offset:192
	s_waitcnt vmcnt(0)
	v_cvt_f32_f16_e32 v9, v0
.LBB85_8:
	s_or_b32 exec_lo, exec_lo, s4
	v_cmp_lt_i32_e64 s4, 1, v5
	v_mov_b32_e32 v12, 0xff800000
	v_mov_b32_e32 v17, 0xff800000
	s_and_b32 s5, s4, s1
	s_and_saveexec_b32 s6, s5
	s_cbranch_execz .LBB85_10
; %bb.9:
	s_mov_b32 s15, 0
	s_lshl_b64 s[10:11], s[14:15], 1
	v_add_co_u32 v10, s5, v3, s10
	v_add_co_ci_u32_e64 v11, null, s11, v4, s5
	global_load_ushort v0, v[10:11], off
	s_waitcnt vmcnt(0)
	v_cvt_f32_f16_e32 v17, v0
.LBB85_10:
	s_or_b32 exec_lo, exec_lo, s6
	s_and_b32 s5, s4, vcc_lo
	s_and_saveexec_b32 s6, s5
	s_cbranch_execz .LBB85_12
; %bb.11:
	s_mov_b32 s15, 0
	s_lshl_b64 s[10:11], s[14:15], 1
	v_add_co_u32 v10, s5, v3, s10
	v_add_co_ci_u32_e64 v11, null, s11, v4, s5
	global_load_ushort v0, v[10:11], off offset:64
	s_waitcnt vmcnt(0)
	v_cvt_f32_f16_e32 v12, v0
.LBB85_12:
	s_or_b32 exec_lo, exec_lo, s6
	v_mov_b32_e32 v16, 0xff800000
	v_mov_b32_e32 v18, 0xff800000
	s_and_b32 s5, s4, s0
	s_and_saveexec_b32 s6, s5
	s_cbranch_execz .LBB85_14
; %bb.13:
	s_mov_b32 s15, 0
	s_lshl_b64 s[10:11], s[14:15], 1
	v_add_co_u32 v10, s5, v3, s10
	v_add_co_ci_u32_e64 v11, null, s11, v4, s5
	global_load_ushort v0, v[10:11], off offset:128
	s_waitcnt vmcnt(0)
	v_cvt_f32_f16_e32 v18, v0
.LBB85_14:
	s_or_b32 exec_lo, exec_lo, s6
	s_and_b32 s4, s4, s2
	s_and_saveexec_b32 s5, s4
	s_cbranch_execz .LBB85_16
; %bb.15:
	s_mov_b32 s15, 0
	s_lshl_b64 s[6:7], s[14:15], 1
	v_add_co_u32 v3, s4, v3, s6
	v_add_co_ci_u32_e64 v4, null, s7, v4, s4
	global_load_ushort v0, v[3:4], off offset:192
	s_waitcnt vmcnt(0)
	v_cvt_f32_f16_e32 v16, v0
.LBB85_16:
	s_or_b32 exec_lo, exec_lo, s5
	v_cmp_gt_f32_e64 s4, v7, v8
	v_mbcnt_lo_u32_b32 v4, -1, 0
	v_cndmask_b32_e64 v0, v8, v7, s4
	v_cmp_gt_f32_e64 s4, v17, v12
	v_xor_b32_e32 v3, 16, v4
	v_cndmask_b32_e64 v6, v12, v17, s4
	v_cmp_gt_f32_e64 s4, v0, v13
	v_cndmask_b32_e64 v0, v13, v0, s4
	v_cmp_gt_i32_e64 s4, 32, v3
	v_cndmask_b32_e64 v3, v4, v3, s4
	v_cmp_gt_f32_e64 s4, v6, v18
	v_cndmask_b32_e64 v6, v18, v6, s4
	v_cmp_gt_f32_e64 s4, v0, v9
	v_cndmask_b32_e64 v10, v9, v0, s4
	v_lshlrev_b32_e32 v0, 2, v3
	v_cmp_gt_f32_e64 s4, v6, v16
	v_xor_b32_e32 v3, 8, v4
	ds_bpermute_b32 v11, v0, v10
	v_cndmask_b32_e64 v6, v16, v6, s4
	v_cmp_gt_i32_e64 s4, 32, v3
	ds_bpermute_b32 v14, v0, v6
	v_cndmask_b32_e64 v3, v4, v3, s4
	v_lshlrev_b32_e32 v3, 2, v3
	s_waitcnt lgkmcnt(1)
	v_cmp_lt_f32_e64 s4, v10, v11
	v_cndmask_b32_e64 v10, v10, v11, s4
	s_waitcnt lgkmcnt(0)
	v_cmp_lt_f32_e64 s4, v6, v14
	v_cndmask_b32_e64 v11, v6, v14, s4
	ds_bpermute_b32 v14, v3, v10
	v_xor_b32_e32 v6, 4, v4
	ds_bpermute_b32 v15, v3, v11
	v_cmp_gt_i32_e64 s4, 32, v6
	v_cndmask_b32_e64 v6, v4, v6, s4
	v_lshlrev_b32_e32 v6, 2, v6
	s_waitcnt lgkmcnt(1)
	v_cmp_lt_f32_e64 s4, v10, v14
	v_cndmask_b32_e64 v10, v10, v14, s4
	s_waitcnt lgkmcnt(0)
	v_cmp_lt_f32_e64 s4, v11, v15
	v_cndmask_b32_e64 v14, v11, v15, s4
	ds_bpermute_b32 v15, v6, v10
	v_xor_b32_e32 v11, 2, v4
	ds_bpermute_b32 v19, v6, v14
	v_cmp_gt_i32_e64 s4, 32, v11
	v_cndmask_b32_e64 v11, v4, v11, s4
	v_lshlrev_b32_e32 v11, 2, v11
	s_waitcnt lgkmcnt(1)
	v_cmp_lt_f32_e64 s4, v10, v15
	v_cndmask_b32_e64 v10, v10, v15, s4
	s_waitcnt lgkmcnt(0)
	v_cmp_lt_f32_e64 s4, v14, v19
	v_cndmask_b32_e64 v15, v14, v19, s4
	ds_bpermute_b32 v19, v11, v10
	v_xor_b32_e32 v14, 1, v4
	ds_bpermute_b32 v20, v11, v15
	v_cmp_gt_i32_e64 s4, 32, v14
	v_cndmask_b32_e64 v4, v4, v14, s4
	v_lshlrev_b32_e32 v14, 2, v4
	s_waitcnt lgkmcnt(1)
	v_cmp_lt_f32_e64 s4, v10, v19
	v_cndmask_b32_e64 v4, v10, v19, s4
	s_waitcnt lgkmcnt(0)
	v_cmp_lt_f32_e64 s4, v15, v20
	v_cndmask_b32_e64 v10, v15, v20, s4
	ds_bpermute_b32 v15, v14, v4
	ds_bpermute_b32 v19, v14, v10
	s_waitcnt lgkmcnt(1)
	v_cmp_lt_f32_e64 s4, v4, v15
	v_cndmask_b32_e64 v4, v4, v15, s4
	s_waitcnt lgkmcnt(0)
	v_cmp_lt_f32_e64 s4, v10, v19
	v_sub_f32_e32 v7, v7, v4
	v_cndmask_b32_e64 v19, v10, v19, s4
	v_sub_f32_e32 v10, v8, v4
	v_sub_f32_e32 v13, v13, v4
	v_sub_f32_e32 v15, v9, v4
	v_cmp_ngt_f32_e64 s4, 0xc2ce8ed0, v7
	v_sub_f32_e32 v4, v12, v19
	v_sub_f32_e32 v12, v16, v19
	v_mul_f32_e32 v16, 0x3fb8aa3b, v7
	v_sub_f32_e32 v8, v17, v19
	v_mul_f32_e32 v17, 0x3fb8aa3b, v10
	;; [unrolled: 2-line block ×3, first 2 shown]
	v_fma_f32 v24, 0x3fb8aa3b, v7, -v16
	v_rndne_f32_e32 v25, v16
	v_fma_f32 v26, 0x3fb8aa3b, v10, -v17
	v_rndne_f32_e32 v27, v17
	v_mul_f32_e32 v19, 0x3fb8aa3b, v15
	v_fmac_f32_e32 v24, 0x32a5705f, v7
	v_sub_f32_e32 v16, v16, v25
	v_fma_f32 v28, 0x3fb8aa3b, v13, -v18
	v_rndne_f32_e32 v29, v18
	v_fmac_f32_e32 v26, 0x32a5705f, v10
	v_sub_f32_e32 v17, v17, v27
	v_add_f32_e32 v16, v16, v24
	v_mul_f32_e32 v20, 0x3fb8aa3b, v8
	v_fma_f32 v30, 0x3fb8aa3b, v15, -v19
	v_rndne_f32_e32 v31, v19
	v_fmac_f32_e32 v28, 0x32a5705f, v13
	v_sub_f32_e32 v18, v18, v29
	v_add_f32_e32 v17, v17, v26
	v_exp_f32_e32 v16, v16
	v_mul_f32_e32 v21, 0x3fb8aa3b, v4
	v_fma_f32 v32, 0x3fb8aa3b, v8, -v20
	v_rndne_f32_e32 v33, v20
	v_cvt_i32_f32_e32 v25, v25
	v_fmac_f32_e32 v30, 0x32a5705f, v15
	v_sub_f32_e32 v19, v19, v31
	v_add_f32_e32 v18, v18, v28
	v_exp_f32_e32 v17, v17
	v_mul_f32_e32 v22, 0x3fb8aa3b, v9
	v_fma_f32 v34, 0x3fb8aa3b, v4, -v21
	v_rndne_f32_e32 v35, v21
	v_cvt_i32_f32_e32 v27, v27
	v_fmac_f32_e32 v32, 0x32a5705f, v8
	v_sub_f32_e32 v20, v20, v33
	v_add_f32_e32 v19, v19, v30
	v_exp_f32_e32 v18, v18
	v_ldexp_f32 v16, v16, v25
	v_mul_f32_e32 v23, 0x3fb8aa3b, v12
	v_fma_f32 v36, 0x3fb8aa3b, v9, -v22
	v_rndne_f32_e32 v37, v22
	v_cvt_i32_f32_e32 v29, v29
	v_fmac_f32_e32 v34, 0x32a5705f, v4
	v_sub_f32_e32 v21, v21, v35
	v_add_f32_e32 v20, v20, v32
	v_exp_f32_e32 v19, v19
	v_ldexp_f32 v17, v17, v27
	v_cndmask_b32_e64 v16, 0, v16, s4
	v_cmp_ngt_f32_e64 s4, 0xc2ce8ed0, v10
	v_fma_f32 v38, 0x3fb8aa3b, v12, -v23
	v_rndne_f32_e32 v39, v23
	v_cvt_i32_f32_e32 v31, v31
	v_fmac_f32_e32 v36, 0x32a5705f, v9
	v_sub_f32_e32 v22, v22, v37
	v_add_f32_e32 v21, v21, v34
	v_exp_f32_e32 v20, v20
	v_ldexp_f32 v18, v18, v29
	v_cndmask_b32_e64 v17, 0, v17, s4
	v_cmp_ngt_f32_e64 s4, 0xc2ce8ed0, v13
	v_cvt_i32_f32_e32 v33, v33
	v_fmac_f32_e32 v38, 0x32a5705f, v12
	v_sub_f32_e32 v23, v23, v39
	v_add_f32_e32 v22, v22, v36
	v_exp_f32_e32 v21, v21
	v_ldexp_f32 v19, v19, v31
	v_cndmask_b32_e64 v18, 0, v18, s4
	v_cmp_ngt_f32_e64 s4, 0xc2ce8ed0, v15
	v_cvt_i32_f32_e32 v35, v35
	v_add_f32_e32 v23, v23, v38
	v_exp_f32_e32 v22, v22
	v_ldexp_f32 v20, v20, v33
	v_cndmask_b32_e64 v19, 0, v19, s4
	v_cmp_ngt_f32_e64 s4, 0xc2ce8ed0, v8
	v_exp_f32_e32 v23, v23
	v_cvt_i32_f32_e32 v24, v37
	v_ldexp_f32 v21, v21, v35
	v_cvt_i32_f32_e32 v26, v39
	v_cndmask_b32_e64 v20, 0, v20, s4
	v_cmp_ngt_f32_e64 s4, 0xc2ce8ed0, v4
	v_ldexp_f32 v22, v22, v24
	v_cndmask_b32_e64 v21, 0, v21, s4
	v_cmp_ngt_f32_e64 s4, 0xc2ce8ed0, v9
	v_ldexp_f32 v23, v23, v26
	v_cndmask_b32_e64 v22, 0, v22, s4
	v_cmp_ngt_f32_e64 s4, 0xc2ce8ed0, v12
	v_cndmask_b32_e64 v23, 0, v23, s4
	v_cmp_nlt_f32_e64 s4, 0x42b17218, v7
	v_cndmask_b32_e64 v16, 0x7f800000, v16, s4
	v_cmp_nlt_f32_e64 s4, 0x42b17218, v10
	;; [unrolled: 2-line block ×3, first 2 shown]
	v_add_f32_e32 v16, v16, v17
	v_cndmask_b32_e64 v20, 0x7f800000, v20, s4
	v_cmp_nlt_f32_e64 s4, 0x42b17218, v4
	v_cndmask_b32_e64 v21, 0x7f800000, v21, s4
	v_cmp_nlt_f32_e64 s4, 0x42b17218, v13
	v_add_f32_e32 v17, v20, v21
	v_cndmask_b32_e64 v18, 0x7f800000, v18, s4
	v_cmp_nlt_f32_e64 s4, 0x42b17218, v9
	v_add_f32_e32 v16, v16, v18
	;; [unrolled: 3-line block ×4, first 2 shown]
	v_cndmask_b32_e64 v20, 0x7f800000, v23, s4
	ds_bpermute_b32 v18, v0, v16
	v_add_f32_e32 v17, v17, v20
	ds_bpermute_b32 v0, v0, v17
	s_waitcnt lgkmcnt(1)
	v_add_f32_e32 v16, v16, v18
	s_waitcnt lgkmcnt(0)
	v_add_f32_e32 v0, v17, v0
	ds_bpermute_b32 v17, v3, v16
	ds_bpermute_b32 v3, v3, v0
	s_waitcnt lgkmcnt(1)
	v_add_f32_e32 v16, v16, v17
	s_waitcnt lgkmcnt(0)
	v_add_f32_e32 v0, v0, v3
	ds_bpermute_b32 v3, v6, v16
	;; [unrolled: 6-line block ×4, first 2 shown]
	ds_bpermute_b32 v6, v14, v3
	s_and_saveexec_b32 s4, s3
	s_cbranch_execz .LBB85_28
; %bb.17:
	v_add_co_u32 v0, s3, s8, v1
	v_add_co_ci_u32_e64 v1, null, s9, v2, s3
	s_and_saveexec_b32 s5, s1
	s_cbranch_execz .LBB85_22
; %bb.18:
	s_waitcnt lgkmcnt(1)
	v_add_f32_e32 v2, v11, v16
	v_cmp_gt_f32_e64 s3, 0x800000, v2
	v_cndmask_b32_e64 v11, 0, 32, s3
	v_ldexp_f32 v2, v2, v11
	v_log_f32_e32 v2, v2
	v_mul_f32_e32 v11, 0x3f317217, v2
	v_cmp_gt_f32_e64 s4, 0x7f800000, |v2|
	v_fma_f32 v11, 0x3f317217, v2, -v11
	v_fmamk_f32 v11, v2, 0x3377d1cf, v11
	v_fmac_f32_e32 v11, 0x3f317217, v2
	v_cndmask_b32_e64 v2, v2, v11, s4
	v_cndmask_b32_e64 v11, 0, 0x41b17218, s3
	v_sub_f32_e32 v2, v2, v11
	v_sub_f32_e32 v7, v7, v2
	v_cvt_f16_f32_e32 v7, v7
	global_store_short v[0:1], v7, off
	s_and_b32 exec_lo, exec_lo, vcc_lo
	s_cbranch_execz .LBB85_22
; %bb.19:
	v_sub_f32_e32 v7, v10, v2
	v_cvt_f16_f32_e32 v7, v7
	global_store_short v[0:1], v7, off offset:64
	s_and_b32 exec_lo, exec_lo, s0
	s_cbranch_execz .LBB85_22
; %bb.20:
	v_sub_f32_e32 v7, v13, v2
	v_cvt_f16_f32_e32 v7, v7
	global_store_short v[0:1], v7, off offset:128
	s_and_b32 exec_lo, exec_lo, s2
	s_cbranch_execz .LBB85_22
; %bb.21:
	v_sub_f32_e32 v2, v15, v2
	v_cvt_f16_f32_e32 v2, v2
	global_store_short v[0:1], v2, off offset:192
.LBB85_22:
	s_or_b32 exec_lo, exec_lo, s5
	v_cmp_ne_u32_e64 s3, 1, v5
	s_and_b32 exec_lo, exec_lo, s3
	s_cbranch_execz .LBB85_28
; %bb.23:
	s_and_b32 exec_lo, exec_lo, s1
	s_cbranch_execz .LBB85_28
; %bb.24:
	s_waitcnt lgkmcnt(0)
	v_add_f32_e32 v2, v3, v6
	s_mov_b32 s15, 0
	s_lshl_b64 s[4:5], s[14:15], 1
	v_cmp_gt_f32_e64 s1, 0x800000, v2
	v_cndmask_b32_e64 v3, 0, 32, s1
	v_cndmask_b32_e64 v5, 0, 0x41b17218, s1
	v_ldexp_f32 v2, v2, v3
	v_log_f32_e32 v2, v2
	v_mul_f32_e32 v3, 0x3f317217, v2
	v_cmp_gt_f32_e64 s1, 0x7f800000, |v2|
	v_fma_f32 v3, 0x3f317217, v2, -v3
	v_fmamk_f32 v3, v2, 0x3377d1cf, v3
	v_fmac_f32_e32 v3, 0x3f317217, v2
	v_cndmask_b32_e64 v2, v2, v3, s1
	v_add_co_u32 v0, s1, v0, s4
	v_add_co_ci_u32_e64 v1, null, s5, v1, s1
	v_sub_f32_e32 v2, v2, v5
	v_sub_f32_e32 v3, v8, v2
	v_cvt_f16_f32_e32 v3, v3
	global_store_short v[0:1], v3, off
	s_and_b32 exec_lo, exec_lo, vcc_lo
	s_cbranch_execz .LBB85_28
; %bb.25:
	v_sub_f32_e32 v3, v4, v2
	v_cvt_f16_f32_e32 v3, v3
	global_store_short v[0:1], v3, off offset:64
	s_and_b32 exec_lo, exec_lo, s0
	s_cbranch_execz .LBB85_28
; %bb.26:
	v_sub_f32_e32 v3, v9, v2
	v_cvt_f16_f32_e32 v3, v3
	global_store_short v[0:1], v3, off offset:128
	s_and_b32 exec_lo, exec_lo, s2
	s_cbranch_execz .LBB85_28
; %bb.27:
	v_sub_f32_e32 v2, v12, v2
	v_cvt_f16_f32_e32 v2, v2
	global_store_short v[0:1], v2, off offset:192
.LBB85_28:
	s_endpgm
	.section	.rodata,"a",@progbits
	.p2align	6, 0x0
	.amdhsa_kernel _ZN12_GLOBAL__N_120softmax_warp_forwardIN3c104HalfES2_fLi7ELb1ELb0ELi32EEEvPT0_PKT_iiiPKbib
		.amdhsa_group_segment_fixed_size 0
		.amdhsa_private_segment_fixed_size 0
		.amdhsa_kernarg_size 304
		.amdhsa_user_sgpr_count 6
		.amdhsa_user_sgpr_private_segment_buffer 1
		.amdhsa_user_sgpr_dispatch_ptr 0
		.amdhsa_user_sgpr_queue_ptr 0
		.amdhsa_user_sgpr_kernarg_segment_ptr 1
		.amdhsa_user_sgpr_dispatch_id 0
		.amdhsa_user_sgpr_flat_scratch_init 0
		.amdhsa_user_sgpr_private_segment_size 0
		.amdhsa_wavefront_size32 1
		.amdhsa_uses_dynamic_stack 0
		.amdhsa_system_sgpr_private_segment_wavefront_offset 0
		.amdhsa_system_sgpr_workgroup_id_x 1
		.amdhsa_system_sgpr_workgroup_id_y 0
		.amdhsa_system_sgpr_workgroup_id_z 0
		.amdhsa_system_sgpr_workgroup_info 0
		.amdhsa_system_vgpr_workitem_id 1
		.amdhsa_next_free_vgpr 40
		.amdhsa_next_free_sgpr 16
		.amdhsa_reserve_vcc 1
		.amdhsa_reserve_flat_scratch 0
		.amdhsa_float_round_mode_32 0
		.amdhsa_float_round_mode_16_64 0
		.amdhsa_float_denorm_mode_32 3
		.amdhsa_float_denorm_mode_16_64 3
		.amdhsa_dx10_clamp 1
		.amdhsa_ieee_mode 1
		.amdhsa_fp16_overflow 0
		.amdhsa_workgroup_processor_mode 1
		.amdhsa_memory_ordered 1
		.amdhsa_forward_progress 1
		.amdhsa_shared_vgpr_count 0
		.amdhsa_exception_fp_ieee_invalid_op 0
		.amdhsa_exception_fp_denorm_src 0
		.amdhsa_exception_fp_ieee_div_zero 0
		.amdhsa_exception_fp_ieee_overflow 0
		.amdhsa_exception_fp_ieee_underflow 0
		.amdhsa_exception_fp_ieee_inexact 0
		.amdhsa_exception_int_div_zero 0
	.end_amdhsa_kernel
	.section	.text._ZN12_GLOBAL__N_120softmax_warp_forwardIN3c104HalfES2_fLi7ELb1ELb0ELi32EEEvPT0_PKT_iiiPKbib,"axG",@progbits,_ZN12_GLOBAL__N_120softmax_warp_forwardIN3c104HalfES2_fLi7ELb1ELb0ELi32EEEvPT0_PKT_iiiPKbib,comdat
.Lfunc_end85:
	.size	_ZN12_GLOBAL__N_120softmax_warp_forwardIN3c104HalfES2_fLi7ELb1ELb0ELi32EEEvPT0_PKT_iiiPKbib, .Lfunc_end85-_ZN12_GLOBAL__N_120softmax_warp_forwardIN3c104HalfES2_fLi7ELb1ELb0ELi32EEEvPT0_PKT_iiiPKbib
                                        ; -- End function
	.set _ZN12_GLOBAL__N_120softmax_warp_forwardIN3c104HalfES2_fLi7ELb1ELb0ELi32EEEvPT0_PKT_iiiPKbib.num_vgpr, 40
	.set _ZN12_GLOBAL__N_120softmax_warp_forwardIN3c104HalfES2_fLi7ELb1ELb0ELi32EEEvPT0_PKT_iiiPKbib.num_agpr, 0
	.set _ZN12_GLOBAL__N_120softmax_warp_forwardIN3c104HalfES2_fLi7ELb1ELb0ELi32EEEvPT0_PKT_iiiPKbib.numbered_sgpr, 16
	.set _ZN12_GLOBAL__N_120softmax_warp_forwardIN3c104HalfES2_fLi7ELb1ELb0ELi32EEEvPT0_PKT_iiiPKbib.num_named_barrier, 0
	.set _ZN12_GLOBAL__N_120softmax_warp_forwardIN3c104HalfES2_fLi7ELb1ELb0ELi32EEEvPT0_PKT_iiiPKbib.private_seg_size, 0
	.set _ZN12_GLOBAL__N_120softmax_warp_forwardIN3c104HalfES2_fLi7ELb1ELb0ELi32EEEvPT0_PKT_iiiPKbib.uses_vcc, 1
	.set _ZN12_GLOBAL__N_120softmax_warp_forwardIN3c104HalfES2_fLi7ELb1ELb0ELi32EEEvPT0_PKT_iiiPKbib.uses_flat_scratch, 0
	.set _ZN12_GLOBAL__N_120softmax_warp_forwardIN3c104HalfES2_fLi7ELb1ELb0ELi32EEEvPT0_PKT_iiiPKbib.has_dyn_sized_stack, 0
	.set _ZN12_GLOBAL__N_120softmax_warp_forwardIN3c104HalfES2_fLi7ELb1ELb0ELi32EEEvPT0_PKT_iiiPKbib.has_recursion, 0
	.set _ZN12_GLOBAL__N_120softmax_warp_forwardIN3c104HalfES2_fLi7ELb1ELb0ELi32EEEvPT0_PKT_iiiPKbib.has_indirect_call, 0
	.section	.AMDGPU.csdata,"",@progbits
; Kernel info:
; codeLenInByte = 2556
; TotalNumSgprs: 18
; NumVgprs: 40
; ScratchSize: 0
; MemoryBound: 0
; FloatMode: 240
; IeeeMode: 1
; LDSByteSize: 0 bytes/workgroup (compile time only)
; SGPRBlocks: 0
; VGPRBlocks: 4
; NumSGPRsForWavesPerEU: 18
; NumVGPRsForWavesPerEU: 40
; Occupancy: 16
; WaveLimiterHint : 0
; COMPUTE_PGM_RSRC2:SCRATCH_EN: 0
; COMPUTE_PGM_RSRC2:USER_SGPR: 6
; COMPUTE_PGM_RSRC2:TRAP_HANDLER: 0
; COMPUTE_PGM_RSRC2:TGID_X_EN: 1
; COMPUTE_PGM_RSRC2:TGID_Y_EN: 0
; COMPUTE_PGM_RSRC2:TGID_Z_EN: 0
; COMPUTE_PGM_RSRC2:TIDIG_COMP_CNT: 1
	.section	.text._ZN12_GLOBAL__N_120softmax_warp_forwardIN3c104HalfES2_fLi8ELb1ELb0ELi64EEEvPT0_PKT_iiiPKbib,"axG",@progbits,_ZN12_GLOBAL__N_120softmax_warp_forwardIN3c104HalfES2_fLi8ELb1ELb0ELi64EEEvPT0_PKT_iiiPKbib,comdat
	.globl	_ZN12_GLOBAL__N_120softmax_warp_forwardIN3c104HalfES2_fLi8ELb1ELb0ELi64EEEvPT0_PKT_iiiPKbib ; -- Begin function _ZN12_GLOBAL__N_120softmax_warp_forwardIN3c104HalfES2_fLi8ELb1ELb0ELi64EEEvPT0_PKT_iiiPKbib
	.p2align	8
	.type	_ZN12_GLOBAL__N_120softmax_warp_forwardIN3c104HalfES2_fLi8ELb1ELb0ELi64EEEvPT0_PKT_iiiPKbib,@function
_ZN12_GLOBAL__N_120softmax_warp_forwardIN3c104HalfES2_fLi8ELb1ELb0ELi64EEEvPT0_PKT_iiiPKbib: ; @_ZN12_GLOBAL__N_120softmax_warp_forwardIN3c104HalfES2_fLi8ELb1ELb0ELi64EEEvPT0_PKT_iiiPKbib
; %bb.0:
	s_clause 0x1
	s_load_dword s0, s[4:5], 0x3c
	s_load_dwordx8 s[8:15], s[4:5], 0x0
	v_mov_b32_e32 v6, 0xff800000
	v_mov_b32_e32 v8, 0xff800000
	s_waitcnt lgkmcnt(0)
	s_lshr_b32 s0, s0, 16
	v_cmp_gt_i32_e64 s1, s14, v0
	v_mad_u64_u32 v[1:2], null, s6, s0, v[1:2]
	v_mad_u64_u32 v[2:3], null, v1, s13, v[0:1]
	v_sub_nc_u32_e32 v5, s12, v1
	v_cmp_lt_i32_e64 s3, 0, v5
	v_ashrrev_i32_e32 v3, 31, v2
	s_and_b32 s2, s3, s1
	v_lshlrev_b64 v[1:2], 1, v[2:3]
	v_add_co_u32 v3, vcc_lo, s10, v1
	v_add_co_ci_u32_e64 v4, null, s11, v2, vcc_lo
	s_and_saveexec_b32 s0, s2
	s_cbranch_execz .LBB86_2
; %bb.1:
	global_load_ushort v7, v[3:4], off
	s_waitcnt vmcnt(0)
	v_cvt_f32_f16_e32 v8, v7
.LBB86_2:
	s_or_b32 exec_lo, exec_lo, s0
	v_add_nc_u32_e32 v7, 64, v0
	v_cmp_gt_i32_e32 vcc_lo, s14, v7
	s_and_b32 s2, s3, vcc_lo
	s_and_saveexec_b32 s0, s2
	s_cbranch_execz .LBB86_4
; %bb.3:
	global_load_ushort v6, v[3:4], off offset:128
	s_waitcnt vmcnt(0)
	v_cvt_f32_f16_e32 v6, v6
.LBB86_4:
	s_or_b32 exec_lo, exec_lo, s0
	v_add_nc_u32_e32 v7, 0x80, v0
	v_mov_b32_e32 v9, 0xff800000
	v_cmp_gt_i32_e64 s0, s14, v7
	v_mov_b32_e32 v7, 0xff800000
	s_and_b32 s4, s3, s0
	s_and_saveexec_b32 s2, s4
	s_cbranch_execz .LBB86_6
; %bb.5:
	global_load_ushort v9, v[3:4], off offset:256
	s_waitcnt vmcnt(0)
	v_cvt_f32_f16_e32 v9, v9
.LBB86_6:
	s_or_b32 exec_lo, exec_lo, s2
	v_add_nc_u32_e32 v0, 0xc0, v0
	v_cmp_gt_i32_e64 s2, s14, v0
	s_and_b32 s4, s3, s2
	s_and_saveexec_b32 s3, s4
	s_cbranch_execz .LBB86_8
; %bb.7:
	global_load_ushort v0, v[3:4], off offset:384
	s_waitcnt vmcnt(0)
	v_cvt_f32_f16_e32 v7, v0
.LBB86_8:
	s_or_b32 exec_lo, exec_lo, s3
	v_cmp_gt_f32_e64 s3, v8, v6
	v_mbcnt_lo_u32_b32 v0, -1, 0
	s_mov_b32 s4, exec_lo
	v_cndmask_b32_e64 v3, v6, v8, s3
	v_or_b32_e32 v4, 32, v0
	v_xor_b32_e32 v11, 16, v0
	v_xor_b32_e32 v12, 8, v0
	v_xor_b32_e32 v13, 4, v0
	v_cmp_gt_f32_e64 s3, v3, v9
	v_xor_b32_e32 v14, 2, v0
	v_xor_b32_e32 v15, 1, v0
	v_cndmask_b32_e64 v3, v9, v3, s3
	v_cmp_gt_i32_e64 s3, 64, v4
	v_cndmask_b32_e64 v4, v0, v4, s3
	v_cmp_gt_f32_e64 s3, v3, v7
	v_lshlrev_b32_e32 v10, 2, v4
	v_cndmask_b32_e64 v3, v7, v3, s3
	v_cmp_gt_i32_e64 s3, 64, v11
	ds_bpermute_b32 v4, v10, v3
	v_cndmask_b32_e64 v11, v0, v11, s3
	v_lshlrev_b32_e32 v11, 2, v11
	s_waitcnt lgkmcnt(0)
	v_cmp_lt_f32_e64 s3, v3, v4
	v_cndmask_b32_e64 v3, v3, v4, s3
	v_cmp_gt_i32_e64 s3, 64, v12
	ds_bpermute_b32 v4, v11, v3
	v_cndmask_b32_e64 v12, v0, v12, s3
	v_lshlrev_b32_e32 v12, 2, v12
	s_waitcnt lgkmcnt(0)
	v_cmp_lt_f32_e64 s3, v3, v4
	;; [unrolled: 7-line block ×5, first 2 shown]
	v_cndmask_b32_e64 v0, v3, v4, s3
	ds_bpermute_b32 v3, v15, v0
	s_waitcnt lgkmcnt(0)
	v_cmp_lt_f32_e64 s3, v0, v3
	v_cndmask_b32_e64 v16, v0, v3, s3
	v_sub_f32_e32 v0, v8, v16
	v_sub_f32_e32 v3, v6, v16
	v_sub_f32_e32 v6, v7, v16
	v_sub_f32_e32 v4, v9, v16
	v_mul_f32_e32 v7, 0x3fb8aa3b, v0
	v_mul_f32_e32 v8, 0x3fb8aa3b, v3
	;; [unrolled: 1-line block ×4, first 2 shown]
	v_cmp_ngt_f32_e64 s3, 0xc2ce8ed0, v0
	v_fma_f32 v17, 0x3fb8aa3b, v0, -v7
	v_rndne_f32_e32 v18, v7
	v_fma_f32 v19, 0x3fb8aa3b, v3, -v8
	v_rndne_f32_e32 v20, v8
	v_fma_f32 v21, 0x3fb8aa3b, v4, -v9
	v_fmac_f32_e32 v17, 0x32a5705f, v0
	v_sub_f32_e32 v7, v7, v18
	v_rndne_f32_e32 v22, v9
	v_fmac_f32_e32 v19, 0x32a5705f, v3
	v_sub_f32_e32 v8, v8, v20
	v_fmac_f32_e32 v21, 0x32a5705f, v4
	v_add_f32_e32 v7, v7, v17
	v_sub_f32_e32 v9, v9, v22
	v_cvt_i32_f32_e32 v18, v18
	v_add_f32_e32 v8, v8, v19
	v_cvt_i32_f32_e32 v19, v20
	v_exp_f32_e32 v7, v7
	v_add_f32_e32 v9, v9, v21
	v_fma_f32 v23, 0x3fb8aa3b, v6, -v16
	v_exp_f32_e32 v8, v8
	v_rndne_f32_e32 v17, v16
	v_cvt_i32_f32_e32 v20, v22
	v_exp_f32_e32 v9, v9
	v_fmac_f32_e32 v23, 0x32a5705f, v6
	v_sub_f32_e32 v16, v16, v17
	v_ldexp_f32 v7, v7, v18
	v_cvt_i32_f32_e32 v17, v17
	v_ldexp_f32 v8, v8, v19
	v_add_f32_e32 v16, v16, v23
	v_cndmask_b32_e64 v7, 0, v7, s3
	v_cmp_ngt_f32_e64 s3, 0xc2ce8ed0, v3
	v_ldexp_f32 v9, v9, v20
	v_exp_f32_e32 v16, v16
	v_cndmask_b32_e64 v8, 0, v8, s3
	v_cmp_ngt_f32_e64 s3, 0xc2ce8ed0, v4
	v_cndmask_b32_e64 v9, 0, v9, s3
	v_cmp_nlt_f32_e64 s3, 0x42b17218, v0
	v_ldexp_f32 v16, v16, v17
	v_cndmask_b32_e64 v7, 0x7f800000, v7, s3
	v_cmp_nlt_f32_e64 s3, 0x42b17218, v3
	v_cndmask_b32_e64 v8, 0x7f800000, v8, s3
	v_cmp_nlt_f32_e64 s3, 0x42b17218, v4
	v_add_f32_e32 v7, v7, v8
	v_cndmask_b32_e64 v9, 0x7f800000, v9, s3
	v_cmp_ngt_f32_e64 s3, 0xc2ce8ed0, v6
	v_add_f32_e32 v7, v7, v9
	v_cndmask_b32_e64 v8, 0, v16, s3
	v_cmp_nlt_f32_e64 s3, 0x42b17218, v6
	v_cndmask_b32_e64 v8, 0x7f800000, v8, s3
	v_add_f32_e32 v7, v7, v8
	ds_bpermute_b32 v8, v10, v7
	s_waitcnt lgkmcnt(0)
	v_add_f32_e32 v7, v7, v8
	ds_bpermute_b32 v8, v11, v7
	s_waitcnt lgkmcnt(0)
	;; [unrolled: 3-line block ×5, first 2 shown]
	v_add_f32_e32 v7, v7, v8
	ds_bpermute_b32 v8, v15, v7
	v_cmpx_lt_i32_e32 0, v5
	s_cbranch_execz .LBB86_14
; %bb.9:
	s_and_b32 exec_lo, exec_lo, s1
	s_cbranch_execz .LBB86_14
; %bb.10:
	s_waitcnt lgkmcnt(0)
	v_add_f32_e32 v5, v7, v8
	v_cmp_gt_f32_e64 s1, 0x800000, v5
	v_cndmask_b32_e64 v7, 0, 32, s1
	v_ldexp_f32 v5, v5, v7
	v_log_f32_e32 v5, v5
	v_mul_f32_e32 v7, 0x3f317217, v5
	v_cmp_gt_f32_e64 s3, 0x7f800000, |v5|
	v_fma_f32 v7, 0x3f317217, v5, -v7
	v_fmamk_f32 v7, v5, 0x3377d1cf, v7
	v_fmac_f32_e32 v7, 0x3f317217, v5
	v_cndmask_b32_e64 v5, v5, v7, s3
	v_cndmask_b32_e64 v7, 0, 0x41b17218, s1
	v_sub_f32_e32 v5, v5, v7
	v_sub_f32_e32 v7, v0, v5
	v_add_co_u32 v0, s1, s8, v1
	v_add_co_ci_u32_e64 v1, null, s9, v2, s1
	v_cvt_f16_f32_e32 v2, v7
	global_store_short v[0:1], v2, off
	s_and_b32 exec_lo, exec_lo, vcc_lo
	s_cbranch_execz .LBB86_14
; %bb.11:
	v_sub_f32_e32 v2, v3, v5
	v_cvt_f16_f32_e32 v2, v2
	global_store_short v[0:1], v2, off offset:128
	s_and_b32 exec_lo, exec_lo, s0
	s_cbranch_execz .LBB86_14
; %bb.12:
	v_sub_f32_e32 v2, v4, v5
	v_cvt_f16_f32_e32 v2, v2
	global_store_short v[0:1], v2, off offset:256
	s_and_b32 exec_lo, exec_lo, s2
	s_cbranch_execz .LBB86_14
; %bb.13:
	v_sub_f32_e32 v2, v6, v5
	v_cvt_f16_f32_e32 v2, v2
	global_store_short v[0:1], v2, off offset:384
.LBB86_14:
	s_endpgm
	.section	.rodata,"a",@progbits
	.p2align	6, 0x0
	.amdhsa_kernel _ZN12_GLOBAL__N_120softmax_warp_forwardIN3c104HalfES2_fLi8ELb1ELb0ELi64EEEvPT0_PKT_iiiPKbib
		.amdhsa_group_segment_fixed_size 0
		.amdhsa_private_segment_fixed_size 0
		.amdhsa_kernarg_size 304
		.amdhsa_user_sgpr_count 6
		.amdhsa_user_sgpr_private_segment_buffer 1
		.amdhsa_user_sgpr_dispatch_ptr 0
		.amdhsa_user_sgpr_queue_ptr 0
		.amdhsa_user_sgpr_kernarg_segment_ptr 1
		.amdhsa_user_sgpr_dispatch_id 0
		.amdhsa_user_sgpr_flat_scratch_init 0
		.amdhsa_user_sgpr_private_segment_size 0
		.amdhsa_wavefront_size32 1
		.amdhsa_uses_dynamic_stack 0
		.amdhsa_system_sgpr_private_segment_wavefront_offset 0
		.amdhsa_system_sgpr_workgroup_id_x 1
		.amdhsa_system_sgpr_workgroup_id_y 0
		.amdhsa_system_sgpr_workgroup_id_z 0
		.amdhsa_system_sgpr_workgroup_info 0
		.amdhsa_system_vgpr_workitem_id 1
		.amdhsa_next_free_vgpr 24
		.amdhsa_next_free_sgpr 16
		.amdhsa_reserve_vcc 1
		.amdhsa_reserve_flat_scratch 0
		.amdhsa_float_round_mode_32 0
		.amdhsa_float_round_mode_16_64 0
		.amdhsa_float_denorm_mode_32 3
		.amdhsa_float_denorm_mode_16_64 3
		.amdhsa_dx10_clamp 1
		.amdhsa_ieee_mode 1
		.amdhsa_fp16_overflow 0
		.amdhsa_workgroup_processor_mode 1
		.amdhsa_memory_ordered 1
		.amdhsa_forward_progress 1
		.amdhsa_shared_vgpr_count 0
		.amdhsa_exception_fp_ieee_invalid_op 0
		.amdhsa_exception_fp_denorm_src 0
		.amdhsa_exception_fp_ieee_div_zero 0
		.amdhsa_exception_fp_ieee_overflow 0
		.amdhsa_exception_fp_ieee_underflow 0
		.amdhsa_exception_fp_ieee_inexact 0
		.amdhsa_exception_int_div_zero 0
	.end_amdhsa_kernel
	.section	.text._ZN12_GLOBAL__N_120softmax_warp_forwardIN3c104HalfES2_fLi8ELb1ELb0ELi64EEEvPT0_PKT_iiiPKbib,"axG",@progbits,_ZN12_GLOBAL__N_120softmax_warp_forwardIN3c104HalfES2_fLi8ELb1ELb0ELi64EEEvPT0_PKT_iiiPKbib,comdat
.Lfunc_end86:
	.size	_ZN12_GLOBAL__N_120softmax_warp_forwardIN3c104HalfES2_fLi8ELb1ELb0ELi64EEEvPT0_PKT_iiiPKbib, .Lfunc_end86-_ZN12_GLOBAL__N_120softmax_warp_forwardIN3c104HalfES2_fLi8ELb1ELb0ELi64EEEvPT0_PKT_iiiPKbib
                                        ; -- End function
	.set _ZN12_GLOBAL__N_120softmax_warp_forwardIN3c104HalfES2_fLi8ELb1ELb0ELi64EEEvPT0_PKT_iiiPKbib.num_vgpr, 24
	.set _ZN12_GLOBAL__N_120softmax_warp_forwardIN3c104HalfES2_fLi8ELb1ELb0ELi64EEEvPT0_PKT_iiiPKbib.num_agpr, 0
	.set _ZN12_GLOBAL__N_120softmax_warp_forwardIN3c104HalfES2_fLi8ELb1ELb0ELi64EEEvPT0_PKT_iiiPKbib.numbered_sgpr, 16
	.set _ZN12_GLOBAL__N_120softmax_warp_forwardIN3c104HalfES2_fLi8ELb1ELb0ELi64EEEvPT0_PKT_iiiPKbib.num_named_barrier, 0
	.set _ZN12_GLOBAL__N_120softmax_warp_forwardIN3c104HalfES2_fLi8ELb1ELb0ELi64EEEvPT0_PKT_iiiPKbib.private_seg_size, 0
	.set _ZN12_GLOBAL__N_120softmax_warp_forwardIN3c104HalfES2_fLi8ELb1ELb0ELi64EEEvPT0_PKT_iiiPKbib.uses_vcc, 1
	.set _ZN12_GLOBAL__N_120softmax_warp_forwardIN3c104HalfES2_fLi8ELb1ELb0ELi64EEEvPT0_PKT_iiiPKbib.uses_flat_scratch, 0
	.set _ZN12_GLOBAL__N_120softmax_warp_forwardIN3c104HalfES2_fLi8ELb1ELb0ELi64EEEvPT0_PKT_iiiPKbib.has_dyn_sized_stack, 0
	.set _ZN12_GLOBAL__N_120softmax_warp_forwardIN3c104HalfES2_fLi8ELb1ELb0ELi64EEEvPT0_PKT_iiiPKbib.has_recursion, 0
	.set _ZN12_GLOBAL__N_120softmax_warp_forwardIN3c104HalfES2_fLi8ELb1ELb0ELi64EEEvPT0_PKT_iiiPKbib.has_indirect_call, 0
	.section	.AMDGPU.csdata,"",@progbits
; Kernel info:
; codeLenInByte = 1416
; TotalNumSgprs: 18
; NumVgprs: 24
; ScratchSize: 0
; MemoryBound: 0
; FloatMode: 240
; IeeeMode: 1
; LDSByteSize: 0 bytes/workgroup (compile time only)
; SGPRBlocks: 0
; VGPRBlocks: 2
; NumSGPRsForWavesPerEU: 18
; NumVGPRsForWavesPerEU: 24
; Occupancy: 16
; WaveLimiterHint : 0
; COMPUTE_PGM_RSRC2:SCRATCH_EN: 0
; COMPUTE_PGM_RSRC2:USER_SGPR: 6
; COMPUTE_PGM_RSRC2:TRAP_HANDLER: 0
; COMPUTE_PGM_RSRC2:TGID_X_EN: 1
; COMPUTE_PGM_RSRC2:TGID_Y_EN: 0
; COMPUTE_PGM_RSRC2:TGID_Z_EN: 0
; COMPUTE_PGM_RSRC2:TIDIG_COMP_CNT: 1
	.section	.text._ZN12_GLOBAL__N_120softmax_warp_forwardIN3c104HalfES2_fLi8ELb1ELb0ELi32EEEvPT0_PKT_iiiPKbib,"axG",@progbits,_ZN12_GLOBAL__N_120softmax_warp_forwardIN3c104HalfES2_fLi8ELb1ELb0ELi32EEEvPT0_PKT_iiiPKbib,comdat
	.globl	_ZN12_GLOBAL__N_120softmax_warp_forwardIN3c104HalfES2_fLi8ELb1ELb0ELi32EEEvPT0_PKT_iiiPKbib ; -- Begin function _ZN12_GLOBAL__N_120softmax_warp_forwardIN3c104HalfES2_fLi8ELb1ELb0ELi32EEEvPT0_PKT_iiiPKbib
	.p2align	8
	.type	_ZN12_GLOBAL__N_120softmax_warp_forwardIN3c104HalfES2_fLi8ELb1ELb0ELi32EEEvPT0_PKT_iiiPKbib,@function
_ZN12_GLOBAL__N_120softmax_warp_forwardIN3c104HalfES2_fLi8ELb1ELb0ELi32EEEvPT0_PKT_iiiPKbib: ; @_ZN12_GLOBAL__N_120softmax_warp_forwardIN3c104HalfES2_fLi8ELb1ELb0ELi32EEEvPT0_PKT_iiiPKbib
; %bb.0:
	s_clause 0x1
	s_load_dword s0, s[4:5], 0x3c
	s_load_dwordx8 s[8:15], s[4:5], 0x0
	v_mov_b32_e32 v7, 0xff800000
	v_mov_b32_e32 v9, 0xff800000
	s_waitcnt lgkmcnt(0)
	s_lshr_b32 s0, s0, 16
	v_cmp_gt_i32_e64 s1, s14, v0
	v_mad_u64_u32 v[1:2], null, s6, s0, v[1:2]
	v_mad_u64_u32 v[2:3], null, v1, s13, v[0:1]
	v_sub_nc_u32_e32 v5, s12, v1
	v_cmp_lt_i32_e64 s7, 0, v5
	v_ashrrev_i32_e32 v3, 31, v2
	s_and_b32 s2, s7, s1
	v_lshlrev_b64 v[1:2], 1, v[2:3]
	v_add_co_u32 v3, vcc_lo, s10, v1
	v_add_co_ci_u32_e64 v4, null, s11, v2, vcc_lo
	s_and_saveexec_b32 s0, s2
	s_cbranch_execz .LBB87_2
; %bb.1:
	global_load_ushort v6, v[3:4], off
	s_waitcnt vmcnt(0)
	v_cvt_f32_f16_e32 v9, v6
.LBB87_2:
	s_or_b32 exec_lo, exec_lo, s0
	v_add_nc_u32_e32 v6, 32, v0
	v_cmp_gt_i32_e32 vcc_lo, s14, v6
	s_and_b32 s2, s7, vcc_lo
	s_and_saveexec_b32 s0, s2
	s_cbranch_execz .LBB87_4
; %bb.3:
	global_load_ushort v6, v[3:4], off offset:64
	s_waitcnt vmcnt(0)
	v_cvt_f32_f16_e32 v7, v6
.LBB87_4:
	s_or_b32 exec_lo, exec_lo, s0
	v_add_nc_u32_e32 v6, 64, v0
	v_mov_b32_e32 v8, 0xff800000
	v_mov_b32_e32 v11, 0xff800000
	v_cmp_gt_i32_e64 s0, s14, v6
	s_and_b32 s3, s7, s0
	s_and_saveexec_b32 s2, s3
	s_cbranch_execz .LBB87_6
; %bb.5:
	global_load_ushort v6, v[3:4], off offset:128
	s_waitcnt vmcnt(0)
	v_cvt_f32_f16_e32 v11, v6
.LBB87_6:
	s_or_b32 exec_lo, exec_lo, s2
	v_add_nc_u32_e32 v6, 0x60, v0
	v_cmp_gt_i32_e64 s2, s14, v6
	s_and_b32 s4, s7, s2
	s_and_saveexec_b32 s3, s4
	s_cbranch_execz .LBB87_8
; %bb.7:
	global_load_ushort v6, v[3:4], off offset:192
	s_waitcnt vmcnt(0)
	v_cvt_f32_f16_e32 v8, v6
.LBB87_8:
	s_or_b32 exec_lo, exec_lo, s3
	v_add_nc_u32_e32 v6, 0x80, v0
	v_mov_b32_e32 v10, 0xff800000
	v_mov_b32_e32 v13, 0xff800000
	v_cmp_gt_i32_e64 s3, s14, v6
	s_and_b32 s5, s7, s3
	s_and_saveexec_b32 s4, s5
	s_cbranch_execz .LBB87_10
; %bb.9:
	global_load_ushort v6, v[3:4], off offset:256
	s_waitcnt vmcnt(0)
	v_cvt_f32_f16_e32 v13, v6
.LBB87_10:
	s_or_b32 exec_lo, exec_lo, s4
	v_add_nc_u32_e32 v6, 0xa0, v0
	v_cmp_gt_i32_e64 s4, s14, v6
	s_and_b32 s6, s7, s4
	s_and_saveexec_b32 s5, s6
	s_cbranch_execz .LBB87_12
; %bb.11:
	global_load_ushort v6, v[3:4], off offset:320
	s_waitcnt vmcnt(0)
	v_cvt_f32_f16_e32 v10, v6
.LBB87_12:
	s_or_b32 exec_lo, exec_lo, s5
	v_add_nc_u32_e32 v6, 0xc0, v0
	v_mov_b32_e32 v12, 0xff800000
	v_mov_b32_e32 v14, 0xff800000
	v_cmp_gt_i32_e64 s5, s14, v6
	s_and_b32 s10, s7, s5
	s_and_saveexec_b32 s6, s10
	s_cbranch_execz .LBB87_14
; %bb.13:
	global_load_ushort v6, v[3:4], off offset:384
	s_waitcnt vmcnt(0)
	v_cvt_f32_f16_e32 v14, v6
.LBB87_14:
	s_or_b32 exec_lo, exec_lo, s6
	v_add_nc_u32_e32 v0, 0xe0, v0
	v_cmp_gt_i32_e64 s6, s14, v0
	s_and_b32 s10, s7, s6
	s_and_saveexec_b32 s7, s10
	s_cbranch_execz .LBB87_16
; %bb.15:
	global_load_ushort v0, v[3:4], off offset:448
	s_waitcnt vmcnt(0)
	v_cvt_f32_f16_e32 v12, v0
.LBB87_16:
	s_or_b32 exec_lo, exec_lo, s7
	v_cmp_gt_f32_e64 s7, v9, v7
	v_mbcnt_lo_u32_b32 v3, -1, 0
	s_mov_b32 s10, exec_lo
	v_cndmask_b32_e64 v0, v7, v9, s7
	v_xor_b32_e32 v4, 16, v3
	v_xor_b32_e32 v16, 4, v3
	;; [unrolled: 1-line block ×4, first 2 shown]
	v_cmp_gt_f32_e64 s7, v0, v11
	v_cndmask_b32_e64 v0, v11, v0, s7
	v_cmp_gt_f32_e64 s7, v0, v8
	v_cndmask_b32_e64 v0, v8, v0, s7
	v_cmp_gt_f32_e64 s7, v0, v13
	v_cndmask_b32_e64 v0, v13, v0, s7
	v_cmp_gt_f32_e64 s7, v0, v10
	v_cndmask_b32_e64 v0, v10, v0, s7
	v_cmp_gt_i32_e64 s7, 32, v4
	v_cndmask_b32_e64 v4, v3, v4, s7
	v_cmp_gt_f32_e64 s7, v0, v14
	v_cndmask_b32_e64 v6, v14, v0, s7
	v_lshlrev_b32_e32 v0, 2, v4
	v_cmp_gt_f32_e64 s7, v6, v12
	v_cndmask_b32_e64 v4, v12, v6, s7
	v_xor_b32_e32 v6, 8, v3
	ds_bpermute_b32 v15, v0, v4
	v_cmp_gt_i32_e64 s7, 32, v6
	v_cndmask_b32_e64 v6, v3, v6, s7
	v_lshlrev_b32_e32 v6, 2, v6
	s_waitcnt lgkmcnt(0)
	v_cmp_lt_f32_e64 s7, v4, v15
	v_cndmask_b32_e64 v4, v4, v15, s7
	v_cmp_gt_i32_e64 s7, 32, v16
	ds_bpermute_b32 v15, v6, v4
	v_cndmask_b32_e64 v16, v3, v16, s7
	v_lshlrev_b32_e32 v16, 2, v16
	s_waitcnt lgkmcnt(0)
	v_cmp_lt_f32_e64 s7, v4, v15
	v_cndmask_b32_e64 v4, v4, v15, s7
	v_cmp_gt_i32_e64 s7, 32, v17
	ds_bpermute_b32 v15, v16, v4
	;; [unrolled: 7-line block ×3, first 2 shown]
	v_cndmask_b32_e64 v3, v3, v18, s7
	v_lshlrev_b32_e32 v18, 2, v3
	s_waitcnt lgkmcnt(0)
	v_cmp_lt_f32_e64 s7, v4, v15
	v_cndmask_b32_e64 v3, v4, v15, s7
	ds_bpermute_b32 v4, v18, v3
	s_waitcnt lgkmcnt(0)
	v_cmp_lt_f32_e64 s7, v3, v4
	v_cndmask_b32_e64 v15, v3, v4, s7
	v_sub_f32_e32 v3, v9, v15
	v_sub_f32_e32 v4, v7, v15
	;; [unrolled: 1-line block ×5, first 2 shown]
	v_mul_f32_e32 v13, 0x3fb8aa3b, v3
	v_mul_f32_e32 v14, 0x3fb8aa3b, v4
	v_sub_f32_e32 v8, v8, v15
	v_sub_f32_e32 v10, v10, v15
	;; [unrolled: 1-line block ×3, first 2 shown]
	v_fma_f32 v24, 0x3fb8aa3b, v3, -v13
	v_rndne_f32_e32 v25, v13
	v_mul_f32_e32 v15, 0x3fb8aa3b, v7
	v_fma_f32 v26, 0x3fb8aa3b, v4, -v14
	v_rndne_f32_e32 v27, v14
	v_fmac_f32_e32 v24, 0x32a5705f, v3
	v_sub_f32_e32 v13, v13, v25
	v_fma_f32 v28, 0x3fb8aa3b, v7, -v15
	v_rndne_f32_e32 v29, v15
	v_fmac_f32_e32 v26, 0x32a5705f, v4
	v_sub_f32_e32 v14, v14, v27
	v_add_f32_e32 v13, v13, v24
	v_fmac_f32_e32 v28, 0x32a5705f, v7
	v_sub_f32_e32 v15, v15, v29
	v_mul_f32_e32 v19, 0x3fb8aa3b, v8
	v_add_f32_e32 v14, v14, v26
	v_exp_f32_e32 v13, v13
	v_cvt_i32_f32_e32 v25, v25
	v_add_f32_e32 v15, v15, v28
	v_fma_f32 v30, 0x3fb8aa3b, v8, -v19
	v_exp_f32_e32 v14, v14
	v_rndne_f32_e32 v31, v19
	v_cvt_i32_f32_e32 v27, v27
	v_exp_f32_e32 v15, v15
	v_cmp_ngt_f32_e64 s7, 0xc2ce8ed0, v3
	v_mul_f32_e32 v20, 0x3fb8aa3b, v9
	v_ldexp_f32 v13, v13, v25
	v_cvt_i32_f32_e32 v29, v29
	v_fmac_f32_e32 v30, 0x32a5705f, v8
	v_sub_f32_e32 v19, v19, v31
	v_ldexp_f32 v14, v14, v27
	v_cndmask_b32_e64 v13, 0, v13, s7
	v_cmp_ngt_f32_e64 s7, 0xc2ce8ed0, v4
	v_fma_f32 v32, 0x3fb8aa3b, v9, -v20
	v_rndne_f32_e32 v33, v20
	v_add_f32_e32 v19, v19, v30
	v_ldexp_f32 v15, v15, v29
	v_cndmask_b32_e64 v14, 0, v14, s7
	v_cmp_ngt_f32_e64 s7, 0xc2ce8ed0, v7
	v_mul_f32_e32 v21, 0x3fb8aa3b, v10
	v_fmac_f32_e32 v32, 0x32a5705f, v9
	v_sub_f32_e32 v20, v20, v33
	v_exp_f32_e32 v19, v19
	v_cndmask_b32_e64 v15, 0, v15, s7
	v_cmp_nlt_f32_e64 s7, 0x42b17218, v3
	v_fma_f32 v34, 0x3fb8aa3b, v10, -v21
	v_rndne_f32_e32 v35, v21
	v_cvt_i32_f32_e32 v31, v31
	v_add_f32_e32 v20, v20, v32
	v_cndmask_b32_e64 v13, 0x7f800000, v13, s7
	v_cmp_nlt_f32_e64 s7, 0x42b17218, v4
	v_mul_f32_e32 v22, 0x3fb8aa3b, v11
	v_fmac_f32_e32 v34, 0x32a5705f, v10
	v_sub_f32_e32 v21, v21, v35
	v_exp_f32_e32 v20, v20
	v_ldexp_f32 v19, v19, v31
	v_cndmask_b32_e64 v14, 0x7f800000, v14, s7
	v_cmp_ngt_f32_e64 s7, 0xc2ce8ed0, v8
	v_fma_f32 v36, 0x3fb8aa3b, v11, -v22
	v_rndne_f32_e32 v37, v22
	v_cvt_i32_f32_e32 v33, v33
	v_add_f32_e32 v21, v21, v34
	v_cndmask_b32_e64 v19, 0, v19, s7
	v_cmp_nlt_f32_e64 s7, 0x42b17218, v7
	v_fmac_f32_e32 v36, 0x32a5705f, v11
	v_sub_f32_e32 v22, v22, v37
	v_exp_f32_e32 v21, v21
	v_ldexp_f32 v20, v20, v33
	v_cndmask_b32_e64 v15, 0x7f800000, v15, s7
	v_cmp_ngt_f32_e64 s7, 0xc2ce8ed0, v9
	v_mul_f32_e32 v23, 0x3fb8aa3b, v12
	v_cvt_i32_f32_e32 v35, v35
	v_add_f32_e32 v22, v22, v36
	v_add_f32_e32 v13, v13, v14
	v_cndmask_b32_e64 v14, 0, v20, s7
	v_cmp_nlt_f32_e64 s7, 0x42b17218, v8
	v_fma_f32 v38, 0x3fb8aa3b, v12, -v23
	v_rndne_f32_e32 v39, v23
	v_exp_f32_e32 v22, v22
	v_ldexp_f32 v21, v21, v35
	v_cndmask_b32_e64 v19, 0x7f800000, v19, s7
	v_cmp_ngt_f32_e64 s7, 0xc2ce8ed0, v10
	v_fmac_f32_e32 v38, 0x32a5705f, v12
	v_sub_f32_e32 v23, v23, v39
	v_cvt_i32_f32_e32 v24, v37
	v_add_f32_e32 v13, v13, v15
	v_cndmask_b32_e64 v15, 0, v21, s7
	v_cmp_nlt_f32_e64 s7, 0x42b17218, v9
	v_add_f32_e32 v23, v23, v38
	v_ldexp_f32 v22, v22, v24
	v_add_f32_e32 v13, v13, v19
	v_cvt_i32_f32_e32 v26, v39
	v_cndmask_b32_e64 v14, 0x7f800000, v14, s7
	v_cmp_ngt_f32_e64 s7, 0xc2ce8ed0, v11
	v_exp_f32_e32 v23, v23
	v_add_f32_e32 v13, v13, v14
	v_cndmask_b32_e64 v19, 0, v22, s7
	v_cmp_nlt_f32_e64 s7, 0x42b17218, v10
	v_cndmask_b32_e64 v15, 0x7f800000, v15, s7
	v_cmp_nlt_f32_e64 s7, 0x42b17218, v11
	v_ldexp_f32 v14, v23, v26
	v_add_f32_e32 v13, v13, v15
	v_cndmask_b32_e64 v19, 0x7f800000, v19, s7
	v_cmp_ngt_f32_e64 s7, 0xc2ce8ed0, v12
	v_add_f32_e32 v13, v13, v19
	v_cndmask_b32_e64 v14, 0, v14, s7
	v_cmp_nlt_f32_e64 s7, 0x42b17218, v12
	v_cndmask_b32_e64 v14, 0x7f800000, v14, s7
	v_add_f32_e32 v13, v13, v14
	ds_bpermute_b32 v0, v0, v13
	s_waitcnt lgkmcnt(0)
	v_add_f32_e32 v0, v13, v0
	ds_bpermute_b32 v6, v6, v0
	s_waitcnt lgkmcnt(0)
	;; [unrolled: 3-line block ×4, first 2 shown]
	v_add_f32_e32 v0, v0, v6
	ds_bpermute_b32 v6, v18, v0
	v_cmpx_lt_i32_e32 0, v5
	s_cbranch_execz .LBB87_26
; %bb.17:
	s_and_b32 exec_lo, exec_lo, s1
	s_cbranch_execz .LBB87_26
; %bb.18:
	s_waitcnt lgkmcnt(0)
	v_add_f32_e32 v0, v0, v6
	v_cmp_gt_f32_e64 s1, 0x800000, v0
	v_cndmask_b32_e64 v5, 0, 32, s1
	v_ldexp_f32 v0, v0, v5
	v_log_f32_e32 v0, v0
	v_mul_f32_e32 v5, 0x3f317217, v0
	v_cmp_gt_f32_e64 s7, 0x7f800000, |v0|
	v_fma_f32 v5, 0x3f317217, v0, -v5
	v_fmamk_f32 v5, v0, 0x3377d1cf, v5
	v_fmac_f32_e32 v5, 0x3f317217, v0
	v_cndmask_b32_e64 v0, v0, v5, s7
	v_cndmask_b32_e64 v5, 0, 0x41b17218, s1
	v_sub_f32_e32 v5, v0, v5
	v_add_co_u32 v0, s1, s8, v1
	v_add_co_ci_u32_e64 v1, null, s9, v2, s1
	v_sub_f32_e32 v3, v3, v5
	v_cvt_f16_f32_e32 v2, v3
	global_store_short v[0:1], v2, off
	s_and_b32 exec_lo, exec_lo, vcc_lo
	s_cbranch_execz .LBB87_26
; %bb.19:
	v_sub_f32_e32 v2, v4, v5
	v_cvt_f16_f32_e32 v2, v2
	global_store_short v[0:1], v2, off offset:64
	s_and_b32 exec_lo, exec_lo, s0
	s_cbranch_execz .LBB87_26
; %bb.20:
	v_sub_f32_e32 v2, v7, v5
	v_cvt_f16_f32_e32 v2, v2
	global_store_short v[0:1], v2, off offset:128
	s_and_b32 exec_lo, exec_lo, s2
	;; [unrolled: 6-line block ×6, first 2 shown]
	s_cbranch_execz .LBB87_26
; %bb.25:
	v_sub_f32_e32 v2, v12, v5
	v_cvt_f16_f32_e32 v2, v2
	global_store_short v[0:1], v2, off offset:448
.LBB87_26:
	s_endpgm
	.section	.rodata,"a",@progbits
	.p2align	6, 0x0
	.amdhsa_kernel _ZN12_GLOBAL__N_120softmax_warp_forwardIN3c104HalfES2_fLi8ELb1ELb0ELi32EEEvPT0_PKT_iiiPKbib
		.amdhsa_group_segment_fixed_size 0
		.amdhsa_private_segment_fixed_size 0
		.amdhsa_kernarg_size 304
		.amdhsa_user_sgpr_count 6
		.amdhsa_user_sgpr_private_segment_buffer 1
		.amdhsa_user_sgpr_dispatch_ptr 0
		.amdhsa_user_sgpr_queue_ptr 0
		.amdhsa_user_sgpr_kernarg_segment_ptr 1
		.amdhsa_user_sgpr_dispatch_id 0
		.amdhsa_user_sgpr_flat_scratch_init 0
		.amdhsa_user_sgpr_private_segment_size 0
		.amdhsa_wavefront_size32 1
		.amdhsa_uses_dynamic_stack 0
		.amdhsa_system_sgpr_private_segment_wavefront_offset 0
		.amdhsa_system_sgpr_workgroup_id_x 1
		.amdhsa_system_sgpr_workgroup_id_y 0
		.amdhsa_system_sgpr_workgroup_id_z 0
		.amdhsa_system_sgpr_workgroup_info 0
		.amdhsa_system_vgpr_workitem_id 1
		.amdhsa_next_free_vgpr 40
		.amdhsa_next_free_sgpr 16
		.amdhsa_reserve_vcc 1
		.amdhsa_reserve_flat_scratch 0
		.amdhsa_float_round_mode_32 0
		.amdhsa_float_round_mode_16_64 0
		.amdhsa_float_denorm_mode_32 3
		.amdhsa_float_denorm_mode_16_64 3
		.amdhsa_dx10_clamp 1
		.amdhsa_ieee_mode 1
		.amdhsa_fp16_overflow 0
		.amdhsa_workgroup_processor_mode 1
		.amdhsa_memory_ordered 1
		.amdhsa_forward_progress 1
		.amdhsa_shared_vgpr_count 0
		.amdhsa_exception_fp_ieee_invalid_op 0
		.amdhsa_exception_fp_denorm_src 0
		.amdhsa_exception_fp_ieee_div_zero 0
		.amdhsa_exception_fp_ieee_overflow 0
		.amdhsa_exception_fp_ieee_underflow 0
		.amdhsa_exception_fp_ieee_inexact 0
		.amdhsa_exception_int_div_zero 0
	.end_amdhsa_kernel
	.section	.text._ZN12_GLOBAL__N_120softmax_warp_forwardIN3c104HalfES2_fLi8ELb1ELb0ELi32EEEvPT0_PKT_iiiPKbib,"axG",@progbits,_ZN12_GLOBAL__N_120softmax_warp_forwardIN3c104HalfES2_fLi8ELb1ELb0ELi32EEEvPT0_PKT_iiiPKbib,comdat
.Lfunc_end87:
	.size	_ZN12_GLOBAL__N_120softmax_warp_forwardIN3c104HalfES2_fLi8ELb1ELb0ELi32EEEvPT0_PKT_iiiPKbib, .Lfunc_end87-_ZN12_GLOBAL__N_120softmax_warp_forwardIN3c104HalfES2_fLi8ELb1ELb0ELi32EEEvPT0_PKT_iiiPKbib
                                        ; -- End function
	.set _ZN12_GLOBAL__N_120softmax_warp_forwardIN3c104HalfES2_fLi8ELb1ELb0ELi32EEEvPT0_PKT_iiiPKbib.num_vgpr, 40
	.set _ZN12_GLOBAL__N_120softmax_warp_forwardIN3c104HalfES2_fLi8ELb1ELb0ELi32EEEvPT0_PKT_iiiPKbib.num_agpr, 0
	.set _ZN12_GLOBAL__N_120softmax_warp_forwardIN3c104HalfES2_fLi8ELb1ELb0ELi32EEEvPT0_PKT_iiiPKbib.numbered_sgpr, 16
	.set _ZN12_GLOBAL__N_120softmax_warp_forwardIN3c104HalfES2_fLi8ELb1ELb0ELi32EEEvPT0_PKT_iiiPKbib.num_named_barrier, 0
	.set _ZN12_GLOBAL__N_120softmax_warp_forwardIN3c104HalfES2_fLi8ELb1ELb0ELi32EEEvPT0_PKT_iiiPKbib.private_seg_size, 0
	.set _ZN12_GLOBAL__N_120softmax_warp_forwardIN3c104HalfES2_fLi8ELb1ELb0ELi32EEEvPT0_PKT_iiiPKbib.uses_vcc, 1
	.set _ZN12_GLOBAL__N_120softmax_warp_forwardIN3c104HalfES2_fLi8ELb1ELb0ELi32EEEvPT0_PKT_iiiPKbib.uses_flat_scratch, 0
	.set _ZN12_GLOBAL__N_120softmax_warp_forwardIN3c104HalfES2_fLi8ELb1ELb0ELi32EEEvPT0_PKT_iiiPKbib.has_dyn_sized_stack, 0
	.set _ZN12_GLOBAL__N_120softmax_warp_forwardIN3c104HalfES2_fLi8ELb1ELb0ELi32EEEvPT0_PKT_iiiPKbib.has_recursion, 0
	.set _ZN12_GLOBAL__N_120softmax_warp_forwardIN3c104HalfES2_fLi8ELb1ELb0ELi32EEEvPT0_PKT_iiiPKbib.has_indirect_call, 0
	.section	.AMDGPU.csdata,"",@progbits
; Kernel info:
; codeLenInByte = 2160
; TotalNumSgprs: 18
; NumVgprs: 40
; ScratchSize: 0
; MemoryBound: 0
; FloatMode: 240
; IeeeMode: 1
; LDSByteSize: 0 bytes/workgroup (compile time only)
; SGPRBlocks: 0
; VGPRBlocks: 4
; NumSGPRsForWavesPerEU: 18
; NumVGPRsForWavesPerEU: 40
; Occupancy: 16
; WaveLimiterHint : 0
; COMPUTE_PGM_RSRC2:SCRATCH_EN: 0
; COMPUTE_PGM_RSRC2:USER_SGPR: 6
; COMPUTE_PGM_RSRC2:TRAP_HANDLER: 0
; COMPUTE_PGM_RSRC2:TGID_X_EN: 1
; COMPUTE_PGM_RSRC2:TGID_Y_EN: 0
; COMPUTE_PGM_RSRC2:TGID_Z_EN: 0
; COMPUTE_PGM_RSRC2:TIDIG_COMP_CNT: 1
	.section	.text._ZN12_GLOBAL__N_120softmax_warp_forwardIN3c104HalfES2_fLi9ELb1ELb0ELi64EEEvPT0_PKT_iiiPKbib,"axG",@progbits,_ZN12_GLOBAL__N_120softmax_warp_forwardIN3c104HalfES2_fLi9ELb1ELb0ELi64EEEvPT0_PKT_iiiPKbib,comdat
	.globl	_ZN12_GLOBAL__N_120softmax_warp_forwardIN3c104HalfES2_fLi9ELb1ELb0ELi64EEEvPT0_PKT_iiiPKbib ; -- Begin function _ZN12_GLOBAL__N_120softmax_warp_forwardIN3c104HalfES2_fLi9ELb1ELb0ELi64EEEvPT0_PKT_iiiPKbib
	.p2align	8
	.type	_ZN12_GLOBAL__N_120softmax_warp_forwardIN3c104HalfES2_fLi9ELb1ELb0ELi64EEEvPT0_PKT_iiiPKbib,@function
_ZN12_GLOBAL__N_120softmax_warp_forwardIN3c104HalfES2_fLi9ELb1ELb0ELi64EEEvPT0_PKT_iiiPKbib: ; @_ZN12_GLOBAL__N_120softmax_warp_forwardIN3c104HalfES2_fLi9ELb1ELb0ELi64EEEvPT0_PKT_iiiPKbib
; %bb.0:
	s_clause 0x1
	s_load_dword s0, s[4:5], 0x3c
	s_load_dwordx8 s[8:15], s[4:5], 0x0
	v_mov_b32_e32 v6, 0xff800000
	v_mov_b32_e32 v8, 0xff800000
	s_waitcnt lgkmcnt(0)
	s_lshr_b32 s0, s0, 16
	v_cmp_gt_i32_e64 s1, s14, v0
	v_mad_u64_u32 v[1:2], null, s6, s0, v[1:2]
	v_mad_u64_u32 v[2:3], null, v1, s13, v[0:1]
	v_sub_nc_u32_e32 v5, s12, v1
	v_cmp_lt_i32_e64 s7, 0, v5
	v_ashrrev_i32_e32 v3, 31, v2
	s_and_b32 s2, s7, s1
	v_lshlrev_b64 v[1:2], 1, v[2:3]
	v_add_co_u32 v3, vcc_lo, s10, v1
	v_add_co_ci_u32_e64 v4, null, s11, v2, vcc_lo
	s_and_saveexec_b32 s0, s2
	s_cbranch_execz .LBB88_2
; %bb.1:
	global_load_ushort v7, v[3:4], off
	s_waitcnt vmcnt(0)
	v_cvt_f32_f16_e32 v8, v7
.LBB88_2:
	s_or_b32 exec_lo, exec_lo, s0
	v_add_nc_u32_e32 v7, 64, v0
	v_cmp_gt_i32_e32 vcc_lo, s14, v7
	s_and_b32 s2, s7, vcc_lo
	s_and_saveexec_b32 s0, s2
	s_cbranch_execz .LBB88_4
; %bb.3:
	global_load_ushort v6, v[3:4], off offset:128
	s_waitcnt vmcnt(0)
	v_cvt_f32_f16_e32 v6, v6
.LBB88_4:
	s_or_b32 exec_lo, exec_lo, s0
	v_add_nc_u32_e32 v7, 0x80, v0
	v_mov_b32_e32 v9, 0xff800000
	v_mov_b32_e32 v10, 0xff800000
	v_cmp_gt_i32_e64 s0, s14, v7
	s_and_b32 s3, s7, s0
	s_and_saveexec_b32 s2, s3
	s_cbranch_execz .LBB88_6
; %bb.5:
	global_load_ushort v7, v[3:4], off offset:256
	s_waitcnt vmcnt(0)
	v_cvt_f32_f16_e32 v10, v7
.LBB88_6:
	s_or_b32 exec_lo, exec_lo, s2
	v_add_nc_u32_e32 v7, 0xc0, v0
	v_cmp_gt_i32_e64 s2, s14, v7
	s_and_b32 s4, s7, s2
	s_and_saveexec_b32 s3, s4
	s_cbranch_execz .LBB88_8
; %bb.7:
	global_load_ushort v7, v[3:4], off offset:384
	s_waitcnt vmcnt(0)
	v_cvt_f32_f16_e32 v9, v7
.LBB88_8:
	s_or_b32 exec_lo, exec_lo, s3
	v_add_nc_u32_e32 v7, 0x100, v0
	v_mov_b32_e32 v11, 0xff800000
	v_mov_b32_e32 v12, 0xff800000
	v_cmp_gt_i32_e64 s3, s14, v7
	s_and_b32 s5, s7, s3
	s_and_saveexec_b32 s4, s5
	s_cbranch_execz .LBB88_10
; %bb.9:
	global_load_ushort v7, v[3:4], off offset:512
	s_waitcnt vmcnt(0)
	v_cvt_f32_f16_e32 v12, v7
.LBB88_10:
	s_or_b32 exec_lo, exec_lo, s4
	v_add_nc_u32_e32 v7, 0x140, v0
	v_cmp_gt_i32_e64 s4, s14, v7
	s_and_b32 s6, s7, s4
	;; [unrolled: 24-line block ×3, first 2 shown]
	s_and_saveexec_b32 s7, s10
	s_cbranch_execz .LBB88_16
; %bb.15:
	global_load_ushort v0, v[3:4], off offset:896
	s_waitcnt vmcnt(0)
	v_cvt_f32_f16_e32 v13, v0
.LBB88_16:
	s_or_b32 exec_lo, exec_lo, s7
	v_cmp_gt_f32_e64 s7, v8, v6
	v_mbcnt_lo_u32_b32 v4, -1, 0
	s_mov_b32 s10, exec_lo
	v_cndmask_b32_e64 v0, v6, v8, s7
	v_or_b32_e32 v3, 32, v4
	v_xor_b32_e32 v17, 4, v4
	v_xor_b32_e32 v18, 2, v4
	;; [unrolled: 1-line block ×3, first 2 shown]
	v_cmp_gt_f32_e64 s7, v0, v10
	v_cndmask_b32_e64 v0, v10, v0, s7
	v_cmp_gt_f32_e64 s7, v0, v9
	v_cndmask_b32_e64 v0, v9, v0, s7
	;; [unrolled: 2-line block ×4, first 2 shown]
	v_cmp_gt_i32_e64 s7, 64, v3
	v_cndmask_b32_e64 v3, v4, v3, s7
	v_cmp_gt_f32_e64 s7, v0, v14
	v_cndmask_b32_e64 v7, v14, v0, s7
	v_lshlrev_b32_e32 v0, 2, v3
	v_xor_b32_e32 v3, 16, v4
	v_cmp_gt_f32_e64 s7, v7, v13
	v_cndmask_b32_e64 v7, v13, v7, s7
	v_cmp_gt_i32_e64 s7, 64, v3
	ds_bpermute_b32 v15, v0, v7
	v_cndmask_b32_e64 v3, v4, v3, s7
	v_lshlrev_b32_e32 v3, 2, v3
	s_waitcnt lgkmcnt(0)
	v_cmp_lt_f32_e64 s7, v7, v15
	v_cndmask_b32_e64 v15, v7, v15, s7
	v_xor_b32_e32 v7, 8, v4
	ds_bpermute_b32 v16, v3, v15
	v_cmp_gt_i32_e64 s7, 64, v7
	v_cndmask_b32_e64 v7, v4, v7, s7
	v_lshlrev_b32_e32 v7, 2, v7
	s_waitcnt lgkmcnt(0)
	v_cmp_lt_f32_e64 s7, v15, v16
	v_cndmask_b32_e64 v15, v15, v16, s7
	v_cmp_gt_i32_e64 s7, 64, v17
	ds_bpermute_b32 v16, v7, v15
	v_cndmask_b32_e64 v17, v4, v17, s7
	v_lshlrev_b32_e32 v17, 2, v17
	s_waitcnt lgkmcnt(0)
	v_cmp_lt_f32_e64 s7, v15, v16
	v_cndmask_b32_e64 v15, v15, v16, s7
	v_cmp_gt_i32_e64 s7, 64, v18
	ds_bpermute_b32 v16, v17, v15
	;; [unrolled: 7-line block ×3, first 2 shown]
	v_cndmask_b32_e64 v4, v4, v19, s7
	v_lshlrev_b32_e32 v19, 2, v4
	s_waitcnt lgkmcnt(0)
	v_cmp_lt_f32_e64 s7, v15, v16
	v_cndmask_b32_e64 v4, v15, v16, s7
	ds_bpermute_b32 v15, v19, v4
	s_waitcnt lgkmcnt(0)
	v_cmp_lt_f32_e64 s7, v4, v15
	v_cndmask_b32_e64 v15, v4, v15, s7
	v_sub_f32_e32 v4, v8, v15
	v_sub_f32_e32 v6, v6, v15
	;; [unrolled: 1-line block ×5, first 2 shown]
	v_mul_f32_e32 v14, 0x3fb8aa3b, v4
	v_sub_f32_e32 v9, v9, v15
	v_sub_f32_e32 v11, v11, v15
	;; [unrolled: 1-line block ×3, first 2 shown]
	v_mul_f32_e32 v15, 0x3fb8aa3b, v6
	v_fma_f32 v25, 0x3fb8aa3b, v4, -v14
	v_rndne_f32_e32 v26, v14
	v_mul_f32_e32 v16, 0x3fb8aa3b, v8
	v_mul_f32_e32 v20, 0x3fb8aa3b, v9
	v_fma_f32 v27, 0x3fb8aa3b, v6, -v15
	v_rndne_f32_e32 v28, v15
	v_fmac_f32_e32 v25, 0x32a5705f, v4
	v_sub_f32_e32 v14, v14, v26
	v_fma_f32 v29, 0x3fb8aa3b, v8, -v16
	v_rndne_f32_e32 v30, v16
	v_fmac_f32_e32 v27, 0x32a5705f, v6
	v_sub_f32_e32 v15, v15, v28
	v_add_f32_e32 v14, v14, v25
	v_fmac_f32_e32 v29, 0x32a5705f, v8
	v_sub_f32_e32 v16, v16, v30
	v_cvt_i32_f32_e32 v26, v26
	v_add_f32_e32 v15, v15, v27
	v_exp_f32_e32 v14, v14
	v_fma_f32 v31, 0x3fb8aa3b, v9, -v20
	v_add_f32_e32 v16, v16, v29
	v_rndne_f32_e32 v32, v20
	v_exp_f32_e32 v15, v15
	v_cvt_i32_f32_e32 v28, v28
	v_cmp_ngt_f32_e64 s7, 0xc2ce8ed0, v4
	v_exp_f32_e32 v16, v16
	v_mul_f32_e32 v21, 0x3fb8aa3b, v10
	v_cvt_i32_f32_e32 v30, v30
	v_ldexp_f32 v14, v14, v26
	v_fmac_f32_e32 v31, 0x32a5705f, v9
	v_sub_f32_e32 v20, v20, v32
	v_fma_f32 v33, 0x3fb8aa3b, v10, -v21
	v_ldexp_f32 v15, v15, v28
	v_cndmask_b32_e64 v14, 0, v14, s7
	v_cmp_ngt_f32_e64 s7, 0xc2ce8ed0, v6
	v_rndne_f32_e32 v34, v21
	v_add_f32_e32 v20, v20, v31
	v_ldexp_f32 v16, v16, v30
	v_mul_f32_e32 v22, 0x3fb8aa3b, v11
	v_cndmask_b32_e64 v15, 0, v15, s7
	v_cmp_ngt_f32_e64 s7, 0xc2ce8ed0, v8
	v_fmac_f32_e32 v33, 0x32a5705f, v10
	v_sub_f32_e32 v21, v21, v34
	v_exp_f32_e32 v20, v20
	v_fma_f32 v35, 0x3fb8aa3b, v11, -v22
	v_cndmask_b32_e64 v16, 0, v16, s7
	v_cmp_nlt_f32_e64 s7, 0x42b17218, v4
	v_rndne_f32_e32 v36, v22
	v_cvt_i32_f32_e32 v32, v32
	v_add_f32_e32 v21, v21, v33
	v_mul_f32_e32 v23, 0x3fb8aa3b, v12
	v_cndmask_b32_e64 v14, 0x7f800000, v14, s7
	v_cmp_nlt_f32_e64 s7, 0x42b17218, v6
	v_fmac_f32_e32 v35, 0x32a5705f, v11
	v_sub_f32_e32 v22, v22, v36
	v_exp_f32_e32 v21, v21
	v_ldexp_f32 v20, v20, v32
	v_cndmask_b32_e64 v15, 0x7f800000, v15, s7
	v_cmp_ngt_f32_e64 s7, 0xc2ce8ed0, v9
	v_fma_f32 v37, 0x3fb8aa3b, v12, -v23
	v_rndne_f32_e32 v38, v23
	v_cvt_i32_f32_e32 v34, v34
	v_add_f32_e32 v22, v22, v35
	v_cndmask_b32_e64 v20, 0, v20, s7
	v_cmp_nlt_f32_e64 s7, 0x42b17218, v8
	v_fmac_f32_e32 v37, 0x32a5705f, v12
	v_sub_f32_e32 v23, v23, v38
	v_exp_f32_e32 v22, v22
	v_ldexp_f32 v21, v21, v34
	v_cndmask_b32_e64 v16, 0x7f800000, v16, s7
	v_cmp_ngt_f32_e64 s7, 0xc2ce8ed0, v10
	v_mul_f32_e32 v24, 0x3fb8aa3b, v13
	v_cvt_i32_f32_e32 v36, v36
	v_add_f32_e32 v23, v23, v37
	v_add_f32_e32 v14, v14, v15
	v_cndmask_b32_e64 v15, 0, v21, s7
	v_cmp_nlt_f32_e64 s7, 0x42b17218, v9
	v_fma_f32 v39, 0x3fb8aa3b, v13, -v24
	v_rndne_f32_e32 v40, v24
	v_exp_f32_e32 v23, v23
	v_ldexp_f32 v22, v22, v36
	v_cndmask_b32_e64 v20, 0x7f800000, v20, s7
	v_cmp_ngt_f32_e64 s7, 0xc2ce8ed0, v11
	v_fmac_f32_e32 v39, 0x32a5705f, v13
	v_sub_f32_e32 v24, v24, v40
	v_cvt_i32_f32_e32 v25, v38
	v_add_f32_e32 v14, v14, v16
	v_cndmask_b32_e64 v16, 0, v22, s7
	v_cmp_nlt_f32_e64 s7, 0x42b17218, v10
	v_add_f32_e32 v24, v24, v39
	v_ldexp_f32 v23, v23, v25
	v_add_f32_e32 v14, v14, v20
	v_cvt_i32_f32_e32 v27, v40
	v_cndmask_b32_e64 v15, 0x7f800000, v15, s7
	v_cmp_ngt_f32_e64 s7, 0xc2ce8ed0, v12
	v_exp_f32_e32 v24, v24
	v_add_f32_e32 v14, v14, v15
	v_cndmask_b32_e64 v20, 0, v23, s7
	v_cmp_nlt_f32_e64 s7, 0x42b17218, v11
	v_cndmask_b32_e64 v16, 0x7f800000, v16, s7
	v_cmp_nlt_f32_e64 s7, 0x42b17218, v12
	v_ldexp_f32 v15, v24, v27
	v_add_f32_e32 v14, v14, v16
	v_cndmask_b32_e64 v20, 0x7f800000, v20, s7
	v_cmp_ngt_f32_e64 s7, 0xc2ce8ed0, v13
	v_add_f32_e32 v14, v14, v20
	v_cndmask_b32_e64 v15, 0, v15, s7
	v_cmp_nlt_f32_e64 s7, 0x42b17218, v13
	v_cndmask_b32_e64 v15, 0x7f800000, v15, s7
	v_add_f32_e32 v14, v14, v15
	ds_bpermute_b32 v0, v0, v14
	s_waitcnt lgkmcnt(0)
	v_add_f32_e32 v0, v14, v0
	ds_bpermute_b32 v3, v3, v0
	s_waitcnt lgkmcnt(0)
	v_add_f32_e32 v0, v0, v3
	ds_bpermute_b32 v3, v7, v0
	s_waitcnt lgkmcnt(0)
	v_add_f32_e32 v0, v0, v3
	ds_bpermute_b32 v3, v17, v0
	s_waitcnt lgkmcnt(0)
	v_add_f32_e32 v0, v0, v3
	ds_bpermute_b32 v3, v18, v0
	s_waitcnt lgkmcnt(0)
	v_add_f32_e32 v0, v0, v3
	ds_bpermute_b32 v3, v19, v0
	v_cmpx_lt_i32_e32 0, v5
	s_cbranch_execz .LBB88_26
; %bb.17:
	s_and_b32 exec_lo, exec_lo, s1
	s_cbranch_execz .LBB88_26
; %bb.18:
	s_waitcnt lgkmcnt(0)
	v_add_f32_e32 v0, v0, v3
	v_cmp_gt_f32_e64 s1, 0x800000, v0
	v_cndmask_b32_e64 v3, 0, 32, s1
	v_ldexp_f32 v0, v0, v3
	v_log_f32_e32 v0, v0
	v_mul_f32_e32 v3, 0x3f317217, v0
	v_cmp_gt_f32_e64 s7, 0x7f800000, |v0|
	v_fma_f32 v3, 0x3f317217, v0, -v3
	v_fmamk_f32 v3, v0, 0x3377d1cf, v3
	v_fmac_f32_e32 v3, 0x3f317217, v0
	v_cndmask_b32_e64 v0, v0, v3, s7
	v_cndmask_b32_e64 v3, 0, 0x41b17218, s1
	v_sub_f32_e32 v3, v0, v3
	v_add_co_u32 v0, s1, s8, v1
	v_add_co_ci_u32_e64 v1, null, s9, v2, s1
	v_sub_f32_e32 v4, v4, v3
	v_cvt_f16_f32_e32 v2, v4
	global_store_short v[0:1], v2, off
	s_and_b32 exec_lo, exec_lo, vcc_lo
	s_cbranch_execz .LBB88_26
; %bb.19:
	v_sub_f32_e32 v2, v6, v3
	v_cvt_f16_f32_e32 v2, v2
	global_store_short v[0:1], v2, off offset:128
	s_and_b32 exec_lo, exec_lo, s0
	s_cbranch_execz .LBB88_26
; %bb.20:
	v_sub_f32_e32 v2, v8, v3
	v_cvt_f16_f32_e32 v2, v2
	global_store_short v[0:1], v2, off offset:256
	s_and_b32 exec_lo, exec_lo, s2
	;; [unrolled: 6-line block ×6, first 2 shown]
	s_cbranch_execz .LBB88_26
; %bb.25:
	v_sub_f32_e32 v2, v13, v3
	v_cvt_f16_f32_e32 v2, v2
	global_store_short v[0:1], v2, off offset:896
.LBB88_26:
	s_endpgm
	.section	.rodata,"a",@progbits
	.p2align	6, 0x0
	.amdhsa_kernel _ZN12_GLOBAL__N_120softmax_warp_forwardIN3c104HalfES2_fLi9ELb1ELb0ELi64EEEvPT0_PKT_iiiPKbib
		.amdhsa_group_segment_fixed_size 0
		.amdhsa_private_segment_fixed_size 0
		.amdhsa_kernarg_size 304
		.amdhsa_user_sgpr_count 6
		.amdhsa_user_sgpr_private_segment_buffer 1
		.amdhsa_user_sgpr_dispatch_ptr 0
		.amdhsa_user_sgpr_queue_ptr 0
		.amdhsa_user_sgpr_kernarg_segment_ptr 1
		.amdhsa_user_sgpr_dispatch_id 0
		.amdhsa_user_sgpr_flat_scratch_init 0
		.amdhsa_user_sgpr_private_segment_size 0
		.amdhsa_wavefront_size32 1
		.amdhsa_uses_dynamic_stack 0
		.amdhsa_system_sgpr_private_segment_wavefront_offset 0
		.amdhsa_system_sgpr_workgroup_id_x 1
		.amdhsa_system_sgpr_workgroup_id_y 0
		.amdhsa_system_sgpr_workgroup_id_z 0
		.amdhsa_system_sgpr_workgroup_info 0
		.amdhsa_system_vgpr_workitem_id 1
		.amdhsa_next_free_vgpr 41
		.amdhsa_next_free_sgpr 16
		.amdhsa_reserve_vcc 1
		.amdhsa_reserve_flat_scratch 0
		.amdhsa_float_round_mode_32 0
		.amdhsa_float_round_mode_16_64 0
		.amdhsa_float_denorm_mode_32 3
		.amdhsa_float_denorm_mode_16_64 3
		.amdhsa_dx10_clamp 1
		.amdhsa_ieee_mode 1
		.amdhsa_fp16_overflow 0
		.amdhsa_workgroup_processor_mode 1
		.amdhsa_memory_ordered 1
		.amdhsa_forward_progress 1
		.amdhsa_shared_vgpr_count 0
		.amdhsa_exception_fp_ieee_invalid_op 0
		.amdhsa_exception_fp_denorm_src 0
		.amdhsa_exception_fp_ieee_div_zero 0
		.amdhsa_exception_fp_ieee_overflow 0
		.amdhsa_exception_fp_ieee_underflow 0
		.amdhsa_exception_fp_ieee_inexact 0
		.amdhsa_exception_int_div_zero 0
	.end_amdhsa_kernel
	.section	.text._ZN12_GLOBAL__N_120softmax_warp_forwardIN3c104HalfES2_fLi9ELb1ELb0ELi64EEEvPT0_PKT_iiiPKbib,"axG",@progbits,_ZN12_GLOBAL__N_120softmax_warp_forwardIN3c104HalfES2_fLi9ELb1ELb0ELi64EEEvPT0_PKT_iiiPKbib,comdat
.Lfunc_end88:
	.size	_ZN12_GLOBAL__N_120softmax_warp_forwardIN3c104HalfES2_fLi9ELb1ELb0ELi64EEEvPT0_PKT_iiiPKbib, .Lfunc_end88-_ZN12_GLOBAL__N_120softmax_warp_forwardIN3c104HalfES2_fLi9ELb1ELb0ELi64EEEvPT0_PKT_iiiPKbib
                                        ; -- End function
	.set _ZN12_GLOBAL__N_120softmax_warp_forwardIN3c104HalfES2_fLi9ELb1ELb0ELi64EEEvPT0_PKT_iiiPKbib.num_vgpr, 41
	.set _ZN12_GLOBAL__N_120softmax_warp_forwardIN3c104HalfES2_fLi9ELb1ELb0ELi64EEEvPT0_PKT_iiiPKbib.num_agpr, 0
	.set _ZN12_GLOBAL__N_120softmax_warp_forwardIN3c104HalfES2_fLi9ELb1ELb0ELi64EEEvPT0_PKT_iiiPKbib.numbered_sgpr, 16
	.set _ZN12_GLOBAL__N_120softmax_warp_forwardIN3c104HalfES2_fLi9ELb1ELb0ELi64EEEvPT0_PKT_iiiPKbib.num_named_barrier, 0
	.set _ZN12_GLOBAL__N_120softmax_warp_forwardIN3c104HalfES2_fLi9ELb1ELb0ELi64EEEvPT0_PKT_iiiPKbib.private_seg_size, 0
	.set _ZN12_GLOBAL__N_120softmax_warp_forwardIN3c104HalfES2_fLi9ELb1ELb0ELi64EEEvPT0_PKT_iiiPKbib.uses_vcc, 1
	.set _ZN12_GLOBAL__N_120softmax_warp_forwardIN3c104HalfES2_fLi9ELb1ELb0ELi64EEEvPT0_PKT_iiiPKbib.uses_flat_scratch, 0
	.set _ZN12_GLOBAL__N_120softmax_warp_forwardIN3c104HalfES2_fLi9ELb1ELb0ELi64EEEvPT0_PKT_iiiPKbib.has_dyn_sized_stack, 0
	.set _ZN12_GLOBAL__N_120softmax_warp_forwardIN3c104HalfES2_fLi9ELb1ELb0ELi64EEEvPT0_PKT_iiiPKbib.has_recursion, 0
	.set _ZN12_GLOBAL__N_120softmax_warp_forwardIN3c104HalfES2_fLi9ELb1ELb0ELi64EEEvPT0_PKT_iiiPKbib.has_indirect_call, 0
	.section	.AMDGPU.csdata,"",@progbits
; Kernel info:
; codeLenInByte = 2232
; TotalNumSgprs: 18
; NumVgprs: 41
; ScratchSize: 0
; MemoryBound: 0
; FloatMode: 240
; IeeeMode: 1
; LDSByteSize: 0 bytes/workgroup (compile time only)
; SGPRBlocks: 0
; VGPRBlocks: 5
; NumSGPRsForWavesPerEU: 18
; NumVGPRsForWavesPerEU: 41
; Occupancy: 16
; WaveLimiterHint : 0
; COMPUTE_PGM_RSRC2:SCRATCH_EN: 0
; COMPUTE_PGM_RSRC2:USER_SGPR: 6
; COMPUTE_PGM_RSRC2:TRAP_HANDLER: 0
; COMPUTE_PGM_RSRC2:TGID_X_EN: 1
; COMPUTE_PGM_RSRC2:TGID_Y_EN: 0
; COMPUTE_PGM_RSRC2:TGID_Z_EN: 0
; COMPUTE_PGM_RSRC2:TIDIG_COMP_CNT: 1
	.section	.text._ZN12_GLOBAL__N_120softmax_warp_forwardIN3c104HalfES2_fLi9ELb1ELb0ELi32EEEvPT0_PKT_iiiPKbib,"axG",@progbits,_ZN12_GLOBAL__N_120softmax_warp_forwardIN3c104HalfES2_fLi9ELb1ELb0ELi32EEEvPT0_PKT_iiiPKbib,comdat
	.globl	_ZN12_GLOBAL__N_120softmax_warp_forwardIN3c104HalfES2_fLi9ELb1ELb0ELi32EEEvPT0_PKT_iiiPKbib ; -- Begin function _ZN12_GLOBAL__N_120softmax_warp_forwardIN3c104HalfES2_fLi9ELb1ELb0ELi32EEEvPT0_PKT_iiiPKbib
	.p2align	8
	.type	_ZN12_GLOBAL__N_120softmax_warp_forwardIN3c104HalfES2_fLi9ELb1ELb0ELi32EEEvPT0_PKT_iiiPKbib,@function
_ZN12_GLOBAL__N_120softmax_warp_forwardIN3c104HalfES2_fLi9ELb1ELb0ELi32EEEvPT0_PKT_iiiPKbib: ; @_ZN12_GLOBAL__N_120softmax_warp_forwardIN3c104HalfES2_fLi9ELb1ELb0ELi32EEEvPT0_PKT_iiiPKbib
; %bb.0:
	s_clause 0x1
	s_load_dword s0, s[4:5], 0x3c
	s_load_dwordx8 s[16:23], s[4:5], 0x0
	v_mov_b32_e32 v7, 0xff800000
	v_mov_b32_e32 v11, 0xff800000
	s_waitcnt lgkmcnt(0)
	s_lshr_b32 s0, s0, 16
	v_cmp_gt_i32_e64 s1, s22, v0
	v_mad_u64_u32 v[1:2], null, s6, s0, v[1:2]
	v_mad_u64_u32 v[2:3], null, v1, s21, v[0:1]
	v_sub_nc_u32_e32 v5, s20, v1
	v_cmp_lt_i32_e64 s15, 0, v5
	v_ashrrev_i32_e32 v3, 31, v2
	s_and_b32 s2, s15, s1
	v_lshlrev_b64 v[1:2], 1, v[2:3]
	v_add_co_u32 v3, vcc_lo, s18, v1
	v_add_co_ci_u32_e64 v4, null, s19, v2, vcc_lo
	s_and_saveexec_b32 s0, s2
	s_cbranch_execz .LBB89_2
; %bb.1:
	global_load_ushort v6, v[3:4], off
	s_waitcnt vmcnt(0)
	v_cvt_f32_f16_e32 v11, v6
.LBB89_2:
	s_or_b32 exec_lo, exec_lo, s0
	v_add_nc_u32_e32 v6, 32, v0
	v_cmp_gt_i32_e32 vcc_lo, s22, v6
	s_and_b32 s2, s15, vcc_lo
	s_and_saveexec_b32 s0, s2
	s_cbranch_execz .LBB89_4
; %bb.3:
	global_load_ushort v6, v[3:4], off offset:64
	s_waitcnt vmcnt(0)
	v_cvt_f32_f16_e32 v7, v6
.LBB89_4:
	s_or_b32 exec_lo, exec_lo, s0
	v_add_nc_u32_e32 v6, 64, v0
	v_mov_b32_e32 v9, 0xff800000
	v_mov_b32_e32 v14, 0xff800000
	v_cmp_gt_i32_e64 s0, s22, v6
	s_and_b32 s3, s15, s0
	s_and_saveexec_b32 s2, s3
	s_cbranch_execz .LBB89_6
; %bb.5:
	global_load_ushort v6, v[3:4], off offset:128
	s_waitcnt vmcnt(0)
	v_cvt_f32_f16_e32 v14, v6
.LBB89_6:
	s_or_b32 exec_lo, exec_lo, s2
	v_add_nc_u32_e32 v6, 0x60, v0
	v_cmp_gt_i32_e64 s2, s22, v6
	s_and_b32 s4, s15, s2
	s_and_saveexec_b32 s3, s4
	s_cbranch_execz .LBB89_8
; %bb.7:
	global_load_ushort v6, v[3:4], off offset:192
	s_waitcnt vmcnt(0)
	v_cvt_f32_f16_e32 v9, v6
.LBB89_8:
	s_or_b32 exec_lo, exec_lo, s3
	v_add_nc_u32_e32 v6, 0x80, v0
	v_mov_b32_e32 v13, 0xff800000
	v_mov_b32_e32 v16, 0xff800000
	v_cmp_gt_i32_e64 s3, s22, v6
	s_and_b32 s5, s15, s3
	s_and_saveexec_b32 s4, s5
	s_cbranch_execz .LBB89_10
; %bb.9:
	global_load_ushort v6, v[3:4], off offset:256
	s_waitcnt vmcnt(0)
	v_cvt_f32_f16_e32 v16, v6
.LBB89_10:
	s_or_b32 exec_lo, exec_lo, s4
	v_add_nc_u32_e32 v6, 0xa0, v0
	v_cmp_gt_i32_e64 s4, s22, v6
	s_and_b32 s6, s15, s4
	;; [unrolled: 24-line block ×7, first 2 shown]
	s_and_saveexec_b32 s15, s18
	s_cbranch_execz .LBB89_32
; %bb.31:
	global_load_ushort v0, v[3:4], off offset:960
	s_waitcnt vmcnt(0)
	v_cvt_f32_f16_e32 v23, v0
.LBB89_32:
	s_or_b32 exec_lo, exec_lo, s15
	v_cmp_gt_f32_e64 s15, v11, v7
	v_mbcnt_lo_u32_b32 v3, -1, 0
	s_mov_b32 s18, exec_lo
	v_cndmask_b32_e64 v0, v7, v11, s15
	v_xor_b32_e32 v4, 16, v3
	v_cmp_gt_f32_e64 s15, v0, v14
	v_cndmask_b32_e64 v0, v14, v0, s15
	v_cmp_gt_f32_e64 s15, v0, v9
	v_cndmask_b32_e64 v0, v9, v0, s15
	;; [unrolled: 2-line block ×12, first 2 shown]
	v_cmp_gt_i32_e64 s15, 32, v4
	v_cndmask_b32_e64 v4, v3, v4, s15
	v_cmp_gt_f32_e64 s15, v0, v25
	v_cndmask_b32_e64 v6, v25, v0, s15
	v_lshlrev_b32_e32 v0, 2, v4
	v_cmp_gt_f32_e64 s15, v6, v23
	v_cndmask_b32_e64 v4, v23, v6, s15
	v_xor_b32_e32 v6, 8, v3
	ds_bpermute_b32 v8, v0, v4
	v_cmp_gt_i32_e64 s15, 32, v6
	v_cndmask_b32_e64 v6, v3, v6, s15
	v_lshlrev_b32_e32 v6, 2, v6
	s_waitcnt lgkmcnt(0)
	v_cmp_lt_f32_e64 s15, v4, v8
	v_cndmask_b32_e64 v4, v4, v8, s15
	v_xor_b32_e32 v8, 4, v3
	ds_bpermute_b32 v10, v6, v4
	v_cmp_gt_i32_e64 s15, 32, v8
	v_cndmask_b32_e64 v8, v3, v8, s15
	v_lshlrev_b32_e32 v8, 2, v8
	s_waitcnt lgkmcnt(0)
	v_cmp_lt_f32_e64 s15, v4, v10
	;; [unrolled: 8-line block ×4, first 2 shown]
	v_cndmask_b32_e64 v3, v4, v26, s15
	ds_bpermute_b32 v4, v12, v3
	s_waitcnt lgkmcnt(0)
	v_cmp_lt_f32_e64 s15, v3, v4
	v_cndmask_b32_e64 v26, v3, v4, s15
	v_sub_f32_e32 v3, v11, v26
	v_sub_f32_e32 v4, v7, v26
	;; [unrolled: 1-line block ×5, first 2 shown]
	v_mul_f32_e32 v24, 0x3fb8aa3b, v3
	v_sub_f32_e32 v7, v14, v26
	v_sub_f32_e32 v14, v18, v26
	;; [unrolled: 1-line block ×4, first 2 shown]
	v_mul_f32_e32 v25, 0x3fb8aa3b, v4
	v_fma_f32 v40, 0x3fb8aa3b, v3, -v24
	v_rndne_f32_e32 v41, v24
	v_sub_f32_e32 v9, v9, v26
	v_sub_f32_e32 v13, v13, v26
	;; [unrolled: 1-line block ×7, first 2 shown]
	v_mul_f32_e32 v26, 0x3fb8aa3b, v7
	v_fma_f32 v42, 0x3fb8aa3b, v4, -v25
	v_rndne_f32_e32 v43, v25
	v_fmac_f32_e32 v40, 0x32a5705f, v3
	v_sub_f32_e32 v24, v24, v41
	v_fma_f32 v44, 0x3fb8aa3b, v7, -v26
	v_rndne_f32_e32 v45, v26
	v_fmac_f32_e32 v42, 0x32a5705f, v4
	v_sub_f32_e32 v25, v25, v43
	v_add_f32_e32 v24, v24, v40
	v_fmac_f32_e32 v44, 0x32a5705f, v7
	v_sub_f32_e32 v26, v26, v45
	v_mul_f32_e32 v27, 0x3fb8aa3b, v9
	v_add_f32_e32 v25, v25, v42
	v_exp_f32_e32 v24, v24
	v_cvt_i32_f32_e32 v41, v41
	v_add_f32_e32 v26, v26, v44
	v_fma_f32 v46, 0x3fb8aa3b, v9, -v27
	v_exp_f32_e32 v25, v25
	v_rndne_f32_e32 v47, v27
	v_cvt_i32_f32_e32 v43, v43
	v_exp_f32_e32 v26, v26
	v_cmp_ngt_f32_e64 s15, 0xc2ce8ed0, v3
	v_mul_f32_e32 v28, 0x3fb8aa3b, v11
	v_ldexp_f32 v24, v24, v41
	v_fmac_f32_e32 v46, 0x32a5705f, v9
	v_sub_f32_e32 v27, v27, v47
	v_cvt_i32_f32_e32 v45, v45
	v_ldexp_f32 v25, v25, v43
	v_cndmask_b32_e64 v24, 0, v24, s15
	v_cmp_ngt_f32_e64 s15, 0xc2ce8ed0, v4
	v_fma_f32 v48, 0x3fb8aa3b, v11, -v28
	v_rndne_f32_e32 v49, v28
	v_add_f32_e32 v27, v27, v46
	v_ldexp_f32 v26, v26, v45
	v_cndmask_b32_e64 v25, 0, v25, s15
	v_cmp_ngt_f32_e64 s15, 0xc2ce8ed0, v7
	v_mul_f32_e32 v29, 0x3fb8aa3b, v13
	v_fmac_f32_e32 v48, 0x32a5705f, v11
	v_sub_f32_e32 v28, v28, v49
	v_exp_f32_e32 v27, v27
	v_cndmask_b32_e64 v26, 0, v26, s15
	v_cmp_nlt_f32_e64 s15, 0x42b17218, v3
	v_fma_f32 v50, 0x3fb8aa3b, v13, -v29
	v_rndne_f32_e32 v51, v29
	v_add_f32_e32 v28, v28, v48
	v_cvt_i32_f32_e32 v47, v47
	v_cndmask_b32_e64 v24, 0x7f800000, v24, s15
	v_cmp_nlt_f32_e64 s15, 0x42b17218, v4
	v_mul_f32_e32 v30, 0x3fb8aa3b, v14
	v_fmac_f32_e32 v50, 0x32a5705f, v13
	v_sub_f32_e32 v29, v29, v51
	v_exp_f32_e32 v28, v28
	v_ldexp_f32 v27, v27, v47
	v_cndmask_b32_e64 v25, 0x7f800000, v25, s15
	v_cmp_ngt_f32_e64 s15, 0xc2ce8ed0, v9
	v_fma_f32 v52, 0x3fb8aa3b, v14, -v30
	v_rndne_f32_e32 v53, v30
	v_add_f32_e32 v29, v29, v50
	v_cvt_i32_f32_e32 v49, v49
	v_cndmask_b32_e64 v27, 0, v27, s15
	v_cmp_nlt_f32_e64 s15, 0x42b17218, v7
	v_mul_f32_e32 v31, 0x3fb8aa3b, v15
	v_fmac_f32_e32 v52, 0x32a5705f, v14
	v_sub_f32_e32 v30, v30, v53
	v_exp_f32_e32 v29, v29
	v_ldexp_f32 v28, v28, v49
	v_cndmask_b32_e64 v26, 0x7f800000, v26, s15
	v_cmp_ngt_f32_e64 s15, 0xc2ce8ed0, v11
	v_fma_f32 v54, 0x3fb8aa3b, v15, -v31
	v_rndne_f32_e32 v55, v31
	v_add_f32_e32 v30, v30, v52
	v_cvt_i32_f32_e32 v51, v51
	v_add_f32_e32 v24, v24, v25
	v_cndmask_b32_e64 v25, 0, v28, s15
	v_cmp_nlt_f32_e64 s15, 0x42b17218, v9
	v_mul_f32_e32 v32, 0x3fb8aa3b, v16
	v_fmac_f32_e32 v54, 0x32a5705f, v15
	v_sub_f32_e32 v31, v31, v55
	v_exp_f32_e32 v30, v30
	v_ldexp_f32 v29, v29, v51
	v_cndmask_b32_e64 v27, 0x7f800000, v27, s15
	v_cmp_ngt_f32_e64 s15, 0xc2ce8ed0, v13
	v_fma_f32 v56, 0x3fb8aa3b, v16, -v32
	v_rndne_f32_e32 v57, v32
	v_add_f32_e32 v31, v31, v54
	v_cvt_i32_f32_e32 v53, v53
	v_add_f32_e32 v24, v24, v26
	;; [unrolled: 14-line block ×4, first 2 shown]
	v_cndmask_b32_e64 v25, 0, v31, s15
	v_cmp_nlt_f32_e64 s15, 0x42b17218, v14
	v_mul_f32_e32 v35, 0x3fb8aa3b, v19
	v_fmac_f32_e32 v60, 0x32a5705f, v18
	v_sub_f32_e32 v34, v34, v61
	v_exp_f32_e32 v33, v33
	v_ldexp_f32 v32, v32, v57
	v_cndmask_b32_e64 v27, 0x7f800000, v27, s15
	v_cmp_ngt_f32_e64 s15, 0xc2ce8ed0, v16
	v_fma_f32 v40, 0x3fb8aa3b, v19, -v35
	v_rndne_f32_e32 v42, v35
	v_cvt_i32_f32_e32 v59, v59
	v_add_f32_e32 v34, v34, v60
	v_add_f32_e32 v24, v24, v26
	v_cndmask_b32_e64 v26, 0, v32, s15
	v_cmp_nlt_f32_e64 s15, 0x42b17218, v15
	v_mul_f32_e32 v36, 0x3fb8aa3b, v20
	v_fmac_f32_e32 v40, 0x32a5705f, v19
	v_sub_f32_e32 v35, v35, v42
	v_exp_f32_e32 v34, v34
	v_ldexp_f32 v33, v33, v59
	v_cndmask_b32_e64 v25, 0x7f800000, v25, s15
	v_cmp_ngt_f32_e64 s15, 0xc2ce8ed0, v17
	v_fma_f32 v44, 0x3fb8aa3b, v20, -v36
	v_rndne_f32_e32 v46, v36
	v_cvt_i32_f32_e32 v61, v61
	v_add_f32_e32 v35, v35, v40
	v_add_f32_e32 v24, v24, v27
	;; [unrolled: 14-line block ×4, first 2 shown]
	v_cndmask_b32_e64 v26, 0, v35, s15
	v_cmp_nlt_f32_e64 s15, 0x42b17218, v18
	v_fmac_f32_e32 v52, 0x32a5705f, v22
	v_sub_f32_e32 v38, v38, v54
	v_exp_f32_e32 v37, v37
	v_ldexp_f32 v36, v36, v46
	v_cndmask_b32_e64 v25, 0x7f800000, v25, s15
	v_cmp_ngt_f32_e64 s15, 0xc2ce8ed0, v20
	v_mul_f32_e32 v39, 0x3fb8aa3b, v23
	v_cvt_i32_f32_e32 v50, v50
	v_add_f32_e32 v38, v38, v52
	v_add_f32_e32 v24, v24, v27
	v_cndmask_b32_e64 v27, 0, v36, s15
	v_cmp_nlt_f32_e64 s15, 0x42b17218, v19
	v_fma_f32 v56, 0x3fb8aa3b, v23, -v39
	v_rndne_f32_e32 v58, v39
	v_exp_f32_e32 v38, v38
	v_ldexp_f32 v37, v37, v50
	v_cndmask_b32_e64 v26, 0x7f800000, v26, s15
	v_cmp_ngt_f32_e64 s15, 0xc2ce8ed0, v21
	v_cvt_i32_f32_e32 v54, v54
	v_fmac_f32_e32 v56, 0x32a5705f, v23
	v_sub_f32_e32 v39, v39, v58
	v_add_f32_e32 v24, v24, v25
	v_cndmask_b32_e64 v25, 0, v37, s15
	v_cmp_nlt_f32_e64 s15, 0x42b17218, v20
	v_ldexp_f32 v38, v38, v54
	v_add_f32_e32 v39, v39, v56
	v_add_f32_e32 v24, v24, v26
	v_cvt_i32_f32_e32 v58, v58
	v_cndmask_b32_e64 v27, 0x7f800000, v27, s15
	v_cmp_ngt_f32_e64 s15, 0xc2ce8ed0, v22
	v_exp_f32_e32 v39, v39
	v_add_f32_e32 v24, v24, v27
	v_cndmask_b32_e64 v26, 0, v38, s15
	v_cmp_nlt_f32_e64 s15, 0x42b17218, v21
	v_cndmask_b32_e64 v25, 0x7f800000, v25, s15
	v_cmp_nlt_f32_e64 s15, 0x42b17218, v22
	v_ldexp_f32 v27, v39, v58
	v_add_f32_e32 v24, v24, v25
	v_cndmask_b32_e64 v26, 0x7f800000, v26, s15
	v_cmp_ngt_f32_e64 s15, 0xc2ce8ed0, v23
	v_add_f32_e32 v24, v24, v26
	v_cndmask_b32_e64 v25, 0, v27, s15
	v_cmp_nlt_f32_e64 s15, 0x42b17218, v23
	v_cndmask_b32_e64 v25, 0x7f800000, v25, s15
	v_add_f32_e32 v24, v24, v25
	ds_bpermute_b32 v0, v0, v24
	s_waitcnt lgkmcnt(0)
	v_add_f32_e32 v0, v24, v0
	ds_bpermute_b32 v6, v6, v0
	s_waitcnt lgkmcnt(0)
	;; [unrolled: 3-line block ×4, first 2 shown]
	v_add_f32_e32 v0, v0, v6
	ds_bpermute_b32 v6, v12, v0
	v_cmpx_lt_i32_e32 0, v5
	s_cbranch_execz .LBB89_50
; %bb.33:
	s_and_b32 exec_lo, exec_lo, s1
	s_cbranch_execz .LBB89_50
; %bb.34:
	s_waitcnt lgkmcnt(0)
	v_add_f32_e32 v0, v0, v6
	v_cmp_gt_f32_e64 s1, 0x800000, v0
	v_cndmask_b32_e64 v5, 0, 32, s1
	v_ldexp_f32 v0, v0, v5
	v_log_f32_e32 v0, v0
	v_mul_f32_e32 v5, 0x3f317217, v0
	v_cmp_gt_f32_e64 s15, 0x7f800000, |v0|
	v_fma_f32 v5, 0x3f317217, v0, -v5
	v_fmamk_f32 v5, v0, 0x3377d1cf, v5
	v_fmac_f32_e32 v5, 0x3f317217, v0
	v_cndmask_b32_e64 v0, v0, v5, s15
	v_cndmask_b32_e64 v5, 0, 0x41b17218, s1
	v_sub_f32_e32 v5, v0, v5
	v_add_co_u32 v0, s1, s16, v1
	v_add_co_ci_u32_e64 v1, null, s17, v2, s1
	v_sub_f32_e32 v3, v3, v5
	v_cvt_f16_f32_e32 v2, v3
	global_store_short v[0:1], v2, off
	s_and_b32 exec_lo, exec_lo, vcc_lo
	s_cbranch_execz .LBB89_50
; %bb.35:
	v_sub_f32_e32 v2, v4, v5
	v_cvt_f16_f32_e32 v2, v2
	global_store_short v[0:1], v2, off offset:64
	s_and_b32 exec_lo, exec_lo, s0
	s_cbranch_execz .LBB89_50
; %bb.36:
	v_sub_f32_e32 v2, v7, v5
	v_cvt_f16_f32_e32 v2, v2
	global_store_short v[0:1], v2, off offset:128
	s_and_b32 exec_lo, exec_lo, s2
	;; [unrolled: 6-line block ×14, first 2 shown]
	s_cbranch_execz .LBB89_50
; %bb.49:
	v_sub_f32_e32 v2, v23, v5
	v_cvt_f16_f32_e32 v2, v2
	global_store_short v[0:1], v2, off offset:960
.LBB89_50:
	s_endpgm
	.section	.rodata,"a",@progbits
	.p2align	6, 0x0
	.amdhsa_kernel _ZN12_GLOBAL__N_120softmax_warp_forwardIN3c104HalfES2_fLi9ELb1ELb0ELi32EEEvPT0_PKT_iiiPKbib
		.amdhsa_group_segment_fixed_size 0
		.amdhsa_private_segment_fixed_size 0
		.amdhsa_kernarg_size 304
		.amdhsa_user_sgpr_count 6
		.amdhsa_user_sgpr_private_segment_buffer 1
		.amdhsa_user_sgpr_dispatch_ptr 0
		.amdhsa_user_sgpr_queue_ptr 0
		.amdhsa_user_sgpr_kernarg_segment_ptr 1
		.amdhsa_user_sgpr_dispatch_id 0
		.amdhsa_user_sgpr_flat_scratch_init 0
		.amdhsa_user_sgpr_private_segment_size 0
		.amdhsa_wavefront_size32 1
		.amdhsa_uses_dynamic_stack 0
		.amdhsa_system_sgpr_private_segment_wavefront_offset 0
		.amdhsa_system_sgpr_workgroup_id_x 1
		.amdhsa_system_sgpr_workgroup_id_y 0
		.amdhsa_system_sgpr_workgroup_id_z 0
		.amdhsa_system_sgpr_workgroup_info 0
		.amdhsa_system_vgpr_workitem_id 1
		.amdhsa_next_free_vgpr 62
		.amdhsa_next_free_sgpr 24
		.amdhsa_reserve_vcc 1
		.amdhsa_reserve_flat_scratch 0
		.amdhsa_float_round_mode_32 0
		.amdhsa_float_round_mode_16_64 0
		.amdhsa_float_denorm_mode_32 3
		.amdhsa_float_denorm_mode_16_64 3
		.amdhsa_dx10_clamp 1
		.amdhsa_ieee_mode 1
		.amdhsa_fp16_overflow 0
		.amdhsa_workgroup_processor_mode 1
		.amdhsa_memory_ordered 1
		.amdhsa_forward_progress 1
		.amdhsa_shared_vgpr_count 0
		.amdhsa_exception_fp_ieee_invalid_op 0
		.amdhsa_exception_fp_denorm_src 0
		.amdhsa_exception_fp_ieee_div_zero 0
		.amdhsa_exception_fp_ieee_overflow 0
		.amdhsa_exception_fp_ieee_underflow 0
		.amdhsa_exception_fp_ieee_inexact 0
		.amdhsa_exception_int_div_zero 0
	.end_amdhsa_kernel
	.section	.text._ZN12_GLOBAL__N_120softmax_warp_forwardIN3c104HalfES2_fLi9ELb1ELb0ELi32EEEvPT0_PKT_iiiPKbib,"axG",@progbits,_ZN12_GLOBAL__N_120softmax_warp_forwardIN3c104HalfES2_fLi9ELb1ELb0ELi32EEEvPT0_PKT_iiiPKbib,comdat
.Lfunc_end89:
	.size	_ZN12_GLOBAL__N_120softmax_warp_forwardIN3c104HalfES2_fLi9ELb1ELb0ELi32EEEvPT0_PKT_iiiPKbib, .Lfunc_end89-_ZN12_GLOBAL__N_120softmax_warp_forwardIN3c104HalfES2_fLi9ELb1ELb0ELi32EEEvPT0_PKT_iiiPKbib
                                        ; -- End function
	.set _ZN12_GLOBAL__N_120softmax_warp_forwardIN3c104HalfES2_fLi9ELb1ELb0ELi32EEEvPT0_PKT_iiiPKbib.num_vgpr, 62
	.set _ZN12_GLOBAL__N_120softmax_warp_forwardIN3c104HalfES2_fLi9ELb1ELb0ELi32EEEvPT0_PKT_iiiPKbib.num_agpr, 0
	.set _ZN12_GLOBAL__N_120softmax_warp_forwardIN3c104HalfES2_fLi9ELb1ELb0ELi32EEEvPT0_PKT_iiiPKbib.numbered_sgpr, 24
	.set _ZN12_GLOBAL__N_120softmax_warp_forwardIN3c104HalfES2_fLi9ELb1ELb0ELi32EEEvPT0_PKT_iiiPKbib.num_named_barrier, 0
	.set _ZN12_GLOBAL__N_120softmax_warp_forwardIN3c104HalfES2_fLi9ELb1ELb0ELi32EEEvPT0_PKT_iiiPKbib.private_seg_size, 0
	.set _ZN12_GLOBAL__N_120softmax_warp_forwardIN3c104HalfES2_fLi9ELb1ELb0ELi32EEEvPT0_PKT_iiiPKbib.uses_vcc, 1
	.set _ZN12_GLOBAL__N_120softmax_warp_forwardIN3c104HalfES2_fLi9ELb1ELb0ELi32EEEvPT0_PKT_iiiPKbib.uses_flat_scratch, 0
	.set _ZN12_GLOBAL__N_120softmax_warp_forwardIN3c104HalfES2_fLi9ELb1ELb0ELi32EEEvPT0_PKT_iiiPKbib.has_dyn_sized_stack, 0
	.set _ZN12_GLOBAL__N_120softmax_warp_forwardIN3c104HalfES2_fLi9ELb1ELb0ELi32EEEvPT0_PKT_iiiPKbib.has_recursion, 0
	.set _ZN12_GLOBAL__N_120softmax_warp_forwardIN3c104HalfES2_fLi9ELb1ELb0ELi32EEEvPT0_PKT_iiiPKbib.has_indirect_call, 0
	.section	.AMDGPU.csdata,"",@progbits
; Kernel info:
; codeLenInByte = 3792
; TotalNumSgprs: 26
; NumVgprs: 62
; ScratchSize: 0
; MemoryBound: 0
; FloatMode: 240
; IeeeMode: 1
; LDSByteSize: 0 bytes/workgroup (compile time only)
; SGPRBlocks: 0
; VGPRBlocks: 7
; NumSGPRsForWavesPerEU: 26
; NumVGPRsForWavesPerEU: 62
; Occupancy: 16
; WaveLimiterHint : 0
; COMPUTE_PGM_RSRC2:SCRATCH_EN: 0
; COMPUTE_PGM_RSRC2:USER_SGPR: 6
; COMPUTE_PGM_RSRC2:TRAP_HANDLER: 0
; COMPUTE_PGM_RSRC2:TGID_X_EN: 1
; COMPUTE_PGM_RSRC2:TGID_Y_EN: 0
; COMPUTE_PGM_RSRC2:TGID_Z_EN: 0
; COMPUTE_PGM_RSRC2:TIDIG_COMP_CNT: 1
	.section	.text._ZN12_GLOBAL__N_120softmax_warp_forwardIN3c104HalfES2_fLi10ELb1ELb0ELi64EEEvPT0_PKT_iiiPKbib,"axG",@progbits,_ZN12_GLOBAL__N_120softmax_warp_forwardIN3c104HalfES2_fLi10ELb1ELb0ELi64EEEvPT0_PKT_iiiPKbib,comdat
	.globl	_ZN12_GLOBAL__N_120softmax_warp_forwardIN3c104HalfES2_fLi10ELb1ELb0ELi64EEEvPT0_PKT_iiiPKbib ; -- Begin function _ZN12_GLOBAL__N_120softmax_warp_forwardIN3c104HalfES2_fLi10ELb1ELb0ELi64EEEvPT0_PKT_iiiPKbib
	.p2align	8
	.type	_ZN12_GLOBAL__N_120softmax_warp_forwardIN3c104HalfES2_fLi10ELb1ELb0ELi64EEEvPT0_PKT_iiiPKbib,@function
_ZN12_GLOBAL__N_120softmax_warp_forwardIN3c104HalfES2_fLi10ELb1ELb0ELi64EEEvPT0_PKT_iiiPKbib: ; @_ZN12_GLOBAL__N_120softmax_warp_forwardIN3c104HalfES2_fLi10ELb1ELb0ELi64EEEvPT0_PKT_iiiPKbib
; %bb.0:
	s_clause 0x1
	s_load_dword s0, s[4:5], 0x3c
	s_load_dwordx8 s[16:23], s[4:5], 0x0
	v_mov_b32_e32 v6, 0xff800000
	v_mov_b32_e32 v8, 0xff800000
	s_waitcnt lgkmcnt(0)
	s_lshr_b32 s0, s0, 16
	v_cmp_gt_i32_e64 s1, s22, v0
	v_mad_u64_u32 v[1:2], null, s6, s0, v[1:2]
	v_mad_u64_u32 v[2:3], null, v1, s21, v[0:1]
	v_sub_nc_u32_e32 v5, s20, v1
	v_cmp_lt_i32_e64 s15, 0, v5
	v_ashrrev_i32_e32 v3, 31, v2
	s_and_b32 s2, s15, s1
	v_lshlrev_b64 v[1:2], 1, v[2:3]
	v_add_co_u32 v3, vcc_lo, s18, v1
	v_add_co_ci_u32_e64 v4, null, s19, v2, vcc_lo
	s_and_saveexec_b32 s0, s2
	s_cbranch_execz .LBB90_2
; %bb.1:
	global_load_ushort v7, v[3:4], off
	s_waitcnt vmcnt(0)
	v_cvt_f32_f16_e32 v8, v7
.LBB90_2:
	s_or_b32 exec_lo, exec_lo, s0
	v_add_nc_u32_e32 v7, 64, v0
	v_cmp_gt_i32_e32 vcc_lo, s22, v7
	s_and_b32 s2, s15, vcc_lo
	s_and_saveexec_b32 s0, s2
	s_cbranch_execz .LBB90_4
; %bb.3:
	global_load_ushort v6, v[3:4], off offset:128
	s_waitcnt vmcnt(0)
	v_cvt_f32_f16_e32 v6, v6
.LBB90_4:
	s_or_b32 exec_lo, exec_lo, s0
	v_add_nc_u32_e32 v7, 0x80, v0
	v_mov_b32_e32 v10, 0xff800000
	v_mov_b32_e32 v12, 0xff800000
	v_cmp_gt_i32_e64 s0, s22, v7
	s_and_b32 s3, s15, s0
	s_and_saveexec_b32 s2, s3
	s_cbranch_execz .LBB90_6
; %bb.5:
	global_load_ushort v7, v[3:4], off offset:256
	s_waitcnt vmcnt(0)
	v_cvt_f32_f16_e32 v12, v7
.LBB90_6:
	s_or_b32 exec_lo, exec_lo, s2
	v_add_nc_u32_e32 v7, 0xc0, v0
	v_cmp_gt_i32_e64 s2, s22, v7
	s_and_b32 s4, s15, s2
	s_and_saveexec_b32 s3, s4
	s_cbranch_execz .LBB90_8
; %bb.7:
	global_load_ushort v7, v[3:4], off offset:384
	s_waitcnt vmcnt(0)
	v_cvt_f32_f16_e32 v10, v7
.LBB90_8:
	s_or_b32 exec_lo, exec_lo, s3
	v_add_nc_u32_e32 v7, 0x100, v0
	v_mov_b32_e32 v14, 0xff800000
	v_mov_b32_e32 v15, 0xff800000
	v_cmp_gt_i32_e64 s3, s22, v7
	s_and_b32 s5, s15, s3
	s_and_saveexec_b32 s4, s5
	s_cbranch_execz .LBB90_10
; %bb.9:
	global_load_ushort v7, v[3:4], off offset:512
	s_waitcnt vmcnt(0)
	v_cvt_f32_f16_e32 v15, v7
.LBB90_10:
	s_or_b32 exec_lo, exec_lo, s4
	v_add_nc_u32_e32 v7, 0x140, v0
	v_cmp_gt_i32_e64 s4, s22, v7
	s_and_b32 s6, s15, s4
	;; [unrolled: 24-line block ×7, first 2 shown]
	s_and_saveexec_b32 s15, s18
	s_cbranch_execz .LBB90_32
; %bb.31:
	global_load_ushort v0, v[3:4], off offset:1920
	s_waitcnt vmcnt(0)
	v_cvt_f32_f16_e32 v24, v0
.LBB90_32:
	s_or_b32 exec_lo, exec_lo, s15
	v_cmp_gt_f32_e64 s15, v8, v6
	v_mbcnt_lo_u32_b32 v4, -1, 0
	s_mov_b32 s18, exec_lo
	v_cndmask_b32_e64 v0, v6, v8, s15
	v_or_b32_e32 v3, 32, v4
	v_cmp_gt_f32_e64 s15, v0, v12
	v_cndmask_b32_e64 v0, v12, v0, s15
	v_cmp_gt_f32_e64 s15, v0, v10
	v_cndmask_b32_e64 v0, v10, v0, s15
	;; [unrolled: 2-line block ×12, first 2 shown]
	v_cmp_gt_i32_e64 s15, 64, v3
	v_cndmask_b32_e64 v3, v4, v3, s15
	v_cmp_gt_f32_e64 s15, v0, v25
	v_cndmask_b32_e64 v7, v25, v0, s15
	v_lshlrev_b32_e32 v0, 2, v3
	v_xor_b32_e32 v3, 16, v4
	v_cmp_gt_f32_e64 s15, v7, v24
	v_cndmask_b32_e64 v7, v24, v7, s15
	v_cmp_gt_i32_e64 s15, 64, v3
	ds_bpermute_b32 v9, v0, v7
	v_cndmask_b32_e64 v3, v4, v3, s15
	v_lshlrev_b32_e32 v3, 2, v3
	s_waitcnt lgkmcnt(0)
	v_cmp_lt_f32_e64 s15, v7, v9
	v_cndmask_b32_e64 v9, v7, v9, s15
	v_xor_b32_e32 v7, 8, v4
	ds_bpermute_b32 v11, v3, v9
	v_cmp_gt_i32_e64 s15, 64, v7
	v_cndmask_b32_e64 v7, v4, v7, s15
	v_lshlrev_b32_e32 v7, 2, v7
	s_waitcnt lgkmcnt(0)
	v_cmp_lt_f32_e64 s15, v9, v11
	v_cndmask_b32_e64 v11, v9, v11, s15
	v_xor_b32_e32 v9, 4, v4
	ds_bpermute_b32 v13, v7, v11
	v_cmp_gt_i32_e64 s15, 64, v9
	;; [unrolled: 8-line block ×4, first 2 shown]
	v_cndmask_b32_e64 v4, v4, v13, s15
	v_lshlrev_b32_e32 v13, 2, v4
	s_waitcnt lgkmcnt(0)
	v_cmp_lt_f32_e64 s15, v26, v27
	v_cndmask_b32_e64 v4, v26, v27, s15
	ds_bpermute_b32 v26, v13, v4
	s_waitcnt lgkmcnt(0)
	v_cmp_lt_f32_e64 s15, v4, v26
	v_cndmask_b32_e64 v26, v4, v26, s15
	v_sub_f32_e32 v4, v8, v26
	v_sub_f32_e32 v6, v6, v26
	;; [unrolled: 1-line block ×9, first 2 shown]
	v_mul_f32_e32 v25, 0x3fb8aa3b, v4
	v_sub_f32_e32 v10, v10, v26
	v_sub_f32_e32 v14, v14, v26
	;; [unrolled: 1-line block ×7, first 2 shown]
	v_mul_f32_e32 v26, 0x3fb8aa3b, v6
	v_fma_f32 v41, 0x3fb8aa3b, v4, -v25
	v_rndne_f32_e32 v42, v25
	v_mul_f32_e32 v27, 0x3fb8aa3b, v8
	v_mul_f32_e32 v28, 0x3fb8aa3b, v10
	v_fma_f32 v43, 0x3fb8aa3b, v6, -v26
	v_rndne_f32_e32 v44, v26
	v_fmac_f32_e32 v41, 0x32a5705f, v4
	v_sub_f32_e32 v25, v25, v42
	v_fma_f32 v45, 0x3fb8aa3b, v8, -v27
	v_rndne_f32_e32 v46, v27
	v_fmac_f32_e32 v43, 0x32a5705f, v6
	v_sub_f32_e32 v26, v26, v44
	v_add_f32_e32 v25, v25, v41
	v_fmac_f32_e32 v45, 0x32a5705f, v8
	v_sub_f32_e32 v27, v27, v46
	v_cvt_i32_f32_e32 v42, v42
	v_add_f32_e32 v26, v26, v43
	v_exp_f32_e32 v25, v25
	v_fma_f32 v47, 0x3fb8aa3b, v10, -v28
	v_add_f32_e32 v27, v27, v45
	v_rndne_f32_e32 v48, v28
	v_exp_f32_e32 v26, v26
	v_cvt_i32_f32_e32 v44, v44
	v_cmp_ngt_f32_e64 s15, 0xc2ce8ed0, v4
	v_exp_f32_e32 v27, v27
	v_mul_f32_e32 v29, 0x3fb8aa3b, v12
	v_fmac_f32_e32 v47, 0x32a5705f, v10
	v_ldexp_f32 v25, v25, v42
	v_sub_f32_e32 v28, v28, v48
	v_cvt_i32_f32_e32 v46, v46
	v_fma_f32 v49, 0x3fb8aa3b, v12, -v29
	v_ldexp_f32 v26, v26, v44
	v_cndmask_b32_e64 v25, 0, v25, s15
	v_cmp_ngt_f32_e64 s15, 0xc2ce8ed0, v6
	v_rndne_f32_e32 v50, v29
	v_add_f32_e32 v28, v28, v47
	v_ldexp_f32 v27, v27, v46
	v_mul_f32_e32 v30, 0x3fb8aa3b, v14
	v_cndmask_b32_e64 v26, 0, v26, s15
	v_cmp_ngt_f32_e64 s15, 0xc2ce8ed0, v8
	v_fmac_f32_e32 v49, 0x32a5705f, v12
	v_sub_f32_e32 v29, v29, v50
	v_exp_f32_e32 v28, v28
	v_fma_f32 v51, 0x3fb8aa3b, v14, -v30
	v_cndmask_b32_e64 v27, 0, v27, s15
	v_cmp_nlt_f32_e64 s15, 0x42b17218, v4
	v_rndne_f32_e32 v52, v30
	v_add_f32_e32 v29, v29, v49
	v_cvt_i32_f32_e32 v48, v48
	v_mul_f32_e32 v31, 0x3fb8aa3b, v15
	v_cndmask_b32_e64 v25, 0x7f800000, v25, s15
	v_cmp_nlt_f32_e64 s15, 0x42b17218, v6
	v_fmac_f32_e32 v51, 0x32a5705f, v14
	v_sub_f32_e32 v30, v30, v52
	v_exp_f32_e32 v29, v29
	v_ldexp_f32 v28, v28, v48
	v_cndmask_b32_e64 v26, 0x7f800000, v26, s15
	v_cmp_ngt_f32_e64 s15, 0xc2ce8ed0, v10
	v_fma_f32 v53, 0x3fb8aa3b, v15, -v31
	v_rndne_f32_e32 v54, v31
	v_add_f32_e32 v30, v30, v51
	v_cvt_i32_f32_e32 v50, v50
	v_cndmask_b32_e64 v28, 0, v28, s15
	v_cmp_nlt_f32_e64 s15, 0x42b17218, v8
	v_mul_f32_e32 v32, 0x3fb8aa3b, v16
	v_fmac_f32_e32 v53, 0x32a5705f, v15
	v_sub_f32_e32 v31, v31, v54
	v_exp_f32_e32 v30, v30
	v_ldexp_f32 v29, v29, v50
	v_cndmask_b32_e64 v27, 0x7f800000, v27, s15
	v_cmp_ngt_f32_e64 s15, 0xc2ce8ed0, v12
	v_fma_f32 v55, 0x3fb8aa3b, v16, -v32
	v_rndne_f32_e32 v56, v32
	v_add_f32_e32 v31, v31, v53
	v_cvt_i32_f32_e32 v52, v52
	v_add_f32_e32 v25, v25, v26
	v_cndmask_b32_e64 v26, 0, v29, s15
	v_cmp_nlt_f32_e64 s15, 0x42b17218, v10
	v_mul_f32_e32 v33, 0x3fb8aa3b, v17
	v_fmac_f32_e32 v55, 0x32a5705f, v16
	v_sub_f32_e32 v32, v32, v56
	v_exp_f32_e32 v31, v31
	v_ldexp_f32 v30, v30, v52
	v_cndmask_b32_e64 v28, 0x7f800000, v28, s15
	v_cmp_ngt_f32_e64 s15, 0xc2ce8ed0, v14
	v_fma_f32 v57, 0x3fb8aa3b, v17, -v33
	v_rndne_f32_e32 v58, v33
	v_add_f32_e32 v32, v32, v55
	v_cvt_i32_f32_e32 v54, v54
	v_add_f32_e32 v25, v25, v27
	;; [unrolled: 14-line block ×5, first 2 shown]
	v_cndmask_b32_e64 v27, 0, v33, s15
	v_cmp_nlt_f32_e64 s15, 0x42b17218, v16
	v_mul_f32_e32 v37, 0x3fb8aa3b, v21
	v_fmac_f32_e32 v43, 0x32a5705f, v20
	v_sub_f32_e32 v36, v36, v45
	v_exp_f32_e32 v35, v35
	v_ldexp_f32 v34, v34, v60
	v_cndmask_b32_e64 v26, 0x7f800000, v26, s15
	v_cmp_ngt_f32_e64 s15, 0xc2ce8ed0, v18
	v_fma_f32 v47, 0x3fb8aa3b, v21, -v37
	v_rndne_f32_e32 v49, v37
	v_cvt_i32_f32_e32 v41, v41
	v_add_f32_e32 v36, v36, v43
	v_add_f32_e32 v25, v25, v28
	v_cndmask_b32_e64 v28, 0, v34, s15
	v_cmp_nlt_f32_e64 s15, 0x42b17218, v17
	v_mul_f32_e32 v38, 0x3fb8aa3b, v22
	v_fmac_f32_e32 v47, 0x32a5705f, v21
	v_sub_f32_e32 v37, v37, v49
	v_exp_f32_e32 v36, v36
	v_ldexp_f32 v35, v35, v41
	v_cndmask_b32_e64 v27, 0x7f800000, v27, s15
	v_cmp_ngt_f32_e64 s15, 0xc2ce8ed0, v19
	v_fma_f32 v51, 0x3fb8aa3b, v22, -v38
	v_rndne_f32_e32 v53, v38
	v_cvt_i32_f32_e32 v45, v45
	v_add_f32_e32 v37, v37, v47
	v_add_f32_e32 v25, v25, v26
	;; [unrolled: 14-line block ×3, first 2 shown]
	v_cndmask_b32_e64 v27, 0, v36, s15
	v_cmp_nlt_f32_e64 s15, 0x42b17218, v19
	v_fmac_f32_e32 v55, 0x32a5705f, v23
	v_sub_f32_e32 v39, v39, v57
	v_exp_f32_e32 v38, v38
	v_ldexp_f32 v37, v37, v49
	v_cndmask_b32_e64 v26, 0x7f800000, v26, s15
	v_cmp_ngt_f32_e64 s15, 0xc2ce8ed0, v21
	v_mul_f32_e32 v40, 0x3fb8aa3b, v24
	v_cvt_i32_f32_e32 v53, v53
	v_add_f32_e32 v39, v39, v55
	v_add_f32_e32 v25, v25, v28
	v_cndmask_b32_e64 v28, 0, v37, s15
	v_cmp_nlt_f32_e64 s15, 0x42b17218, v20
	v_fma_f32 v59, 0x3fb8aa3b, v24, -v40
	v_rndne_f32_e32 v61, v40
	v_exp_f32_e32 v39, v39
	v_ldexp_f32 v38, v38, v53
	v_cndmask_b32_e64 v27, 0x7f800000, v27, s15
	v_cmp_ngt_f32_e64 s15, 0xc2ce8ed0, v22
	v_cvt_i32_f32_e32 v57, v57
	v_fmac_f32_e32 v59, 0x32a5705f, v24
	v_sub_f32_e32 v40, v40, v61
	v_add_f32_e32 v25, v25, v26
	v_cndmask_b32_e64 v26, 0, v38, s15
	v_cmp_nlt_f32_e64 s15, 0x42b17218, v21
	v_ldexp_f32 v39, v39, v57
	v_add_f32_e32 v40, v40, v59
	v_add_f32_e32 v25, v25, v27
	v_cvt_i32_f32_e32 v61, v61
	v_cndmask_b32_e64 v28, 0x7f800000, v28, s15
	v_cmp_ngt_f32_e64 s15, 0xc2ce8ed0, v23
	v_exp_f32_e32 v40, v40
	v_add_f32_e32 v25, v25, v28
	v_cndmask_b32_e64 v27, 0, v39, s15
	v_cmp_nlt_f32_e64 s15, 0x42b17218, v22
	v_cndmask_b32_e64 v26, 0x7f800000, v26, s15
	v_cmp_nlt_f32_e64 s15, 0x42b17218, v23
	v_ldexp_f32 v28, v40, v61
	v_add_f32_e32 v25, v25, v26
	v_cndmask_b32_e64 v27, 0x7f800000, v27, s15
	v_cmp_ngt_f32_e64 s15, 0xc2ce8ed0, v24
	v_add_f32_e32 v25, v25, v27
	v_cndmask_b32_e64 v26, 0, v28, s15
	v_cmp_nlt_f32_e64 s15, 0x42b17218, v24
	v_cndmask_b32_e64 v26, 0x7f800000, v26, s15
	v_add_f32_e32 v25, v25, v26
	ds_bpermute_b32 v0, v0, v25
	s_waitcnt lgkmcnt(0)
	v_add_f32_e32 v0, v25, v0
	ds_bpermute_b32 v3, v3, v0
	s_waitcnt lgkmcnt(0)
	v_add_f32_e32 v0, v0, v3
	ds_bpermute_b32 v3, v7, v0
	s_waitcnt lgkmcnt(0)
	v_add_f32_e32 v0, v0, v3
	ds_bpermute_b32 v3, v9, v0
	s_waitcnt lgkmcnt(0)
	v_add_f32_e32 v0, v0, v3
	ds_bpermute_b32 v3, v11, v0
	s_waitcnt lgkmcnt(0)
	v_add_f32_e32 v0, v0, v3
	ds_bpermute_b32 v3, v13, v0
	v_cmpx_lt_i32_e32 0, v5
	s_cbranch_execz .LBB90_50
; %bb.33:
	s_and_b32 exec_lo, exec_lo, s1
	s_cbranch_execz .LBB90_50
; %bb.34:
	s_waitcnt lgkmcnt(0)
	v_add_f32_e32 v0, v0, v3
	v_cmp_gt_f32_e64 s1, 0x800000, v0
	v_cndmask_b32_e64 v3, 0, 32, s1
	v_ldexp_f32 v0, v0, v3
	v_log_f32_e32 v0, v0
	v_mul_f32_e32 v3, 0x3f317217, v0
	v_cmp_gt_f32_e64 s15, 0x7f800000, |v0|
	v_fma_f32 v3, 0x3f317217, v0, -v3
	v_fmamk_f32 v3, v0, 0x3377d1cf, v3
	v_fmac_f32_e32 v3, 0x3f317217, v0
	v_cndmask_b32_e64 v0, v0, v3, s15
	v_cndmask_b32_e64 v3, 0, 0x41b17218, s1
	v_sub_f32_e32 v3, v0, v3
	v_add_co_u32 v0, s1, s16, v1
	v_add_co_ci_u32_e64 v1, null, s17, v2, s1
	v_sub_f32_e32 v4, v4, v3
	v_cvt_f16_f32_e32 v2, v4
	global_store_short v[0:1], v2, off
	s_and_b32 exec_lo, exec_lo, vcc_lo
	s_cbranch_execz .LBB90_50
; %bb.35:
	v_sub_f32_e32 v2, v6, v3
	v_cvt_f16_f32_e32 v2, v2
	global_store_short v[0:1], v2, off offset:128
	s_and_b32 exec_lo, exec_lo, s0
	s_cbranch_execz .LBB90_50
; %bb.36:
	v_sub_f32_e32 v2, v8, v3
	v_cvt_f16_f32_e32 v2, v2
	global_store_short v[0:1], v2, off offset:256
	s_and_b32 exec_lo, exec_lo, s2
	;; [unrolled: 6-line block ×14, first 2 shown]
	s_cbranch_execz .LBB90_50
; %bb.49:
	v_sub_f32_e32 v2, v24, v3
	v_cvt_f16_f32_e32 v2, v2
	global_store_short v[0:1], v2, off offset:1920
.LBB90_50:
	s_endpgm
	.section	.rodata,"a",@progbits
	.p2align	6, 0x0
	.amdhsa_kernel _ZN12_GLOBAL__N_120softmax_warp_forwardIN3c104HalfES2_fLi10ELb1ELb0ELi64EEEvPT0_PKT_iiiPKbib
		.amdhsa_group_segment_fixed_size 0
		.amdhsa_private_segment_fixed_size 0
		.amdhsa_kernarg_size 304
		.amdhsa_user_sgpr_count 6
		.amdhsa_user_sgpr_private_segment_buffer 1
		.amdhsa_user_sgpr_dispatch_ptr 0
		.amdhsa_user_sgpr_queue_ptr 0
		.amdhsa_user_sgpr_kernarg_segment_ptr 1
		.amdhsa_user_sgpr_dispatch_id 0
		.amdhsa_user_sgpr_flat_scratch_init 0
		.amdhsa_user_sgpr_private_segment_size 0
		.amdhsa_wavefront_size32 1
		.amdhsa_uses_dynamic_stack 0
		.amdhsa_system_sgpr_private_segment_wavefront_offset 0
		.amdhsa_system_sgpr_workgroup_id_x 1
		.amdhsa_system_sgpr_workgroup_id_y 0
		.amdhsa_system_sgpr_workgroup_id_z 0
		.amdhsa_system_sgpr_workgroup_info 0
		.amdhsa_system_vgpr_workitem_id 1
		.amdhsa_next_free_vgpr 62
		.amdhsa_next_free_sgpr 24
		.amdhsa_reserve_vcc 1
		.amdhsa_reserve_flat_scratch 0
		.amdhsa_float_round_mode_32 0
		.amdhsa_float_round_mode_16_64 0
		.amdhsa_float_denorm_mode_32 3
		.amdhsa_float_denorm_mode_16_64 3
		.amdhsa_dx10_clamp 1
		.amdhsa_ieee_mode 1
		.amdhsa_fp16_overflow 0
		.amdhsa_workgroup_processor_mode 1
		.amdhsa_memory_ordered 1
		.amdhsa_forward_progress 1
		.amdhsa_shared_vgpr_count 0
		.amdhsa_exception_fp_ieee_invalid_op 0
		.amdhsa_exception_fp_denorm_src 0
		.amdhsa_exception_fp_ieee_div_zero 0
		.amdhsa_exception_fp_ieee_overflow 0
		.amdhsa_exception_fp_ieee_underflow 0
		.amdhsa_exception_fp_ieee_inexact 0
		.amdhsa_exception_int_div_zero 0
	.end_amdhsa_kernel
	.section	.text._ZN12_GLOBAL__N_120softmax_warp_forwardIN3c104HalfES2_fLi10ELb1ELb0ELi64EEEvPT0_PKT_iiiPKbib,"axG",@progbits,_ZN12_GLOBAL__N_120softmax_warp_forwardIN3c104HalfES2_fLi10ELb1ELb0ELi64EEEvPT0_PKT_iiiPKbib,comdat
.Lfunc_end90:
	.size	_ZN12_GLOBAL__N_120softmax_warp_forwardIN3c104HalfES2_fLi10ELb1ELb0ELi64EEEvPT0_PKT_iiiPKbib, .Lfunc_end90-_ZN12_GLOBAL__N_120softmax_warp_forwardIN3c104HalfES2_fLi10ELb1ELb0ELi64EEEvPT0_PKT_iiiPKbib
                                        ; -- End function
	.set _ZN12_GLOBAL__N_120softmax_warp_forwardIN3c104HalfES2_fLi10ELb1ELb0ELi64EEEvPT0_PKT_iiiPKbib.num_vgpr, 62
	.set _ZN12_GLOBAL__N_120softmax_warp_forwardIN3c104HalfES2_fLi10ELb1ELb0ELi64EEEvPT0_PKT_iiiPKbib.num_agpr, 0
	.set _ZN12_GLOBAL__N_120softmax_warp_forwardIN3c104HalfES2_fLi10ELb1ELb0ELi64EEEvPT0_PKT_iiiPKbib.numbered_sgpr, 24
	.set _ZN12_GLOBAL__N_120softmax_warp_forwardIN3c104HalfES2_fLi10ELb1ELb0ELi64EEEvPT0_PKT_iiiPKbib.num_named_barrier, 0
	.set _ZN12_GLOBAL__N_120softmax_warp_forwardIN3c104HalfES2_fLi10ELb1ELb0ELi64EEEvPT0_PKT_iiiPKbib.private_seg_size, 0
	.set _ZN12_GLOBAL__N_120softmax_warp_forwardIN3c104HalfES2_fLi10ELb1ELb0ELi64EEEvPT0_PKT_iiiPKbib.uses_vcc, 1
	.set _ZN12_GLOBAL__N_120softmax_warp_forwardIN3c104HalfES2_fLi10ELb1ELb0ELi64EEEvPT0_PKT_iiiPKbib.uses_flat_scratch, 0
	.set _ZN12_GLOBAL__N_120softmax_warp_forwardIN3c104HalfES2_fLi10ELb1ELb0ELi64EEEvPT0_PKT_iiiPKbib.has_dyn_sized_stack, 0
	.set _ZN12_GLOBAL__N_120softmax_warp_forwardIN3c104HalfES2_fLi10ELb1ELb0ELi64EEEvPT0_PKT_iiiPKbib.has_recursion, 0
	.set _ZN12_GLOBAL__N_120softmax_warp_forwardIN3c104HalfES2_fLi10ELb1ELb0ELi64EEEvPT0_PKT_iiiPKbib.has_indirect_call, 0
	.section	.AMDGPU.csdata,"",@progbits
; Kernel info:
; codeLenInByte = 3864
; TotalNumSgprs: 26
; NumVgprs: 62
; ScratchSize: 0
; MemoryBound: 0
; FloatMode: 240
; IeeeMode: 1
; LDSByteSize: 0 bytes/workgroup (compile time only)
; SGPRBlocks: 0
; VGPRBlocks: 7
; NumSGPRsForWavesPerEU: 26
; NumVGPRsForWavesPerEU: 62
; Occupancy: 16
; WaveLimiterHint : 0
; COMPUTE_PGM_RSRC2:SCRATCH_EN: 0
; COMPUTE_PGM_RSRC2:USER_SGPR: 6
; COMPUTE_PGM_RSRC2:TRAP_HANDLER: 0
; COMPUTE_PGM_RSRC2:TGID_X_EN: 1
; COMPUTE_PGM_RSRC2:TGID_Y_EN: 0
; COMPUTE_PGM_RSRC2:TGID_Z_EN: 0
; COMPUTE_PGM_RSRC2:TIDIG_COMP_CNT: 1
	.section	.text._ZN12_GLOBAL__N_120softmax_warp_forwardIN3c104HalfES2_fLi10ELb1ELb0ELi32EEEvPT0_PKT_iiiPKbib,"axG",@progbits,_ZN12_GLOBAL__N_120softmax_warp_forwardIN3c104HalfES2_fLi10ELb1ELb0ELi32EEEvPT0_PKT_iiiPKbib,comdat
	.globl	_ZN12_GLOBAL__N_120softmax_warp_forwardIN3c104HalfES2_fLi10ELb1ELb0ELi32EEEvPT0_PKT_iiiPKbib ; -- Begin function _ZN12_GLOBAL__N_120softmax_warp_forwardIN3c104HalfES2_fLi10ELb1ELb0ELi32EEEvPT0_PKT_iiiPKbib
	.p2align	8
	.type	_ZN12_GLOBAL__N_120softmax_warp_forwardIN3c104HalfES2_fLi10ELb1ELb0ELi32EEEvPT0_PKT_iiiPKbib,@function
_ZN12_GLOBAL__N_120softmax_warp_forwardIN3c104HalfES2_fLi10ELb1ELb0ELi32EEEvPT0_PKT_iiiPKbib: ; @_ZN12_GLOBAL__N_120softmax_warp_forwardIN3c104HalfES2_fLi10ELb1ELb0ELi32EEEvPT0_PKT_iiiPKbib
; %bb.0:
	s_clause 0x1
	s_load_dword s0, s[4:5], 0x3c
	s_load_dwordx8 s[36:43], s[4:5], 0x0
	v_mov_b32_e32 v12, 0xff800000
	v_mov_b32_e32 v41, 0xff800000
	s_waitcnt lgkmcnt(0)
	s_lshr_b32 s0, s0, 16
	v_cmp_gt_i32_e64 s1, s42, v0
	v_mad_u64_u32 v[1:2], null, s6, s0, v[1:2]
	v_mad_u64_u32 v[2:3], null, v1, s41, v[0:1]
	v_sub_nc_u32_e32 v5, s40, v1
	v_cmp_lt_i32_e64 s31, 0, v5
	v_ashrrev_i32_e32 v3, 31, v2
	s_and_b32 s2, s31, s1
	v_lshlrev_b64 v[1:2], 1, v[2:3]
	v_add_co_u32 v3, vcc_lo, s38, v1
	v_add_co_ci_u32_e64 v4, null, s39, v2, vcc_lo
	s_and_saveexec_b32 s0, s2
	s_cbranch_execz .LBB91_2
; %bb.1:
	global_load_ushort v6, v[3:4], off
	s_waitcnt vmcnt(0)
	v_cvt_f32_f16_e32 v41, v6
.LBB91_2:
	s_or_b32 exec_lo, exec_lo, s0
	v_add_nc_u32_e32 v6, 32, v0
	v_cmp_gt_i32_e32 vcc_lo, s42, v6
	s_and_b32 s2, s31, vcc_lo
	s_and_saveexec_b32 s0, s2
	s_cbranch_execz .LBB91_4
; %bb.3:
	global_load_ushort v6, v[3:4], off offset:64
	s_waitcnt vmcnt(0)
	v_cvt_f32_f16_e32 v12, v6
.LBB91_4:
	s_or_b32 exec_lo, exec_lo, s0
	v_add_nc_u32_e32 v6, 64, v0
	v_mov_b32_e32 v18, 0xff800000
	v_mov_b32_e32 v15, 0xff800000
	v_cmp_gt_i32_e64 s0, s42, v6
	s_and_b32 s3, s31, s0
	s_and_saveexec_b32 s2, s3
	s_cbranch_execz .LBB91_6
; %bb.5:
	global_load_ushort v6, v[3:4], off offset:128
	s_waitcnt vmcnt(0)
	v_cvt_f32_f16_e32 v15, v6
.LBB91_6:
	s_or_b32 exec_lo, exec_lo, s2
	v_add_nc_u32_e32 v6, 0x60, v0
	v_cmp_gt_i32_e64 s2, s42, v6
	s_and_b32 s4, s31, s2
	s_and_saveexec_b32 s3, s4
	s_cbranch_execz .LBB91_8
; %bb.7:
	global_load_ushort v6, v[3:4], off offset:192
	s_waitcnt vmcnt(0)
	v_cvt_f32_f16_e32 v18, v6
.LBB91_8:
	s_or_b32 exec_lo, exec_lo, s3
	v_add_nc_u32_e32 v6, 0x80, v0
	v_mov_b32_e32 v23, 0xff800000
	v_mov_b32_e32 v19, 0xff800000
	v_cmp_gt_i32_e64 s3, s42, v6
	s_and_b32 s5, s31, s3
	s_and_saveexec_b32 s4, s5
	s_cbranch_execz .LBB91_10
; %bb.9:
	global_load_ushort v6, v[3:4], off offset:256
	s_waitcnt vmcnt(0)
	v_cvt_f32_f16_e32 v19, v6
.LBB91_10:
	s_or_b32 exec_lo, exec_lo, s4
	v_add_nc_u32_e32 v6, 0xa0, v0
	v_cmp_gt_i32_e64 s4, s42, v6
	s_and_b32 s6, s31, s4
	;; [unrolled: 24-line block ×14, first 2 shown]
	s_and_saveexec_b32 s29, s30
	s_cbranch_execz .LBB91_60
; %bb.59:
	global_load_ushort v6, v[3:4], off offset:1856
	s_waitcnt vmcnt(0)
	v_cvt_f32_f16_e32 v7, v6
.LBB91_60:
	s_or_b32 exec_lo, exec_lo, s29
	v_add_nc_u32_e32 v6, 0x3c0, v0
	v_mov_b32_e32 v8, 0xff800000
	v_cmp_gt_i32_e64 s29, s42, v6
	v_mov_b32_e32 v6, 0xff800000
	s_and_b32 s33, s31, s29
	s_and_saveexec_b32 s30, s33
	s_cbranch_execz .LBB91_62
; %bb.61:
	global_load_ushort v8, v[3:4], off offset:1920
	s_waitcnt vmcnt(0)
	v_cvt_f32_f16_e32 v8, v8
.LBB91_62:
	s_or_b32 exec_lo, exec_lo, s30
	v_add_nc_u32_e32 v0, 0x3e0, v0
	v_cmp_gt_i32_e64 s30, s42, v0
	s_and_b32 s33, s31, s30
	s_and_saveexec_b32 s31, s33
	s_cbranch_execz .LBB91_64
; %bb.63:
	global_load_ushort v0, v[3:4], off offset:1984
	s_waitcnt vmcnt(0)
	v_cvt_f32_f16_e32 v6, v0
.LBB91_64:
	s_or_b32 exec_lo, exec_lo, s31
	v_cmp_gt_f32_e64 s31, v41, v12
	v_mbcnt_lo_u32_b32 v4, -1, 0
	s_mov_b32 s33, exec_lo
	v_cndmask_b32_e64 v0, v12, v41, s31
	v_cmp_gt_f32_e64 s31, v0, v15
	v_cndmask_b32_e64 v0, v15, v0, s31
	v_cmp_gt_f32_e64 s31, v0, v18
	;; [unrolled: 2-line block ×30, first 2 shown]
	v_cndmask_b32_e64 v3, v6, v0, s31
	v_xor_b32_e32 v0, 16, v4
	v_cmp_gt_i32_e64 s31, 32, v0
	v_cndmask_b32_e64 v0, v4, v0, s31
	v_lshlrev_b32_e32 v0, 2, v0
	ds_bpermute_b32 v10, v0, v3
	s_waitcnt lgkmcnt(0)
	v_cmp_lt_f32_e64 s31, v3, v10
	v_cndmask_b32_e64 v10, v3, v10, s31
	v_xor_b32_e32 v3, 8, v4
	v_cmp_gt_i32_e64 s31, 32, v3
	v_cndmask_b32_e64 v3, v4, v3, s31
	v_lshlrev_b32_e32 v3, 2, v3
	ds_bpermute_b32 v13, v3, v10
	s_waitcnt lgkmcnt(0)
	v_cmp_lt_f32_e64 s31, v10, v13
	;; [unrolled: 8-line block ×5, first 2 shown]
	v_cndmask_b32_e64 v21, v21, v4, s31
	v_sub_f32_e32 v4, v41, v21
	v_sub_f32_e32 v12, v12, v21
	;; [unrolled: 1-line block ×5, first 2 shown]
	v_mul_f32_e32 v41, 0x3fb8aa3b, v4
	v_cmp_ngt_f32_e64 s31, 0xc2ce8ed0, v4
	v_sub_f32_e32 v23, v23, v21
	v_sub_f32_e32 v24, v24, v21
	;; [unrolled: 1-line block ×3, first 2 shown]
	v_fma_f32 v42, 0x3fb8aa3b, v4, -v41
	v_rndne_f32_e32 v43, v41
	v_sub_f32_e32 v26, v26, v21
	v_sub_f32_e32 v27, v27, v21
	;; [unrolled: 1-line block ×3, first 2 shown]
	v_fmac_f32_e32 v42, 0x32a5705f, v4
	v_sub_f32_e32 v41, v41, v43
	v_sub_f32_e32 v31, v31, v21
	;; [unrolled: 1-line block ×5, first 2 shown]
	v_add_f32_e32 v41, v41, v42
	v_cvt_i32_f32_e32 v42, v43
	v_sub_f32_e32 v39, v39, v21
	v_sub_f32_e32 v40, v40, v21
	;; [unrolled: 1-line block ×3, first 2 shown]
	v_exp_f32_e32 v41, v41
	v_sub_f32_e32 v38, v38, v21
	v_sub_f32_e32 v33, v33, v21
	;; [unrolled: 1-line block ×9, first 2 shown]
	v_ldexp_f32 v41, v41, v42
	v_mul_f32_e32 v42, 0x3fb8aa3b, v12
	v_sub_f32_e32 v11, v11, v21
	v_sub_f32_e32 v9, v9, v21
	;; [unrolled: 1-line block ×3, first 2 shown]
	v_cndmask_b32_e64 v41, 0, v41, s31
	v_fma_f32 v43, 0x3fb8aa3b, v12, -v42
	v_rndne_f32_e32 v44, v42
	v_cmp_nlt_f32_e64 s31, 0x42b17218, v4
	v_sub_f32_e32 v8, v8, v21
	v_sub_f32_e32 v6, v6, v21
	v_fmac_f32_e32 v43, 0x32a5705f, v12
	v_sub_f32_e32 v42, v42, v44
	v_cndmask_b32_e64 v41, 0x7f800000, v41, s31
	v_cmp_ngt_f32_e64 s31, 0xc2ce8ed0, v12
	v_mul_f32_e32 v21, 0x3fb8aa3b, v6
	v_add_f32_e32 v42, v42, v43
	v_cvt_i32_f32_e32 v43, v44
	v_exp_f32_e32 v42, v42
	v_ldexp_f32 v42, v42, v43
	v_cndmask_b32_e64 v42, 0, v42, s31
	v_cmp_nlt_f32_e64 s31, 0x42b17218, v12
	v_cndmask_b32_e64 v42, 0x7f800000, v42, s31
	v_cmp_ngt_f32_e64 s31, 0xc2ce8ed0, v15
	v_add_f32_e32 v41, v41, v42
	v_mul_f32_e32 v42, 0x3fb8aa3b, v15
	v_fma_f32 v43, 0x3fb8aa3b, v15, -v42
	v_rndne_f32_e32 v44, v42
	v_fmac_f32_e32 v43, 0x32a5705f, v15
	v_sub_f32_e32 v42, v42, v44
	v_add_f32_e32 v42, v42, v43
	v_cvt_i32_f32_e32 v43, v44
	v_exp_f32_e32 v42, v42
	v_ldexp_f32 v42, v42, v43
	v_cndmask_b32_e64 v42, 0, v42, s31
	v_cmp_nlt_f32_e64 s31, 0x42b17218, v15
	v_cndmask_b32_e64 v42, 0x7f800000, v42, s31
	v_cmp_ngt_f32_e64 s31, 0xc2ce8ed0, v18
	v_add_f32_e32 v41, v41, v42
	v_mul_f32_e32 v42, 0x3fb8aa3b, v18
	v_fma_f32 v43, 0x3fb8aa3b, v18, -v42
	v_rndne_f32_e32 v44, v42
	v_fmac_f32_e32 v43, 0x32a5705f, v18
	v_sub_f32_e32 v42, v42, v44
	;; [unrolled: 14-line block ×29, first 2 shown]
	v_add_f32_e32 v42, v42, v43
	v_cvt_i32_f32_e32 v43, v44
	v_exp_f32_e32 v42, v42
	v_ldexp_f32 v42, v42, v43
	v_rndne_f32_e32 v43, v21
	v_cndmask_b32_e64 v42, 0, v42, s31
	v_cmp_nlt_f32_e64 s31, 0x42b17218, v8
	v_cndmask_b32_e64 v42, 0x7f800000, v42, s31
	v_cmp_ngt_f32_e64 s31, 0xc2ce8ed0, v6
	v_add_f32_e32 v41, v41, v42
	v_fma_f32 v42, 0x3fb8aa3b, v6, -v21
	v_sub_f32_e32 v21, v21, v43
	v_fmac_f32_e32 v42, 0x32a5705f, v6
	v_add_f32_e32 v21, v21, v42
	v_cvt_i32_f32_e32 v42, v43
	v_exp_f32_e32 v21, v21
	v_ldexp_f32 v21, v21, v42
	v_cndmask_b32_e64 v21, 0, v21, s31
	v_cmp_nlt_f32_e64 s31, 0x42b17218, v6
	v_cndmask_b32_e64 v21, 0x7f800000, v21, s31
	v_add_f32_e32 v21, v41, v21
	ds_bpermute_b32 v0, v0, v21
	s_waitcnt lgkmcnt(0)
	v_add_f32_e32 v0, v21, v0
	ds_bpermute_b32 v3, v3, v0
	s_waitcnt lgkmcnt(0)
	;; [unrolled: 3-line block ×4, first 2 shown]
	v_add_f32_e32 v0, v0, v3
	ds_bpermute_b32 v3, v14, v0
	v_cmpx_lt_i32_e32 0, v5
	s_cbranch_execz .LBB91_98
; %bb.65:
	s_and_b32 exec_lo, exec_lo, s1
	s_cbranch_execz .LBB91_98
; %bb.66:
	s_waitcnt lgkmcnt(0)
	v_add_f32_e32 v0, v0, v3
	v_cmp_gt_f32_e64 s1, 0x800000, v0
	v_cndmask_b32_e64 v3, 0, 32, s1
	v_ldexp_f32 v0, v0, v3
	v_log_f32_e32 v0, v0
	v_mul_f32_e32 v3, 0x3f317217, v0
	v_cmp_gt_f32_e64 s31, 0x7f800000, |v0|
	v_fma_f32 v3, 0x3f317217, v0, -v3
	v_fmamk_f32 v3, v0, 0x3377d1cf, v3
	v_fmac_f32_e32 v3, 0x3f317217, v0
	v_cndmask_b32_e64 v0, v0, v3, s31
	v_cndmask_b32_e64 v3, 0, 0x41b17218, s1
	v_sub_f32_e32 v3, v0, v3
	v_add_co_u32 v0, s1, s36, v1
	v_add_co_ci_u32_e64 v1, null, s37, v2, s1
	v_sub_f32_e32 v4, v4, v3
	v_cvt_f16_f32_e32 v2, v4
	global_store_short v[0:1], v2, off
	s_and_b32 exec_lo, exec_lo, vcc_lo
	s_cbranch_execz .LBB91_98
; %bb.67:
	v_sub_f32_e32 v2, v12, v3
	v_cvt_f16_f32_e32 v2, v2
	global_store_short v[0:1], v2, off offset:64
	s_and_b32 exec_lo, exec_lo, s0
	s_cbranch_execz .LBB91_98
; %bb.68:
	v_sub_f32_e32 v2, v15, v3
	v_cvt_f16_f32_e32 v2, v2
	global_store_short v[0:1], v2, off offset:128
	s_and_b32 exec_lo, exec_lo, s2
	;; [unrolled: 6-line block ×30, first 2 shown]
	s_cbranch_execz .LBB91_98
; %bb.97:
	v_sub_f32_e32 v2, v6, v3
	v_cvt_f16_f32_e32 v2, v2
	global_store_short v[0:1], v2, off offset:1984
.LBB91_98:
	s_endpgm
	.section	.rodata,"a",@progbits
	.p2align	6, 0x0
	.amdhsa_kernel _ZN12_GLOBAL__N_120softmax_warp_forwardIN3c104HalfES2_fLi10ELb1ELb0ELi32EEEvPT0_PKT_iiiPKbib
		.amdhsa_group_segment_fixed_size 0
		.amdhsa_private_segment_fixed_size 0
		.amdhsa_kernarg_size 304
		.amdhsa_user_sgpr_count 6
		.amdhsa_user_sgpr_private_segment_buffer 1
		.amdhsa_user_sgpr_dispatch_ptr 0
		.amdhsa_user_sgpr_queue_ptr 0
		.amdhsa_user_sgpr_kernarg_segment_ptr 1
		.amdhsa_user_sgpr_dispatch_id 0
		.amdhsa_user_sgpr_flat_scratch_init 0
		.amdhsa_user_sgpr_private_segment_size 0
		.amdhsa_wavefront_size32 1
		.amdhsa_uses_dynamic_stack 0
		.amdhsa_system_sgpr_private_segment_wavefront_offset 0
		.amdhsa_system_sgpr_workgroup_id_x 1
		.amdhsa_system_sgpr_workgroup_id_y 0
		.amdhsa_system_sgpr_workgroup_id_z 0
		.amdhsa_system_sgpr_workgroup_info 0
		.amdhsa_system_vgpr_workitem_id 1
		.amdhsa_next_free_vgpr 45
		.amdhsa_next_free_sgpr 44
		.amdhsa_reserve_vcc 1
		.amdhsa_reserve_flat_scratch 0
		.amdhsa_float_round_mode_32 0
		.amdhsa_float_round_mode_16_64 0
		.amdhsa_float_denorm_mode_32 3
		.amdhsa_float_denorm_mode_16_64 3
		.amdhsa_dx10_clamp 1
		.amdhsa_ieee_mode 1
		.amdhsa_fp16_overflow 0
		.amdhsa_workgroup_processor_mode 1
		.amdhsa_memory_ordered 1
		.amdhsa_forward_progress 1
		.amdhsa_shared_vgpr_count 0
		.amdhsa_exception_fp_ieee_invalid_op 0
		.amdhsa_exception_fp_denorm_src 0
		.amdhsa_exception_fp_ieee_div_zero 0
		.amdhsa_exception_fp_ieee_overflow 0
		.amdhsa_exception_fp_ieee_underflow 0
		.amdhsa_exception_fp_ieee_inexact 0
		.amdhsa_exception_int_div_zero 0
	.end_amdhsa_kernel
	.section	.text._ZN12_GLOBAL__N_120softmax_warp_forwardIN3c104HalfES2_fLi10ELb1ELb0ELi32EEEvPT0_PKT_iiiPKbib,"axG",@progbits,_ZN12_GLOBAL__N_120softmax_warp_forwardIN3c104HalfES2_fLi10ELb1ELb0ELi32EEEvPT0_PKT_iiiPKbib,comdat
.Lfunc_end91:
	.size	_ZN12_GLOBAL__N_120softmax_warp_forwardIN3c104HalfES2_fLi10ELb1ELb0ELi32EEEvPT0_PKT_iiiPKbib, .Lfunc_end91-_ZN12_GLOBAL__N_120softmax_warp_forwardIN3c104HalfES2_fLi10ELb1ELb0ELi32EEEvPT0_PKT_iiiPKbib
                                        ; -- End function
	.set _ZN12_GLOBAL__N_120softmax_warp_forwardIN3c104HalfES2_fLi10ELb1ELb0ELi32EEEvPT0_PKT_iiiPKbib.num_vgpr, 45
	.set _ZN12_GLOBAL__N_120softmax_warp_forwardIN3c104HalfES2_fLi10ELb1ELb0ELi32EEEvPT0_PKT_iiiPKbib.num_agpr, 0
	.set _ZN12_GLOBAL__N_120softmax_warp_forwardIN3c104HalfES2_fLi10ELb1ELb0ELi32EEEvPT0_PKT_iiiPKbib.numbered_sgpr, 44
	.set _ZN12_GLOBAL__N_120softmax_warp_forwardIN3c104HalfES2_fLi10ELb1ELb0ELi32EEEvPT0_PKT_iiiPKbib.num_named_barrier, 0
	.set _ZN12_GLOBAL__N_120softmax_warp_forwardIN3c104HalfES2_fLi10ELb1ELb0ELi32EEEvPT0_PKT_iiiPKbib.private_seg_size, 0
	.set _ZN12_GLOBAL__N_120softmax_warp_forwardIN3c104HalfES2_fLi10ELb1ELb0ELi32EEEvPT0_PKT_iiiPKbib.uses_vcc, 1
	.set _ZN12_GLOBAL__N_120softmax_warp_forwardIN3c104HalfES2_fLi10ELb1ELb0ELi32EEEvPT0_PKT_iiiPKbib.uses_flat_scratch, 0
	.set _ZN12_GLOBAL__N_120softmax_warp_forwardIN3c104HalfES2_fLi10ELb1ELb0ELi32EEEvPT0_PKT_iiiPKbib.has_dyn_sized_stack, 0
	.set _ZN12_GLOBAL__N_120softmax_warp_forwardIN3c104HalfES2_fLi10ELb1ELb0ELi32EEEvPT0_PKT_iiiPKbib.has_recursion, 0
	.set _ZN12_GLOBAL__N_120softmax_warp_forwardIN3c104HalfES2_fLi10ELb1ELb0ELi32EEEvPT0_PKT_iiiPKbib.has_indirect_call, 0
	.section	.AMDGPU.csdata,"",@progbits
; Kernel info:
; codeLenInByte = 7056
; TotalNumSgprs: 46
; NumVgprs: 45
; ScratchSize: 0
; MemoryBound: 0
; FloatMode: 240
; IeeeMode: 1
; LDSByteSize: 0 bytes/workgroup (compile time only)
; SGPRBlocks: 0
; VGPRBlocks: 5
; NumSGPRsForWavesPerEU: 46
; NumVGPRsForWavesPerEU: 45
; Occupancy: 16
; WaveLimiterHint : 0
; COMPUTE_PGM_RSRC2:SCRATCH_EN: 0
; COMPUTE_PGM_RSRC2:USER_SGPR: 6
; COMPUTE_PGM_RSRC2:TRAP_HANDLER: 0
; COMPUTE_PGM_RSRC2:TGID_X_EN: 1
; COMPUTE_PGM_RSRC2:TGID_Y_EN: 0
; COMPUTE_PGM_RSRC2:TGID_Z_EN: 0
; COMPUTE_PGM_RSRC2:TIDIG_COMP_CNT: 1
	.section	.text._ZN12_GLOBAL__N_120softmax_warp_forwardIN3c104HalfES2_fLi11ELb1ELb0ELi64EEEvPT0_PKT_iiiPKbib,"axG",@progbits,_ZN12_GLOBAL__N_120softmax_warp_forwardIN3c104HalfES2_fLi11ELb1ELb0ELi64EEEvPT0_PKT_iiiPKbib,comdat
	.globl	_ZN12_GLOBAL__N_120softmax_warp_forwardIN3c104HalfES2_fLi11ELb1ELb0ELi64EEEvPT0_PKT_iiiPKbib ; -- Begin function _ZN12_GLOBAL__N_120softmax_warp_forwardIN3c104HalfES2_fLi11ELb1ELb0ELi64EEEvPT0_PKT_iiiPKbib
	.p2align	8
	.type	_ZN12_GLOBAL__N_120softmax_warp_forwardIN3c104HalfES2_fLi11ELb1ELb0ELi64EEEvPT0_PKT_iiiPKbib,@function
_ZN12_GLOBAL__N_120softmax_warp_forwardIN3c104HalfES2_fLi11ELb1ELb0ELi64EEEvPT0_PKT_iiiPKbib: ; @_ZN12_GLOBAL__N_120softmax_warp_forwardIN3c104HalfES2_fLi11ELb1ELb0ELi64EEEvPT0_PKT_iiiPKbib
; %bb.0:
	s_clause 0x1
	s_load_dword s0, s[4:5], 0x3c
	s_load_dwordx8 s[36:43], s[4:5], 0x0
	v_mov_b32_e32 v14, 0xff800000
	v_mov_b32_e32 v11, 0xff800000
	s_waitcnt lgkmcnt(0)
	s_lshr_b32 s0, s0, 16
	v_cmp_gt_i32_e64 s1, s42, v0
	v_mad_u64_u32 v[1:2], null, s6, s0, v[1:2]
	v_mad_u64_u32 v[2:3], null, v1, s41, v[0:1]
	v_sub_nc_u32_e32 v5, s40, v1
	v_cmp_lt_i32_e64 s31, 0, v5
	v_ashrrev_i32_e32 v3, 31, v2
	s_and_b32 s2, s31, s1
	v_lshlrev_b64 v[1:2], 1, v[2:3]
	v_add_co_u32 v3, vcc_lo, s38, v1
	v_add_co_ci_u32_e64 v4, null, s39, v2, vcc_lo
	s_and_saveexec_b32 s0, s2
	s_cbranch_execz .LBB92_2
; %bb.1:
	global_load_ushort v6, v[3:4], off
	s_waitcnt vmcnt(0)
	v_cvt_f32_f16_e32 v11, v6
.LBB92_2:
	s_or_b32 exec_lo, exec_lo, s0
	v_add_nc_u32_e32 v6, 64, v0
	v_cmp_gt_i32_e32 vcc_lo, s42, v6
	s_and_b32 s2, s31, vcc_lo
	s_and_saveexec_b32 s0, s2
	s_cbranch_execz .LBB92_4
; %bb.3:
	global_load_ushort v6, v[3:4], off offset:128
	s_waitcnt vmcnt(0)
	v_cvt_f32_f16_e32 v14, v6
.LBB92_4:
	s_or_b32 exec_lo, exec_lo, s0
	v_add_nc_u32_e32 v6, 0x80, v0
	v_mov_b32_e32 v19, 0xff800000
	v_mov_b32_e32 v18, 0xff800000
	v_cmp_gt_i32_e64 s0, s42, v6
	s_and_b32 s3, s31, s0
	s_and_saveexec_b32 s2, s3
	s_cbranch_execz .LBB92_6
; %bb.5:
	global_load_ushort v6, v[3:4], off offset:256
	s_waitcnt vmcnt(0)
	v_cvt_f32_f16_e32 v18, v6
.LBB92_6:
	s_or_b32 exec_lo, exec_lo, s2
	v_add_nc_u32_e32 v6, 0xc0, v0
	v_cmp_gt_i32_e64 s2, s42, v6
	s_and_b32 s4, s31, s2
	s_and_saveexec_b32 s3, s4
	s_cbranch_execz .LBB92_8
; %bb.7:
	global_load_ushort v6, v[3:4], off offset:384
	s_waitcnt vmcnt(0)
	v_cvt_f32_f16_e32 v19, v6
.LBB92_8:
	s_or_b32 exec_lo, exec_lo, s3
	v_add_nc_u32_e32 v6, 0x100, v0
	v_mov_b32_e32 v22, 0xff800000
	v_mov_b32_e32 v20, 0xff800000
	v_cmp_gt_i32_e64 s3, s42, v6
	s_and_b32 s5, s31, s3
	s_and_saveexec_b32 s4, s5
	s_cbranch_execz .LBB92_10
; %bb.9:
	global_load_ushort v6, v[3:4], off offset:512
	s_waitcnt vmcnt(0)
	v_cvt_f32_f16_e32 v20, v6
.LBB92_10:
	s_or_b32 exec_lo, exec_lo, s4
	v_add_nc_u32_e32 v6, 0x140, v0
	v_cmp_gt_i32_e64 s4, s42, v6
	s_and_b32 s6, s31, s4
	;; [unrolled: 24-line block ×7, first 2 shown]
	s_and_saveexec_b32 s15, s16
	s_cbranch_execz .LBB92_32
; %bb.31:
	global_load_ushort v6, v[3:4], off offset:1920
	s_waitcnt vmcnt(0)
	v_cvt_f32_f16_e32 v33, v6
.LBB92_32:
	s_or_b32 exec_lo, exec_lo, s15
	v_or_b32_e32 v6, 0x400, v0
	v_mov_b32_e32 v31, 0xff800000
	v_mov_b32_e32 v38, 0xff800000
	v_cmp_gt_i32_e64 s15, s42, v6
	s_and_b32 s16, s31, s15
	s_and_saveexec_b32 s17, s16
	s_cbranch_execz .LBB92_34
; %bb.33:
	v_add_co_u32 v6, s16, 0x800, v3
	v_add_co_ci_u32_e64 v7, null, 0, v4, s16
	global_load_ushort v6, v[6:7], off
	s_waitcnt vmcnt(0)
	v_cvt_f32_f16_e32 v38, v6
.LBB92_34:
	s_or_b32 exec_lo, exec_lo, s17
	v_add_nc_u32_e32 v6, 0x440, v0
	v_cmp_gt_i32_e64 s16, s42, v6
	s_and_b32 s17, s31, s16
	s_and_saveexec_b32 s18, s17
	s_cbranch_execz .LBB92_36
; %bb.35:
	v_add_co_u32 v6, s17, 0x800, v3
	v_add_co_ci_u32_e64 v7, null, 0, v4, s17
	global_load_ushort v6, v[6:7], off offset:128
	s_waitcnt vmcnt(0)
	v_cvt_f32_f16_e32 v31, v6
.LBB92_36:
	s_or_b32 exec_lo, exec_lo, s18
	v_add_nc_u32_e32 v6, 0x480, v0
	v_mov_b32_e32 v29, 0xff800000
	v_mov_b32_e32 v36, 0xff800000
	v_cmp_gt_i32_e64 s17, s42, v6
	s_and_b32 s18, s31, s17
	s_and_saveexec_b32 s19, s18
	s_cbranch_execz .LBB92_38
; %bb.37:
	v_add_co_u32 v6, s18, 0x800, v3
	v_add_co_ci_u32_e64 v7, null, 0, v4, s18
	global_load_ushort v6, v[6:7], off offset:256
	s_waitcnt vmcnt(0)
	v_cvt_f32_f16_e32 v36, v6
.LBB92_38:
	s_or_b32 exec_lo, exec_lo, s19
	v_add_nc_u32_e32 v6, 0x4c0, v0
	v_cmp_gt_i32_e64 s18, s42, v6
	s_and_b32 s19, s31, s18
	s_and_saveexec_b32 s20, s19
	s_cbranch_execz .LBB92_40
; %bb.39:
	v_add_co_u32 v6, s19, 0x800, v3
	v_add_co_ci_u32_e64 v7, null, 0, v4, s19
	global_load_ushort v6, v[6:7], off offset:384
	s_waitcnt vmcnt(0)
	v_cvt_f32_f16_e32 v29, v6
.LBB92_40:
	s_or_b32 exec_lo, exec_lo, s20
	v_add_nc_u32_e32 v6, 0x500, v0
	v_mov_b32_e32 v28, 0xff800000
	v_mov_b32_e32 v34, 0xff800000
	v_cmp_gt_i32_e64 s19, s42, v6
	s_and_b32 s20, s31, s19
	s_and_saveexec_b32 s21, s20
	s_cbranch_execz .LBB92_42
; %bb.41:
	v_add_co_u32 v6, s20, 0x800, v3
	v_add_co_ci_u32_e64 v7, null, 0, v4, s20
	global_load_ushort v6, v[6:7], off offset:512
	s_waitcnt vmcnt(0)
	v_cvt_f32_f16_e32 v34, v6
.LBB92_42:
	;; [unrolled: 28-line block ×6, first 2 shown]
	s_or_b32 exec_lo, exec_lo, s29
	v_add_nc_u32_e32 v6, 0x740, v0
	v_cmp_gt_i32_e64 s28, s42, v6
	s_and_b32 s29, s31, s28
	s_and_saveexec_b32 s30, s29
	s_cbranch_execz .LBB92_60
; %bb.59:
	v_add_co_u32 v6, s29, 0x800, v3
	v_add_co_ci_u32_e64 v7, null, 0, v4, s29
	global_load_ushort v6, v[6:7], off offset:1664
	s_waitcnt vmcnt(0)
	v_cvt_f32_f16_e32 v7, v6
.LBB92_60:
	s_or_b32 exec_lo, exec_lo, s30
	v_add_nc_u32_e32 v6, 0x780, v0
	v_mov_b32_e32 v8, 0xff800000
	v_cmp_gt_i32_e64 s29, s42, v6
	v_mov_b32_e32 v6, 0xff800000
	s_and_b32 s30, s31, s29
	s_and_saveexec_b32 s33, s30
	s_cbranch_execz .LBB92_62
; %bb.61:
	v_add_co_u32 v42, s30, 0x800, v3
	v_add_co_ci_u32_e64 v43, null, 0, v4, s30
	global_load_ushort v8, v[42:43], off offset:1792
	s_waitcnt vmcnt(0)
	v_cvt_f32_f16_e32 v8, v8
.LBB92_62:
	s_or_b32 exec_lo, exec_lo, s33
	v_add_nc_u32_e32 v0, 0x7c0, v0
	v_cmp_gt_i32_e64 s30, s42, v0
	s_and_b32 s31, s31, s30
	s_and_saveexec_b32 s33, s31
	s_cbranch_execz .LBB92_64
; %bb.63:
	v_add_co_u32 v3, s31, 0x800, v3
	v_add_co_ci_u32_e64 v4, null, 0, v4, s31
	global_load_ushort v0, v[3:4], off offset:1920
	s_waitcnt vmcnt(0)
	v_cvt_f32_f16_e32 v6, v0
.LBB92_64:
	s_or_b32 exec_lo, exec_lo, s33
	v_cmp_gt_f32_e64 s31, v11, v14
	v_mbcnt_lo_u32_b32 v17, -1, 0
	s_mov_b32 s33, exec_lo
	v_cndmask_b32_e64 v0, v14, v11, s31
	v_cmp_gt_f32_e64 s31, v0, v18
	v_cndmask_b32_e64 v0, v18, v0, s31
	v_cmp_gt_f32_e64 s31, v0, v19
	;; [unrolled: 2-line block ×30, first 2 shown]
	v_cndmask_b32_e64 v3, v6, v0, s31
	v_or_b32_e32 v0, 32, v17
	v_cmp_gt_i32_e64 s31, 64, v0
	v_cndmask_b32_e64 v0, v17, v0, s31
	v_lshlrev_b32_e32 v0, 2, v0
	ds_bpermute_b32 v4, v0, v3
	s_waitcnt lgkmcnt(0)
	v_cmp_lt_f32_e64 s31, v3, v4
	v_cndmask_b32_e64 v4, v3, v4, s31
	v_xor_b32_e32 v3, 16, v17
	v_cmp_gt_i32_e64 s31, 64, v3
	v_cndmask_b32_e64 v3, v17, v3, s31
	v_lshlrev_b32_e32 v3, 2, v3
	ds_bpermute_b32 v12, v3, v4
	s_waitcnt lgkmcnt(0)
	v_cmp_lt_f32_e64 s31, v4, v12
	v_cndmask_b32_e64 v12, v4, v12, s31
	v_xor_b32_e32 v4, 8, v17
	;; [unrolled: 8-line block ×5, first 2 shown]
	v_cmp_gt_i32_e64 s31, 64, v42
	v_cndmask_b32_e64 v17, v17, v42, s31
	v_lshlrev_b32_e32 v17, 2, v17
	ds_bpermute_b32 v42, v17, v21
	s_waitcnt lgkmcnt(0)
	v_cmp_lt_f32_e64 s31, v21, v42
	v_cndmask_b32_e64 v21, v21, v42, s31
	v_sub_f32_e32 v11, v11, v21
	v_sub_f32_e32 v14, v14, v21
	;; [unrolled: 1-line block ×5, first 2 shown]
	v_mul_f32_e32 v42, 0x3fb8aa3b, v11
	v_cmp_ngt_f32_e64 s31, 0xc2ce8ed0, v11
	v_sub_f32_e32 v22, v22, v21
	v_sub_f32_e32 v24, v24, v21
	;; [unrolled: 1-line block ×3, first 2 shown]
	v_fma_f32 v43, 0x3fb8aa3b, v11, -v42
	v_rndne_f32_e32 v44, v42
	v_sub_f32_e32 v27, v27, v21
	v_sub_f32_e32 v30, v30, v21
	v_sub_f32_e32 v35, v35, v21
	v_fmac_f32_e32 v43, 0x32a5705f, v11
	v_sub_f32_e32 v42, v42, v44
	v_sub_f32_e32 v39, v39, v21
	;; [unrolled: 1-line block ×5, first 2 shown]
	v_add_f32_e32 v42, v42, v43
	v_cvt_i32_f32_e32 v43, v44
	v_sub_f32_e32 v33, v33, v21
	v_sub_f32_e32 v38, v38, v21
	;; [unrolled: 1-line block ×3, first 2 shown]
	v_exp_f32_e32 v42, v42
	v_sub_f32_e32 v36, v36, v21
	v_sub_f32_e32 v29, v29, v21
	;; [unrolled: 1-line block ×9, first 2 shown]
	v_ldexp_f32 v42, v42, v43
	v_mul_f32_e32 v43, 0x3fb8aa3b, v14
	v_sub_f32_e32 v10, v10, v21
	v_sub_f32_e32 v9, v9, v21
	;; [unrolled: 1-line block ×3, first 2 shown]
	v_cndmask_b32_e64 v42, 0, v42, s31
	v_fma_f32 v44, 0x3fb8aa3b, v14, -v43
	v_rndne_f32_e32 v45, v43
	v_cmp_nlt_f32_e64 s31, 0x42b17218, v11
	v_sub_f32_e32 v8, v8, v21
	v_sub_f32_e32 v6, v6, v21
	v_fmac_f32_e32 v44, 0x32a5705f, v14
	v_sub_f32_e32 v43, v43, v45
	v_cndmask_b32_e64 v42, 0x7f800000, v42, s31
	v_cmp_ngt_f32_e64 s31, 0xc2ce8ed0, v14
	v_mul_f32_e32 v21, 0x3fb8aa3b, v6
	v_add_f32_e32 v43, v43, v44
	v_cvt_i32_f32_e32 v44, v45
	v_exp_f32_e32 v43, v43
	v_ldexp_f32 v43, v43, v44
	v_cndmask_b32_e64 v43, 0, v43, s31
	v_cmp_nlt_f32_e64 s31, 0x42b17218, v14
	v_cndmask_b32_e64 v43, 0x7f800000, v43, s31
	v_cmp_ngt_f32_e64 s31, 0xc2ce8ed0, v18
	v_add_f32_e32 v42, v42, v43
	v_mul_f32_e32 v43, 0x3fb8aa3b, v18
	v_fma_f32 v44, 0x3fb8aa3b, v18, -v43
	v_rndne_f32_e32 v45, v43
	v_fmac_f32_e32 v44, 0x32a5705f, v18
	v_sub_f32_e32 v43, v43, v45
	v_add_f32_e32 v43, v43, v44
	v_cvt_i32_f32_e32 v44, v45
	v_exp_f32_e32 v43, v43
	v_ldexp_f32 v43, v43, v44
	v_cndmask_b32_e64 v43, 0, v43, s31
	v_cmp_nlt_f32_e64 s31, 0x42b17218, v18
	v_cndmask_b32_e64 v43, 0x7f800000, v43, s31
	v_cmp_ngt_f32_e64 s31, 0xc2ce8ed0, v19
	v_add_f32_e32 v42, v42, v43
	v_mul_f32_e32 v43, 0x3fb8aa3b, v19
	v_fma_f32 v44, 0x3fb8aa3b, v19, -v43
	v_rndne_f32_e32 v45, v43
	v_fmac_f32_e32 v44, 0x32a5705f, v19
	v_sub_f32_e32 v43, v43, v45
	;; [unrolled: 14-line block ×29, first 2 shown]
	v_add_f32_e32 v43, v43, v44
	v_cvt_i32_f32_e32 v44, v45
	v_exp_f32_e32 v43, v43
	v_ldexp_f32 v43, v43, v44
	v_rndne_f32_e32 v44, v21
	v_cndmask_b32_e64 v43, 0, v43, s31
	v_cmp_nlt_f32_e64 s31, 0x42b17218, v8
	v_cndmask_b32_e64 v43, 0x7f800000, v43, s31
	v_cmp_ngt_f32_e64 s31, 0xc2ce8ed0, v6
	v_add_f32_e32 v42, v42, v43
	v_fma_f32 v43, 0x3fb8aa3b, v6, -v21
	v_sub_f32_e32 v21, v21, v44
	v_fmac_f32_e32 v43, 0x32a5705f, v6
	v_add_f32_e32 v21, v21, v43
	v_cvt_i32_f32_e32 v43, v44
	v_exp_f32_e32 v21, v21
	v_ldexp_f32 v21, v21, v43
	v_cndmask_b32_e64 v21, 0, v21, s31
	v_cmp_nlt_f32_e64 s31, 0x42b17218, v6
	v_cndmask_b32_e64 v21, 0x7f800000, v21, s31
	v_add_f32_e32 v21, v42, v21
	ds_bpermute_b32 v0, v0, v21
	s_waitcnt lgkmcnt(0)
	v_add_f32_e32 v0, v21, v0
	ds_bpermute_b32 v3, v3, v0
	s_waitcnt lgkmcnt(0)
	;; [unrolled: 3-line block ×5, first 2 shown]
	v_add_f32_e32 v0, v0, v3
	ds_bpermute_b32 v3, v17, v0
	v_cmpx_lt_i32_e32 0, v5
	s_cbranch_execz .LBB92_98
; %bb.65:
	s_and_b32 exec_lo, exec_lo, s1
	s_cbranch_execz .LBB92_98
; %bb.66:
	s_waitcnt lgkmcnt(0)
	v_add_f32_e32 v0, v0, v3
	v_cmp_gt_f32_e64 s1, 0x800000, v0
	v_cndmask_b32_e64 v3, 0, 32, s1
	v_ldexp_f32 v0, v0, v3
	v_log_f32_e32 v0, v0
	v_mul_f32_e32 v3, 0x3f317217, v0
	v_cmp_gt_f32_e64 s31, 0x7f800000, |v0|
	v_fma_f32 v3, 0x3f317217, v0, -v3
	v_fmamk_f32 v3, v0, 0x3377d1cf, v3
	v_fmac_f32_e32 v3, 0x3f317217, v0
	v_cndmask_b32_e64 v0, v0, v3, s31
	v_cndmask_b32_e64 v3, 0, 0x41b17218, s1
	v_sub_f32_e32 v3, v0, v3
	v_add_co_u32 v0, s1, s36, v1
	v_add_co_ci_u32_e64 v1, null, s37, v2, s1
	v_sub_f32_e32 v4, v11, v3
	v_cvt_f16_f32_e32 v2, v4
	global_store_short v[0:1], v2, off
	s_and_b32 exec_lo, exec_lo, vcc_lo
	s_cbranch_execz .LBB92_98
; %bb.67:
	v_sub_f32_e32 v2, v14, v3
	v_cvt_f16_f32_e32 v2, v2
	global_store_short v[0:1], v2, off offset:128
	s_and_b32 exec_lo, exec_lo, s0
	s_cbranch_execz .LBB92_98
; %bb.68:
	v_sub_f32_e32 v2, v18, v3
	v_cvt_f16_f32_e32 v2, v2
	global_store_short v[0:1], v2, off offset:256
	s_and_b32 exec_lo, exec_lo, s2
	;; [unrolled: 6-line block ×15, first 2 shown]
	s_cbranch_execz .LBB92_98
; %bb.82:
	v_sub_f32_e32 v2, v38, v3
	v_add_co_u32 v0, vcc_lo, 0x800, v0
	v_add_co_ci_u32_e64 v1, null, 0, v1, vcc_lo
	v_cvt_f16_f32_e32 v2, v2
	global_store_short v[0:1], v2, off
	s_and_b32 exec_lo, exec_lo, s16
	s_cbranch_execz .LBB92_98
; %bb.83:
	v_sub_f32_e32 v2, v31, v3
	v_cvt_f16_f32_e32 v2, v2
	global_store_short v[0:1], v2, off offset:128
	s_and_b32 exec_lo, exec_lo, s17
	s_cbranch_execz .LBB92_98
; %bb.84:
	v_sub_f32_e32 v2, v36, v3
	v_cvt_f16_f32_e32 v2, v2
	global_store_short v[0:1], v2, off offset:256
	;; [unrolled: 6-line block ×15, first 2 shown]
.LBB92_98:
	s_endpgm
	.section	.rodata,"a",@progbits
	.p2align	6, 0x0
	.amdhsa_kernel _ZN12_GLOBAL__N_120softmax_warp_forwardIN3c104HalfES2_fLi11ELb1ELb0ELi64EEEvPT0_PKT_iiiPKbib
		.amdhsa_group_segment_fixed_size 0
		.amdhsa_private_segment_fixed_size 0
		.amdhsa_kernarg_size 304
		.amdhsa_user_sgpr_count 6
		.amdhsa_user_sgpr_private_segment_buffer 1
		.amdhsa_user_sgpr_dispatch_ptr 0
		.amdhsa_user_sgpr_queue_ptr 0
		.amdhsa_user_sgpr_kernarg_segment_ptr 1
		.amdhsa_user_sgpr_dispatch_id 0
		.amdhsa_user_sgpr_flat_scratch_init 0
		.amdhsa_user_sgpr_private_segment_size 0
		.amdhsa_wavefront_size32 1
		.amdhsa_uses_dynamic_stack 0
		.amdhsa_system_sgpr_private_segment_wavefront_offset 0
		.amdhsa_system_sgpr_workgroup_id_x 1
		.amdhsa_system_sgpr_workgroup_id_y 0
		.amdhsa_system_sgpr_workgroup_id_z 0
		.amdhsa_system_sgpr_workgroup_info 0
		.amdhsa_system_vgpr_workitem_id 1
		.amdhsa_next_free_vgpr 46
		.amdhsa_next_free_sgpr 44
		.amdhsa_reserve_vcc 1
		.amdhsa_reserve_flat_scratch 0
		.amdhsa_float_round_mode_32 0
		.amdhsa_float_round_mode_16_64 0
		.amdhsa_float_denorm_mode_32 3
		.amdhsa_float_denorm_mode_16_64 3
		.amdhsa_dx10_clamp 1
		.amdhsa_ieee_mode 1
		.amdhsa_fp16_overflow 0
		.amdhsa_workgroup_processor_mode 1
		.amdhsa_memory_ordered 1
		.amdhsa_forward_progress 1
		.amdhsa_shared_vgpr_count 0
		.amdhsa_exception_fp_ieee_invalid_op 0
		.amdhsa_exception_fp_denorm_src 0
		.amdhsa_exception_fp_ieee_div_zero 0
		.amdhsa_exception_fp_ieee_overflow 0
		.amdhsa_exception_fp_ieee_underflow 0
		.amdhsa_exception_fp_ieee_inexact 0
		.amdhsa_exception_int_div_zero 0
	.end_amdhsa_kernel
	.section	.text._ZN12_GLOBAL__N_120softmax_warp_forwardIN3c104HalfES2_fLi11ELb1ELb0ELi64EEEvPT0_PKT_iiiPKbib,"axG",@progbits,_ZN12_GLOBAL__N_120softmax_warp_forwardIN3c104HalfES2_fLi11ELb1ELb0ELi64EEEvPT0_PKT_iiiPKbib,comdat
.Lfunc_end92:
	.size	_ZN12_GLOBAL__N_120softmax_warp_forwardIN3c104HalfES2_fLi11ELb1ELb0ELi64EEEvPT0_PKT_iiiPKbib, .Lfunc_end92-_ZN12_GLOBAL__N_120softmax_warp_forwardIN3c104HalfES2_fLi11ELb1ELb0ELi64EEEvPT0_PKT_iiiPKbib
                                        ; -- End function
	.set _ZN12_GLOBAL__N_120softmax_warp_forwardIN3c104HalfES2_fLi11ELb1ELb0ELi64EEEvPT0_PKT_iiiPKbib.num_vgpr, 46
	.set _ZN12_GLOBAL__N_120softmax_warp_forwardIN3c104HalfES2_fLi11ELb1ELb0ELi64EEEvPT0_PKT_iiiPKbib.num_agpr, 0
	.set _ZN12_GLOBAL__N_120softmax_warp_forwardIN3c104HalfES2_fLi11ELb1ELb0ELi64EEEvPT0_PKT_iiiPKbib.numbered_sgpr, 44
	.set _ZN12_GLOBAL__N_120softmax_warp_forwardIN3c104HalfES2_fLi11ELb1ELb0ELi64EEEvPT0_PKT_iiiPKbib.num_named_barrier, 0
	.set _ZN12_GLOBAL__N_120softmax_warp_forwardIN3c104HalfES2_fLi11ELb1ELb0ELi64EEEvPT0_PKT_iiiPKbib.private_seg_size, 0
	.set _ZN12_GLOBAL__N_120softmax_warp_forwardIN3c104HalfES2_fLi11ELb1ELb0ELi64EEEvPT0_PKT_iiiPKbib.uses_vcc, 1
	.set _ZN12_GLOBAL__N_120softmax_warp_forwardIN3c104HalfES2_fLi11ELb1ELb0ELi64EEEvPT0_PKT_iiiPKbib.uses_flat_scratch, 0
	.set _ZN12_GLOBAL__N_120softmax_warp_forwardIN3c104HalfES2_fLi11ELb1ELb0ELi64EEEvPT0_PKT_iiiPKbib.has_dyn_sized_stack, 0
	.set _ZN12_GLOBAL__N_120softmax_warp_forwardIN3c104HalfES2_fLi11ELb1ELb0ELi64EEEvPT0_PKT_iiiPKbib.has_recursion, 0
	.set _ZN12_GLOBAL__N_120softmax_warp_forwardIN3c104HalfES2_fLi11ELb1ELb0ELi64EEEvPT0_PKT_iiiPKbib.has_indirect_call, 0
	.section	.AMDGPU.csdata,"",@progbits
; Kernel info:
; codeLenInByte = 7468
; TotalNumSgprs: 46
; NumVgprs: 46
; ScratchSize: 0
; MemoryBound: 0
; FloatMode: 240
; IeeeMode: 1
; LDSByteSize: 0 bytes/workgroup (compile time only)
; SGPRBlocks: 0
; VGPRBlocks: 5
; NumSGPRsForWavesPerEU: 46
; NumVGPRsForWavesPerEU: 46
; Occupancy: 16
; WaveLimiterHint : 0
; COMPUTE_PGM_RSRC2:SCRATCH_EN: 0
; COMPUTE_PGM_RSRC2:USER_SGPR: 6
; COMPUTE_PGM_RSRC2:TRAP_HANDLER: 0
; COMPUTE_PGM_RSRC2:TGID_X_EN: 1
; COMPUTE_PGM_RSRC2:TGID_Y_EN: 0
; COMPUTE_PGM_RSRC2:TGID_Z_EN: 0
; COMPUTE_PGM_RSRC2:TIDIG_COMP_CNT: 1
	.section	.text._ZN12_GLOBAL__N_120softmax_warp_forwardIN3c104HalfES2_fLi11ELb1ELb0ELi32EEEvPT0_PKT_iiiPKbib,"axG",@progbits,_ZN12_GLOBAL__N_120softmax_warp_forwardIN3c104HalfES2_fLi11ELb1ELb0ELi32EEEvPT0_PKT_iiiPKbib,comdat
	.globl	_ZN12_GLOBAL__N_120softmax_warp_forwardIN3c104HalfES2_fLi11ELb1ELb0ELi32EEEvPT0_PKT_iiiPKbib ; -- Begin function _ZN12_GLOBAL__N_120softmax_warp_forwardIN3c104HalfES2_fLi11ELb1ELb0ELi32EEEvPT0_PKT_iiiPKbib
	.p2align	8
	.type	_ZN12_GLOBAL__N_120softmax_warp_forwardIN3c104HalfES2_fLi11ELb1ELb0ELi32EEEvPT0_PKT_iiiPKbib,@function
_ZN12_GLOBAL__N_120softmax_warp_forwardIN3c104HalfES2_fLi11ELb1ELb0ELi32EEEvPT0_PKT_iiiPKbib: ; @_ZN12_GLOBAL__N_120softmax_warp_forwardIN3c104HalfES2_fLi11ELb1ELb0ELi32EEEvPT0_PKT_iiiPKbib
; %bb.0:
	s_clause 0x1
	s_load_dword s0, s[4:5], 0x3c
	s_load_dwordx8 s[68:75], s[4:5], 0x0
	v_mov_b32_e32 v9, 0xff800000
	v_mov_b32_e32 v7, 0xff800000
	s_waitcnt lgkmcnt(0)
	s_lshr_b32 s0, s0, 16
	v_cmp_gt_i32_e64 s1, s74, v0
	v_mad_u64_u32 v[1:2], null, s6, s0, v[1:2]
	v_mad_u64_u32 v[2:3], null, v1, s73, v[0:1]
	v_sub_nc_u32_e32 v5, s72, v1
	v_cmp_lt_i32_e64 s64, 0, v5
	v_ashrrev_i32_e32 v3, 31, v2
	s_and_b32 s2, s64, s1
	v_lshlrev_b64 v[1:2], 1, v[2:3]
	v_add_co_u32 v3, vcc_lo, s70, v1
	v_add_co_ci_u32_e64 v4, null, s71, v2, vcc_lo
	s_and_saveexec_b32 s0, s2
	s_cbranch_execz .LBB93_2
; %bb.1:
	global_load_ushort v6, v[3:4], off
	s_waitcnt vmcnt(0)
	v_cvt_f32_f16_e32 v7, v6
.LBB93_2:
	s_or_b32 exec_lo, exec_lo, s0
	v_add_nc_u32_e32 v6, 32, v0
	v_cmp_gt_i32_e32 vcc_lo, s74, v6
	s_and_b32 s2, s64, vcc_lo
	s_and_saveexec_b32 s0, s2
	s_cbranch_execz .LBB93_4
; %bb.3:
	global_load_ushort v6, v[3:4], off offset:64
	s_waitcnt vmcnt(0)
	v_cvt_f32_f16_e32 v9, v6
.LBB93_4:
	s_or_b32 exec_lo, exec_lo, s0
	v_add_nc_u32_e32 v6, 64, v0
	v_mov_b32_e32 v11, 0xff800000
	v_mov_b32_e32 v10, 0xff800000
	v_cmp_gt_i32_e64 s0, s74, v6
	s_and_b32 s3, s64, s0
	s_and_saveexec_b32 s2, s3
	s_cbranch_execz .LBB93_6
; %bb.5:
	global_load_ushort v6, v[3:4], off offset:128
	s_waitcnt vmcnt(0)
	v_cvt_f32_f16_e32 v10, v6
.LBB93_6:
	s_or_b32 exec_lo, exec_lo, s2
	v_add_nc_u32_e32 v6, 0x60, v0
	v_cmp_gt_i32_e64 s2, s74, v6
	s_and_b32 s4, s64, s2
	s_and_saveexec_b32 s3, s4
	s_cbranch_execz .LBB93_8
; %bb.7:
	global_load_ushort v6, v[3:4], off offset:192
	s_waitcnt vmcnt(0)
	v_cvt_f32_f16_e32 v11, v6
.LBB93_8:
	s_or_b32 exec_lo, exec_lo, s3
	v_add_nc_u32_e32 v6, 0x80, v0
	v_mov_b32_e32 v14, 0xff800000
	v_mov_b32_e32 v12, 0xff800000
	v_cmp_gt_i32_e64 s3, s74, v6
	s_and_b32 s5, s64, s3
	s_and_saveexec_b32 s4, s5
	s_cbranch_execz .LBB93_10
; %bb.9:
	global_load_ushort v6, v[3:4], off offset:256
	s_waitcnt vmcnt(0)
	v_cvt_f32_f16_e32 v12, v6
.LBB93_10:
	s_or_b32 exec_lo, exec_lo, s4
	v_add_nc_u32_e32 v6, 0xa0, v0
	v_cmp_gt_i32_e64 s4, s74, v6
	s_and_b32 s6, s64, s4
	;; [unrolled: 24-line block ×15, first 2 shown]
	s_and_saveexec_b32 s31, s33
	s_cbranch_execz .LBB93_64
; %bb.63:
	global_load_ushort v6, v[3:4], off offset:1984
	s_waitcnt vmcnt(0)
	v_cvt_f32_f16_e32 v69, v6
.LBB93_64:
	s_or_b32 exec_lo, exec_lo, s31
	v_or_b32_e32 v6, 0x400, v0
	v_mov_b32_e32 v71, 0xff800000
	v_mov_b32_e32 v72, 0xff800000
	v_cmp_gt_i32_e64 s31, s74, v6
	s_and_b32 s33, s64, s31
	s_and_saveexec_b32 s34, s33
	s_cbranch_execz .LBB93_66
; %bb.65:
	v_add_co_u32 v16, s33, 0x800, v3
	v_add_co_ci_u32_e64 v17, null, 0, v4, s33
	global_load_ushort v6, v[16:17], off
	s_waitcnt vmcnt(0)
	v_cvt_f32_f16_e32 v72, v6
.LBB93_66:
	s_or_b32 exec_lo, exec_lo, s34
	v_add_nc_u32_e32 v6, 0x420, v0
	v_cmp_gt_i32_e64 s33, s74, v6
	s_and_b32 s34, s64, s33
	s_and_saveexec_b32 s35, s34
	s_cbranch_execz .LBB93_68
; %bb.67:
	v_add_co_u32 v16, s34, 0x800, v3
	v_add_co_ci_u32_e64 v17, null, 0, v4, s34
	global_load_ushort v6, v[16:17], off offset:64
	s_waitcnt vmcnt(0)
	v_cvt_f32_f16_e32 v71, v6
.LBB93_68:
	s_or_b32 exec_lo, exec_lo, s35
	v_add_nc_u32_e32 v6, 0x440, v0
	v_mov_b32_e32 v67, 0xff800000
	v_mov_b32_e32 v70, 0xff800000
	v_cmp_gt_i32_e64 s34, s74, v6
	s_and_b32 s35, s64, s34
	s_and_saveexec_b32 s36, s35
	s_cbranch_execz .LBB93_70
; %bb.69:
	v_add_co_u32 v16, s35, 0x800, v3
	v_add_co_ci_u32_e64 v17, null, 0, v4, s35
	global_load_ushort v6, v[16:17], off offset:128
	s_waitcnt vmcnt(0)
	v_cvt_f32_f16_e32 v70, v6
.LBB93_70:
	s_or_b32 exec_lo, exec_lo, s36
	v_add_nc_u32_e32 v6, 0x460, v0
	v_cmp_gt_i32_e64 s35, s74, v6
	s_and_b32 s36, s64, s35
	s_and_saveexec_b32 s37, s36
	s_cbranch_execz .LBB93_72
; %bb.71:
	v_add_co_u32 v16, s36, 0x800, v3
	v_add_co_ci_u32_e64 v17, null, 0, v4, s36
	global_load_ushort v6, v[16:17], off offset:192
	s_waitcnt vmcnt(0)
	v_cvt_f32_f16_e32 v67, v6
.LBB93_72:
	s_or_b32 exec_lo, exec_lo, s37
	v_add_nc_u32_e32 v6, 0x480, v0
	v_mov_b32_e32 v63, 0xff800000
	v_mov_b32_e32 v66, 0xff800000
	v_cmp_gt_i32_e64 s36, s74, v6
	s_and_b32 s37, s64, s36
	s_and_saveexec_b32 s38, s37
	s_cbranch_execz .LBB93_74
; %bb.73:
	v_add_co_u32 v16, s37, 0x800, v3
	v_add_co_ci_u32_e64 v17, null, 0, v4, s37
	global_load_ushort v6, v[16:17], off offset:256
	s_waitcnt vmcnt(0)
	v_cvt_f32_f16_e32 v66, v6
.LBB93_74:
	;; [unrolled: 28-line block ×15, first 2 shown]
	s_or_b32 exec_lo, exec_lo, s65
	v_add_nc_u32_e32 v0, 0x7e0, v0
	v_cmp_gt_i32_e64 s63, s74, v0
	s_and_b32 s64, s64, s63
	s_and_saveexec_b32 s65, s64
	s_cbranch_execz .LBB93_128
; %bb.127:
	v_add_co_u32 v3, s64, 0x800, v3
	v_add_co_ci_u32_e64 v4, null, 0, v4, s64
	global_load_ushort v0, v[3:4], off offset:1984
	s_waitcnt vmcnt(0)
	v_cvt_f32_f16_e32 v13, v0
.LBB93_128:
	s_or_b32 exec_lo, exec_lo, s65
	v_cmp_gt_f32_e64 s64, v7, v9
	v_mbcnt_lo_u32_b32 v8, -1, 0
	s_mov_b32 s65, exec_lo
	v_cndmask_b32_e64 v0, v9, v7, s64
	v_cmp_gt_f32_e64 s64, v0, v10
	v_cndmask_b32_e64 v0, v10, v0, s64
	v_cmp_gt_f32_e64 s64, v0, v11
	;; [unrolled: 2-line block ×62, first 2 shown]
	v_cndmask_b32_e64 v3, v13, v0, s64
	v_xor_b32_e32 v0, 16, v8
	v_cmp_gt_i32_e64 s64, 32, v0
	v_cndmask_b32_e64 v0, v8, v0, s64
	v_lshlrev_b32_e32 v0, 2, v0
	ds_bpermute_b32 v4, v0, v3
	s_waitcnt lgkmcnt(0)
	v_cmp_lt_f32_e64 s64, v3, v4
	v_cndmask_b32_e64 v4, v3, v4, s64
	v_xor_b32_e32 v3, 8, v8
	v_cmp_gt_i32_e64 s64, 32, v3
	v_cndmask_b32_e64 v3, v8, v3, s64
	v_lshlrev_b32_e32 v3, 2, v3
	ds_bpermute_b32 v6, v3, v4
	s_waitcnt lgkmcnt(0)
	v_cmp_lt_f32_e64 s64, v4, v6
	v_cndmask_b32_e64 v6, v4, v6, s64
	v_xor_b32_e32 v4, 4, v8
	v_cmp_gt_i32_e64 s64, 32, v4
	v_cndmask_b32_e64 v4, v8, v4, s64
	v_lshlrev_b32_e32 v4, 2, v4
	ds_bpermute_b32 v60, v4, v6
	s_waitcnt lgkmcnt(0)
	v_cmp_lt_f32_e64 s64, v6, v60
	v_cndmask_b32_e64 v60, v6, v60, s64
	v_xor_b32_e32 v6, 2, v8
	v_cmp_gt_i32_e64 s64, 32, v6
	v_cndmask_b32_e64 v6, v8, v6, s64
	v_lshlrev_b32_e32 v6, 2, v6
	ds_bpermute_b32 v73, v6, v60
	s_waitcnt lgkmcnt(0)
	v_cmp_lt_f32_e64 s64, v60, v73
	v_cndmask_b32_e64 v60, v60, v73, s64
	v_xor_b32_e32 v73, 1, v8
	v_cmp_gt_i32_e64 s64, 32, v73
	v_cndmask_b32_e64 v8, v8, v73, s64
	v_lshlrev_b32_e32 v8, 2, v8
	ds_bpermute_b32 v73, v8, v60
	s_waitcnt lgkmcnt(0)
	v_cmp_lt_f32_e64 s64, v60, v73
	v_cndmask_b32_e64 v60, v60, v73, s64
	v_sub_f32_e32 v7, v7, v60
	v_sub_f32_e32 v9, v9, v60
	;; [unrolled: 1-line block ×5, first 2 shown]
	v_mul_f32_e32 v73, 0x3fb8aa3b, v7
	v_cmp_ngt_f32_e64 s64, 0xc2ce8ed0, v7
	v_sub_f32_e32 v14, v14, v60
	v_sub_f32_e32 v15, v15, v60
	;; [unrolled: 1-line block ×3, first 2 shown]
	v_fma_f32 v74, 0x3fb8aa3b, v7, -v73
	v_rndne_f32_e32 v75, v73
	v_sub_f32_e32 v20, v20, v60
	v_sub_f32_e32 v22, v22, v60
	;; [unrolled: 1-line block ×3, first 2 shown]
	v_fmac_f32_e32 v74, 0x32a5705f, v7
	v_sub_f32_e32 v73, v73, v75
	v_sub_f32_e32 v26, v26, v60
	;; [unrolled: 1-line block ×5, first 2 shown]
	v_add_f32_e32 v73, v73, v74
	v_cvt_i32_f32_e32 v74, v75
	v_sub_f32_e32 v34, v34, v60
	v_sub_f32_e32 v37, v37, v60
	;; [unrolled: 1-line block ×3, first 2 shown]
	v_exp_f32_e32 v73, v73
	v_sub_f32_e32 v41, v41, v60
	v_sub_f32_e32 v44, v44, v60
	;; [unrolled: 1-line block ×9, first 2 shown]
	v_ldexp_f32 v73, v73, v74
	v_mul_f32_e32 v74, 0x3fb8aa3b, v9
	v_sub_f32_e32 v61, v61, v60
	v_sub_f32_e32 v64, v64, v60
	;; [unrolled: 1-line block ×3, first 2 shown]
	v_cndmask_b32_e64 v73, 0, v73, s64
	v_fma_f32 v75, 0x3fb8aa3b, v9, -v74
	v_rndne_f32_e32 v76, v74
	v_cmp_nlt_f32_e64 s64, 0x42b17218, v7
	v_sub_f32_e32 v68, v68, v60
	v_sub_f32_e32 v69, v69, v60
	v_fmac_f32_e32 v75, 0x32a5705f, v9
	v_sub_f32_e32 v74, v74, v76
	v_cndmask_b32_e64 v73, 0x7f800000, v73, s64
	v_cmp_ngt_f32_e64 s64, 0xc2ce8ed0, v9
	v_sub_f32_e32 v72, v72, v60
	v_sub_f32_e32 v71, v71, v60
	v_add_f32_e32 v74, v74, v75
	v_cvt_i32_f32_e32 v75, v76
	v_sub_f32_e32 v70, v70, v60
	v_sub_f32_e32 v67, v67, v60
	;; [unrolled: 1-line block ×3, first 2 shown]
	v_exp_f32_e32 v74, v74
	v_sub_f32_e32 v63, v63, v60
	v_sub_f32_e32 v62, v62, v60
	;; [unrolled: 1-line block ×9, first 2 shown]
	v_ldexp_f32 v74, v74, v75
	v_sub_f32_e32 v46, v46, v60
	v_sub_f32_e32 v43, v43, v60
	;; [unrolled: 1-line block ×4, first 2 shown]
	v_cndmask_b32_e64 v74, 0, v74, s64
	v_cmp_nlt_f32_e64 s64, 0x42b17218, v9
	v_sub_f32_e32 v38, v38, v60
	v_sub_f32_e32 v36, v36, v60
	;; [unrolled: 1-line block ×4, first 2 shown]
	v_cndmask_b32_e64 v74, 0x7f800000, v74, s64
	v_cmp_ngt_f32_e64 s64, 0xc2ce8ed0, v10
	v_sub_f32_e32 v31, v31, v60
	v_sub_f32_e32 v28, v28, v60
	;; [unrolled: 1-line block ×3, first 2 shown]
	v_add_f32_e32 v73, v73, v74
	v_mul_f32_e32 v74, 0x3fb8aa3b, v10
	v_sub_f32_e32 v25, v25, v60
	v_sub_f32_e32 v23, v23, v60
	;; [unrolled: 1-line block ×4, first 2 shown]
	v_fma_f32 v75, 0x3fb8aa3b, v10, -v74
	v_rndne_f32_e32 v76, v74
	v_sub_f32_e32 v17, v17, v60
	v_sub_f32_e32 v16, v16, v60
	;; [unrolled: 1-line block ×3, first 2 shown]
	v_fmac_f32_e32 v75, 0x32a5705f, v10
	v_sub_f32_e32 v74, v74, v76
	v_mul_f32_e32 v60, 0x3fb8aa3b, v13
	v_add_f32_e32 v74, v74, v75
	v_cvt_i32_f32_e32 v75, v76
	v_exp_f32_e32 v74, v74
	v_ldexp_f32 v74, v74, v75
	v_cndmask_b32_e64 v74, 0, v74, s64
	v_cmp_nlt_f32_e64 s64, 0x42b17218, v10
	v_cndmask_b32_e64 v74, 0x7f800000, v74, s64
	v_cmp_ngt_f32_e64 s64, 0xc2ce8ed0, v11
	v_add_f32_e32 v73, v73, v74
	v_mul_f32_e32 v74, 0x3fb8aa3b, v11
	v_fma_f32 v75, 0x3fb8aa3b, v11, -v74
	v_rndne_f32_e32 v76, v74
	v_fmac_f32_e32 v75, 0x32a5705f, v11
	v_sub_f32_e32 v74, v74, v76
	v_add_f32_e32 v74, v74, v75
	v_cvt_i32_f32_e32 v75, v76
	v_exp_f32_e32 v74, v74
	v_ldexp_f32 v74, v74, v75
	v_cndmask_b32_e64 v74, 0, v74, s64
	v_cmp_nlt_f32_e64 s64, 0x42b17218, v11
	v_cndmask_b32_e64 v74, 0x7f800000, v74, s64
	v_cmp_ngt_f32_e64 s64, 0xc2ce8ed0, v12
	v_add_f32_e32 v73, v73, v74
	v_mul_f32_e32 v74, 0x3fb8aa3b, v12
	v_fma_f32 v75, 0x3fb8aa3b, v12, -v74
	v_rndne_f32_e32 v76, v74
	v_fmac_f32_e32 v75, 0x32a5705f, v12
	v_sub_f32_e32 v74, v74, v76
	v_add_f32_e32 v74, v74, v75
	v_cvt_i32_f32_e32 v75, v76
	v_exp_f32_e32 v74, v74
	v_ldexp_f32 v74, v74, v75
	v_cndmask_b32_e64 v74, 0, v74, s64
	v_cmp_nlt_f32_e64 s64, 0x42b17218, v12
	v_cndmask_b32_e64 v74, 0x7f800000, v74, s64
	v_cmp_ngt_f32_e64 s64, 0xc2ce8ed0, v14
	v_add_f32_e32 v73, v73, v74
	v_mul_f32_e32 v74, 0x3fb8aa3b, v14
	v_fma_f32 v75, 0x3fb8aa3b, v14, -v74
	v_rndne_f32_e32 v76, v74
	v_fmac_f32_e32 v75, 0x32a5705f, v14
	v_sub_f32_e32 v74, v74, v76
	v_add_f32_e32 v74, v74, v75
	v_cvt_i32_f32_e32 v75, v76
	v_exp_f32_e32 v74, v74
	v_ldexp_f32 v74, v74, v75
	v_cndmask_b32_e64 v74, 0, v74, s64
	v_cmp_nlt_f32_e64 s64, 0x42b17218, v14
	v_cndmask_b32_e64 v74, 0x7f800000, v74, s64
	v_cmp_ngt_f32_e64 s64, 0xc2ce8ed0, v15
	v_add_f32_e32 v73, v73, v74
	v_mul_f32_e32 v74, 0x3fb8aa3b, v15
	v_fma_f32 v75, 0x3fb8aa3b, v15, -v74
	v_rndne_f32_e32 v76, v74
	v_fmac_f32_e32 v75, 0x32a5705f, v15
	v_sub_f32_e32 v74, v74, v76
	v_add_f32_e32 v74, v74, v75
	v_cvt_i32_f32_e32 v75, v76
	v_exp_f32_e32 v74, v74
	v_ldexp_f32 v74, v74, v75
	v_cndmask_b32_e64 v74, 0, v74, s64
	v_cmp_nlt_f32_e64 s64, 0x42b17218, v15
	v_cndmask_b32_e64 v74, 0x7f800000, v74, s64
	v_cmp_ngt_f32_e64 s64, 0xc2ce8ed0, v18
	v_add_f32_e32 v73, v73, v74
	v_mul_f32_e32 v74, 0x3fb8aa3b, v18
	v_fma_f32 v75, 0x3fb8aa3b, v18, -v74
	v_rndne_f32_e32 v76, v74
	v_fmac_f32_e32 v75, 0x32a5705f, v18
	v_sub_f32_e32 v74, v74, v76
	v_add_f32_e32 v74, v74, v75
	v_cvt_i32_f32_e32 v75, v76
	v_exp_f32_e32 v74, v74
	v_ldexp_f32 v74, v74, v75
	v_cndmask_b32_e64 v74, 0, v74, s64
	v_cmp_nlt_f32_e64 s64, 0x42b17218, v18
	v_cndmask_b32_e64 v74, 0x7f800000, v74, s64
	v_cmp_ngt_f32_e64 s64, 0xc2ce8ed0, v20
	v_add_f32_e32 v73, v73, v74
	v_mul_f32_e32 v74, 0x3fb8aa3b, v20
	v_fma_f32 v75, 0x3fb8aa3b, v20, -v74
	v_rndne_f32_e32 v76, v74
	v_fmac_f32_e32 v75, 0x32a5705f, v20
	v_sub_f32_e32 v74, v74, v76
	v_add_f32_e32 v74, v74, v75
	v_cvt_i32_f32_e32 v75, v76
	v_exp_f32_e32 v74, v74
	v_ldexp_f32 v74, v74, v75
	v_cndmask_b32_e64 v74, 0, v74, s64
	v_cmp_nlt_f32_e64 s64, 0x42b17218, v20
	v_cndmask_b32_e64 v74, 0x7f800000, v74, s64
	v_cmp_ngt_f32_e64 s64, 0xc2ce8ed0, v22
	v_add_f32_e32 v73, v73, v74
	v_mul_f32_e32 v74, 0x3fb8aa3b, v22
	v_fma_f32 v75, 0x3fb8aa3b, v22, -v74
	v_rndne_f32_e32 v76, v74
	v_fmac_f32_e32 v75, 0x32a5705f, v22
	v_sub_f32_e32 v74, v74, v76
	v_add_f32_e32 v74, v74, v75
	v_cvt_i32_f32_e32 v75, v76
	v_exp_f32_e32 v74, v74
	v_ldexp_f32 v74, v74, v75
	v_cndmask_b32_e64 v74, 0, v74, s64
	v_cmp_nlt_f32_e64 s64, 0x42b17218, v22
	v_cndmask_b32_e64 v74, 0x7f800000, v74, s64
	v_cmp_ngt_f32_e64 s64, 0xc2ce8ed0, v24
	v_add_f32_e32 v73, v73, v74
	v_mul_f32_e32 v74, 0x3fb8aa3b, v24
	v_fma_f32 v75, 0x3fb8aa3b, v24, -v74
	v_rndne_f32_e32 v76, v74
	v_fmac_f32_e32 v75, 0x32a5705f, v24
	v_sub_f32_e32 v74, v74, v76
	v_add_f32_e32 v74, v74, v75
	v_cvt_i32_f32_e32 v75, v76
	v_exp_f32_e32 v74, v74
	v_ldexp_f32 v74, v74, v75
	v_cndmask_b32_e64 v74, 0, v74, s64
	v_cmp_nlt_f32_e64 s64, 0x42b17218, v24
	v_cndmask_b32_e64 v74, 0x7f800000, v74, s64
	v_cmp_ngt_f32_e64 s64, 0xc2ce8ed0, v26
	v_add_f32_e32 v73, v73, v74
	v_mul_f32_e32 v74, 0x3fb8aa3b, v26
	v_fma_f32 v75, 0x3fb8aa3b, v26, -v74
	v_rndne_f32_e32 v76, v74
	v_fmac_f32_e32 v75, 0x32a5705f, v26
	v_sub_f32_e32 v74, v74, v76
	v_add_f32_e32 v74, v74, v75
	v_cvt_i32_f32_e32 v75, v76
	v_exp_f32_e32 v74, v74
	v_ldexp_f32 v74, v74, v75
	v_cndmask_b32_e64 v74, 0, v74, s64
	v_cmp_nlt_f32_e64 s64, 0x42b17218, v26
	v_cndmask_b32_e64 v74, 0x7f800000, v74, s64
	v_cmp_ngt_f32_e64 s64, 0xc2ce8ed0, v29
	v_add_f32_e32 v73, v73, v74
	v_mul_f32_e32 v74, 0x3fb8aa3b, v29
	v_fma_f32 v75, 0x3fb8aa3b, v29, -v74
	v_rndne_f32_e32 v76, v74
	v_fmac_f32_e32 v75, 0x32a5705f, v29
	v_sub_f32_e32 v74, v74, v76
	v_add_f32_e32 v74, v74, v75
	v_cvt_i32_f32_e32 v75, v76
	v_exp_f32_e32 v74, v74
	v_ldexp_f32 v74, v74, v75
	v_cndmask_b32_e64 v74, 0, v74, s64
	v_cmp_nlt_f32_e64 s64, 0x42b17218, v29
	v_cndmask_b32_e64 v74, 0x7f800000, v74, s64
	v_cmp_ngt_f32_e64 s64, 0xc2ce8ed0, v30
	v_add_f32_e32 v73, v73, v74
	v_mul_f32_e32 v74, 0x3fb8aa3b, v30
	v_fma_f32 v75, 0x3fb8aa3b, v30, -v74
	v_rndne_f32_e32 v76, v74
	v_fmac_f32_e32 v75, 0x32a5705f, v30
	v_sub_f32_e32 v74, v74, v76
	v_add_f32_e32 v74, v74, v75
	v_cvt_i32_f32_e32 v75, v76
	v_exp_f32_e32 v74, v74
	v_ldexp_f32 v74, v74, v75
	v_cndmask_b32_e64 v74, 0, v74, s64
	v_cmp_nlt_f32_e64 s64, 0x42b17218, v30
	v_cndmask_b32_e64 v74, 0x7f800000, v74, s64
	v_cmp_ngt_f32_e64 s64, 0xc2ce8ed0, v33
	v_add_f32_e32 v73, v73, v74
	v_mul_f32_e32 v74, 0x3fb8aa3b, v33
	v_fma_f32 v75, 0x3fb8aa3b, v33, -v74
	v_rndne_f32_e32 v76, v74
	v_fmac_f32_e32 v75, 0x32a5705f, v33
	v_sub_f32_e32 v74, v74, v76
	v_add_f32_e32 v74, v74, v75
	v_cvt_i32_f32_e32 v75, v76
	v_exp_f32_e32 v74, v74
	v_ldexp_f32 v74, v74, v75
	v_cndmask_b32_e64 v74, 0, v74, s64
	v_cmp_nlt_f32_e64 s64, 0x42b17218, v33
	v_cndmask_b32_e64 v74, 0x7f800000, v74, s64
	v_cmp_ngt_f32_e64 s64, 0xc2ce8ed0, v34
	v_add_f32_e32 v73, v73, v74
	v_mul_f32_e32 v74, 0x3fb8aa3b, v34
	v_fma_f32 v75, 0x3fb8aa3b, v34, -v74
	v_rndne_f32_e32 v76, v74
	v_fmac_f32_e32 v75, 0x32a5705f, v34
	v_sub_f32_e32 v74, v74, v76
	v_add_f32_e32 v74, v74, v75
	v_cvt_i32_f32_e32 v75, v76
	v_exp_f32_e32 v74, v74
	v_ldexp_f32 v74, v74, v75
	v_cndmask_b32_e64 v74, 0, v74, s64
	v_cmp_nlt_f32_e64 s64, 0x42b17218, v34
	v_cndmask_b32_e64 v74, 0x7f800000, v74, s64
	v_cmp_ngt_f32_e64 s64, 0xc2ce8ed0, v37
	v_add_f32_e32 v73, v73, v74
	v_mul_f32_e32 v74, 0x3fb8aa3b, v37
	v_fma_f32 v75, 0x3fb8aa3b, v37, -v74
	v_rndne_f32_e32 v76, v74
	v_fmac_f32_e32 v75, 0x32a5705f, v37
	v_sub_f32_e32 v74, v74, v76
	v_add_f32_e32 v74, v74, v75
	v_cvt_i32_f32_e32 v75, v76
	v_exp_f32_e32 v74, v74
	v_ldexp_f32 v74, v74, v75
	v_cndmask_b32_e64 v74, 0, v74, s64
	v_cmp_nlt_f32_e64 s64, 0x42b17218, v37
	v_cndmask_b32_e64 v74, 0x7f800000, v74, s64
	v_cmp_ngt_f32_e64 s64, 0xc2ce8ed0, v39
	v_add_f32_e32 v73, v73, v74
	v_mul_f32_e32 v74, 0x3fb8aa3b, v39
	v_fma_f32 v75, 0x3fb8aa3b, v39, -v74
	v_rndne_f32_e32 v76, v74
	v_fmac_f32_e32 v75, 0x32a5705f, v39
	v_sub_f32_e32 v74, v74, v76
	v_add_f32_e32 v74, v74, v75
	v_cvt_i32_f32_e32 v75, v76
	v_exp_f32_e32 v74, v74
	v_ldexp_f32 v74, v74, v75
	v_cndmask_b32_e64 v74, 0, v74, s64
	v_cmp_nlt_f32_e64 s64, 0x42b17218, v39
	v_cndmask_b32_e64 v74, 0x7f800000, v74, s64
	v_cmp_ngt_f32_e64 s64, 0xc2ce8ed0, v41
	v_add_f32_e32 v73, v73, v74
	v_mul_f32_e32 v74, 0x3fb8aa3b, v41
	v_fma_f32 v75, 0x3fb8aa3b, v41, -v74
	v_rndne_f32_e32 v76, v74
	v_fmac_f32_e32 v75, 0x32a5705f, v41
	v_sub_f32_e32 v74, v74, v76
	v_add_f32_e32 v74, v74, v75
	v_cvt_i32_f32_e32 v75, v76
	v_exp_f32_e32 v74, v74
	v_ldexp_f32 v74, v74, v75
	v_cndmask_b32_e64 v74, 0, v74, s64
	v_cmp_nlt_f32_e64 s64, 0x42b17218, v41
	v_cndmask_b32_e64 v74, 0x7f800000, v74, s64
	v_cmp_ngt_f32_e64 s64, 0xc2ce8ed0, v44
	v_add_f32_e32 v73, v73, v74
	v_mul_f32_e32 v74, 0x3fb8aa3b, v44
	v_fma_f32 v75, 0x3fb8aa3b, v44, -v74
	v_rndne_f32_e32 v76, v74
	v_fmac_f32_e32 v75, 0x32a5705f, v44
	v_sub_f32_e32 v74, v74, v76
	v_add_f32_e32 v74, v74, v75
	v_cvt_i32_f32_e32 v75, v76
	v_exp_f32_e32 v74, v74
	v_ldexp_f32 v74, v74, v75
	v_cndmask_b32_e64 v74, 0, v74, s64
	v_cmp_nlt_f32_e64 s64, 0x42b17218, v44
	v_cndmask_b32_e64 v74, 0x7f800000, v74, s64
	v_cmp_ngt_f32_e64 s64, 0xc2ce8ed0, v45
	v_add_f32_e32 v73, v73, v74
	v_mul_f32_e32 v74, 0x3fb8aa3b, v45
	v_fma_f32 v75, 0x3fb8aa3b, v45, -v74
	v_rndne_f32_e32 v76, v74
	v_fmac_f32_e32 v75, 0x32a5705f, v45
	v_sub_f32_e32 v74, v74, v76
	v_add_f32_e32 v74, v74, v75
	v_cvt_i32_f32_e32 v75, v76
	v_exp_f32_e32 v74, v74
	v_ldexp_f32 v74, v74, v75
	v_cndmask_b32_e64 v74, 0, v74, s64
	v_cmp_nlt_f32_e64 s64, 0x42b17218, v45
	v_cndmask_b32_e64 v74, 0x7f800000, v74, s64
	v_cmp_ngt_f32_e64 s64, 0xc2ce8ed0, v48
	v_add_f32_e32 v73, v73, v74
	v_mul_f32_e32 v74, 0x3fb8aa3b, v48
	v_fma_f32 v75, 0x3fb8aa3b, v48, -v74
	v_rndne_f32_e32 v76, v74
	v_fmac_f32_e32 v75, 0x32a5705f, v48
	v_sub_f32_e32 v74, v74, v76
	v_add_f32_e32 v74, v74, v75
	v_cvt_i32_f32_e32 v75, v76
	v_exp_f32_e32 v74, v74
	v_ldexp_f32 v74, v74, v75
	v_cndmask_b32_e64 v74, 0, v74, s64
	v_cmp_nlt_f32_e64 s64, 0x42b17218, v48
	v_cndmask_b32_e64 v74, 0x7f800000, v74, s64
	v_cmp_ngt_f32_e64 s64, 0xc2ce8ed0, v49
	v_add_f32_e32 v73, v73, v74
	v_mul_f32_e32 v74, 0x3fb8aa3b, v49
	v_fma_f32 v75, 0x3fb8aa3b, v49, -v74
	v_rndne_f32_e32 v76, v74
	v_fmac_f32_e32 v75, 0x32a5705f, v49
	v_sub_f32_e32 v74, v74, v76
	v_add_f32_e32 v74, v74, v75
	v_cvt_i32_f32_e32 v75, v76
	v_exp_f32_e32 v74, v74
	v_ldexp_f32 v74, v74, v75
	v_cndmask_b32_e64 v74, 0, v74, s64
	v_cmp_nlt_f32_e64 s64, 0x42b17218, v49
	v_cndmask_b32_e64 v74, 0x7f800000, v74, s64
	v_cmp_ngt_f32_e64 s64, 0xc2ce8ed0, v52
	v_add_f32_e32 v73, v73, v74
	v_mul_f32_e32 v74, 0x3fb8aa3b, v52
	v_fma_f32 v75, 0x3fb8aa3b, v52, -v74
	v_rndne_f32_e32 v76, v74
	v_fmac_f32_e32 v75, 0x32a5705f, v52
	v_sub_f32_e32 v74, v74, v76
	v_add_f32_e32 v74, v74, v75
	v_cvt_i32_f32_e32 v75, v76
	v_exp_f32_e32 v74, v74
	v_ldexp_f32 v74, v74, v75
	v_cndmask_b32_e64 v74, 0, v74, s64
	v_cmp_nlt_f32_e64 s64, 0x42b17218, v52
	v_cndmask_b32_e64 v74, 0x7f800000, v74, s64
	v_cmp_ngt_f32_e64 s64, 0xc2ce8ed0, v53
	v_add_f32_e32 v73, v73, v74
	v_mul_f32_e32 v74, 0x3fb8aa3b, v53
	v_fma_f32 v75, 0x3fb8aa3b, v53, -v74
	v_rndne_f32_e32 v76, v74
	v_fmac_f32_e32 v75, 0x32a5705f, v53
	v_sub_f32_e32 v74, v74, v76
	v_add_f32_e32 v74, v74, v75
	v_cvt_i32_f32_e32 v75, v76
	v_exp_f32_e32 v74, v74
	v_ldexp_f32 v74, v74, v75
	v_cndmask_b32_e64 v74, 0, v74, s64
	v_cmp_nlt_f32_e64 s64, 0x42b17218, v53
	v_cndmask_b32_e64 v74, 0x7f800000, v74, s64
	v_cmp_ngt_f32_e64 s64, 0xc2ce8ed0, v56
	v_add_f32_e32 v73, v73, v74
	v_mul_f32_e32 v74, 0x3fb8aa3b, v56
	v_fma_f32 v75, 0x3fb8aa3b, v56, -v74
	v_rndne_f32_e32 v76, v74
	v_fmac_f32_e32 v75, 0x32a5705f, v56
	v_sub_f32_e32 v74, v74, v76
	v_add_f32_e32 v74, v74, v75
	v_cvt_i32_f32_e32 v75, v76
	v_exp_f32_e32 v74, v74
	v_ldexp_f32 v74, v74, v75
	v_cndmask_b32_e64 v74, 0, v74, s64
	v_cmp_nlt_f32_e64 s64, 0x42b17218, v56
	v_cndmask_b32_e64 v74, 0x7f800000, v74, s64
	v_cmp_ngt_f32_e64 s64, 0xc2ce8ed0, v58
	v_add_f32_e32 v73, v73, v74
	v_mul_f32_e32 v74, 0x3fb8aa3b, v58
	v_fma_f32 v75, 0x3fb8aa3b, v58, -v74
	v_rndne_f32_e32 v76, v74
	v_fmac_f32_e32 v75, 0x32a5705f, v58
	v_sub_f32_e32 v74, v74, v76
	v_add_f32_e32 v74, v74, v75
	v_cvt_i32_f32_e32 v75, v76
	v_exp_f32_e32 v74, v74
	v_ldexp_f32 v74, v74, v75
	v_cndmask_b32_e64 v74, 0, v74, s64
	v_cmp_nlt_f32_e64 s64, 0x42b17218, v58
	v_cndmask_b32_e64 v74, 0x7f800000, v74, s64
	v_cmp_ngt_f32_e64 s64, 0xc2ce8ed0, v61
	v_add_f32_e32 v73, v73, v74
	v_mul_f32_e32 v74, 0x3fb8aa3b, v61
	v_fma_f32 v75, 0x3fb8aa3b, v61, -v74
	v_rndne_f32_e32 v76, v74
	v_fmac_f32_e32 v75, 0x32a5705f, v61
	v_sub_f32_e32 v74, v74, v76
	v_add_f32_e32 v74, v74, v75
	v_cvt_i32_f32_e32 v75, v76
	v_exp_f32_e32 v74, v74
	v_ldexp_f32 v74, v74, v75
	v_cndmask_b32_e64 v74, 0, v74, s64
	v_cmp_nlt_f32_e64 s64, 0x42b17218, v61
	v_cndmask_b32_e64 v74, 0x7f800000, v74, s64
	v_cmp_ngt_f32_e64 s64, 0xc2ce8ed0, v64
	v_add_f32_e32 v73, v73, v74
	v_mul_f32_e32 v74, 0x3fb8aa3b, v64
	v_fma_f32 v75, 0x3fb8aa3b, v64, -v74
	v_rndne_f32_e32 v76, v74
	v_fmac_f32_e32 v75, 0x32a5705f, v64
	v_sub_f32_e32 v74, v74, v76
	v_add_f32_e32 v74, v74, v75
	v_cvt_i32_f32_e32 v75, v76
	v_exp_f32_e32 v74, v74
	v_ldexp_f32 v74, v74, v75
	v_cndmask_b32_e64 v74, 0, v74, s64
	v_cmp_nlt_f32_e64 s64, 0x42b17218, v64
	v_cndmask_b32_e64 v74, 0x7f800000, v74, s64
	v_cmp_ngt_f32_e64 s64, 0xc2ce8ed0, v65
	v_add_f32_e32 v73, v73, v74
	v_mul_f32_e32 v74, 0x3fb8aa3b, v65
	v_fma_f32 v75, 0x3fb8aa3b, v65, -v74
	v_rndne_f32_e32 v76, v74
	v_fmac_f32_e32 v75, 0x32a5705f, v65
	v_sub_f32_e32 v74, v74, v76
	v_add_f32_e32 v74, v74, v75
	v_cvt_i32_f32_e32 v75, v76
	v_exp_f32_e32 v74, v74
	v_ldexp_f32 v74, v74, v75
	v_cndmask_b32_e64 v74, 0, v74, s64
	v_cmp_nlt_f32_e64 s64, 0x42b17218, v65
	v_cndmask_b32_e64 v74, 0x7f800000, v74, s64
	v_cmp_ngt_f32_e64 s64, 0xc2ce8ed0, v68
	v_add_f32_e32 v73, v73, v74
	v_mul_f32_e32 v74, 0x3fb8aa3b, v68
	v_fma_f32 v75, 0x3fb8aa3b, v68, -v74
	v_rndne_f32_e32 v76, v74
	v_fmac_f32_e32 v75, 0x32a5705f, v68
	v_sub_f32_e32 v74, v74, v76
	v_add_f32_e32 v74, v74, v75
	v_cvt_i32_f32_e32 v75, v76
	v_exp_f32_e32 v74, v74
	v_ldexp_f32 v74, v74, v75
	v_cndmask_b32_e64 v74, 0, v74, s64
	v_cmp_nlt_f32_e64 s64, 0x42b17218, v68
	v_cndmask_b32_e64 v74, 0x7f800000, v74, s64
	v_cmp_ngt_f32_e64 s64, 0xc2ce8ed0, v69
	v_add_f32_e32 v73, v73, v74
	v_mul_f32_e32 v74, 0x3fb8aa3b, v69
	v_fma_f32 v75, 0x3fb8aa3b, v69, -v74
	v_rndne_f32_e32 v76, v74
	v_fmac_f32_e32 v75, 0x32a5705f, v69
	v_sub_f32_e32 v74, v74, v76
	v_add_f32_e32 v74, v74, v75
	v_cvt_i32_f32_e32 v75, v76
	v_exp_f32_e32 v74, v74
	v_ldexp_f32 v74, v74, v75
	v_cndmask_b32_e64 v74, 0, v74, s64
	v_cmp_nlt_f32_e64 s64, 0x42b17218, v69
	v_cndmask_b32_e64 v74, 0x7f800000, v74, s64
	v_cmp_ngt_f32_e64 s64, 0xc2ce8ed0, v72
	v_add_f32_e32 v73, v73, v74
	v_mul_f32_e32 v74, 0x3fb8aa3b, v72
	v_fma_f32 v75, 0x3fb8aa3b, v72, -v74
	v_rndne_f32_e32 v76, v74
	v_fmac_f32_e32 v75, 0x32a5705f, v72
	v_sub_f32_e32 v74, v74, v76
	v_add_f32_e32 v74, v74, v75
	v_cvt_i32_f32_e32 v75, v76
	v_exp_f32_e32 v74, v74
	v_ldexp_f32 v74, v74, v75
	v_cndmask_b32_e64 v74, 0, v74, s64
	v_cmp_nlt_f32_e64 s64, 0x42b17218, v72
	v_cndmask_b32_e64 v74, 0x7f800000, v74, s64
	v_cmp_ngt_f32_e64 s64, 0xc2ce8ed0, v71
	v_add_f32_e32 v73, v73, v74
	v_mul_f32_e32 v74, 0x3fb8aa3b, v71
	v_fma_f32 v75, 0x3fb8aa3b, v71, -v74
	v_rndne_f32_e32 v76, v74
	v_fmac_f32_e32 v75, 0x32a5705f, v71
	v_sub_f32_e32 v74, v74, v76
	v_add_f32_e32 v74, v74, v75
	v_cvt_i32_f32_e32 v75, v76
	v_exp_f32_e32 v74, v74
	v_ldexp_f32 v74, v74, v75
	v_cndmask_b32_e64 v74, 0, v74, s64
	v_cmp_nlt_f32_e64 s64, 0x42b17218, v71
	v_cndmask_b32_e64 v74, 0x7f800000, v74, s64
	v_cmp_ngt_f32_e64 s64, 0xc2ce8ed0, v70
	v_add_f32_e32 v73, v73, v74
	v_mul_f32_e32 v74, 0x3fb8aa3b, v70
	v_fma_f32 v75, 0x3fb8aa3b, v70, -v74
	v_rndne_f32_e32 v76, v74
	v_fmac_f32_e32 v75, 0x32a5705f, v70
	v_sub_f32_e32 v74, v74, v76
	v_add_f32_e32 v74, v74, v75
	v_cvt_i32_f32_e32 v75, v76
	v_exp_f32_e32 v74, v74
	v_ldexp_f32 v74, v74, v75
	v_cndmask_b32_e64 v74, 0, v74, s64
	v_cmp_nlt_f32_e64 s64, 0x42b17218, v70
	v_cndmask_b32_e64 v74, 0x7f800000, v74, s64
	v_cmp_ngt_f32_e64 s64, 0xc2ce8ed0, v67
	v_add_f32_e32 v73, v73, v74
	v_mul_f32_e32 v74, 0x3fb8aa3b, v67
	v_fma_f32 v75, 0x3fb8aa3b, v67, -v74
	v_rndne_f32_e32 v76, v74
	v_fmac_f32_e32 v75, 0x32a5705f, v67
	v_sub_f32_e32 v74, v74, v76
	v_add_f32_e32 v74, v74, v75
	v_cvt_i32_f32_e32 v75, v76
	v_exp_f32_e32 v74, v74
	v_ldexp_f32 v74, v74, v75
	v_cndmask_b32_e64 v74, 0, v74, s64
	v_cmp_nlt_f32_e64 s64, 0x42b17218, v67
	v_cndmask_b32_e64 v74, 0x7f800000, v74, s64
	v_cmp_ngt_f32_e64 s64, 0xc2ce8ed0, v66
	v_add_f32_e32 v73, v73, v74
	v_mul_f32_e32 v74, 0x3fb8aa3b, v66
	v_fma_f32 v75, 0x3fb8aa3b, v66, -v74
	v_rndne_f32_e32 v76, v74
	v_fmac_f32_e32 v75, 0x32a5705f, v66
	v_sub_f32_e32 v74, v74, v76
	v_add_f32_e32 v74, v74, v75
	v_cvt_i32_f32_e32 v75, v76
	v_exp_f32_e32 v74, v74
	v_ldexp_f32 v74, v74, v75
	v_cndmask_b32_e64 v74, 0, v74, s64
	v_cmp_nlt_f32_e64 s64, 0x42b17218, v66
	v_cndmask_b32_e64 v74, 0x7f800000, v74, s64
	v_cmp_ngt_f32_e64 s64, 0xc2ce8ed0, v63
	v_add_f32_e32 v73, v73, v74
	v_mul_f32_e32 v74, 0x3fb8aa3b, v63
	v_fma_f32 v75, 0x3fb8aa3b, v63, -v74
	v_rndne_f32_e32 v76, v74
	v_fmac_f32_e32 v75, 0x32a5705f, v63
	v_sub_f32_e32 v74, v74, v76
	v_add_f32_e32 v74, v74, v75
	v_cvt_i32_f32_e32 v75, v76
	v_exp_f32_e32 v74, v74
	v_ldexp_f32 v74, v74, v75
	v_cndmask_b32_e64 v74, 0, v74, s64
	v_cmp_nlt_f32_e64 s64, 0x42b17218, v63
	v_cndmask_b32_e64 v74, 0x7f800000, v74, s64
	v_cmp_ngt_f32_e64 s64, 0xc2ce8ed0, v62
	v_add_f32_e32 v73, v73, v74
	v_mul_f32_e32 v74, 0x3fb8aa3b, v62
	v_fma_f32 v75, 0x3fb8aa3b, v62, -v74
	v_rndne_f32_e32 v76, v74
	v_fmac_f32_e32 v75, 0x32a5705f, v62
	v_sub_f32_e32 v74, v74, v76
	v_add_f32_e32 v74, v74, v75
	v_cvt_i32_f32_e32 v75, v76
	v_exp_f32_e32 v74, v74
	v_ldexp_f32 v74, v74, v75
	v_cndmask_b32_e64 v74, 0, v74, s64
	v_cmp_nlt_f32_e64 s64, 0x42b17218, v62
	v_cndmask_b32_e64 v74, 0x7f800000, v74, s64
	v_cmp_ngt_f32_e64 s64, 0xc2ce8ed0, v59
	v_add_f32_e32 v73, v73, v74
	v_mul_f32_e32 v74, 0x3fb8aa3b, v59
	v_fma_f32 v75, 0x3fb8aa3b, v59, -v74
	v_rndne_f32_e32 v76, v74
	v_fmac_f32_e32 v75, 0x32a5705f, v59
	v_sub_f32_e32 v74, v74, v76
	v_add_f32_e32 v74, v74, v75
	v_cvt_i32_f32_e32 v75, v76
	v_exp_f32_e32 v74, v74
	v_ldexp_f32 v74, v74, v75
	v_cndmask_b32_e64 v74, 0, v74, s64
	v_cmp_nlt_f32_e64 s64, 0x42b17218, v59
	v_cndmask_b32_e64 v74, 0x7f800000, v74, s64
	v_cmp_ngt_f32_e64 s64, 0xc2ce8ed0, v57
	v_add_f32_e32 v73, v73, v74
	v_mul_f32_e32 v74, 0x3fb8aa3b, v57
	v_fma_f32 v75, 0x3fb8aa3b, v57, -v74
	v_rndne_f32_e32 v76, v74
	v_fmac_f32_e32 v75, 0x32a5705f, v57
	v_sub_f32_e32 v74, v74, v76
	v_add_f32_e32 v74, v74, v75
	v_cvt_i32_f32_e32 v75, v76
	v_exp_f32_e32 v74, v74
	v_ldexp_f32 v74, v74, v75
	v_cndmask_b32_e64 v74, 0, v74, s64
	v_cmp_nlt_f32_e64 s64, 0x42b17218, v57
	v_cndmask_b32_e64 v74, 0x7f800000, v74, s64
	v_cmp_ngt_f32_e64 s64, 0xc2ce8ed0, v55
	v_add_f32_e32 v73, v73, v74
	v_mul_f32_e32 v74, 0x3fb8aa3b, v55
	v_fma_f32 v75, 0x3fb8aa3b, v55, -v74
	v_rndne_f32_e32 v76, v74
	v_fmac_f32_e32 v75, 0x32a5705f, v55
	v_sub_f32_e32 v74, v74, v76
	v_add_f32_e32 v74, v74, v75
	v_cvt_i32_f32_e32 v75, v76
	v_exp_f32_e32 v74, v74
	v_ldexp_f32 v74, v74, v75
	v_cndmask_b32_e64 v74, 0, v74, s64
	v_cmp_nlt_f32_e64 s64, 0x42b17218, v55
	v_cndmask_b32_e64 v74, 0x7f800000, v74, s64
	v_cmp_ngt_f32_e64 s64, 0xc2ce8ed0, v54
	v_add_f32_e32 v73, v73, v74
	v_mul_f32_e32 v74, 0x3fb8aa3b, v54
	v_fma_f32 v75, 0x3fb8aa3b, v54, -v74
	v_rndne_f32_e32 v76, v74
	v_fmac_f32_e32 v75, 0x32a5705f, v54
	v_sub_f32_e32 v74, v74, v76
	v_add_f32_e32 v74, v74, v75
	v_cvt_i32_f32_e32 v75, v76
	v_exp_f32_e32 v74, v74
	v_ldexp_f32 v74, v74, v75
	v_cndmask_b32_e64 v74, 0, v74, s64
	v_cmp_nlt_f32_e64 s64, 0x42b17218, v54
	v_cndmask_b32_e64 v74, 0x7f800000, v74, s64
	v_cmp_ngt_f32_e64 s64, 0xc2ce8ed0, v51
	v_add_f32_e32 v73, v73, v74
	v_mul_f32_e32 v74, 0x3fb8aa3b, v51
	v_fma_f32 v75, 0x3fb8aa3b, v51, -v74
	v_rndne_f32_e32 v76, v74
	v_fmac_f32_e32 v75, 0x32a5705f, v51
	v_sub_f32_e32 v74, v74, v76
	v_add_f32_e32 v74, v74, v75
	v_cvt_i32_f32_e32 v75, v76
	v_exp_f32_e32 v74, v74
	v_ldexp_f32 v74, v74, v75
	v_cndmask_b32_e64 v74, 0, v74, s64
	v_cmp_nlt_f32_e64 s64, 0x42b17218, v51
	v_cndmask_b32_e64 v74, 0x7f800000, v74, s64
	v_cmp_ngt_f32_e64 s64, 0xc2ce8ed0, v50
	v_add_f32_e32 v73, v73, v74
	v_mul_f32_e32 v74, 0x3fb8aa3b, v50
	v_fma_f32 v75, 0x3fb8aa3b, v50, -v74
	v_rndne_f32_e32 v76, v74
	v_fmac_f32_e32 v75, 0x32a5705f, v50
	v_sub_f32_e32 v74, v74, v76
	v_add_f32_e32 v74, v74, v75
	v_cvt_i32_f32_e32 v75, v76
	v_exp_f32_e32 v74, v74
	v_ldexp_f32 v74, v74, v75
	v_cndmask_b32_e64 v74, 0, v74, s64
	v_cmp_nlt_f32_e64 s64, 0x42b17218, v50
	v_cndmask_b32_e64 v74, 0x7f800000, v74, s64
	v_cmp_ngt_f32_e64 s64, 0xc2ce8ed0, v47
	v_add_f32_e32 v73, v73, v74
	v_mul_f32_e32 v74, 0x3fb8aa3b, v47
	v_fma_f32 v75, 0x3fb8aa3b, v47, -v74
	v_rndne_f32_e32 v76, v74
	v_fmac_f32_e32 v75, 0x32a5705f, v47
	v_sub_f32_e32 v74, v74, v76
	v_add_f32_e32 v74, v74, v75
	v_cvt_i32_f32_e32 v75, v76
	v_exp_f32_e32 v74, v74
	v_ldexp_f32 v74, v74, v75
	v_cndmask_b32_e64 v74, 0, v74, s64
	v_cmp_nlt_f32_e64 s64, 0x42b17218, v47
	v_cndmask_b32_e64 v74, 0x7f800000, v74, s64
	v_cmp_ngt_f32_e64 s64, 0xc2ce8ed0, v46
	v_add_f32_e32 v73, v73, v74
	v_mul_f32_e32 v74, 0x3fb8aa3b, v46
	v_fma_f32 v75, 0x3fb8aa3b, v46, -v74
	v_rndne_f32_e32 v76, v74
	v_fmac_f32_e32 v75, 0x32a5705f, v46
	v_sub_f32_e32 v74, v74, v76
	v_add_f32_e32 v74, v74, v75
	v_cvt_i32_f32_e32 v75, v76
	v_exp_f32_e32 v74, v74
	v_ldexp_f32 v74, v74, v75
	v_cndmask_b32_e64 v74, 0, v74, s64
	v_cmp_nlt_f32_e64 s64, 0x42b17218, v46
	v_cndmask_b32_e64 v74, 0x7f800000, v74, s64
	v_cmp_ngt_f32_e64 s64, 0xc2ce8ed0, v43
	v_add_f32_e32 v73, v73, v74
	v_mul_f32_e32 v74, 0x3fb8aa3b, v43
	v_fma_f32 v75, 0x3fb8aa3b, v43, -v74
	v_rndne_f32_e32 v76, v74
	v_fmac_f32_e32 v75, 0x32a5705f, v43
	v_sub_f32_e32 v74, v74, v76
	v_add_f32_e32 v74, v74, v75
	v_cvt_i32_f32_e32 v75, v76
	v_exp_f32_e32 v74, v74
	v_ldexp_f32 v74, v74, v75
	v_cndmask_b32_e64 v74, 0, v74, s64
	v_cmp_nlt_f32_e64 s64, 0x42b17218, v43
	v_cndmask_b32_e64 v74, 0x7f800000, v74, s64
	v_cmp_ngt_f32_e64 s64, 0xc2ce8ed0, v42
	v_add_f32_e32 v73, v73, v74
	v_mul_f32_e32 v74, 0x3fb8aa3b, v42
	v_fma_f32 v75, 0x3fb8aa3b, v42, -v74
	v_rndne_f32_e32 v76, v74
	v_fmac_f32_e32 v75, 0x32a5705f, v42
	v_sub_f32_e32 v74, v74, v76
	v_add_f32_e32 v74, v74, v75
	v_cvt_i32_f32_e32 v75, v76
	v_exp_f32_e32 v74, v74
	v_ldexp_f32 v74, v74, v75
	v_cndmask_b32_e64 v74, 0, v74, s64
	v_cmp_nlt_f32_e64 s64, 0x42b17218, v42
	v_cndmask_b32_e64 v74, 0x7f800000, v74, s64
	v_cmp_ngt_f32_e64 s64, 0xc2ce8ed0, v40
	v_add_f32_e32 v73, v73, v74
	v_mul_f32_e32 v74, 0x3fb8aa3b, v40
	v_fma_f32 v75, 0x3fb8aa3b, v40, -v74
	v_rndne_f32_e32 v76, v74
	v_fmac_f32_e32 v75, 0x32a5705f, v40
	v_sub_f32_e32 v74, v74, v76
	v_add_f32_e32 v74, v74, v75
	v_cvt_i32_f32_e32 v75, v76
	v_exp_f32_e32 v74, v74
	v_ldexp_f32 v74, v74, v75
	v_cndmask_b32_e64 v74, 0, v74, s64
	v_cmp_nlt_f32_e64 s64, 0x42b17218, v40
	v_cndmask_b32_e64 v74, 0x7f800000, v74, s64
	v_cmp_ngt_f32_e64 s64, 0xc2ce8ed0, v38
	v_add_f32_e32 v73, v73, v74
	v_mul_f32_e32 v74, 0x3fb8aa3b, v38
	v_fma_f32 v75, 0x3fb8aa3b, v38, -v74
	v_rndne_f32_e32 v76, v74
	v_fmac_f32_e32 v75, 0x32a5705f, v38
	v_sub_f32_e32 v74, v74, v76
	v_add_f32_e32 v74, v74, v75
	v_cvt_i32_f32_e32 v75, v76
	v_exp_f32_e32 v74, v74
	v_ldexp_f32 v74, v74, v75
	v_cndmask_b32_e64 v74, 0, v74, s64
	v_cmp_nlt_f32_e64 s64, 0x42b17218, v38
	v_cndmask_b32_e64 v74, 0x7f800000, v74, s64
	v_cmp_ngt_f32_e64 s64, 0xc2ce8ed0, v36
	v_add_f32_e32 v73, v73, v74
	v_mul_f32_e32 v74, 0x3fb8aa3b, v36
	v_fma_f32 v75, 0x3fb8aa3b, v36, -v74
	v_rndne_f32_e32 v76, v74
	v_fmac_f32_e32 v75, 0x32a5705f, v36
	v_sub_f32_e32 v74, v74, v76
	v_add_f32_e32 v74, v74, v75
	v_cvt_i32_f32_e32 v75, v76
	v_exp_f32_e32 v74, v74
	v_ldexp_f32 v74, v74, v75
	v_cndmask_b32_e64 v74, 0, v74, s64
	v_cmp_nlt_f32_e64 s64, 0x42b17218, v36
	v_cndmask_b32_e64 v74, 0x7f800000, v74, s64
	v_cmp_ngt_f32_e64 s64, 0xc2ce8ed0, v35
	v_add_f32_e32 v73, v73, v74
	v_mul_f32_e32 v74, 0x3fb8aa3b, v35
	v_fma_f32 v75, 0x3fb8aa3b, v35, -v74
	v_rndne_f32_e32 v76, v74
	v_fmac_f32_e32 v75, 0x32a5705f, v35
	v_sub_f32_e32 v74, v74, v76
	v_add_f32_e32 v74, v74, v75
	v_cvt_i32_f32_e32 v75, v76
	v_exp_f32_e32 v74, v74
	v_ldexp_f32 v74, v74, v75
	v_cndmask_b32_e64 v74, 0, v74, s64
	v_cmp_nlt_f32_e64 s64, 0x42b17218, v35
	v_cndmask_b32_e64 v74, 0x7f800000, v74, s64
	v_cmp_ngt_f32_e64 s64, 0xc2ce8ed0, v32
	v_add_f32_e32 v73, v73, v74
	v_mul_f32_e32 v74, 0x3fb8aa3b, v32
	v_fma_f32 v75, 0x3fb8aa3b, v32, -v74
	v_rndne_f32_e32 v76, v74
	v_fmac_f32_e32 v75, 0x32a5705f, v32
	v_sub_f32_e32 v74, v74, v76
	v_add_f32_e32 v74, v74, v75
	v_cvt_i32_f32_e32 v75, v76
	v_exp_f32_e32 v74, v74
	v_ldexp_f32 v74, v74, v75
	v_cndmask_b32_e64 v74, 0, v74, s64
	v_cmp_nlt_f32_e64 s64, 0x42b17218, v32
	v_cndmask_b32_e64 v74, 0x7f800000, v74, s64
	v_cmp_ngt_f32_e64 s64, 0xc2ce8ed0, v31
	v_add_f32_e32 v73, v73, v74
	v_mul_f32_e32 v74, 0x3fb8aa3b, v31
	v_fma_f32 v75, 0x3fb8aa3b, v31, -v74
	v_rndne_f32_e32 v76, v74
	v_fmac_f32_e32 v75, 0x32a5705f, v31
	v_sub_f32_e32 v74, v74, v76
	v_add_f32_e32 v74, v74, v75
	v_cvt_i32_f32_e32 v75, v76
	v_exp_f32_e32 v74, v74
	v_ldexp_f32 v74, v74, v75
	v_cndmask_b32_e64 v74, 0, v74, s64
	v_cmp_nlt_f32_e64 s64, 0x42b17218, v31
	v_cndmask_b32_e64 v74, 0x7f800000, v74, s64
	v_cmp_ngt_f32_e64 s64, 0xc2ce8ed0, v28
	v_add_f32_e32 v73, v73, v74
	v_mul_f32_e32 v74, 0x3fb8aa3b, v28
	v_fma_f32 v75, 0x3fb8aa3b, v28, -v74
	v_rndne_f32_e32 v76, v74
	v_fmac_f32_e32 v75, 0x32a5705f, v28
	v_sub_f32_e32 v74, v74, v76
	v_add_f32_e32 v74, v74, v75
	v_cvt_i32_f32_e32 v75, v76
	v_exp_f32_e32 v74, v74
	v_ldexp_f32 v74, v74, v75
	v_cndmask_b32_e64 v74, 0, v74, s64
	v_cmp_nlt_f32_e64 s64, 0x42b17218, v28
	v_cndmask_b32_e64 v74, 0x7f800000, v74, s64
	v_cmp_ngt_f32_e64 s64, 0xc2ce8ed0, v27
	v_add_f32_e32 v73, v73, v74
	v_mul_f32_e32 v74, 0x3fb8aa3b, v27
	v_fma_f32 v75, 0x3fb8aa3b, v27, -v74
	v_rndne_f32_e32 v76, v74
	v_fmac_f32_e32 v75, 0x32a5705f, v27
	v_sub_f32_e32 v74, v74, v76
	v_add_f32_e32 v74, v74, v75
	v_cvt_i32_f32_e32 v75, v76
	v_exp_f32_e32 v74, v74
	v_ldexp_f32 v74, v74, v75
	v_cndmask_b32_e64 v74, 0, v74, s64
	v_cmp_nlt_f32_e64 s64, 0x42b17218, v27
	v_cndmask_b32_e64 v74, 0x7f800000, v74, s64
	v_cmp_ngt_f32_e64 s64, 0xc2ce8ed0, v25
	v_add_f32_e32 v73, v73, v74
	v_mul_f32_e32 v74, 0x3fb8aa3b, v25
	v_fma_f32 v75, 0x3fb8aa3b, v25, -v74
	v_rndne_f32_e32 v76, v74
	v_fmac_f32_e32 v75, 0x32a5705f, v25
	v_sub_f32_e32 v74, v74, v76
	v_add_f32_e32 v74, v74, v75
	v_cvt_i32_f32_e32 v75, v76
	v_exp_f32_e32 v74, v74
	v_ldexp_f32 v74, v74, v75
	v_cndmask_b32_e64 v74, 0, v74, s64
	v_cmp_nlt_f32_e64 s64, 0x42b17218, v25
	v_cndmask_b32_e64 v74, 0x7f800000, v74, s64
	v_cmp_ngt_f32_e64 s64, 0xc2ce8ed0, v23
	v_add_f32_e32 v73, v73, v74
	v_mul_f32_e32 v74, 0x3fb8aa3b, v23
	v_fma_f32 v75, 0x3fb8aa3b, v23, -v74
	v_rndne_f32_e32 v76, v74
	v_fmac_f32_e32 v75, 0x32a5705f, v23
	v_sub_f32_e32 v74, v74, v76
	v_add_f32_e32 v74, v74, v75
	v_cvt_i32_f32_e32 v75, v76
	v_exp_f32_e32 v74, v74
	v_ldexp_f32 v74, v74, v75
	v_cndmask_b32_e64 v74, 0, v74, s64
	v_cmp_nlt_f32_e64 s64, 0x42b17218, v23
	v_cndmask_b32_e64 v74, 0x7f800000, v74, s64
	v_cmp_ngt_f32_e64 s64, 0xc2ce8ed0, v21
	v_add_f32_e32 v73, v73, v74
	v_mul_f32_e32 v74, 0x3fb8aa3b, v21
	v_fma_f32 v75, 0x3fb8aa3b, v21, -v74
	v_rndne_f32_e32 v76, v74
	v_fmac_f32_e32 v75, 0x32a5705f, v21
	v_sub_f32_e32 v74, v74, v76
	v_add_f32_e32 v74, v74, v75
	v_cvt_i32_f32_e32 v75, v76
	v_exp_f32_e32 v74, v74
	v_ldexp_f32 v74, v74, v75
	v_cndmask_b32_e64 v74, 0, v74, s64
	v_cmp_nlt_f32_e64 s64, 0x42b17218, v21
	v_cndmask_b32_e64 v74, 0x7f800000, v74, s64
	v_cmp_ngt_f32_e64 s64, 0xc2ce8ed0, v19
	v_add_f32_e32 v73, v73, v74
	v_mul_f32_e32 v74, 0x3fb8aa3b, v19
	v_fma_f32 v75, 0x3fb8aa3b, v19, -v74
	v_rndne_f32_e32 v76, v74
	v_fmac_f32_e32 v75, 0x32a5705f, v19
	v_sub_f32_e32 v74, v74, v76
	v_add_f32_e32 v74, v74, v75
	v_cvt_i32_f32_e32 v75, v76
	v_exp_f32_e32 v74, v74
	v_ldexp_f32 v74, v74, v75
	v_cndmask_b32_e64 v74, 0, v74, s64
	v_cmp_nlt_f32_e64 s64, 0x42b17218, v19
	v_cndmask_b32_e64 v74, 0x7f800000, v74, s64
	v_cmp_ngt_f32_e64 s64, 0xc2ce8ed0, v17
	v_add_f32_e32 v73, v73, v74
	v_mul_f32_e32 v74, 0x3fb8aa3b, v17
	v_fma_f32 v75, 0x3fb8aa3b, v17, -v74
	v_rndne_f32_e32 v76, v74
	v_fmac_f32_e32 v75, 0x32a5705f, v17
	v_sub_f32_e32 v74, v74, v76
	v_add_f32_e32 v74, v74, v75
	v_cvt_i32_f32_e32 v75, v76
	v_exp_f32_e32 v74, v74
	v_ldexp_f32 v74, v74, v75
	v_cndmask_b32_e64 v74, 0, v74, s64
	v_cmp_nlt_f32_e64 s64, 0x42b17218, v17
	v_cndmask_b32_e64 v74, 0x7f800000, v74, s64
	v_cmp_ngt_f32_e64 s64, 0xc2ce8ed0, v16
	v_add_f32_e32 v73, v73, v74
	v_mul_f32_e32 v74, 0x3fb8aa3b, v16
	v_fma_f32 v75, 0x3fb8aa3b, v16, -v74
	v_rndne_f32_e32 v76, v74
	v_fmac_f32_e32 v75, 0x32a5705f, v16
	v_sub_f32_e32 v74, v74, v76
	v_add_f32_e32 v74, v74, v75
	v_cvt_i32_f32_e32 v75, v76
	v_exp_f32_e32 v74, v74
	v_ldexp_f32 v74, v74, v75
	v_rndne_f32_e32 v75, v60
	v_cndmask_b32_e64 v74, 0, v74, s64
	v_cmp_nlt_f32_e64 s64, 0x42b17218, v16
	v_cndmask_b32_e64 v74, 0x7f800000, v74, s64
	v_cmp_ngt_f32_e64 s64, 0xc2ce8ed0, v13
	v_add_f32_e32 v73, v73, v74
	v_fma_f32 v74, 0x3fb8aa3b, v13, -v60
	v_sub_f32_e32 v60, v60, v75
	v_fmac_f32_e32 v74, 0x32a5705f, v13
	v_add_f32_e32 v60, v60, v74
	v_cvt_i32_f32_e32 v74, v75
	v_exp_f32_e32 v60, v60
	v_ldexp_f32 v60, v60, v74
	v_cndmask_b32_e64 v60, 0, v60, s64
	v_cmp_nlt_f32_e64 s64, 0x42b17218, v13
	v_cndmask_b32_e64 v60, 0x7f800000, v60, s64
	v_add_f32_e32 v60, v73, v60
	ds_bpermute_b32 v0, v0, v60
	s_waitcnt lgkmcnt(0)
	v_add_f32_e32 v0, v60, v0
	ds_bpermute_b32 v3, v3, v0
	s_waitcnt lgkmcnt(0)
	;; [unrolled: 3-line block ×4, first 2 shown]
	v_add_f32_e32 v0, v0, v3
	ds_bpermute_b32 v3, v8, v0
	v_cmpx_lt_i32_e32 0, v5
	s_cbranch_execz .LBB93_194
; %bb.129:
	s_and_b32 exec_lo, exec_lo, s1
	s_cbranch_execz .LBB93_194
; %bb.130:
	s_waitcnt lgkmcnt(0)
	v_add_f32_e32 v0, v0, v3
	v_cmp_gt_f32_e64 s1, 0x800000, v0
	v_cndmask_b32_e64 v3, 0, 32, s1
	v_ldexp_f32 v0, v0, v3
	v_log_f32_e32 v0, v0
	v_mul_f32_e32 v3, 0x3f317217, v0
	v_cmp_gt_f32_e64 s64, 0x7f800000, |v0|
	v_fma_f32 v3, 0x3f317217, v0, -v3
	v_fmamk_f32 v3, v0, 0x3377d1cf, v3
	v_fmac_f32_e32 v3, 0x3f317217, v0
	v_cndmask_b32_e64 v0, v0, v3, s64
	v_cndmask_b32_e64 v3, 0, 0x41b17218, s1
	v_sub_f32_e32 v3, v0, v3
	v_add_co_u32 v0, s1, s68, v1
	v_add_co_ci_u32_e64 v1, null, s69, v2, s1
	v_sub_f32_e32 v4, v7, v3
	v_cvt_f16_f32_e32 v2, v4
	global_store_short v[0:1], v2, off
	s_and_b32 exec_lo, exec_lo, vcc_lo
	s_cbranch_execz .LBB93_194
; %bb.131:
	v_sub_f32_e32 v2, v9, v3
	v_cvt_f16_f32_e32 v2, v2
	global_store_short v[0:1], v2, off offset:64
	s_and_b32 exec_lo, exec_lo, s0
	s_cbranch_execz .LBB93_194
; %bb.132:
	v_sub_f32_e32 v2, v10, v3
	v_cvt_f16_f32_e32 v2, v2
	global_store_short v[0:1], v2, off offset:128
	s_and_b32 exec_lo, exec_lo, s2
	;; [unrolled: 6-line block ×31, first 2 shown]
	s_cbranch_execz .LBB93_194
; %bb.162:
	v_sub_f32_e32 v2, v72, v3
	v_add_co_u32 v0, vcc_lo, 0x800, v0
	v_add_co_ci_u32_e64 v1, null, 0, v1, vcc_lo
	v_cvt_f16_f32_e32 v2, v2
	global_store_short v[0:1], v2, off
	s_and_b32 exec_lo, exec_lo, s33
	s_cbranch_execz .LBB93_194
; %bb.163:
	v_sub_f32_e32 v2, v71, v3
	v_cvt_f16_f32_e32 v2, v2
	global_store_short v[0:1], v2, off offset:64
	s_and_b32 exec_lo, exec_lo, s34
	s_cbranch_execz .LBB93_194
; %bb.164:
	v_sub_f32_e32 v2, v70, v3
	v_cvt_f16_f32_e32 v2, v2
	global_store_short v[0:1], v2, off offset:128
	;; [unrolled: 6-line block ×31, first 2 shown]
.LBB93_194:
	s_endpgm
	.section	.rodata,"a",@progbits
	.p2align	6, 0x0
	.amdhsa_kernel _ZN12_GLOBAL__N_120softmax_warp_forwardIN3c104HalfES2_fLi11ELb1ELb0ELi32EEEvPT0_PKT_iiiPKbib
		.amdhsa_group_segment_fixed_size 0
		.amdhsa_private_segment_fixed_size 0
		.amdhsa_kernarg_size 304
		.amdhsa_user_sgpr_count 6
		.amdhsa_user_sgpr_private_segment_buffer 1
		.amdhsa_user_sgpr_dispatch_ptr 0
		.amdhsa_user_sgpr_queue_ptr 0
		.amdhsa_user_sgpr_kernarg_segment_ptr 1
		.amdhsa_user_sgpr_dispatch_id 0
		.amdhsa_user_sgpr_flat_scratch_init 0
		.amdhsa_user_sgpr_private_segment_size 0
		.amdhsa_wavefront_size32 1
		.amdhsa_uses_dynamic_stack 0
		.amdhsa_system_sgpr_private_segment_wavefront_offset 0
		.amdhsa_system_sgpr_workgroup_id_x 1
		.amdhsa_system_sgpr_workgroup_id_y 0
		.amdhsa_system_sgpr_workgroup_id_z 0
		.amdhsa_system_sgpr_workgroup_info 0
		.amdhsa_system_vgpr_workitem_id 1
		.amdhsa_next_free_vgpr 77
		.amdhsa_next_free_sgpr 76
		.amdhsa_reserve_vcc 1
		.amdhsa_reserve_flat_scratch 0
		.amdhsa_float_round_mode_32 0
		.amdhsa_float_round_mode_16_64 0
		.amdhsa_float_denorm_mode_32 3
		.amdhsa_float_denorm_mode_16_64 3
		.amdhsa_dx10_clamp 1
		.amdhsa_ieee_mode 1
		.amdhsa_fp16_overflow 0
		.amdhsa_workgroup_processor_mode 1
		.amdhsa_memory_ordered 1
		.amdhsa_forward_progress 1
		.amdhsa_shared_vgpr_count 0
		.amdhsa_exception_fp_ieee_invalid_op 0
		.amdhsa_exception_fp_denorm_src 0
		.amdhsa_exception_fp_ieee_div_zero 0
		.amdhsa_exception_fp_ieee_overflow 0
		.amdhsa_exception_fp_ieee_underflow 0
		.amdhsa_exception_fp_ieee_inexact 0
		.amdhsa_exception_int_div_zero 0
	.end_amdhsa_kernel
	.section	.text._ZN12_GLOBAL__N_120softmax_warp_forwardIN3c104HalfES2_fLi11ELb1ELb0ELi32EEEvPT0_PKT_iiiPKbib,"axG",@progbits,_ZN12_GLOBAL__N_120softmax_warp_forwardIN3c104HalfES2_fLi11ELb1ELb0ELi32EEEvPT0_PKT_iiiPKbib,comdat
.Lfunc_end93:
	.size	_ZN12_GLOBAL__N_120softmax_warp_forwardIN3c104HalfES2_fLi11ELb1ELb0ELi32EEEvPT0_PKT_iiiPKbib, .Lfunc_end93-_ZN12_GLOBAL__N_120softmax_warp_forwardIN3c104HalfES2_fLi11ELb1ELb0ELi32EEEvPT0_PKT_iiiPKbib
                                        ; -- End function
	.set _ZN12_GLOBAL__N_120softmax_warp_forwardIN3c104HalfES2_fLi11ELb1ELb0ELi32EEEvPT0_PKT_iiiPKbib.num_vgpr, 77
	.set _ZN12_GLOBAL__N_120softmax_warp_forwardIN3c104HalfES2_fLi11ELb1ELb0ELi32EEEvPT0_PKT_iiiPKbib.num_agpr, 0
	.set _ZN12_GLOBAL__N_120softmax_warp_forwardIN3c104HalfES2_fLi11ELb1ELb0ELi32EEEvPT0_PKT_iiiPKbib.numbered_sgpr, 76
	.set _ZN12_GLOBAL__N_120softmax_warp_forwardIN3c104HalfES2_fLi11ELb1ELb0ELi32EEEvPT0_PKT_iiiPKbib.num_named_barrier, 0
	.set _ZN12_GLOBAL__N_120softmax_warp_forwardIN3c104HalfES2_fLi11ELb1ELb0ELi32EEEvPT0_PKT_iiiPKbib.private_seg_size, 0
	.set _ZN12_GLOBAL__N_120softmax_warp_forwardIN3c104HalfES2_fLi11ELb1ELb0ELi32EEEvPT0_PKT_iiiPKbib.uses_vcc, 1
	.set _ZN12_GLOBAL__N_120softmax_warp_forwardIN3c104HalfES2_fLi11ELb1ELb0ELi32EEEvPT0_PKT_iiiPKbib.uses_flat_scratch, 0
	.set _ZN12_GLOBAL__N_120softmax_warp_forwardIN3c104HalfES2_fLi11ELb1ELb0ELi32EEEvPT0_PKT_iiiPKbib.has_dyn_sized_stack, 0
	.set _ZN12_GLOBAL__N_120softmax_warp_forwardIN3c104HalfES2_fLi11ELb1ELb0ELi32EEEvPT0_PKT_iiiPKbib.has_recursion, 0
	.set _ZN12_GLOBAL__N_120softmax_warp_forwardIN3c104HalfES2_fLi11ELb1ELb0ELi32EEEvPT0_PKT_iiiPKbib.has_indirect_call, 0
	.section	.AMDGPU.csdata,"",@progbits
; Kernel info:
; codeLenInByte = 14244
; TotalNumSgprs: 78
; NumVgprs: 77
; ScratchSize: 0
; MemoryBound: 0
; FloatMode: 240
; IeeeMode: 1
; LDSByteSize: 0 bytes/workgroup (compile time only)
; SGPRBlocks: 0
; VGPRBlocks: 9
; NumSGPRsForWavesPerEU: 78
; NumVGPRsForWavesPerEU: 77
; Occupancy: 12
; WaveLimiterHint : 0
; COMPUTE_PGM_RSRC2:SCRATCH_EN: 0
; COMPUTE_PGM_RSRC2:USER_SGPR: 6
; COMPUTE_PGM_RSRC2:TRAP_HANDLER: 0
; COMPUTE_PGM_RSRC2:TGID_X_EN: 1
; COMPUTE_PGM_RSRC2:TGID_Y_EN: 0
; COMPUTE_PGM_RSRC2:TGID_Z_EN: 0
; COMPUTE_PGM_RSRC2:TIDIG_COMP_CNT: 1
	.section	.text._ZN2at6native12_GLOBAL__N_122cunn_SoftMaxForwardRegIN3c104HalfEfS4_NS1_25LogSoftMaxForwardEpilogueElLi1EEEvPT1_PKT_T3_,"axG",@progbits,_ZN2at6native12_GLOBAL__N_122cunn_SoftMaxForwardRegIN3c104HalfEfS4_NS1_25LogSoftMaxForwardEpilogueElLi1EEEvPT1_PKT_T3_,comdat
	.globl	_ZN2at6native12_GLOBAL__N_122cunn_SoftMaxForwardRegIN3c104HalfEfS4_NS1_25LogSoftMaxForwardEpilogueElLi1EEEvPT1_PKT_T3_ ; -- Begin function _ZN2at6native12_GLOBAL__N_122cunn_SoftMaxForwardRegIN3c104HalfEfS4_NS1_25LogSoftMaxForwardEpilogueElLi1EEEvPT1_PKT_T3_
	.p2align	8
	.type	_ZN2at6native12_GLOBAL__N_122cunn_SoftMaxForwardRegIN3c104HalfEfS4_NS1_25LogSoftMaxForwardEpilogueElLi1EEEvPT1_PKT_T3_,@function
_ZN2at6native12_GLOBAL__N_122cunn_SoftMaxForwardRegIN3c104HalfEfS4_NS1_25LogSoftMaxForwardEpilogueElLi1EEEvPT1_PKT_T3_: ; @_ZN2at6native12_GLOBAL__N_122cunn_SoftMaxForwardRegIN3c104HalfEfS4_NS1_25LogSoftMaxForwardEpilogueElLi1EEEvPT1_PKT_T3_
; %bb.0:
	s_clause 0x1
	s_load_dwordx2 s[0:1], s[4:5], 0x10
	s_load_dwordx4 s[8:11], s[4:5], 0x0
	v_mov_b32_e32 v1, 0
	v_mov_b32_e32 v4, 0xff7fffff
                                        ; implicit-def: $vgpr7
	s_waitcnt lgkmcnt(0)
	v_cmp_gt_i64_e32 vcc_lo, s[0:1], v[0:1]
	v_lshlrev_b32_e32 v1, 1, v0
	s_mul_i32 s2, s1, s6
	s_mul_hi_u32 s3, s0, s6
	s_mul_i32 s6, s0, s6
	s_add_i32 s7, s3, s2
	s_and_saveexec_b32 s0, vcc_lo
	s_cbranch_execz .LBB94_2
; %bb.1:
	s_lshl_b64 s[2:3], s[6:7], 1
	s_add_u32 s2, s10, s2
	s_addc_u32 s3, s11, s3
	global_load_ushort v2, v1, s[2:3]
	s_waitcnt vmcnt(0)
	v_cvt_f32_f16_e32 v7, v2
	v_max_f32_e32 v4, 0xff7fffff, v7
.LBB94_2:
	s_or_b32 exec_lo, exec_lo, s0
	v_mbcnt_lo_u32_b32 v6, -1, 0
	s_barrier
	buffer_gl0_inv
	v_lshl_or_b32 v2, v6, 2, 64
	v_cmp_gt_u32_e64 s0, 24, v6
	ds_bpermute_b32 v5, v2, v4
	v_cndmask_b32_e64 v3, 0, 8, s0
	v_add_lshl_u32 v3, v3, v6, 2
	s_waitcnt lgkmcnt(0)
	v_cmp_lt_f32_e64 s0, v4, v5
	v_cndmask_b32_e64 v5, v4, v5, s0
	v_cmp_gt_u32_e64 s0, 28, v6
	ds_bpermute_b32 v8, v3, v5
	v_cndmask_b32_e64 v4, 0, 4, s0
	v_add_lshl_u32 v4, v4, v6, 2
	s_waitcnt lgkmcnt(0)
	v_cmp_lt_f32_e64 s0, v5, v8
	v_cndmask_b32_e64 v8, v5, v8, s0
	;; [unrolled: 7-line block ×3, first 2 shown]
	v_cmp_ne_u32_e64 s0, 31, v6
	ds_bpermute_b32 v9, v5, v8
	v_add_co_ci_u32_e64 v6, null, 0, v6, s0
	v_lshlrev_b32_e32 v6, 2, v6
	s_waitcnt lgkmcnt(0)
	v_cmp_lt_f32_e64 s0, v8, v9
	v_cndmask_b32_e64 v10, v8, v9, s0
	v_and_b32_e32 v9, 31, v0
	v_lshrrev_b32_e32 v8, 3, v0
	ds_bpermute_b32 v11, v6, v10
	v_cmp_eq_u32_e64 s0, 0, v9
	s_and_saveexec_b32 s1, s0
	s_xor_b32 s2, exec_lo, s1
	s_cbranch_execz .LBB94_4
; %bb.3:
	s_waitcnt lgkmcnt(0)
	v_cmp_lt_f32_e64 s1, v10, v11
	v_add_nc_u32_e32 v12, 0, v8
	v_cndmask_b32_e64 v10, v10, v11, s1
	ds_write_b32 v12, v10
.LBB94_4:
	s_or_b32 exec_lo, exec_lo, s2
	s_waitcnt lgkmcnt(0)
	s_barrier
	buffer_gl0_inv
	s_load_dword s1, s[4:5], 0x24
	v_mov_b32_e32 v10, 0xff7fffff
	v_lshl_add_u32 v9, v9, 2, 0
	s_waitcnt lgkmcnt(0)
	s_bfe_u32 s1, s1, 0xb0005
	v_cmp_gt_u32_e64 s1, s1, v0
	s_and_saveexec_b32 s2, s1
	s_cbranch_execnz .LBB94_17
; %bb.5:
	s_or_b32 exec_lo, exec_lo, s2
	v_cmp_gt_u32_e64 s2, 32, v0
	s_and_saveexec_b32 s4, s2
	s_cbranch_execnz .LBB94_18
.LBB94_6:
	s_or_b32 exec_lo, exec_lo, s4
	v_cmp_eq_u32_e64 s3, 0, v0
	s_and_saveexec_b32 s4, s3
	s_cbranch_execz .LBB94_8
.LBB94_7:
	v_mov_b32_e32 v0, 0
	s_waitcnt lgkmcnt(0)
	ds_write_b32 v0, v10
.LBB94_8:
	s_or_b32 exec_lo, exec_lo, s4
	s_waitcnt lgkmcnt(0)
	v_mov_b32_e32 v10, 0
	s_barrier
	buffer_gl0_inv
	ds_read_b32 v0, v10
	s_waitcnt lgkmcnt(0)
	s_barrier
	buffer_gl0_inv
	v_sub_f32_e32 v0, v7, v0
	v_mul_f32_e32 v7, 0x3fb8aa3b, v0
	v_cmp_ngt_f32_e64 s4, 0xc2ce8ed0, v0
	v_fma_f32 v11, 0x3fb8aa3b, v0, -v7
	v_rndne_f32_e32 v12, v7
	v_fmamk_f32 v11, v0, 0x32a5705f, v11
	v_sub_f32_e32 v7, v7, v12
	v_add_f32_e32 v7, v7, v11
	v_cvt_i32_f32_e32 v11, v12
	v_exp_f32_e32 v7, v7
	v_ldexp_f32 v7, v7, v11
	v_cndmask_b32_e64 v7, 0, v7, s4
	v_cmp_nlt_f32_e64 s4, 0x42b17218, v0
	v_cndmask_b32_e64 v7, 0x7f800000, v7, s4
	v_cndmask_b32_e32 v7, 0, v7, vcc_lo
	ds_bpermute_b32 v11, v2, v7
	s_waitcnt lgkmcnt(0)
	v_add_f32_e32 v7, v7, v11
	ds_bpermute_b32 v11, v3, v7
	s_waitcnt lgkmcnt(0)
	v_add_f32_e32 v7, v7, v11
	;; [unrolled: 3-line block ×4, first 2 shown]
	ds_bpermute_b32 v11, v6, v7
	s_and_saveexec_b32 s4, s0
	s_cbranch_execz .LBB94_10
; %bb.9:
	v_add_nc_u32_e32 v8, 0, v8
	s_waitcnt lgkmcnt(0)
	v_add_f32_e32 v7, v7, v11
	ds_write_b32 v8, v7
.LBB94_10:
	s_or_b32 exec_lo, exec_lo, s4
	s_waitcnt lgkmcnt(0)
	s_barrier
	buffer_gl0_inv
	s_and_saveexec_b32 s0, s1
	s_cbranch_execnz .LBB94_19
; %bb.11:
	s_or_b32 exec_lo, exec_lo, s0
	s_and_saveexec_b32 s0, s2
	s_cbranch_execnz .LBB94_20
.LBB94_12:
	s_or_b32 exec_lo, exec_lo, s0
	s_and_saveexec_b32 s0, s3
	s_cbranch_execz .LBB94_14
.LBB94_13:
	v_mov_b32_e32 v2, 0
	s_waitcnt lgkmcnt(0)
	ds_write_b32 v2, v10
.LBB94_14:
	s_or_b32 exec_lo, exec_lo, s0
	s_waitcnt lgkmcnt(0)
	s_barrier
	buffer_gl0_inv
	s_and_saveexec_b32 s0, vcc_lo
	s_cbranch_execz .LBB94_16
; %bb.15:
	v_mov_b32_e32 v2, 0
	s_lshl_b64 s[0:1], s[6:7], 1
	s_add_u32 s0, s8, s0
	s_addc_u32 s1, s9, s1
	ds_read_b32 v2, v2
	s_waitcnt lgkmcnt(0)
	v_cmp_gt_f32_e32 vcc_lo, 0x800000, v2
	s_and_b32 s2, vcc_lo, exec_lo
	s_cselect_b32 s2, 32, 0
	v_cndmask_b32_e64 v3, 0, 0x41b17218, vcc_lo
	v_ldexp_f32 v2, v2, s2
	v_log_f32_e32 v2, v2
	v_mul_f32_e32 v4, 0x3f317217, v2
	v_cmp_gt_f32_e64 vcc_lo, 0x7f800000, |v2|
	v_fma_f32 v4, 0x3f317217, v2, -v4
	v_fmamk_f32 v4, v2, 0x3377d1cf, v4
	v_fmac_f32_e32 v4, 0x3f317217, v2
	v_cndmask_b32_e32 v2, v2, v4, vcc_lo
	v_sub_f32_e32 v2, v2, v3
	v_sub_f32_e32 v0, v0, v2
	v_cvt_f16_f32_e32 v0, v0
	global_store_short v1, v0, s[0:1]
.LBB94_16:
	s_endpgm
.LBB94_17:
	ds_read_b32 v10, v9
	s_or_b32 exec_lo, exec_lo, s2
	v_cmp_gt_u32_e64 s2, 32, v0
	s_and_saveexec_b32 s4, s2
	s_cbranch_execz .LBB94_6
.LBB94_18:
	s_waitcnt lgkmcnt(0)
	ds_bpermute_b32 v11, v2, v10
	s_waitcnt lgkmcnt(0)
	v_cmp_lt_f32_e64 s3, v10, v11
	v_cndmask_b32_e64 v10, v10, v11, s3
	ds_bpermute_b32 v11, v3, v10
	s_waitcnt lgkmcnt(0)
	v_cmp_lt_f32_e64 s3, v10, v11
	v_cndmask_b32_e64 v10, v10, v11, s3
	;; [unrolled: 4-line block ×5, first 2 shown]
	s_or_b32 exec_lo, exec_lo, s4
	v_cmp_eq_u32_e64 s3, 0, v0
	s_and_saveexec_b32 s4, s3
	s_cbranch_execnz .LBB94_7
	s_branch .LBB94_8
.LBB94_19:
	ds_read_b32 v10, v9
	s_or_b32 exec_lo, exec_lo, s0
	s_and_saveexec_b32 s0, s2
	s_cbranch_execz .LBB94_12
.LBB94_20:
	s_waitcnt lgkmcnt(0)
	ds_bpermute_b32 v2, v2, v10
	s_waitcnt lgkmcnt(0)
	v_add_f32_e32 v2, v10, v2
	ds_bpermute_b32 v3, v3, v2
	s_waitcnt lgkmcnt(0)
	v_add_f32_e32 v2, v2, v3
	;; [unrolled: 3-line block ×5, first 2 shown]
	s_or_b32 exec_lo, exec_lo, s0
	s_and_saveexec_b32 s0, s3
	s_cbranch_execnz .LBB94_13
	s_branch .LBB94_14
	.section	.rodata,"a",@progbits
	.p2align	6, 0x0
	.amdhsa_kernel _ZN2at6native12_GLOBAL__N_122cunn_SoftMaxForwardRegIN3c104HalfEfS4_NS1_25LogSoftMaxForwardEpilogueElLi1EEEvPT1_PKT_T3_
		.amdhsa_group_segment_fixed_size 0
		.amdhsa_private_segment_fixed_size 0
		.amdhsa_kernarg_size 280
		.amdhsa_user_sgpr_count 6
		.amdhsa_user_sgpr_private_segment_buffer 1
		.amdhsa_user_sgpr_dispatch_ptr 0
		.amdhsa_user_sgpr_queue_ptr 0
		.amdhsa_user_sgpr_kernarg_segment_ptr 1
		.amdhsa_user_sgpr_dispatch_id 0
		.amdhsa_user_sgpr_flat_scratch_init 0
		.amdhsa_user_sgpr_private_segment_size 0
		.amdhsa_wavefront_size32 1
		.amdhsa_uses_dynamic_stack 0
		.amdhsa_system_sgpr_private_segment_wavefront_offset 0
		.amdhsa_system_sgpr_workgroup_id_x 1
		.amdhsa_system_sgpr_workgroup_id_y 0
		.amdhsa_system_sgpr_workgroup_id_z 0
		.amdhsa_system_sgpr_workgroup_info 0
		.amdhsa_system_vgpr_workitem_id 0
		.amdhsa_next_free_vgpr 13
		.amdhsa_next_free_sgpr 12
		.amdhsa_reserve_vcc 1
		.amdhsa_reserve_flat_scratch 0
		.amdhsa_float_round_mode_32 0
		.amdhsa_float_round_mode_16_64 0
		.amdhsa_float_denorm_mode_32 3
		.amdhsa_float_denorm_mode_16_64 3
		.amdhsa_dx10_clamp 1
		.amdhsa_ieee_mode 1
		.amdhsa_fp16_overflow 0
		.amdhsa_workgroup_processor_mode 1
		.amdhsa_memory_ordered 1
		.amdhsa_forward_progress 1
		.amdhsa_shared_vgpr_count 0
		.amdhsa_exception_fp_ieee_invalid_op 0
		.amdhsa_exception_fp_denorm_src 0
		.amdhsa_exception_fp_ieee_div_zero 0
		.amdhsa_exception_fp_ieee_overflow 0
		.amdhsa_exception_fp_ieee_underflow 0
		.amdhsa_exception_fp_ieee_inexact 0
		.amdhsa_exception_int_div_zero 0
	.end_amdhsa_kernel
	.section	.text._ZN2at6native12_GLOBAL__N_122cunn_SoftMaxForwardRegIN3c104HalfEfS4_NS1_25LogSoftMaxForwardEpilogueElLi1EEEvPT1_PKT_T3_,"axG",@progbits,_ZN2at6native12_GLOBAL__N_122cunn_SoftMaxForwardRegIN3c104HalfEfS4_NS1_25LogSoftMaxForwardEpilogueElLi1EEEvPT1_PKT_T3_,comdat
.Lfunc_end94:
	.size	_ZN2at6native12_GLOBAL__N_122cunn_SoftMaxForwardRegIN3c104HalfEfS4_NS1_25LogSoftMaxForwardEpilogueElLi1EEEvPT1_PKT_T3_, .Lfunc_end94-_ZN2at6native12_GLOBAL__N_122cunn_SoftMaxForwardRegIN3c104HalfEfS4_NS1_25LogSoftMaxForwardEpilogueElLi1EEEvPT1_PKT_T3_
                                        ; -- End function
	.set _ZN2at6native12_GLOBAL__N_122cunn_SoftMaxForwardRegIN3c104HalfEfS4_NS1_25LogSoftMaxForwardEpilogueElLi1EEEvPT1_PKT_T3_.num_vgpr, 13
	.set _ZN2at6native12_GLOBAL__N_122cunn_SoftMaxForwardRegIN3c104HalfEfS4_NS1_25LogSoftMaxForwardEpilogueElLi1EEEvPT1_PKT_T3_.num_agpr, 0
	.set _ZN2at6native12_GLOBAL__N_122cunn_SoftMaxForwardRegIN3c104HalfEfS4_NS1_25LogSoftMaxForwardEpilogueElLi1EEEvPT1_PKT_T3_.numbered_sgpr, 12
	.set _ZN2at6native12_GLOBAL__N_122cunn_SoftMaxForwardRegIN3c104HalfEfS4_NS1_25LogSoftMaxForwardEpilogueElLi1EEEvPT1_PKT_T3_.num_named_barrier, 0
	.set _ZN2at6native12_GLOBAL__N_122cunn_SoftMaxForwardRegIN3c104HalfEfS4_NS1_25LogSoftMaxForwardEpilogueElLi1EEEvPT1_PKT_T3_.private_seg_size, 0
	.set _ZN2at6native12_GLOBAL__N_122cunn_SoftMaxForwardRegIN3c104HalfEfS4_NS1_25LogSoftMaxForwardEpilogueElLi1EEEvPT1_PKT_T3_.uses_vcc, 1
	.set _ZN2at6native12_GLOBAL__N_122cunn_SoftMaxForwardRegIN3c104HalfEfS4_NS1_25LogSoftMaxForwardEpilogueElLi1EEEvPT1_PKT_T3_.uses_flat_scratch, 0
	.set _ZN2at6native12_GLOBAL__N_122cunn_SoftMaxForwardRegIN3c104HalfEfS4_NS1_25LogSoftMaxForwardEpilogueElLi1EEEvPT1_PKT_T3_.has_dyn_sized_stack, 0
	.set _ZN2at6native12_GLOBAL__N_122cunn_SoftMaxForwardRegIN3c104HalfEfS4_NS1_25LogSoftMaxForwardEpilogueElLi1EEEvPT1_PKT_T3_.has_recursion, 0
	.set _ZN2at6native12_GLOBAL__N_122cunn_SoftMaxForwardRegIN3c104HalfEfS4_NS1_25LogSoftMaxForwardEpilogueElLi1EEEvPT1_PKT_T3_.has_indirect_call, 0
	.section	.AMDGPU.csdata,"",@progbits
; Kernel info:
; codeLenInByte = 1348
; TotalNumSgprs: 14
; NumVgprs: 13
; ScratchSize: 0
; MemoryBound: 0
; FloatMode: 240
; IeeeMode: 1
; LDSByteSize: 0 bytes/workgroup (compile time only)
; SGPRBlocks: 0
; VGPRBlocks: 1
; NumSGPRsForWavesPerEU: 14
; NumVGPRsForWavesPerEU: 13
; Occupancy: 16
; WaveLimiterHint : 0
; COMPUTE_PGM_RSRC2:SCRATCH_EN: 0
; COMPUTE_PGM_RSRC2:USER_SGPR: 6
; COMPUTE_PGM_RSRC2:TRAP_HANDLER: 0
; COMPUTE_PGM_RSRC2:TGID_X_EN: 1
; COMPUTE_PGM_RSRC2:TGID_Y_EN: 0
; COMPUTE_PGM_RSRC2:TGID_Z_EN: 0
; COMPUTE_PGM_RSRC2:TIDIG_COMP_CNT: 0
	.section	.text._ZN2at6native12_GLOBAL__N_122cunn_SoftMaxForwardRegIN3c104HalfEfS4_NS1_25LogSoftMaxForwardEpilogueElLi2EEEvPT1_PKT_T3_,"axG",@progbits,_ZN2at6native12_GLOBAL__N_122cunn_SoftMaxForwardRegIN3c104HalfEfS4_NS1_25LogSoftMaxForwardEpilogueElLi2EEEvPT1_PKT_T3_,comdat
	.globl	_ZN2at6native12_GLOBAL__N_122cunn_SoftMaxForwardRegIN3c104HalfEfS4_NS1_25LogSoftMaxForwardEpilogueElLi2EEEvPT1_PKT_T3_ ; -- Begin function _ZN2at6native12_GLOBAL__N_122cunn_SoftMaxForwardRegIN3c104HalfEfS4_NS1_25LogSoftMaxForwardEpilogueElLi2EEEvPT1_PKT_T3_
	.p2align	8
	.type	_ZN2at6native12_GLOBAL__N_122cunn_SoftMaxForwardRegIN3c104HalfEfS4_NS1_25LogSoftMaxForwardEpilogueElLi2EEEvPT1_PKT_T3_,@function
_ZN2at6native12_GLOBAL__N_122cunn_SoftMaxForwardRegIN3c104HalfEfS4_NS1_25LogSoftMaxForwardEpilogueElLi2EEEvPT1_PKT_T3_: ; @_ZN2at6native12_GLOBAL__N_122cunn_SoftMaxForwardRegIN3c104HalfEfS4_NS1_25LogSoftMaxForwardEpilogueElLi2EEEvPT1_PKT_T3_
; %bb.0:
	s_clause 0x2
	s_load_dwordx2 s[0:1], s[4:5], 0x10
	s_load_dwordx4 s[8:11], s[4:5], 0x0
	s_load_dword s4, s[4:5], 0x24
	v_mov_b32_e32 v1, 0
	v_mov_b32_e32 v5, 0xff7fffff
	v_lshlrev_b32_e32 v2, 1, v0
                                        ; implicit-def: $vgpr8
	s_waitcnt lgkmcnt(0)
	s_mul_i32 s3, s1, s6
	s_mul_hi_u32 s5, s0, s6
	s_mul_i32 s2, s0, s6
	s_add_i32 s3, s5, s3
	v_cmp_gt_i64_e32 vcc_lo, s[0:1], v[0:1]
	s_lshl_b64 s[6:7], s[2:3], 1
	s_add_u32 s2, s10, s6
	s_addc_u32 s3, s11, s7
	s_and_saveexec_b32 s5, vcc_lo
	s_cbranch_execz .LBB95_2
; %bb.1:
	global_load_ushort v3, v2, s[2:3]
	s_waitcnt vmcnt(0)
	v_cvt_f32_f16_e32 v8, v3
	v_max_f32_e32 v5, 0xff7fffff, v8
.LBB95_2:
	s_or_b32 exec_lo, exec_lo, s5
	s_and_b32 s4, 0xffff, s4
	v_mov_b32_e32 v4, v1
	v_add_nc_u32_e32 v3, s4, v0
                                        ; implicit-def: $vgpr9
	v_cmp_gt_i64_e64 s0, s[0:1], v[3:4]
	v_lshlrev_b32_e32 v1, 1, v3
	s_and_saveexec_b32 s1, s0
	s_cbranch_execz .LBB95_4
; %bb.3:
	global_load_ushort v3, v1, s[2:3]
	s_waitcnt vmcnt(0)
	v_cvt_f32_f16_e32 v9, v3
	v_max_f32_e32 v3, v5, v5
	v_max_f32_e32 v5, v3, v9
.LBB95_4:
	s_or_b32 exec_lo, exec_lo, s1
	v_mbcnt_lo_u32_b32 v7, -1, 0
	s_barrier
	buffer_gl0_inv
	v_lshl_or_b32 v3, v7, 2, 64
	v_cmp_gt_u32_e64 s1, 24, v7
	ds_bpermute_b32 v6, v3, v5
	v_cndmask_b32_e64 v4, 0, 8, s1
	v_add_lshl_u32 v4, v4, v7, 2
	s_waitcnt lgkmcnt(0)
	v_cmp_lt_f32_e64 s1, v5, v6
	v_cndmask_b32_e64 v6, v5, v6, s1
	v_cmp_gt_u32_e64 s1, 28, v7
	ds_bpermute_b32 v10, v4, v6
	v_cndmask_b32_e64 v5, 0, 4, s1
	v_add_lshl_u32 v5, v5, v7, 2
	s_waitcnt lgkmcnt(0)
	v_cmp_lt_f32_e64 s1, v6, v10
	v_cndmask_b32_e64 v10, v6, v10, s1
	;; [unrolled: 7-line block ×3, first 2 shown]
	v_cmp_ne_u32_e64 s1, 31, v7
	ds_bpermute_b32 v11, v6, v10
	v_add_co_ci_u32_e64 v7, null, 0, v7, s1
	v_lshlrev_b32_e32 v7, 2, v7
	s_waitcnt lgkmcnt(0)
	v_cmp_lt_f32_e64 s1, v10, v11
	v_cndmask_b32_e64 v12, v10, v11, s1
	v_and_b32_e32 v11, 31, v0
	v_lshrrev_b32_e32 v10, 3, v0
	ds_bpermute_b32 v13, v7, v12
	v_cmp_eq_u32_e64 s1, 0, v11
	s_and_saveexec_b32 s2, s1
	s_xor_b32 s3, exec_lo, s2
	s_cbranch_execz .LBB95_6
; %bb.5:
	s_waitcnt lgkmcnt(0)
	v_cmp_lt_f32_e64 s2, v12, v13
	v_add_nc_u32_e32 v14, 0, v10
	v_cndmask_b32_e64 v12, v12, v13, s2
	ds_write_b32 v14, v12
.LBB95_6:
	s_or_b32 exec_lo, exec_lo, s3
	s_lshr_b32 s2, s4, 5
	v_mov_b32_e32 v12, 0xff7fffff
	v_cmp_gt_u32_e64 s2, s2, v0
	v_lshl_add_u32 v11, v11, 2, 0
	s_waitcnt lgkmcnt(0)
	s_barrier
	buffer_gl0_inv
	s_and_saveexec_b32 s3, s2
	s_cbranch_execnz .LBB95_19
; %bb.7:
	s_or_b32 exec_lo, exec_lo, s3
	v_cmp_gt_u32_e64 s3, 32, v0
	s_and_saveexec_b32 s5, s3
	s_cbranch_execnz .LBB95_20
.LBB95_8:
	s_or_b32 exec_lo, exec_lo, s5
	v_cmp_eq_u32_e64 s4, 0, v0
	s_and_saveexec_b32 s5, s4
	s_cbranch_execz .LBB95_10
.LBB95_9:
	v_mov_b32_e32 v0, 0
	s_waitcnt lgkmcnt(0)
	ds_write_b32 v0, v12
.LBB95_10:
	s_or_b32 exec_lo, exec_lo, s5
	s_waitcnt lgkmcnt(0)
	v_mov_b32_e32 v12, 0
	s_barrier
	buffer_gl0_inv
	ds_read_b32 v13, v12
	s_waitcnt lgkmcnt(0)
	s_barrier
	buffer_gl0_inv
	v_sub_f32_e32 v0, v8, v13
	v_sub_f32_e32 v8, v9, v13
	v_mul_f32_e32 v14, 0x3fb8aa3b, v0
	v_mul_f32_e32 v15, 0x3fb8aa3b, v8
	v_cmp_ngt_f32_e64 s5, 0xc2ce8ed0, v0
	v_fma_f32 v9, 0x3fb8aa3b, v0, -v14
	v_rndne_f32_e32 v13, v14
	v_fma_f32 v16, 0x3fb8aa3b, v8, -v15
	v_rndne_f32_e32 v17, v15
	v_fmac_f32_e32 v9, 0x32a5705f, v0
	v_sub_f32_e32 v14, v14, v13
	v_fmac_f32_e32 v16, 0x32a5705f, v8
	v_cvt_i32_f32_e32 v13, v13
	v_add_f32_e32 v9, v14, v9
	v_sub_f32_e32 v14, v15, v17
	v_exp_f32_e32 v9, v9
	v_add_f32_e32 v14, v14, v16
	v_exp_f32_e32 v14, v14
	v_ldexp_f32 v9, v9, v13
	v_cvt_i32_f32_e32 v13, v17
	v_cndmask_b32_e64 v9, 0, v9, s5
	v_cmp_nlt_f32_e64 s5, 0x42b17218, v0
	v_ldexp_f32 v13, v14, v13
	v_cndmask_b32_e64 v9, 0x7f800000, v9, s5
	v_cmp_ngt_f32_e64 s5, 0xc2ce8ed0, v8
	v_cndmask_b32_e32 v9, 0, v9, vcc_lo
	v_cndmask_b32_e64 v13, 0, v13, s5
	v_cmp_nlt_f32_e64 s5, 0x42b17218, v8
	v_cndmask_b32_e64 v13, 0x7f800000, v13, s5
	v_add_f32_e32 v13, v9, v13
	v_cndmask_b32_e64 v9, v9, v13, s0
	ds_bpermute_b32 v13, v3, v9
	s_waitcnt lgkmcnt(0)
	v_add_f32_e32 v9, v9, v13
	ds_bpermute_b32 v13, v4, v9
	s_waitcnt lgkmcnt(0)
	v_add_f32_e32 v9, v9, v13
	;; [unrolled: 3-line block ×4, first 2 shown]
	ds_bpermute_b32 v13, v7, v9
	s_and_saveexec_b32 s5, s1
	s_cbranch_execz .LBB95_12
; %bb.11:
	v_add_nc_u32_e32 v10, 0, v10
	s_waitcnt lgkmcnt(0)
	v_add_f32_e32 v9, v9, v13
	ds_write_b32 v10, v9
.LBB95_12:
	s_or_b32 exec_lo, exec_lo, s5
	s_waitcnt lgkmcnt(0)
	s_barrier
	buffer_gl0_inv
	s_and_saveexec_b32 s1, s2
	s_cbranch_execnz .LBB95_21
; %bb.13:
	s_or_b32 exec_lo, exec_lo, s1
	s_and_saveexec_b32 s1, s3
	s_cbranch_execnz .LBB95_22
.LBB95_14:
	s_or_b32 exec_lo, exec_lo, s1
	s_and_saveexec_b32 s1, s4
	s_cbranch_execz .LBB95_16
.LBB95_15:
	v_mov_b32_e32 v3, 0
	s_waitcnt lgkmcnt(0)
	ds_write_b32 v3, v12
.LBB95_16:
	s_or_b32 exec_lo, exec_lo, s1
	v_mov_b32_e32 v3, 0
	s_waitcnt lgkmcnt(0)
	s_barrier
	buffer_gl0_inv
	s_add_u32 s2, s8, s6
	ds_read_b32 v3, v3
	s_addc_u32 s3, s9, s7
	s_waitcnt lgkmcnt(0)
	v_cmp_gt_f32_e64 s1, 0x800000, v3
	v_cndmask_b32_e64 v4, 0, 0x41b17218, s1
	s_and_b32 s1, s1, exec_lo
	s_cselect_b32 s1, 32, 0
	v_ldexp_f32 v3, v3, s1
	v_log_f32_e32 v3, v3
	v_mul_f32_e32 v5, 0x3f317217, v3
	v_cmp_gt_f32_e64 s1, 0x7f800000, |v3|
	v_fma_f32 v5, 0x3f317217, v3, -v5
	v_fmamk_f32 v5, v3, 0x3377d1cf, v5
	v_fmac_f32_e32 v5, 0x3f317217, v3
	v_cndmask_b32_e64 v3, v3, v5, s1
	v_sub_f32_e32 v3, v3, v4
	s_and_saveexec_b32 s1, vcc_lo
	s_cbranch_execnz .LBB95_23
; %bb.17:
	s_or_b32 exec_lo, exec_lo, s1
	s_and_saveexec_b32 s1, s0
	s_cbranch_execnz .LBB95_24
.LBB95_18:
	s_endpgm
.LBB95_19:
	ds_read_b32 v12, v11
	s_or_b32 exec_lo, exec_lo, s3
	v_cmp_gt_u32_e64 s3, 32, v0
	s_and_saveexec_b32 s5, s3
	s_cbranch_execz .LBB95_8
.LBB95_20:
	s_waitcnt lgkmcnt(0)
	ds_bpermute_b32 v13, v3, v12
	s_waitcnt lgkmcnt(0)
	v_cmp_lt_f32_e64 s4, v12, v13
	v_cndmask_b32_e64 v12, v12, v13, s4
	ds_bpermute_b32 v13, v4, v12
	s_waitcnt lgkmcnt(0)
	v_cmp_lt_f32_e64 s4, v12, v13
	v_cndmask_b32_e64 v12, v12, v13, s4
	;; [unrolled: 4-line block ×5, first 2 shown]
	s_or_b32 exec_lo, exec_lo, s5
	v_cmp_eq_u32_e64 s4, 0, v0
	s_and_saveexec_b32 s5, s4
	s_cbranch_execnz .LBB95_9
	s_branch .LBB95_10
.LBB95_21:
	ds_read_b32 v12, v11
	s_or_b32 exec_lo, exec_lo, s1
	s_and_saveexec_b32 s1, s3
	s_cbranch_execz .LBB95_14
.LBB95_22:
	s_waitcnt lgkmcnt(0)
	ds_bpermute_b32 v3, v3, v12
	s_waitcnt lgkmcnt(0)
	v_add_f32_e32 v3, v12, v3
	ds_bpermute_b32 v4, v4, v3
	s_waitcnt lgkmcnt(0)
	v_add_f32_e32 v3, v3, v4
	;; [unrolled: 3-line block ×5, first 2 shown]
	s_or_b32 exec_lo, exec_lo, s1
	s_and_saveexec_b32 s1, s4
	s_cbranch_execnz .LBB95_15
	s_branch .LBB95_16
.LBB95_23:
	v_sub_f32_e32 v0, v0, v3
	v_cvt_f16_f32_e32 v0, v0
	global_store_short v2, v0, s[2:3]
	s_or_b32 exec_lo, exec_lo, s1
	s_and_saveexec_b32 s1, s0
	s_cbranch_execz .LBB95_18
.LBB95_24:
	v_sub_f32_e32 v0, v8, v3
	v_cvt_f16_f32_e32 v0, v0
	global_store_short v1, v0, s[2:3]
	s_endpgm
	.section	.rodata,"a",@progbits
	.p2align	6, 0x0
	.amdhsa_kernel _ZN2at6native12_GLOBAL__N_122cunn_SoftMaxForwardRegIN3c104HalfEfS4_NS1_25LogSoftMaxForwardEpilogueElLi2EEEvPT1_PKT_T3_
		.amdhsa_group_segment_fixed_size 0
		.amdhsa_private_segment_fixed_size 0
		.amdhsa_kernarg_size 280
		.amdhsa_user_sgpr_count 6
		.amdhsa_user_sgpr_private_segment_buffer 1
		.amdhsa_user_sgpr_dispatch_ptr 0
		.amdhsa_user_sgpr_queue_ptr 0
		.amdhsa_user_sgpr_kernarg_segment_ptr 1
		.amdhsa_user_sgpr_dispatch_id 0
		.amdhsa_user_sgpr_flat_scratch_init 0
		.amdhsa_user_sgpr_private_segment_size 0
		.amdhsa_wavefront_size32 1
		.amdhsa_uses_dynamic_stack 0
		.amdhsa_system_sgpr_private_segment_wavefront_offset 0
		.amdhsa_system_sgpr_workgroup_id_x 1
		.amdhsa_system_sgpr_workgroup_id_y 0
		.amdhsa_system_sgpr_workgroup_id_z 0
		.amdhsa_system_sgpr_workgroup_info 0
		.amdhsa_system_vgpr_workitem_id 0
		.amdhsa_next_free_vgpr 18
		.amdhsa_next_free_sgpr 12
		.amdhsa_reserve_vcc 1
		.amdhsa_reserve_flat_scratch 0
		.amdhsa_float_round_mode_32 0
		.amdhsa_float_round_mode_16_64 0
		.amdhsa_float_denorm_mode_32 3
		.amdhsa_float_denorm_mode_16_64 3
		.amdhsa_dx10_clamp 1
		.amdhsa_ieee_mode 1
		.amdhsa_fp16_overflow 0
		.amdhsa_workgroup_processor_mode 1
		.amdhsa_memory_ordered 1
		.amdhsa_forward_progress 1
		.amdhsa_shared_vgpr_count 0
		.amdhsa_exception_fp_ieee_invalid_op 0
		.amdhsa_exception_fp_denorm_src 0
		.amdhsa_exception_fp_ieee_div_zero 0
		.amdhsa_exception_fp_ieee_overflow 0
		.amdhsa_exception_fp_ieee_underflow 0
		.amdhsa_exception_fp_ieee_inexact 0
		.amdhsa_exception_int_div_zero 0
	.end_amdhsa_kernel
	.section	.text._ZN2at6native12_GLOBAL__N_122cunn_SoftMaxForwardRegIN3c104HalfEfS4_NS1_25LogSoftMaxForwardEpilogueElLi2EEEvPT1_PKT_T3_,"axG",@progbits,_ZN2at6native12_GLOBAL__N_122cunn_SoftMaxForwardRegIN3c104HalfEfS4_NS1_25LogSoftMaxForwardEpilogueElLi2EEEvPT1_PKT_T3_,comdat
.Lfunc_end95:
	.size	_ZN2at6native12_GLOBAL__N_122cunn_SoftMaxForwardRegIN3c104HalfEfS4_NS1_25LogSoftMaxForwardEpilogueElLi2EEEvPT1_PKT_T3_, .Lfunc_end95-_ZN2at6native12_GLOBAL__N_122cunn_SoftMaxForwardRegIN3c104HalfEfS4_NS1_25LogSoftMaxForwardEpilogueElLi2EEEvPT1_PKT_T3_
                                        ; -- End function
	.set _ZN2at6native12_GLOBAL__N_122cunn_SoftMaxForwardRegIN3c104HalfEfS4_NS1_25LogSoftMaxForwardEpilogueElLi2EEEvPT1_PKT_T3_.num_vgpr, 18
	.set _ZN2at6native12_GLOBAL__N_122cunn_SoftMaxForwardRegIN3c104HalfEfS4_NS1_25LogSoftMaxForwardEpilogueElLi2EEEvPT1_PKT_T3_.num_agpr, 0
	.set _ZN2at6native12_GLOBAL__N_122cunn_SoftMaxForwardRegIN3c104HalfEfS4_NS1_25LogSoftMaxForwardEpilogueElLi2EEEvPT1_PKT_T3_.numbered_sgpr, 12
	.set _ZN2at6native12_GLOBAL__N_122cunn_SoftMaxForwardRegIN3c104HalfEfS4_NS1_25LogSoftMaxForwardEpilogueElLi2EEEvPT1_PKT_T3_.num_named_barrier, 0
	.set _ZN2at6native12_GLOBAL__N_122cunn_SoftMaxForwardRegIN3c104HalfEfS4_NS1_25LogSoftMaxForwardEpilogueElLi2EEEvPT1_PKT_T3_.private_seg_size, 0
	.set _ZN2at6native12_GLOBAL__N_122cunn_SoftMaxForwardRegIN3c104HalfEfS4_NS1_25LogSoftMaxForwardEpilogueElLi2EEEvPT1_PKT_T3_.uses_vcc, 1
	.set _ZN2at6native12_GLOBAL__N_122cunn_SoftMaxForwardRegIN3c104HalfEfS4_NS1_25LogSoftMaxForwardEpilogueElLi2EEEvPT1_PKT_T3_.uses_flat_scratch, 0
	.set _ZN2at6native12_GLOBAL__N_122cunn_SoftMaxForwardRegIN3c104HalfEfS4_NS1_25LogSoftMaxForwardEpilogueElLi2EEEvPT1_PKT_T3_.has_dyn_sized_stack, 0
	.set _ZN2at6native12_GLOBAL__N_122cunn_SoftMaxForwardRegIN3c104HalfEfS4_NS1_25LogSoftMaxForwardEpilogueElLi2EEEvPT1_PKT_T3_.has_recursion, 0
	.set _ZN2at6native12_GLOBAL__N_122cunn_SoftMaxForwardRegIN3c104HalfEfS4_NS1_25LogSoftMaxForwardEpilogueElLi2EEEvPT1_PKT_T3_.has_indirect_call, 0
	.section	.AMDGPU.csdata,"",@progbits
; Kernel info:
; codeLenInByte = 1568
; TotalNumSgprs: 14
; NumVgprs: 18
; ScratchSize: 0
; MemoryBound: 0
; FloatMode: 240
; IeeeMode: 1
; LDSByteSize: 0 bytes/workgroup (compile time only)
; SGPRBlocks: 0
; VGPRBlocks: 2
; NumSGPRsForWavesPerEU: 14
; NumVGPRsForWavesPerEU: 18
; Occupancy: 16
; WaveLimiterHint : 0
; COMPUTE_PGM_RSRC2:SCRATCH_EN: 0
; COMPUTE_PGM_RSRC2:USER_SGPR: 6
; COMPUTE_PGM_RSRC2:TRAP_HANDLER: 0
; COMPUTE_PGM_RSRC2:TGID_X_EN: 1
; COMPUTE_PGM_RSRC2:TGID_Y_EN: 0
; COMPUTE_PGM_RSRC2:TGID_Z_EN: 0
; COMPUTE_PGM_RSRC2:TIDIG_COMP_CNT: 0
	.section	.text._ZN2at6native12_GLOBAL__N_122cunn_SoftMaxForwardRegIN3c104HalfEfS4_NS1_25LogSoftMaxForwardEpilogueElLi3EEEvPT1_PKT_T3_,"axG",@progbits,_ZN2at6native12_GLOBAL__N_122cunn_SoftMaxForwardRegIN3c104HalfEfS4_NS1_25LogSoftMaxForwardEpilogueElLi3EEEvPT1_PKT_T3_,comdat
	.globl	_ZN2at6native12_GLOBAL__N_122cunn_SoftMaxForwardRegIN3c104HalfEfS4_NS1_25LogSoftMaxForwardEpilogueElLi3EEEvPT1_PKT_T3_ ; -- Begin function _ZN2at6native12_GLOBAL__N_122cunn_SoftMaxForwardRegIN3c104HalfEfS4_NS1_25LogSoftMaxForwardEpilogueElLi3EEEvPT1_PKT_T3_
	.p2align	8
	.type	_ZN2at6native12_GLOBAL__N_122cunn_SoftMaxForwardRegIN3c104HalfEfS4_NS1_25LogSoftMaxForwardEpilogueElLi3EEEvPT1_PKT_T3_,@function
_ZN2at6native12_GLOBAL__N_122cunn_SoftMaxForwardRegIN3c104HalfEfS4_NS1_25LogSoftMaxForwardEpilogueElLi3EEEvPT1_PKT_T3_: ; @_ZN2at6native12_GLOBAL__N_122cunn_SoftMaxForwardRegIN3c104HalfEfS4_NS1_25LogSoftMaxForwardEpilogueElLi3EEEvPT1_PKT_T3_
; %bb.0:
	s_clause 0x2
	s_load_dwordx2 s[2:3], s[4:5], 0x10
	s_load_dwordx4 s[8:11], s[4:5], 0x0
	s_load_dword s0, s[4:5], 0x24
	v_mov_b32_e32 v2, 0
	v_mov_b32_e32 v6, 0xff7fffff
	v_lshlrev_b32_e32 v3, 1, v0
                                        ; implicit-def: $vgpr9
	v_mov_b32_e32 v1, v2
	s_waitcnt lgkmcnt(0)
	s_mul_i32 s1, s3, s6
	s_mul_hi_u32 s5, s2, s6
	s_mul_i32 s4, s2, s6
	s_add_i32 s5, s5, s1
	v_cmp_gt_i64_e32 vcc_lo, s[2:3], v[0:1]
	s_lshl_b64 s[12:13], s[4:5], 1
	s_add_u32 s4, s10, s12
	s_addc_u32 s5, s11, s13
	s_and_saveexec_b32 s1, vcc_lo
	s_cbranch_execz .LBB96_2
; %bb.1:
	global_load_ushort v1, v3, s[4:5]
	s_waitcnt vmcnt(0)
	v_cvt_f32_f16_e32 v9, v1
	v_max_f32_e32 v6, 0xff7fffff, v9
.LBB96_2:
	s_or_b32 exec_lo, exec_lo, s1
	s_and_b32 s6, 0xffff, s0
                                        ; implicit-def: $vgpr11
	v_add_nc_u32_e32 v1, s6, v0
	v_cmp_gt_i64_e64 s0, s[2:3], v[1:2]
	v_lshlrev_b32_e32 v2, 1, v1
	s_and_saveexec_b32 s1, s0
	s_cbranch_execz .LBB96_4
; %bb.3:
	global_load_ushort v4, v2, s[4:5]
	s_waitcnt vmcnt(0)
	v_cvt_f32_f16_e32 v11, v4
	v_max_f32_e32 v4, v6, v6
	v_max_f32_e32 v6, v4, v11
.LBB96_4:
	s_or_b32 exec_lo, exec_lo, s1
	v_add_nc_u32_e32 v4, s6, v1
	v_mov_b32_e32 v5, 0
                                        ; implicit-def: $vgpr12
	v_lshlrev_b32_e32 v1, 1, v4
	v_cmp_gt_i64_e64 s1, s[2:3], v[4:5]
	s_and_saveexec_b32 s2, s1
	s_cbranch_execz .LBB96_6
; %bb.5:
	global_load_ushort v4, v1, s[4:5]
	s_waitcnt vmcnt(0)
	v_cvt_f32_f16_e32 v12, v4
	v_max_f32_e32 v4, v6, v6
	v_max_f32_e32 v6, v4, v12
.LBB96_6:
	s_or_b32 exec_lo, exec_lo, s2
	v_mbcnt_lo_u32_b32 v8, -1, 0
	s_barrier
	buffer_gl0_inv
	v_lshl_or_b32 v4, v8, 2, 64
	v_cmp_gt_u32_e64 s2, 24, v8
	ds_bpermute_b32 v7, v4, v6
	v_cndmask_b32_e64 v5, 0, 8, s2
	v_add_lshl_u32 v5, v5, v8, 2
	s_waitcnt lgkmcnt(0)
	v_cmp_lt_f32_e64 s2, v6, v7
	v_cndmask_b32_e64 v7, v6, v7, s2
	v_cmp_gt_u32_e64 s2, 28, v8
	ds_bpermute_b32 v10, v5, v7
	v_cndmask_b32_e64 v6, 0, 4, s2
	v_add_lshl_u32 v6, v6, v8, 2
	s_waitcnt lgkmcnt(0)
	v_cmp_lt_f32_e64 s2, v7, v10
	v_cndmask_b32_e64 v10, v7, v10, s2
	;; [unrolled: 7-line block ×3, first 2 shown]
	v_cmp_ne_u32_e64 s2, 31, v8
	ds_bpermute_b32 v13, v7, v10
	v_add_co_ci_u32_e64 v8, null, 0, v8, s2
	v_lshlrev_b32_e32 v8, 2, v8
	s_waitcnt lgkmcnt(0)
	v_cmp_lt_f32_e64 s2, v10, v13
	v_cndmask_b32_e64 v14, v10, v13, s2
	v_and_b32_e32 v13, 31, v0
	v_lshrrev_b32_e32 v10, 3, v0
	ds_bpermute_b32 v15, v8, v14
	v_cmp_eq_u32_e64 s2, 0, v13
	s_and_saveexec_b32 s3, s2
	s_xor_b32 s4, exec_lo, s3
	s_cbranch_execz .LBB96_8
; %bb.7:
	s_waitcnt lgkmcnt(0)
	v_cmp_lt_f32_e64 s3, v14, v15
	v_add_nc_u32_e32 v16, 0, v10
	v_cndmask_b32_e64 v14, v14, v15, s3
	ds_write_b32 v16, v14
.LBB96_8:
	s_or_b32 exec_lo, exec_lo, s4
	s_lshr_b32 s3, s6, 5
	v_mov_b32_e32 v14, 0xff7fffff
	v_cmp_gt_u32_e64 s3, s3, v0
	v_lshl_add_u32 v13, v13, 2, 0
	s_waitcnt lgkmcnt(0)
	s_barrier
	buffer_gl0_inv
	s_and_saveexec_b32 s4, s3
	s_cbranch_execnz .LBB96_22
; %bb.9:
	s_or_b32 exec_lo, exec_lo, s4
	v_cmp_gt_u32_e64 s4, 32, v0
	s_and_saveexec_b32 s6, s4
	s_cbranch_execnz .LBB96_23
.LBB96_10:
	s_or_b32 exec_lo, exec_lo, s6
	v_cmp_eq_u32_e64 s5, 0, v0
	s_and_saveexec_b32 s6, s5
	s_cbranch_execz .LBB96_12
.LBB96_11:
	v_mov_b32_e32 v0, 0
	s_waitcnt lgkmcnt(0)
	ds_write_b32 v0, v14
.LBB96_12:
	s_or_b32 exec_lo, exec_lo, s6
	s_waitcnt lgkmcnt(0)
	v_mov_b32_e32 v14, 0
	s_barrier
	buffer_gl0_inv
	ds_read_b32 v15, v14
	s_waitcnt lgkmcnt(0)
	s_barrier
	buffer_gl0_inv
	v_sub_f32_e32 v0, v9, v15
	v_sub_f32_e32 v9, v11, v15
	;; [unrolled: 1-line block ×3, first 2 shown]
	v_mul_f32_e32 v16, 0x3fb8aa3b, v0
	v_mul_f32_e32 v17, 0x3fb8aa3b, v9
	;; [unrolled: 1-line block ×3, first 2 shown]
	v_cmp_ngt_f32_e64 s6, 0xc2ce8ed0, v0
	v_fma_f32 v18, 0x3fb8aa3b, v0, -v16
	v_rndne_f32_e32 v19, v16
	v_fma_f32 v12, 0x3fb8aa3b, v9, -v17
	v_rndne_f32_e32 v15, v17
	v_fmac_f32_e32 v18, 0x32a5705f, v0
	v_sub_f32_e32 v16, v16, v19
	v_fmac_f32_e32 v12, 0x32a5705f, v9
	v_sub_f32_e32 v17, v17, v15
	v_cvt_i32_f32_e32 v19, v19
	v_cvt_i32_f32_e32 v15, v15
	v_add_f32_e32 v16, v16, v18
	v_rndne_f32_e32 v18, v20
	v_add_f32_e32 v12, v17, v12
	v_fma_f32 v17, 0x3fb8aa3b, v11, -v20
	v_exp_f32_e32 v16, v16
	v_sub_f32_e32 v20, v20, v18
	v_exp_f32_e32 v12, v12
	v_fmac_f32_e32 v17, 0x32a5705f, v11
	v_add_f32_e32 v17, v20, v17
	v_ldexp_f32 v16, v16, v19
	v_ldexp_f32 v12, v12, v15
	v_cndmask_b32_e64 v15, 0, v16, s6
	v_cmp_ngt_f32_e64 s6, 0xc2ce8ed0, v9
	v_exp_f32_e32 v16, v17
	v_cvt_i32_f32_e32 v17, v18
	v_cndmask_b32_e64 v12, 0, v12, s6
	v_cmp_nlt_f32_e64 s6, 0x42b17218, v0
	v_cndmask_b32_e64 v15, 0x7f800000, v15, s6
	v_cmp_nlt_f32_e64 s6, 0x42b17218, v9
	v_ldexp_f32 v16, v16, v17
	v_cndmask_b32_e32 v15, 0, v15, vcc_lo
	v_cndmask_b32_e64 v12, 0x7f800000, v12, s6
	v_cmp_ngt_f32_e64 s6, 0xc2ce8ed0, v11
	v_add_f32_e32 v12, v15, v12
	v_cndmask_b32_e64 v16, 0, v16, s6
	v_cmp_nlt_f32_e64 s6, 0x42b17218, v11
	v_cndmask_b32_e64 v12, v15, v12, s0
	v_cndmask_b32_e64 v15, 0x7f800000, v16, s6
	v_add_f32_e32 v15, v12, v15
	v_cndmask_b32_e64 v12, v12, v15, s1
	ds_bpermute_b32 v15, v4, v12
	s_waitcnt lgkmcnt(0)
	v_add_f32_e32 v12, v12, v15
	ds_bpermute_b32 v15, v5, v12
	s_waitcnt lgkmcnt(0)
	v_add_f32_e32 v12, v12, v15
	;; [unrolled: 3-line block ×4, first 2 shown]
	ds_bpermute_b32 v15, v8, v12
	s_and_saveexec_b32 s6, s2
	s_cbranch_execz .LBB96_14
; %bb.13:
	v_add_nc_u32_e32 v10, 0, v10
	s_waitcnt lgkmcnt(0)
	v_add_f32_e32 v12, v12, v15
	ds_write_b32 v10, v12
.LBB96_14:
	s_or_b32 exec_lo, exec_lo, s6
	s_waitcnt lgkmcnt(0)
	s_barrier
	buffer_gl0_inv
	s_and_saveexec_b32 s2, s3
	s_cbranch_execnz .LBB96_24
; %bb.15:
	s_or_b32 exec_lo, exec_lo, s2
	s_and_saveexec_b32 s2, s4
	s_cbranch_execnz .LBB96_25
.LBB96_16:
	s_or_b32 exec_lo, exec_lo, s2
	s_and_saveexec_b32 s2, s5
	s_cbranch_execz .LBB96_18
.LBB96_17:
	v_mov_b32_e32 v4, 0
	s_waitcnt lgkmcnt(0)
	ds_write_b32 v4, v14
.LBB96_18:
	s_or_b32 exec_lo, exec_lo, s2
	v_mov_b32_e32 v4, 0
	s_waitcnt lgkmcnt(0)
	s_barrier
	buffer_gl0_inv
	s_add_u32 s4, s8, s12
	ds_read_b32 v4, v4
	s_addc_u32 s5, s9, s13
	s_waitcnt lgkmcnt(0)
	v_cmp_gt_f32_e64 s2, 0x800000, v4
	v_cndmask_b32_e64 v5, 0, 0x41b17218, s2
	s_and_b32 s2, s2, exec_lo
	s_cselect_b32 s2, 32, 0
	v_ldexp_f32 v4, v4, s2
	v_log_f32_e32 v4, v4
	v_mul_f32_e32 v6, 0x3f317217, v4
	v_cmp_gt_f32_e64 s2, 0x7f800000, |v4|
	v_fma_f32 v6, 0x3f317217, v4, -v6
	v_fmamk_f32 v6, v4, 0x3377d1cf, v6
	v_fmac_f32_e32 v6, 0x3f317217, v4
	v_cndmask_b32_e64 v4, v4, v6, s2
	v_sub_f32_e32 v4, v4, v5
	s_and_saveexec_b32 s2, vcc_lo
	s_cbranch_execnz .LBB96_26
; %bb.19:
	s_or_b32 exec_lo, exec_lo, s2
	s_and_saveexec_b32 s2, s0
	s_cbranch_execnz .LBB96_27
.LBB96_20:
	s_or_b32 exec_lo, exec_lo, s2
	s_and_saveexec_b32 s0, s1
	s_cbranch_execnz .LBB96_28
.LBB96_21:
	s_endpgm
.LBB96_22:
	ds_read_b32 v14, v13
	s_or_b32 exec_lo, exec_lo, s4
	v_cmp_gt_u32_e64 s4, 32, v0
	s_and_saveexec_b32 s6, s4
	s_cbranch_execz .LBB96_10
.LBB96_23:
	s_waitcnt lgkmcnt(0)
	ds_bpermute_b32 v15, v4, v14
	s_waitcnt lgkmcnt(0)
	v_cmp_lt_f32_e64 s5, v14, v15
	v_cndmask_b32_e64 v14, v14, v15, s5
	ds_bpermute_b32 v15, v5, v14
	s_waitcnt lgkmcnt(0)
	v_cmp_lt_f32_e64 s5, v14, v15
	v_cndmask_b32_e64 v14, v14, v15, s5
	;; [unrolled: 4-line block ×5, first 2 shown]
	s_or_b32 exec_lo, exec_lo, s6
	v_cmp_eq_u32_e64 s5, 0, v0
	s_and_saveexec_b32 s6, s5
	s_cbranch_execnz .LBB96_11
	s_branch .LBB96_12
.LBB96_24:
	ds_read_b32 v14, v13
	s_or_b32 exec_lo, exec_lo, s2
	s_and_saveexec_b32 s2, s4
	s_cbranch_execz .LBB96_16
.LBB96_25:
	s_waitcnt lgkmcnt(0)
	ds_bpermute_b32 v4, v4, v14
	s_waitcnt lgkmcnt(0)
	v_add_f32_e32 v4, v14, v4
	ds_bpermute_b32 v5, v5, v4
	s_waitcnt lgkmcnt(0)
	v_add_f32_e32 v4, v4, v5
	;; [unrolled: 3-line block ×5, first 2 shown]
	s_or_b32 exec_lo, exec_lo, s2
	s_and_saveexec_b32 s2, s5
	s_cbranch_execnz .LBB96_17
	s_branch .LBB96_18
.LBB96_26:
	v_sub_f32_e32 v0, v0, v4
	v_cvt_f16_f32_e32 v0, v0
	global_store_short v3, v0, s[4:5]
	s_or_b32 exec_lo, exec_lo, s2
	s_and_saveexec_b32 s2, s0
	s_cbranch_execz .LBB96_20
.LBB96_27:
	v_sub_f32_e32 v0, v9, v4
	v_cvt_f16_f32_e32 v0, v0
	global_store_short v2, v0, s[4:5]
	s_or_b32 exec_lo, exec_lo, s2
	s_and_saveexec_b32 s0, s1
	s_cbranch_execz .LBB96_21
.LBB96_28:
	v_sub_f32_e32 v0, v11, v4
	v_cvt_f16_f32_e32 v0, v0
	global_store_short v1, v0, s[4:5]
	s_endpgm
	.section	.rodata,"a",@progbits
	.p2align	6, 0x0
	.amdhsa_kernel _ZN2at6native12_GLOBAL__N_122cunn_SoftMaxForwardRegIN3c104HalfEfS4_NS1_25LogSoftMaxForwardEpilogueElLi3EEEvPT1_PKT_T3_
		.amdhsa_group_segment_fixed_size 0
		.amdhsa_private_segment_fixed_size 0
		.amdhsa_kernarg_size 280
		.amdhsa_user_sgpr_count 6
		.amdhsa_user_sgpr_private_segment_buffer 1
		.amdhsa_user_sgpr_dispatch_ptr 0
		.amdhsa_user_sgpr_queue_ptr 0
		.amdhsa_user_sgpr_kernarg_segment_ptr 1
		.amdhsa_user_sgpr_dispatch_id 0
		.amdhsa_user_sgpr_flat_scratch_init 0
		.amdhsa_user_sgpr_private_segment_size 0
		.amdhsa_wavefront_size32 1
		.amdhsa_uses_dynamic_stack 0
		.amdhsa_system_sgpr_private_segment_wavefront_offset 0
		.amdhsa_system_sgpr_workgroup_id_x 1
		.amdhsa_system_sgpr_workgroup_id_y 0
		.amdhsa_system_sgpr_workgroup_id_z 0
		.amdhsa_system_sgpr_workgroup_info 0
		.amdhsa_system_vgpr_workitem_id 0
		.amdhsa_next_free_vgpr 21
		.amdhsa_next_free_sgpr 14
		.amdhsa_reserve_vcc 1
		.amdhsa_reserve_flat_scratch 0
		.amdhsa_float_round_mode_32 0
		.amdhsa_float_round_mode_16_64 0
		.amdhsa_float_denorm_mode_32 3
		.amdhsa_float_denorm_mode_16_64 3
		.amdhsa_dx10_clamp 1
		.amdhsa_ieee_mode 1
		.amdhsa_fp16_overflow 0
		.amdhsa_workgroup_processor_mode 1
		.amdhsa_memory_ordered 1
		.amdhsa_forward_progress 1
		.amdhsa_shared_vgpr_count 0
		.amdhsa_exception_fp_ieee_invalid_op 0
		.amdhsa_exception_fp_denorm_src 0
		.amdhsa_exception_fp_ieee_div_zero 0
		.amdhsa_exception_fp_ieee_overflow 0
		.amdhsa_exception_fp_ieee_underflow 0
		.amdhsa_exception_fp_ieee_inexact 0
		.amdhsa_exception_int_div_zero 0
	.end_amdhsa_kernel
	.section	.text._ZN2at6native12_GLOBAL__N_122cunn_SoftMaxForwardRegIN3c104HalfEfS4_NS1_25LogSoftMaxForwardEpilogueElLi3EEEvPT1_PKT_T3_,"axG",@progbits,_ZN2at6native12_GLOBAL__N_122cunn_SoftMaxForwardRegIN3c104HalfEfS4_NS1_25LogSoftMaxForwardEpilogueElLi3EEEvPT1_PKT_T3_,comdat
.Lfunc_end96:
	.size	_ZN2at6native12_GLOBAL__N_122cunn_SoftMaxForwardRegIN3c104HalfEfS4_NS1_25LogSoftMaxForwardEpilogueElLi3EEEvPT1_PKT_T3_, .Lfunc_end96-_ZN2at6native12_GLOBAL__N_122cunn_SoftMaxForwardRegIN3c104HalfEfS4_NS1_25LogSoftMaxForwardEpilogueElLi3EEEvPT1_PKT_T3_
                                        ; -- End function
	.set _ZN2at6native12_GLOBAL__N_122cunn_SoftMaxForwardRegIN3c104HalfEfS4_NS1_25LogSoftMaxForwardEpilogueElLi3EEEvPT1_PKT_T3_.num_vgpr, 21
	.set _ZN2at6native12_GLOBAL__N_122cunn_SoftMaxForwardRegIN3c104HalfEfS4_NS1_25LogSoftMaxForwardEpilogueElLi3EEEvPT1_PKT_T3_.num_agpr, 0
	.set _ZN2at6native12_GLOBAL__N_122cunn_SoftMaxForwardRegIN3c104HalfEfS4_NS1_25LogSoftMaxForwardEpilogueElLi3EEEvPT1_PKT_T3_.numbered_sgpr, 14
	.set _ZN2at6native12_GLOBAL__N_122cunn_SoftMaxForwardRegIN3c104HalfEfS4_NS1_25LogSoftMaxForwardEpilogueElLi3EEEvPT1_PKT_T3_.num_named_barrier, 0
	.set _ZN2at6native12_GLOBAL__N_122cunn_SoftMaxForwardRegIN3c104HalfEfS4_NS1_25LogSoftMaxForwardEpilogueElLi3EEEvPT1_PKT_T3_.private_seg_size, 0
	.set _ZN2at6native12_GLOBAL__N_122cunn_SoftMaxForwardRegIN3c104HalfEfS4_NS1_25LogSoftMaxForwardEpilogueElLi3EEEvPT1_PKT_T3_.uses_vcc, 1
	.set _ZN2at6native12_GLOBAL__N_122cunn_SoftMaxForwardRegIN3c104HalfEfS4_NS1_25LogSoftMaxForwardEpilogueElLi3EEEvPT1_PKT_T3_.uses_flat_scratch, 0
	.set _ZN2at6native12_GLOBAL__N_122cunn_SoftMaxForwardRegIN3c104HalfEfS4_NS1_25LogSoftMaxForwardEpilogueElLi3EEEvPT1_PKT_T3_.has_dyn_sized_stack, 0
	.set _ZN2at6native12_GLOBAL__N_122cunn_SoftMaxForwardRegIN3c104HalfEfS4_NS1_25LogSoftMaxForwardEpilogueElLi3EEEvPT1_PKT_T3_.has_recursion, 0
	.set _ZN2at6native12_GLOBAL__N_122cunn_SoftMaxForwardRegIN3c104HalfEfS4_NS1_25LogSoftMaxForwardEpilogueElLi3EEEvPT1_PKT_T3_.has_indirect_call, 0
	.section	.AMDGPU.csdata,"",@progbits
; Kernel info:
; codeLenInByte = 1780
; TotalNumSgprs: 16
; NumVgprs: 21
; ScratchSize: 0
; MemoryBound: 0
; FloatMode: 240
; IeeeMode: 1
; LDSByteSize: 0 bytes/workgroup (compile time only)
; SGPRBlocks: 0
; VGPRBlocks: 2
; NumSGPRsForWavesPerEU: 16
; NumVGPRsForWavesPerEU: 21
; Occupancy: 16
; WaveLimiterHint : 0
; COMPUTE_PGM_RSRC2:SCRATCH_EN: 0
; COMPUTE_PGM_RSRC2:USER_SGPR: 6
; COMPUTE_PGM_RSRC2:TRAP_HANDLER: 0
; COMPUTE_PGM_RSRC2:TGID_X_EN: 1
; COMPUTE_PGM_RSRC2:TGID_Y_EN: 0
; COMPUTE_PGM_RSRC2:TGID_Z_EN: 0
; COMPUTE_PGM_RSRC2:TIDIG_COMP_CNT: 0
	.section	.text._ZN2at6native12_GLOBAL__N_122cunn_SoftMaxForwardRegIN3c104HalfEfS4_NS1_25LogSoftMaxForwardEpilogueElLi4EEEvPT1_PKT_T3_,"axG",@progbits,_ZN2at6native12_GLOBAL__N_122cunn_SoftMaxForwardRegIN3c104HalfEfS4_NS1_25LogSoftMaxForwardEpilogueElLi4EEEvPT1_PKT_T3_,comdat
	.globl	_ZN2at6native12_GLOBAL__N_122cunn_SoftMaxForwardRegIN3c104HalfEfS4_NS1_25LogSoftMaxForwardEpilogueElLi4EEEvPT1_PKT_T3_ ; -- Begin function _ZN2at6native12_GLOBAL__N_122cunn_SoftMaxForwardRegIN3c104HalfEfS4_NS1_25LogSoftMaxForwardEpilogueElLi4EEEvPT1_PKT_T3_
	.p2align	8
	.type	_ZN2at6native12_GLOBAL__N_122cunn_SoftMaxForwardRegIN3c104HalfEfS4_NS1_25LogSoftMaxForwardEpilogueElLi4EEEvPT1_PKT_T3_,@function
_ZN2at6native12_GLOBAL__N_122cunn_SoftMaxForwardRegIN3c104HalfEfS4_NS1_25LogSoftMaxForwardEpilogueElLi4EEEvPT1_PKT_T3_: ; @_ZN2at6native12_GLOBAL__N_122cunn_SoftMaxForwardRegIN3c104HalfEfS4_NS1_25LogSoftMaxForwardEpilogueElLi4EEEvPT1_PKT_T3_
; %bb.0:
	s_clause 0x2
	s_load_dwordx2 s[2:3], s[4:5], 0x10
	s_load_dwordx4 s[8:11], s[4:5], 0x0
	s_load_dword s0, s[4:5], 0x24
	v_mov_b32_e32 v2, 0
	v_mov_b32_e32 v7, 0xff7fffff
	v_lshlrev_b32_e32 v3, 1, v0
                                        ; implicit-def: $vgpr10
	v_mov_b32_e32 v1, v2
	s_waitcnt lgkmcnt(0)
	s_mul_i32 s1, s3, s6
	s_mul_hi_u32 s5, s2, s6
	s_mul_i32 s4, s2, s6
	s_add_i32 s5, s5, s1
	v_cmp_gt_i64_e32 vcc_lo, s[2:3], v[0:1]
	s_lshl_b64 s[12:13], s[4:5], 1
	s_add_u32 s4, s10, s12
	s_addc_u32 s5, s11, s13
	s_and_saveexec_b32 s1, vcc_lo
	s_cbranch_execz .LBB97_2
; %bb.1:
	global_load_ushort v1, v3, s[4:5]
	s_waitcnt vmcnt(0)
	v_cvt_f32_f16_e32 v10, v1
	v_max_f32_e32 v7, 0xff7fffff, v10
.LBB97_2:
	s_or_b32 exec_lo, exec_lo, s1
	s_and_b32 s6, 0xffff, s0
                                        ; implicit-def: $vgpr12
	v_add_nc_u32_e32 v1, s6, v0
	v_cmp_gt_i64_e64 s0, s[2:3], v[1:2]
	v_lshlrev_b32_e32 v4, 1, v1
	s_and_saveexec_b32 s1, s0
	s_cbranch_execz .LBB97_4
; %bb.3:
	global_load_ushort v2, v4, s[4:5]
	s_waitcnt vmcnt(0)
	v_cvt_f32_f16_e32 v12, v2
	v_max_f32_e32 v2, v7, v7
	v_max_f32_e32 v7, v2, v12
.LBB97_4:
	s_or_b32 exec_lo, exec_lo, s1
	v_add_nc_u32_e32 v1, s6, v1
	v_mov_b32_e32 v2, 0
                                        ; implicit-def: $vgpr14
	v_lshlrev_b32_e32 v5, 1, v1
	v_cmp_gt_i64_e64 s1, s[2:3], v[1:2]
	s_and_saveexec_b32 s7, s1
	s_cbranch_execz .LBB97_6
; %bb.5:
	global_load_ushort v6, v5, s[4:5]
	s_waitcnt vmcnt(0)
	v_cvt_f32_f16_e32 v14, v6
	v_max_f32_e32 v6, v7, v7
	v_max_f32_e32 v7, v6, v14
.LBB97_6:
	s_or_b32 exec_lo, exec_lo, s7
	v_add_nc_u32_e32 v1, s6, v1
                                        ; implicit-def: $vgpr15
	v_cmp_gt_i64_e64 s2, s[2:3], v[1:2]
	v_lshlrev_b32_e32 v1, 1, v1
	s_and_saveexec_b32 s3, s2
	s_cbranch_execz .LBB97_8
; %bb.7:
	global_load_ushort v2, v1, s[4:5]
	s_waitcnt vmcnt(0)
	v_cvt_f32_f16_e32 v15, v2
	v_max_f32_e32 v2, v7, v7
	v_max_f32_e32 v7, v2, v15
.LBB97_8:
	s_or_b32 exec_lo, exec_lo, s3
	v_mbcnt_lo_u32_b32 v9, -1, 0
	s_barrier
	buffer_gl0_inv
	v_lshl_or_b32 v2, v9, 2, 64
	v_cmp_gt_u32_e64 s3, 24, v9
	ds_bpermute_b32 v8, v2, v7
	v_cndmask_b32_e64 v6, 0, 8, s3
	v_add_lshl_u32 v6, v6, v9, 2
	s_waitcnt lgkmcnt(0)
	v_cmp_lt_f32_e64 s3, v7, v8
	v_cndmask_b32_e64 v8, v7, v8, s3
	v_cmp_gt_u32_e64 s3, 28, v9
	ds_bpermute_b32 v11, v6, v8
	v_cndmask_b32_e64 v7, 0, 4, s3
	v_add_lshl_u32 v7, v7, v9, 2
	s_waitcnt lgkmcnt(0)
	v_cmp_lt_f32_e64 s3, v8, v11
	v_cndmask_b32_e64 v11, v8, v11, s3
	;; [unrolled: 7-line block ×3, first 2 shown]
	v_cmp_ne_u32_e64 s3, 31, v9
	ds_bpermute_b32 v13, v8, v11
	v_add_co_ci_u32_e64 v9, null, 0, v9, s3
	v_lshlrev_b32_e32 v9, 2, v9
	s_waitcnt lgkmcnt(0)
	v_cmp_lt_f32_e64 s3, v11, v13
	v_cndmask_b32_e64 v16, v11, v13, s3
	v_and_b32_e32 v13, 31, v0
	v_lshrrev_b32_e32 v11, 3, v0
	ds_bpermute_b32 v17, v9, v16
	v_cmp_eq_u32_e64 s3, 0, v13
	s_and_saveexec_b32 s4, s3
	s_xor_b32 s5, exec_lo, s4
	s_cbranch_execz .LBB97_10
; %bb.9:
	s_waitcnt lgkmcnt(0)
	v_cmp_lt_f32_e64 s4, v16, v17
	v_add_nc_u32_e32 v18, 0, v11
	v_cndmask_b32_e64 v16, v16, v17, s4
	ds_write_b32 v18, v16
.LBB97_10:
	s_or_b32 exec_lo, exec_lo, s5
	s_lshr_b32 s4, s6, 5
	v_mov_b32_e32 v16, 0xff7fffff
	v_cmp_gt_u32_e64 s4, s4, v0
	v_lshl_add_u32 v13, v13, 2, 0
	s_waitcnt lgkmcnt(0)
	s_barrier
	buffer_gl0_inv
	s_and_saveexec_b32 s5, s4
	s_cbranch_execnz .LBB97_25
; %bb.11:
	s_or_b32 exec_lo, exec_lo, s5
	v_cmp_gt_u32_e64 s5, 32, v0
	s_and_saveexec_b32 s7, s5
	s_cbranch_execnz .LBB97_26
.LBB97_12:
	s_or_b32 exec_lo, exec_lo, s7
	v_cmp_eq_u32_e64 s6, 0, v0
	s_and_saveexec_b32 s7, s6
	s_cbranch_execz .LBB97_14
.LBB97_13:
	v_mov_b32_e32 v0, 0
	s_waitcnt lgkmcnt(0)
	ds_write_b32 v0, v16
.LBB97_14:
	s_or_b32 exec_lo, exec_lo, s7
	s_waitcnt lgkmcnt(0)
	v_mov_b32_e32 v16, 0
	s_barrier
	buffer_gl0_inv
	ds_read_b32 v17, v16
	s_waitcnt lgkmcnt(0)
	s_barrier
	buffer_gl0_inv
	v_sub_f32_e32 v0, v10, v17
	v_sub_f32_e32 v10, v12, v17
	;; [unrolled: 1-line block ×4, first 2 shown]
	v_mul_f32_e32 v18, 0x3fb8aa3b, v0
	v_mul_f32_e32 v19, 0x3fb8aa3b, v10
	;; [unrolled: 1-line block ×3, first 2 shown]
	v_cmp_ngt_f32_e64 s7, 0xc2ce8ed0, v0
	v_fma_f32 v20, 0x3fb8aa3b, v0, -v18
	v_rndne_f32_e32 v21, v18
	v_fma_f32 v22, 0x3fb8aa3b, v10, -v19
	v_rndne_f32_e32 v23, v19
	v_fma_f32 v17, 0x3fb8aa3b, v12, -v24
	v_fmac_f32_e32 v20, 0x32a5705f, v0
	v_sub_f32_e32 v18, v18, v21
	v_fmac_f32_e32 v22, 0x32a5705f, v10
	v_sub_f32_e32 v19, v19, v23
	v_fmac_f32_e32 v17, 0x32a5705f, v12
	v_cvt_i32_f32_e32 v21, v21
	v_add_f32_e32 v15, v18, v20
	v_rndne_f32_e32 v18, v24
	v_add_f32_e32 v19, v19, v22
	v_mul_f32_e32 v20, 0x3fb8aa3b, v14
	v_exp_f32_e32 v15, v15
	v_sub_f32_e32 v22, v24, v18
	v_exp_f32_e32 v19, v19
	v_fma_f32 v24, 0x3fb8aa3b, v14, -v20
	v_rndne_f32_e32 v25, v20
	v_cvt_i32_f32_e32 v18, v18
	v_add_f32_e32 v17, v22, v17
	v_cvt_i32_f32_e32 v22, v23
	v_fmac_f32_e32 v24, 0x32a5705f, v14
	v_sub_f32_e32 v20, v20, v25
	v_ldexp_f32 v15, v15, v21
	v_exp_f32_e32 v17, v17
	v_ldexp_f32 v19, v19, v22
	v_add_f32_e32 v20, v20, v24
	v_cndmask_b32_e64 v15, 0, v15, s7
	v_cmp_ngt_f32_e64 s7, 0xc2ce8ed0, v10
	v_cndmask_b32_e64 v19, 0, v19, s7
	v_cmp_nlt_f32_e64 s7, 0x42b17218, v0
	v_ldexp_f32 v17, v17, v18
	v_cndmask_b32_e64 v15, 0x7f800000, v15, s7
	v_cmp_nlt_f32_e64 s7, 0x42b17218, v10
	v_cndmask_b32_e32 v15, 0, v15, vcc_lo
	v_cndmask_b32_e64 v18, 0x7f800000, v19, s7
	v_exp_f32_e32 v19, v20
	v_cmp_ngt_f32_e64 s7, 0xc2ce8ed0, v12
	v_cvt_i32_f32_e32 v20, v25
	v_add_f32_e32 v18, v15, v18
	v_cndmask_b32_e64 v17, 0, v17, s7
	v_cmp_nlt_f32_e64 s7, 0x42b17218, v12
	v_cndmask_b32_e64 v15, v15, v18, s0
	v_ldexp_f32 v18, v19, v20
	v_cndmask_b32_e64 v17, 0x7f800000, v17, s7
	v_cmp_ngt_f32_e64 s7, 0xc2ce8ed0, v14
	v_add_f32_e32 v17, v15, v17
	v_cndmask_b32_e64 v18, 0, v18, s7
	v_cmp_nlt_f32_e64 s7, 0x42b17218, v14
	v_cndmask_b32_e64 v15, v15, v17, s1
	v_cndmask_b32_e64 v17, 0x7f800000, v18, s7
	v_add_f32_e32 v17, v15, v17
	v_cndmask_b32_e64 v15, v15, v17, s2
	ds_bpermute_b32 v17, v2, v15
	s_waitcnt lgkmcnt(0)
	v_add_f32_e32 v15, v15, v17
	ds_bpermute_b32 v17, v6, v15
	s_waitcnt lgkmcnt(0)
	v_add_f32_e32 v15, v15, v17
	;; [unrolled: 3-line block ×4, first 2 shown]
	ds_bpermute_b32 v17, v9, v15
	s_and_saveexec_b32 s7, s3
	s_cbranch_execz .LBB97_16
; %bb.15:
	v_add_nc_u32_e32 v11, 0, v11
	s_waitcnt lgkmcnt(0)
	v_add_f32_e32 v15, v15, v17
	ds_write_b32 v11, v15
.LBB97_16:
	s_or_b32 exec_lo, exec_lo, s7
	s_waitcnt lgkmcnt(0)
	s_barrier
	buffer_gl0_inv
	s_and_saveexec_b32 s3, s4
	s_cbranch_execnz .LBB97_27
; %bb.17:
	s_or_b32 exec_lo, exec_lo, s3
	s_and_saveexec_b32 s3, s5
	s_cbranch_execnz .LBB97_28
.LBB97_18:
	s_or_b32 exec_lo, exec_lo, s3
	s_and_saveexec_b32 s3, s6
	s_cbranch_execz .LBB97_20
.LBB97_19:
	v_mov_b32_e32 v2, 0
	s_waitcnt lgkmcnt(0)
	ds_write_b32 v2, v16
.LBB97_20:
	s_or_b32 exec_lo, exec_lo, s3
	v_mov_b32_e32 v2, 0
	s_waitcnt lgkmcnt(0)
	s_barrier
	buffer_gl0_inv
	s_add_u32 s4, s8, s12
	ds_read_b32 v2, v2
	s_addc_u32 s5, s9, s13
	s_waitcnt lgkmcnt(0)
	v_cmp_gt_f32_e64 s3, 0x800000, v2
	v_cndmask_b32_e64 v6, 0, 0x41b17218, s3
	s_and_b32 s3, s3, exec_lo
	s_cselect_b32 s3, 32, 0
	v_ldexp_f32 v2, v2, s3
	v_log_f32_e32 v2, v2
	v_mul_f32_e32 v7, 0x3f317217, v2
	v_cmp_gt_f32_e64 s3, 0x7f800000, |v2|
	v_fma_f32 v7, 0x3f317217, v2, -v7
	v_fmamk_f32 v7, v2, 0x3377d1cf, v7
	v_fmac_f32_e32 v7, 0x3f317217, v2
	v_cndmask_b32_e64 v2, v2, v7, s3
	v_sub_f32_e32 v2, v2, v6
	s_and_saveexec_b32 s3, vcc_lo
	s_cbranch_execnz .LBB97_29
; %bb.21:
	s_or_b32 exec_lo, exec_lo, s3
	s_and_saveexec_b32 s3, s0
	s_cbranch_execnz .LBB97_30
.LBB97_22:
	s_or_b32 exec_lo, exec_lo, s3
	s_and_saveexec_b32 s0, s1
	s_cbranch_execnz .LBB97_31
.LBB97_23:
	s_or_b32 exec_lo, exec_lo, s0
	s_and_saveexec_b32 s0, s2
	s_cbranch_execnz .LBB97_32
.LBB97_24:
	s_endpgm
.LBB97_25:
	ds_read_b32 v16, v13
	s_or_b32 exec_lo, exec_lo, s5
	v_cmp_gt_u32_e64 s5, 32, v0
	s_and_saveexec_b32 s7, s5
	s_cbranch_execz .LBB97_12
.LBB97_26:
	s_waitcnt lgkmcnt(0)
	ds_bpermute_b32 v17, v2, v16
	s_waitcnt lgkmcnt(0)
	v_cmp_lt_f32_e64 s6, v16, v17
	v_cndmask_b32_e64 v16, v16, v17, s6
	ds_bpermute_b32 v17, v6, v16
	s_waitcnt lgkmcnt(0)
	v_cmp_lt_f32_e64 s6, v16, v17
	v_cndmask_b32_e64 v16, v16, v17, s6
	;; [unrolled: 4-line block ×5, first 2 shown]
	s_or_b32 exec_lo, exec_lo, s7
	v_cmp_eq_u32_e64 s6, 0, v0
	s_and_saveexec_b32 s7, s6
	s_cbranch_execnz .LBB97_13
	s_branch .LBB97_14
.LBB97_27:
	ds_read_b32 v16, v13
	s_or_b32 exec_lo, exec_lo, s3
	s_and_saveexec_b32 s3, s5
	s_cbranch_execz .LBB97_18
.LBB97_28:
	s_waitcnt lgkmcnt(0)
	ds_bpermute_b32 v2, v2, v16
	s_waitcnt lgkmcnt(0)
	v_add_f32_e32 v2, v16, v2
	ds_bpermute_b32 v6, v6, v2
	s_waitcnt lgkmcnt(0)
	v_add_f32_e32 v2, v2, v6
	;; [unrolled: 3-line block ×5, first 2 shown]
	s_or_b32 exec_lo, exec_lo, s3
	s_and_saveexec_b32 s3, s6
	s_cbranch_execnz .LBB97_19
	s_branch .LBB97_20
.LBB97_29:
	v_sub_f32_e32 v0, v0, v2
	v_cvt_f16_f32_e32 v0, v0
	global_store_short v3, v0, s[4:5]
	s_or_b32 exec_lo, exec_lo, s3
	s_and_saveexec_b32 s3, s0
	s_cbranch_execz .LBB97_22
.LBB97_30:
	v_sub_f32_e32 v0, v10, v2
	v_cvt_f16_f32_e32 v0, v0
	global_store_short v4, v0, s[4:5]
	s_or_b32 exec_lo, exec_lo, s3
	s_and_saveexec_b32 s0, s1
	s_cbranch_execz .LBB97_23
.LBB97_31:
	v_sub_f32_e32 v0, v12, v2
	v_cvt_f16_f32_e32 v0, v0
	global_store_short v5, v0, s[4:5]
	s_or_b32 exec_lo, exec_lo, s0
	s_and_saveexec_b32 s0, s2
	s_cbranch_execz .LBB97_24
.LBB97_32:
	v_sub_f32_e32 v0, v14, v2
	v_cvt_f16_f32_e32 v0, v0
	global_store_short v1, v0, s[4:5]
	s_endpgm
	.section	.rodata,"a",@progbits
	.p2align	6, 0x0
	.amdhsa_kernel _ZN2at6native12_GLOBAL__N_122cunn_SoftMaxForwardRegIN3c104HalfEfS4_NS1_25LogSoftMaxForwardEpilogueElLi4EEEvPT1_PKT_T3_
		.amdhsa_group_segment_fixed_size 0
		.amdhsa_private_segment_fixed_size 0
		.amdhsa_kernarg_size 280
		.amdhsa_user_sgpr_count 6
		.amdhsa_user_sgpr_private_segment_buffer 1
		.amdhsa_user_sgpr_dispatch_ptr 0
		.amdhsa_user_sgpr_queue_ptr 0
		.amdhsa_user_sgpr_kernarg_segment_ptr 1
		.amdhsa_user_sgpr_dispatch_id 0
		.amdhsa_user_sgpr_flat_scratch_init 0
		.amdhsa_user_sgpr_private_segment_size 0
		.amdhsa_wavefront_size32 1
		.amdhsa_uses_dynamic_stack 0
		.amdhsa_system_sgpr_private_segment_wavefront_offset 0
		.amdhsa_system_sgpr_workgroup_id_x 1
		.amdhsa_system_sgpr_workgroup_id_y 0
		.amdhsa_system_sgpr_workgroup_id_z 0
		.amdhsa_system_sgpr_workgroup_info 0
		.amdhsa_system_vgpr_workitem_id 0
		.amdhsa_next_free_vgpr 26
		.amdhsa_next_free_sgpr 14
		.amdhsa_reserve_vcc 1
		.amdhsa_reserve_flat_scratch 0
		.amdhsa_float_round_mode_32 0
		.amdhsa_float_round_mode_16_64 0
		.amdhsa_float_denorm_mode_32 3
		.amdhsa_float_denorm_mode_16_64 3
		.amdhsa_dx10_clamp 1
		.amdhsa_ieee_mode 1
		.amdhsa_fp16_overflow 0
		.amdhsa_workgroup_processor_mode 1
		.amdhsa_memory_ordered 1
		.amdhsa_forward_progress 1
		.amdhsa_shared_vgpr_count 0
		.amdhsa_exception_fp_ieee_invalid_op 0
		.amdhsa_exception_fp_denorm_src 0
		.amdhsa_exception_fp_ieee_div_zero 0
		.amdhsa_exception_fp_ieee_overflow 0
		.amdhsa_exception_fp_ieee_underflow 0
		.amdhsa_exception_fp_ieee_inexact 0
		.amdhsa_exception_int_div_zero 0
	.end_amdhsa_kernel
	.section	.text._ZN2at6native12_GLOBAL__N_122cunn_SoftMaxForwardRegIN3c104HalfEfS4_NS1_25LogSoftMaxForwardEpilogueElLi4EEEvPT1_PKT_T3_,"axG",@progbits,_ZN2at6native12_GLOBAL__N_122cunn_SoftMaxForwardRegIN3c104HalfEfS4_NS1_25LogSoftMaxForwardEpilogueElLi4EEEvPT1_PKT_T3_,comdat
.Lfunc_end97:
	.size	_ZN2at6native12_GLOBAL__N_122cunn_SoftMaxForwardRegIN3c104HalfEfS4_NS1_25LogSoftMaxForwardEpilogueElLi4EEEvPT1_PKT_T3_, .Lfunc_end97-_ZN2at6native12_GLOBAL__N_122cunn_SoftMaxForwardRegIN3c104HalfEfS4_NS1_25LogSoftMaxForwardEpilogueElLi4EEEvPT1_PKT_T3_
                                        ; -- End function
	.set _ZN2at6native12_GLOBAL__N_122cunn_SoftMaxForwardRegIN3c104HalfEfS4_NS1_25LogSoftMaxForwardEpilogueElLi4EEEvPT1_PKT_T3_.num_vgpr, 26
	.set _ZN2at6native12_GLOBAL__N_122cunn_SoftMaxForwardRegIN3c104HalfEfS4_NS1_25LogSoftMaxForwardEpilogueElLi4EEEvPT1_PKT_T3_.num_agpr, 0
	.set _ZN2at6native12_GLOBAL__N_122cunn_SoftMaxForwardRegIN3c104HalfEfS4_NS1_25LogSoftMaxForwardEpilogueElLi4EEEvPT1_PKT_T3_.numbered_sgpr, 14
	.set _ZN2at6native12_GLOBAL__N_122cunn_SoftMaxForwardRegIN3c104HalfEfS4_NS1_25LogSoftMaxForwardEpilogueElLi4EEEvPT1_PKT_T3_.num_named_barrier, 0
	.set _ZN2at6native12_GLOBAL__N_122cunn_SoftMaxForwardRegIN3c104HalfEfS4_NS1_25LogSoftMaxForwardEpilogueElLi4EEEvPT1_PKT_T3_.private_seg_size, 0
	.set _ZN2at6native12_GLOBAL__N_122cunn_SoftMaxForwardRegIN3c104HalfEfS4_NS1_25LogSoftMaxForwardEpilogueElLi4EEEvPT1_PKT_T3_.uses_vcc, 1
	.set _ZN2at6native12_GLOBAL__N_122cunn_SoftMaxForwardRegIN3c104HalfEfS4_NS1_25LogSoftMaxForwardEpilogueElLi4EEEvPT1_PKT_T3_.uses_flat_scratch, 0
	.set _ZN2at6native12_GLOBAL__N_122cunn_SoftMaxForwardRegIN3c104HalfEfS4_NS1_25LogSoftMaxForwardEpilogueElLi4EEEvPT1_PKT_T3_.has_dyn_sized_stack, 0
	.set _ZN2at6native12_GLOBAL__N_122cunn_SoftMaxForwardRegIN3c104HalfEfS4_NS1_25LogSoftMaxForwardEpilogueElLi4EEEvPT1_PKT_T3_.has_recursion, 0
	.set _ZN2at6native12_GLOBAL__N_122cunn_SoftMaxForwardRegIN3c104HalfEfS4_NS1_25LogSoftMaxForwardEpilogueElLi4EEEvPT1_PKT_T3_.has_indirect_call, 0
	.section	.AMDGPU.csdata,"",@progbits
; Kernel info:
; codeLenInByte = 1988
; TotalNumSgprs: 16
; NumVgprs: 26
; ScratchSize: 0
; MemoryBound: 0
; FloatMode: 240
; IeeeMode: 1
; LDSByteSize: 0 bytes/workgroup (compile time only)
; SGPRBlocks: 0
; VGPRBlocks: 3
; NumSGPRsForWavesPerEU: 16
; NumVGPRsForWavesPerEU: 26
; Occupancy: 16
; WaveLimiterHint : 0
; COMPUTE_PGM_RSRC2:SCRATCH_EN: 0
; COMPUTE_PGM_RSRC2:USER_SGPR: 6
; COMPUTE_PGM_RSRC2:TRAP_HANDLER: 0
; COMPUTE_PGM_RSRC2:TGID_X_EN: 1
; COMPUTE_PGM_RSRC2:TGID_Y_EN: 0
; COMPUTE_PGM_RSRC2:TGID_Z_EN: 0
; COMPUTE_PGM_RSRC2:TIDIG_COMP_CNT: 0
	.section	.text._ZN2at6native12_GLOBAL__N_122cunn_SoftMaxForwardRegIN3c104HalfEfS4_NS1_25LogSoftMaxForwardEpilogueElLi5EEEvPT1_PKT_T3_,"axG",@progbits,_ZN2at6native12_GLOBAL__N_122cunn_SoftMaxForwardRegIN3c104HalfEfS4_NS1_25LogSoftMaxForwardEpilogueElLi5EEEvPT1_PKT_T3_,comdat
	.globl	_ZN2at6native12_GLOBAL__N_122cunn_SoftMaxForwardRegIN3c104HalfEfS4_NS1_25LogSoftMaxForwardEpilogueElLi5EEEvPT1_PKT_T3_ ; -- Begin function _ZN2at6native12_GLOBAL__N_122cunn_SoftMaxForwardRegIN3c104HalfEfS4_NS1_25LogSoftMaxForwardEpilogueElLi5EEEvPT1_PKT_T3_
	.p2align	8
	.type	_ZN2at6native12_GLOBAL__N_122cunn_SoftMaxForwardRegIN3c104HalfEfS4_NS1_25LogSoftMaxForwardEpilogueElLi5EEEvPT1_PKT_T3_,@function
_ZN2at6native12_GLOBAL__N_122cunn_SoftMaxForwardRegIN3c104HalfEfS4_NS1_25LogSoftMaxForwardEpilogueElLi5EEEvPT1_PKT_T3_: ; @_ZN2at6native12_GLOBAL__N_122cunn_SoftMaxForwardRegIN3c104HalfEfS4_NS1_25LogSoftMaxForwardEpilogueElLi5EEEvPT1_PKT_T3_
; %bb.0:
	s_clause 0x2
	s_load_dwordx2 s[8:9], s[4:5], 0x10
	s_load_dwordx4 s[12:15], s[4:5], 0x0
	s_load_dword s0, s[4:5], 0x24
	v_mov_b32_e32 v2, 0
	v_mov_b32_e32 v8, 0xff7fffff
	v_lshlrev_b32_e32 v3, 1, v0
                                        ; implicit-def: $vgpr11
	v_mov_b32_e32 v1, v2
	s_waitcnt lgkmcnt(0)
	s_mul_i32 s1, s9, s6
	s_mul_hi_u32 s3, s8, s6
	s_mul_i32 s2, s8, s6
	s_add_i32 s3, s3, s1
	v_cmp_gt_i64_e32 vcc_lo, s[8:9], v[0:1]
	s_lshl_b64 s[10:11], s[2:3], 1
	s_add_u32 s4, s14, s10
	s_addc_u32 s5, s15, s11
	s_and_saveexec_b32 s1, vcc_lo
	s_cbranch_execz .LBB98_2
; %bb.1:
	global_load_ushort v1, v3, s[4:5]
	s_waitcnt vmcnt(0)
	v_cvt_f32_f16_e32 v11, v1
	v_max_f32_e32 v8, 0xff7fffff, v11
.LBB98_2:
	s_or_b32 exec_lo, exec_lo, s1
	s_and_b32 s6, 0xffff, s0
                                        ; implicit-def: $vgpr13
	v_add_nc_u32_e32 v1, s6, v0
	v_cmp_gt_i64_e64 s0, s[8:9], v[1:2]
	v_lshlrev_b32_e32 v4, 1, v1
	s_and_saveexec_b32 s1, s0
	s_cbranch_execz .LBB98_4
; %bb.3:
	global_load_ushort v2, v4, s[4:5]
	s_waitcnt vmcnt(0)
	v_cvt_f32_f16_e32 v13, v2
	v_max_f32_e32 v2, v8, v8
	v_max_f32_e32 v8, v2, v13
.LBB98_4:
	s_or_b32 exec_lo, exec_lo, s1
	v_add_nc_u32_e32 v1, s6, v1
	v_mov_b32_e32 v2, 0
                                        ; implicit-def: $vgpr14
	v_lshlrev_b32_e32 v5, 1, v1
	v_cmp_gt_i64_e64 s1, s[8:9], v[1:2]
	s_and_saveexec_b32 s2, s1
	s_cbranch_execz .LBB98_6
; %bb.5:
	global_load_ushort v6, v5, s[4:5]
	s_waitcnt vmcnt(0)
	v_cvt_f32_f16_e32 v14, v6
	v_max_f32_e32 v6, v8, v8
	v_max_f32_e32 v8, v6, v14
.LBB98_6:
	s_or_b32 exec_lo, exec_lo, s2
	v_add_nc_u32_e32 v1, s6, v1
                                        ; implicit-def: $vgpr16
	v_cmp_gt_i64_e64 s2, s[8:9], v[1:2]
	v_lshlrev_b32_e32 v2, 1, v1
	s_and_saveexec_b32 s3, s2
	s_cbranch_execz .LBB98_8
; %bb.7:
	global_load_ushort v6, v2, s[4:5]
	s_waitcnt vmcnt(0)
	v_cvt_f32_f16_e32 v16, v6
	v_max_f32_e32 v6, v8, v8
	v_max_f32_e32 v8, v6, v16
.LBB98_8:
	s_or_b32 exec_lo, exec_lo, s3
	v_add_nc_u32_e32 v6, s6, v1
	v_mov_b32_e32 v7, 0
                                        ; implicit-def: $vgpr17
	v_lshlrev_b32_e32 v1, 1, v6
	v_cmp_gt_i64_e64 s3, s[8:9], v[6:7]
	s_and_saveexec_b32 s7, s3
	s_cbranch_execz .LBB98_10
; %bb.9:
	global_load_ushort v6, v1, s[4:5]
	s_waitcnt vmcnt(0)
	v_cvt_f32_f16_e32 v17, v6
	v_max_f32_e32 v6, v8, v8
	v_max_f32_e32 v8, v6, v17
.LBB98_10:
	s_or_b32 exec_lo, exec_lo, s7
	v_mbcnt_lo_u32_b32 v10, -1, 0
	s_barrier
	buffer_gl0_inv
	v_lshl_or_b32 v6, v10, 2, 64
	v_cmp_gt_u32_e64 s4, 24, v10
	ds_bpermute_b32 v9, v6, v8
	v_cndmask_b32_e64 v7, 0, 8, s4
	v_add_lshl_u32 v7, v7, v10, 2
	s_waitcnt lgkmcnt(0)
	v_cmp_lt_f32_e64 s4, v8, v9
	v_cndmask_b32_e64 v9, v8, v9, s4
	v_cmp_gt_u32_e64 s4, 28, v10
	ds_bpermute_b32 v12, v7, v9
	v_cndmask_b32_e64 v8, 0, 4, s4
	v_add_lshl_u32 v8, v8, v10, 2
	s_waitcnt lgkmcnt(0)
	v_cmp_lt_f32_e64 s4, v9, v12
	v_cndmask_b32_e64 v12, v9, v12, s4
	v_cmp_gt_u32_e64 s4, 30, v10
	ds_bpermute_b32 v15, v8, v12
	v_cndmask_b32_e64 v9, 0, 2, s4
	v_add_lshl_u32 v9, v9, v10, 2
	s_waitcnt lgkmcnt(0)
	v_cmp_lt_f32_e64 s4, v12, v15
	v_cndmask_b32_e64 v12, v12, v15, s4
	v_cmp_ne_u32_e64 s4, 31, v10
	ds_bpermute_b32 v15, v9, v12
	v_add_co_ci_u32_e64 v10, null, 0, v10, s4
	v_lshlrev_b32_e32 v10, 2, v10
	s_waitcnt lgkmcnt(0)
	v_cmp_lt_f32_e64 s4, v12, v15
	v_cndmask_b32_e64 v18, v12, v15, s4
	v_and_b32_e32 v15, 31, v0
	v_lshrrev_b32_e32 v12, 3, v0
	ds_bpermute_b32 v19, v10, v18
	v_cmp_eq_u32_e64 s4, 0, v15
	s_and_saveexec_b32 s5, s4
	s_xor_b32 s7, exec_lo, s5
	s_cbranch_execz .LBB98_12
; %bb.11:
	s_waitcnt lgkmcnt(0)
	v_cmp_lt_f32_e64 s5, v18, v19
	v_add_nc_u32_e32 v20, 0, v12
	v_cndmask_b32_e64 v18, v18, v19, s5
	ds_write_b32 v20, v18
.LBB98_12:
	s_or_b32 exec_lo, exec_lo, s7
	s_lshr_b32 s5, s6, 5
	v_mov_b32_e32 v18, 0xff7fffff
	v_cmp_gt_u32_e64 s5, s5, v0
	v_lshl_add_u32 v15, v15, 2, 0
	s_waitcnt lgkmcnt(0)
	s_barrier
	buffer_gl0_inv
	s_and_saveexec_b32 s6, s5
	s_cbranch_execnz .LBB98_28
; %bb.13:
	s_or_b32 exec_lo, exec_lo, s6
	v_cmp_gt_u32_e64 s6, 32, v0
	s_and_saveexec_b32 s8, s6
	s_cbranch_execnz .LBB98_29
.LBB98_14:
	s_or_b32 exec_lo, exec_lo, s8
	v_cmp_eq_u32_e64 s7, 0, v0
	s_and_saveexec_b32 s8, s7
	s_cbranch_execz .LBB98_16
.LBB98_15:
	v_mov_b32_e32 v0, 0
	s_waitcnt lgkmcnt(0)
	ds_write_b32 v0, v18
.LBB98_16:
	s_or_b32 exec_lo, exec_lo, s8
	s_waitcnt lgkmcnt(0)
	v_mov_b32_e32 v18, 0
	s_barrier
	buffer_gl0_inv
	ds_read_b32 v19, v18
	s_waitcnt lgkmcnt(0)
	s_barrier
	buffer_gl0_inv
	v_sub_f32_e32 v0, v11, v19
	v_sub_f32_e32 v11, v13, v19
	;; [unrolled: 1-line block ×5, first 2 shown]
	v_mul_f32_e32 v17, 0x3fb8aa3b, v0
	v_mul_f32_e32 v19, 0x3fb8aa3b, v11
	;; [unrolled: 1-line block ×4, first 2 shown]
	v_cmp_ngt_f32_e64 s8, 0xc2ce8ed0, v0
	v_fma_f32 v23, 0x3fb8aa3b, v0, -v17
	v_rndne_f32_e32 v24, v17
	v_fma_f32 v25, 0x3fb8aa3b, v11, -v19
	v_rndne_f32_e32 v26, v19
	v_fma_f32 v27, 0x3fb8aa3b, v13, -v20
	v_fmac_f32_e32 v23, 0x32a5705f, v0
	v_sub_f32_e32 v17, v17, v24
	v_fmac_f32_e32 v25, 0x32a5705f, v11
	v_sub_f32_e32 v19, v19, v26
	v_rndne_f32_e32 v28, v20
	v_cvt_i32_f32_e32 v24, v24
	v_add_f32_e32 v17, v17, v23
	v_fmac_f32_e32 v27, 0x32a5705f, v13
	v_add_f32_e32 v19, v19, v25
	v_sub_f32_e32 v20, v20, v28
	v_cvt_i32_f32_e32 v26, v26
	v_exp_f32_e32 v17, v17
	v_fma_f32 v29, 0x3fb8aa3b, v14, -v21
	v_exp_f32_e32 v19, v19
	v_rndne_f32_e32 v23, v21
	v_add_f32_e32 v20, v20, v27
	v_mul_f32_e32 v22, 0x3fb8aa3b, v16
	v_fmac_f32_e32 v29, 0x32a5705f, v14
	v_cvt_i32_f32_e32 v28, v28
	v_sub_f32_e32 v21, v21, v23
	v_exp_f32_e32 v20, v20
	v_ldexp_f32 v17, v17, v24
	v_fma_f32 v30, 0x3fb8aa3b, v16, -v22
	v_ldexp_f32 v19, v19, v26
	v_rndne_f32_e32 v25, v22
	v_add_f32_e32 v21, v21, v29
	v_cndmask_b32_e64 v17, 0, v17, s8
	v_cmp_ngt_f32_e64 s8, 0xc2ce8ed0, v11
	v_fmac_f32_e32 v30, 0x32a5705f, v16
	v_sub_f32_e32 v22, v22, v25
	v_exp_f32_e32 v21, v21
	v_ldexp_f32 v20, v20, v28
	v_cndmask_b32_e64 v19, 0, v19, s8
	v_cmp_nlt_f32_e64 s8, 0x42b17218, v0
	v_cvt_i32_f32_e32 v23, v23
	v_add_f32_e32 v22, v22, v30
	v_cndmask_b32_e64 v17, 0x7f800000, v17, s8
	v_cmp_nlt_f32_e64 s8, 0x42b17218, v11
	v_ldexp_f32 v21, v21, v23
	v_cndmask_b32_e32 v17, 0, v17, vcc_lo
	v_cndmask_b32_e64 v19, 0x7f800000, v19, s8
	v_cmp_ngt_f32_e64 s8, 0xc2ce8ed0, v13
	v_add_f32_e32 v19, v17, v19
	v_cndmask_b32_e64 v20, 0, v20, s8
	v_cmp_nlt_f32_e64 s8, 0x42b17218, v13
	v_cndmask_b32_e64 v17, v17, v19, s0
	v_exp_f32_e32 v19, v22
	v_cndmask_b32_e64 v20, 0x7f800000, v20, s8
	v_cmp_ngt_f32_e64 s8, 0xc2ce8ed0, v14
	v_cvt_i32_f32_e32 v22, v25
	v_add_f32_e32 v20, v17, v20
	v_cndmask_b32_e64 v21, 0, v21, s8
	v_cmp_nlt_f32_e64 s8, 0x42b17218, v14
	v_ldexp_f32 v19, v19, v22
	v_cndmask_b32_e64 v17, v17, v20, s1
	v_cndmask_b32_e64 v21, 0x7f800000, v21, s8
	v_cmp_ngt_f32_e64 s8, 0xc2ce8ed0, v16
	v_add_f32_e32 v20, v17, v21
	v_cndmask_b32_e64 v19, 0, v19, s8
	v_cmp_nlt_f32_e64 s8, 0x42b17218, v16
	v_cndmask_b32_e64 v17, v17, v20, s2
	v_cndmask_b32_e64 v19, 0x7f800000, v19, s8
	v_add_f32_e32 v19, v17, v19
	v_cndmask_b32_e64 v17, v17, v19, s3
	ds_bpermute_b32 v19, v6, v17
	s_waitcnt lgkmcnt(0)
	v_add_f32_e32 v17, v17, v19
	ds_bpermute_b32 v19, v7, v17
	s_waitcnt lgkmcnt(0)
	v_add_f32_e32 v17, v17, v19
	;; [unrolled: 3-line block ×4, first 2 shown]
	ds_bpermute_b32 v19, v10, v17
	s_and_saveexec_b32 s8, s4
	s_cbranch_execz .LBB98_18
; %bb.17:
	v_add_nc_u32_e32 v12, 0, v12
	s_waitcnt lgkmcnt(0)
	v_add_f32_e32 v17, v17, v19
	ds_write_b32 v12, v17
.LBB98_18:
	s_or_b32 exec_lo, exec_lo, s8
	s_waitcnt lgkmcnt(0)
	s_barrier
	buffer_gl0_inv
	s_and_saveexec_b32 s4, s5
	s_cbranch_execnz .LBB98_30
; %bb.19:
	s_or_b32 exec_lo, exec_lo, s4
	s_and_saveexec_b32 s4, s6
	s_cbranch_execnz .LBB98_31
.LBB98_20:
	s_or_b32 exec_lo, exec_lo, s4
	s_and_saveexec_b32 s4, s7
	s_cbranch_execz .LBB98_22
.LBB98_21:
	v_mov_b32_e32 v6, 0
	s_waitcnt lgkmcnt(0)
	ds_write_b32 v6, v18
.LBB98_22:
	s_or_b32 exec_lo, exec_lo, s4
	v_mov_b32_e32 v6, 0
	s_waitcnt lgkmcnt(0)
	s_barrier
	buffer_gl0_inv
	s_add_u32 s6, s12, s10
	ds_read_b32 v6, v6
	s_addc_u32 s7, s13, s11
	s_waitcnt lgkmcnt(0)
	v_cmp_gt_f32_e64 s4, 0x800000, v6
	v_cndmask_b32_e64 v7, 0, 0x41b17218, s4
	s_and_b32 s4, s4, exec_lo
	s_cselect_b32 s4, 32, 0
	v_ldexp_f32 v6, v6, s4
	v_log_f32_e32 v6, v6
	v_mul_f32_e32 v8, 0x3f317217, v6
	v_cmp_gt_f32_e64 s4, 0x7f800000, |v6|
	v_fma_f32 v8, 0x3f317217, v6, -v8
	v_fmamk_f32 v8, v6, 0x3377d1cf, v8
	v_fmac_f32_e32 v8, 0x3f317217, v6
	v_cndmask_b32_e64 v6, v6, v8, s4
	v_sub_f32_e32 v6, v6, v7
	s_and_saveexec_b32 s4, vcc_lo
	s_cbranch_execnz .LBB98_32
; %bb.23:
	s_or_b32 exec_lo, exec_lo, s4
	s_and_saveexec_b32 s4, s0
	s_cbranch_execnz .LBB98_33
.LBB98_24:
	s_or_b32 exec_lo, exec_lo, s4
	s_and_saveexec_b32 s0, s1
	s_cbranch_execnz .LBB98_34
.LBB98_25:
	s_or_b32 exec_lo, exec_lo, s0
	s_and_saveexec_b32 s0, s2
	s_cbranch_execnz .LBB98_35
.LBB98_26:
	s_or_b32 exec_lo, exec_lo, s0
	s_and_saveexec_b32 s0, s3
	s_cbranch_execnz .LBB98_36
.LBB98_27:
	s_endpgm
.LBB98_28:
	ds_read_b32 v18, v15
	s_or_b32 exec_lo, exec_lo, s6
	v_cmp_gt_u32_e64 s6, 32, v0
	s_and_saveexec_b32 s8, s6
	s_cbranch_execz .LBB98_14
.LBB98_29:
	s_waitcnt lgkmcnt(0)
	ds_bpermute_b32 v19, v6, v18
	s_waitcnt lgkmcnt(0)
	v_cmp_lt_f32_e64 s7, v18, v19
	v_cndmask_b32_e64 v18, v18, v19, s7
	ds_bpermute_b32 v19, v7, v18
	s_waitcnt lgkmcnt(0)
	v_cmp_lt_f32_e64 s7, v18, v19
	v_cndmask_b32_e64 v18, v18, v19, s7
	;; [unrolled: 4-line block ×5, first 2 shown]
	s_or_b32 exec_lo, exec_lo, s8
	v_cmp_eq_u32_e64 s7, 0, v0
	s_and_saveexec_b32 s8, s7
	s_cbranch_execnz .LBB98_15
	s_branch .LBB98_16
.LBB98_30:
	ds_read_b32 v18, v15
	s_or_b32 exec_lo, exec_lo, s4
	s_and_saveexec_b32 s4, s6
	s_cbranch_execz .LBB98_20
.LBB98_31:
	s_waitcnt lgkmcnt(0)
	ds_bpermute_b32 v6, v6, v18
	s_waitcnt lgkmcnt(0)
	v_add_f32_e32 v6, v18, v6
	ds_bpermute_b32 v7, v7, v6
	s_waitcnt lgkmcnt(0)
	v_add_f32_e32 v6, v6, v7
	;; [unrolled: 3-line block ×5, first 2 shown]
	s_or_b32 exec_lo, exec_lo, s4
	s_and_saveexec_b32 s4, s7
	s_cbranch_execnz .LBB98_21
	s_branch .LBB98_22
.LBB98_32:
	v_sub_f32_e32 v0, v0, v6
	v_cvt_f16_f32_e32 v0, v0
	global_store_short v3, v0, s[6:7]
	s_or_b32 exec_lo, exec_lo, s4
	s_and_saveexec_b32 s4, s0
	s_cbranch_execz .LBB98_24
.LBB98_33:
	v_sub_f32_e32 v0, v11, v6
	v_cvt_f16_f32_e32 v0, v0
	global_store_short v4, v0, s[6:7]
	s_or_b32 exec_lo, exec_lo, s4
	s_and_saveexec_b32 s0, s1
	s_cbranch_execz .LBB98_25
.LBB98_34:
	v_sub_f32_e32 v0, v13, v6
	v_cvt_f16_f32_e32 v0, v0
	global_store_short v5, v0, s[6:7]
	s_or_b32 exec_lo, exec_lo, s0
	s_and_saveexec_b32 s0, s2
	s_cbranch_execz .LBB98_26
.LBB98_35:
	v_sub_f32_e32 v0, v14, v6
	v_cvt_f16_f32_e32 v0, v0
	global_store_short v2, v0, s[6:7]
	s_or_b32 exec_lo, exec_lo, s0
	s_and_saveexec_b32 s0, s3
	s_cbranch_execz .LBB98_27
.LBB98_36:
	v_sub_f32_e32 v0, v16, v6
	v_cvt_f16_f32_e32 v0, v0
	global_store_short v1, v0, s[6:7]
	s_endpgm
	.section	.rodata,"a",@progbits
	.p2align	6, 0x0
	.amdhsa_kernel _ZN2at6native12_GLOBAL__N_122cunn_SoftMaxForwardRegIN3c104HalfEfS4_NS1_25LogSoftMaxForwardEpilogueElLi5EEEvPT1_PKT_T3_
		.amdhsa_group_segment_fixed_size 0
		.amdhsa_private_segment_fixed_size 0
		.amdhsa_kernarg_size 280
		.amdhsa_user_sgpr_count 6
		.amdhsa_user_sgpr_private_segment_buffer 1
		.amdhsa_user_sgpr_dispatch_ptr 0
		.amdhsa_user_sgpr_queue_ptr 0
		.amdhsa_user_sgpr_kernarg_segment_ptr 1
		.amdhsa_user_sgpr_dispatch_id 0
		.amdhsa_user_sgpr_flat_scratch_init 0
		.amdhsa_user_sgpr_private_segment_size 0
		.amdhsa_wavefront_size32 1
		.amdhsa_uses_dynamic_stack 0
		.amdhsa_system_sgpr_private_segment_wavefront_offset 0
		.amdhsa_system_sgpr_workgroup_id_x 1
		.amdhsa_system_sgpr_workgroup_id_y 0
		.amdhsa_system_sgpr_workgroup_id_z 0
		.amdhsa_system_sgpr_workgroup_info 0
		.amdhsa_system_vgpr_workitem_id 0
		.amdhsa_next_free_vgpr 31
		.amdhsa_next_free_sgpr 16
		.amdhsa_reserve_vcc 1
		.amdhsa_reserve_flat_scratch 0
		.amdhsa_float_round_mode_32 0
		.amdhsa_float_round_mode_16_64 0
		.amdhsa_float_denorm_mode_32 3
		.amdhsa_float_denorm_mode_16_64 3
		.amdhsa_dx10_clamp 1
		.amdhsa_ieee_mode 1
		.amdhsa_fp16_overflow 0
		.amdhsa_workgroup_processor_mode 1
		.amdhsa_memory_ordered 1
		.amdhsa_forward_progress 1
		.amdhsa_shared_vgpr_count 0
		.amdhsa_exception_fp_ieee_invalid_op 0
		.amdhsa_exception_fp_denorm_src 0
		.amdhsa_exception_fp_ieee_div_zero 0
		.amdhsa_exception_fp_ieee_overflow 0
		.amdhsa_exception_fp_ieee_underflow 0
		.amdhsa_exception_fp_ieee_inexact 0
		.amdhsa_exception_int_div_zero 0
	.end_amdhsa_kernel
	.section	.text._ZN2at6native12_GLOBAL__N_122cunn_SoftMaxForwardRegIN3c104HalfEfS4_NS1_25LogSoftMaxForwardEpilogueElLi5EEEvPT1_PKT_T3_,"axG",@progbits,_ZN2at6native12_GLOBAL__N_122cunn_SoftMaxForwardRegIN3c104HalfEfS4_NS1_25LogSoftMaxForwardEpilogueElLi5EEEvPT1_PKT_T3_,comdat
.Lfunc_end98:
	.size	_ZN2at6native12_GLOBAL__N_122cunn_SoftMaxForwardRegIN3c104HalfEfS4_NS1_25LogSoftMaxForwardEpilogueElLi5EEEvPT1_PKT_T3_, .Lfunc_end98-_ZN2at6native12_GLOBAL__N_122cunn_SoftMaxForwardRegIN3c104HalfEfS4_NS1_25LogSoftMaxForwardEpilogueElLi5EEEvPT1_PKT_T3_
                                        ; -- End function
	.set _ZN2at6native12_GLOBAL__N_122cunn_SoftMaxForwardRegIN3c104HalfEfS4_NS1_25LogSoftMaxForwardEpilogueElLi5EEEvPT1_PKT_T3_.num_vgpr, 31
	.set _ZN2at6native12_GLOBAL__N_122cunn_SoftMaxForwardRegIN3c104HalfEfS4_NS1_25LogSoftMaxForwardEpilogueElLi5EEEvPT1_PKT_T3_.num_agpr, 0
	.set _ZN2at6native12_GLOBAL__N_122cunn_SoftMaxForwardRegIN3c104HalfEfS4_NS1_25LogSoftMaxForwardEpilogueElLi5EEEvPT1_PKT_T3_.numbered_sgpr, 16
	.set _ZN2at6native12_GLOBAL__N_122cunn_SoftMaxForwardRegIN3c104HalfEfS4_NS1_25LogSoftMaxForwardEpilogueElLi5EEEvPT1_PKT_T3_.num_named_barrier, 0
	.set _ZN2at6native12_GLOBAL__N_122cunn_SoftMaxForwardRegIN3c104HalfEfS4_NS1_25LogSoftMaxForwardEpilogueElLi5EEEvPT1_PKT_T3_.private_seg_size, 0
	.set _ZN2at6native12_GLOBAL__N_122cunn_SoftMaxForwardRegIN3c104HalfEfS4_NS1_25LogSoftMaxForwardEpilogueElLi5EEEvPT1_PKT_T3_.uses_vcc, 1
	.set _ZN2at6native12_GLOBAL__N_122cunn_SoftMaxForwardRegIN3c104HalfEfS4_NS1_25LogSoftMaxForwardEpilogueElLi5EEEvPT1_PKT_T3_.uses_flat_scratch, 0
	.set _ZN2at6native12_GLOBAL__N_122cunn_SoftMaxForwardRegIN3c104HalfEfS4_NS1_25LogSoftMaxForwardEpilogueElLi5EEEvPT1_PKT_T3_.has_dyn_sized_stack, 0
	.set _ZN2at6native12_GLOBAL__N_122cunn_SoftMaxForwardRegIN3c104HalfEfS4_NS1_25LogSoftMaxForwardEpilogueElLi5EEEvPT1_PKT_T3_.has_recursion, 0
	.set _ZN2at6native12_GLOBAL__N_122cunn_SoftMaxForwardRegIN3c104HalfEfS4_NS1_25LogSoftMaxForwardEpilogueElLi5EEEvPT1_PKT_T3_.has_indirect_call, 0
	.section	.AMDGPU.csdata,"",@progbits
; Kernel info:
; codeLenInByte = 2200
; TotalNumSgprs: 18
; NumVgprs: 31
; ScratchSize: 0
; MemoryBound: 0
; FloatMode: 240
; IeeeMode: 1
; LDSByteSize: 0 bytes/workgroup (compile time only)
; SGPRBlocks: 0
; VGPRBlocks: 3
; NumSGPRsForWavesPerEU: 18
; NumVGPRsForWavesPerEU: 31
; Occupancy: 16
; WaveLimiterHint : 0
; COMPUTE_PGM_RSRC2:SCRATCH_EN: 0
; COMPUTE_PGM_RSRC2:USER_SGPR: 6
; COMPUTE_PGM_RSRC2:TRAP_HANDLER: 0
; COMPUTE_PGM_RSRC2:TGID_X_EN: 1
; COMPUTE_PGM_RSRC2:TGID_Y_EN: 0
; COMPUTE_PGM_RSRC2:TGID_Z_EN: 0
; COMPUTE_PGM_RSRC2:TIDIG_COMP_CNT: 0
	.section	.text._ZN2at6native12_GLOBAL__N_122cunn_SoftMaxForwardRegIN3c104HalfEfS4_NS1_25LogSoftMaxForwardEpilogueElLi6EEEvPT1_PKT_T3_,"axG",@progbits,_ZN2at6native12_GLOBAL__N_122cunn_SoftMaxForwardRegIN3c104HalfEfS4_NS1_25LogSoftMaxForwardEpilogueElLi6EEEvPT1_PKT_T3_,comdat
	.globl	_ZN2at6native12_GLOBAL__N_122cunn_SoftMaxForwardRegIN3c104HalfEfS4_NS1_25LogSoftMaxForwardEpilogueElLi6EEEvPT1_PKT_T3_ ; -- Begin function _ZN2at6native12_GLOBAL__N_122cunn_SoftMaxForwardRegIN3c104HalfEfS4_NS1_25LogSoftMaxForwardEpilogueElLi6EEEvPT1_PKT_T3_
	.p2align	8
	.type	_ZN2at6native12_GLOBAL__N_122cunn_SoftMaxForwardRegIN3c104HalfEfS4_NS1_25LogSoftMaxForwardEpilogueElLi6EEEvPT1_PKT_T3_,@function
_ZN2at6native12_GLOBAL__N_122cunn_SoftMaxForwardRegIN3c104HalfEfS4_NS1_25LogSoftMaxForwardEpilogueElLi6EEEvPT1_PKT_T3_: ; @_ZN2at6native12_GLOBAL__N_122cunn_SoftMaxForwardRegIN3c104HalfEfS4_NS1_25LogSoftMaxForwardEpilogueElLi6EEEvPT1_PKT_T3_
; %bb.0:
	s_clause 0x2
	s_load_dwordx2 s[8:9], s[4:5], 0x10
	s_load_dwordx4 s[12:15], s[4:5], 0x0
	s_load_dword s0, s[4:5], 0x24
	v_mov_b32_e32 v2, 0
	v_mov_b32_e32 v9, 0xff7fffff
	v_lshlrev_b32_e32 v3, 1, v0
                                        ; implicit-def: $vgpr12
	v_mov_b32_e32 v1, v2
	s_waitcnt lgkmcnt(0)
	s_mul_i32 s1, s9, s6
	s_mul_hi_u32 s3, s8, s6
	s_mul_i32 s2, s8, s6
	s_add_i32 s3, s3, s1
	v_cmp_gt_i64_e32 vcc_lo, s[8:9], v[0:1]
	s_lshl_b64 s[10:11], s[2:3], 1
	s_add_u32 s6, s14, s10
	s_addc_u32 s7, s15, s11
	s_and_saveexec_b32 s1, vcc_lo
	s_cbranch_execz .LBB99_2
; %bb.1:
	global_load_ushort v1, v3, s[6:7]
	s_waitcnt vmcnt(0)
	v_cvt_f32_f16_e32 v12, v1
	v_max_f32_e32 v9, 0xff7fffff, v12
.LBB99_2:
	s_or_b32 exec_lo, exec_lo, s1
	s_and_b32 s14, 0xffff, s0
                                        ; implicit-def: $vgpr14
	v_add_nc_u32_e32 v1, s14, v0
	v_cmp_gt_i64_e64 s0, s[8:9], v[1:2]
	v_lshlrev_b32_e32 v4, 1, v1
	s_and_saveexec_b32 s1, s0
	s_cbranch_execz .LBB99_4
; %bb.3:
	global_load_ushort v2, v4, s[6:7]
	s_waitcnt vmcnt(0)
	v_cvt_f32_f16_e32 v14, v2
	v_max_f32_e32 v2, v9, v9
	v_max_f32_e32 v9, v2, v14
.LBB99_4:
	s_or_b32 exec_lo, exec_lo, s1
	v_add_nc_u32_e32 v1, s14, v1
	v_mov_b32_e32 v2, 0
                                        ; implicit-def: $vgpr15
	v_lshlrev_b32_e32 v5, 1, v1
	v_cmp_gt_i64_e64 s1, s[8:9], v[1:2]
	s_and_saveexec_b32 s2, s1
	s_cbranch_execz .LBB99_6
; %bb.5:
	global_load_ushort v6, v5, s[6:7]
	s_waitcnt vmcnt(0)
	v_cvt_f32_f16_e32 v15, v6
	v_max_f32_e32 v6, v9, v9
	v_max_f32_e32 v9, v6, v15
.LBB99_6:
	s_or_b32 exec_lo, exec_lo, s2
	v_add_nc_u32_e32 v1, s14, v1
                                        ; implicit-def: $vgpr17
	v_cmp_gt_i64_e64 s2, s[8:9], v[1:2]
	v_lshlrev_b32_e32 v6, 1, v1
	s_and_saveexec_b32 s3, s2
	s_cbranch_execz .LBB99_8
; %bb.7:
	global_load_ushort v2, v6, s[6:7]
	s_waitcnt vmcnt(0)
	v_cvt_f32_f16_e32 v17, v2
	v_max_f32_e32 v2, v9, v9
	v_max_f32_e32 v9, v2, v17
.LBB99_8:
	s_or_b32 exec_lo, exec_lo, s3
	v_add_nc_u32_e32 v1, s14, v1
	v_mov_b32_e32 v2, 0
                                        ; implicit-def: $vgpr18
	v_lshlrev_b32_e32 v7, 1, v1
	v_cmp_gt_i64_e64 s3, s[8:9], v[1:2]
	s_and_saveexec_b32 s4, s3
	s_cbranch_execz .LBB99_10
; %bb.9:
	global_load_ushort v8, v7, s[6:7]
	s_waitcnt vmcnt(0)
	v_cvt_f32_f16_e32 v18, v8
	v_max_f32_e32 v8, v9, v9
	v_max_f32_e32 v9, v8, v18
.LBB99_10:
	s_or_b32 exec_lo, exec_lo, s4
	v_add_nc_u32_e32 v1, s14, v1
                                        ; implicit-def: $vgpr20
	v_cmp_gt_i64_e64 s4, s[8:9], v[1:2]
	v_lshlrev_b32_e32 v1, 1, v1
	s_and_saveexec_b32 s5, s4
	s_cbranch_execz .LBB99_12
; %bb.11:
	global_load_ushort v2, v1, s[6:7]
	s_waitcnt vmcnt(0)
	v_cvt_f32_f16_e32 v20, v2
	v_max_f32_e32 v2, v9, v9
	v_max_f32_e32 v9, v2, v20
.LBB99_12:
	s_or_b32 exec_lo, exec_lo, s5
	v_mbcnt_lo_u32_b32 v11, -1, 0
	s_barrier
	buffer_gl0_inv
	v_lshl_or_b32 v2, v11, 2, 64
	v_cmp_gt_u32_e64 s5, 24, v11
	ds_bpermute_b32 v10, v2, v9
	v_cndmask_b32_e64 v8, 0, 8, s5
	v_add_lshl_u32 v8, v8, v11, 2
	s_waitcnt lgkmcnt(0)
	v_cmp_lt_f32_e64 s5, v9, v10
	v_cndmask_b32_e64 v10, v9, v10, s5
	v_cmp_gt_u32_e64 s5, 28, v11
	ds_bpermute_b32 v13, v8, v10
	v_cndmask_b32_e64 v9, 0, 4, s5
	v_add_lshl_u32 v9, v9, v11, 2
	s_waitcnt lgkmcnt(0)
	v_cmp_lt_f32_e64 s5, v10, v13
	v_cndmask_b32_e64 v13, v10, v13, s5
	;; [unrolled: 7-line block ×3, first 2 shown]
	v_cmp_ne_u32_e64 s5, 31, v11
	ds_bpermute_b32 v16, v10, v13
	v_add_co_ci_u32_e64 v11, null, 0, v11, s5
	v_lshlrev_b32_e32 v11, 2, v11
	s_waitcnt lgkmcnt(0)
	v_cmp_lt_f32_e64 s5, v13, v16
	v_cndmask_b32_e64 v19, v13, v16, s5
	v_and_b32_e32 v16, 31, v0
	v_lshrrev_b32_e32 v13, 3, v0
	ds_bpermute_b32 v21, v11, v19
	v_cmp_eq_u32_e64 s5, 0, v16
	s_and_saveexec_b32 s6, s5
	s_xor_b32 s7, exec_lo, s6
	s_cbranch_execz .LBB99_14
; %bb.13:
	s_waitcnt lgkmcnt(0)
	v_cmp_lt_f32_e64 s6, v19, v21
	v_add_nc_u32_e32 v22, 0, v13
	v_cndmask_b32_e64 v19, v19, v21, s6
	ds_write_b32 v22, v19
.LBB99_14:
	s_or_b32 exec_lo, exec_lo, s7
	s_lshr_b32 s6, s14, 5
	v_mov_b32_e32 v19, 0xff7fffff
	v_cmp_gt_u32_e64 s6, s6, v0
	v_lshl_add_u32 v16, v16, 2, 0
	s_waitcnt lgkmcnt(0)
	s_barrier
	buffer_gl0_inv
	s_and_saveexec_b32 s7, s6
	s_cbranch_execnz .LBB99_31
; %bb.15:
	s_or_b32 exec_lo, exec_lo, s7
	v_cmp_gt_u32_e64 s7, 32, v0
	s_and_saveexec_b32 s9, s7
	s_cbranch_execnz .LBB99_32
.LBB99_16:
	s_or_b32 exec_lo, exec_lo, s9
	v_cmp_eq_u32_e64 s8, 0, v0
	s_and_saveexec_b32 s9, s8
	s_cbranch_execz .LBB99_18
.LBB99_17:
	v_mov_b32_e32 v0, 0
	s_waitcnt lgkmcnt(0)
	ds_write_b32 v0, v19
.LBB99_18:
	s_or_b32 exec_lo, exec_lo, s9
	s_waitcnt lgkmcnt(0)
	v_mov_b32_e32 v19, 0
	s_barrier
	buffer_gl0_inv
	ds_read_b32 v21, v19
	s_waitcnt lgkmcnt(0)
	s_barrier
	buffer_gl0_inv
	v_sub_f32_e32 v0, v12, v21
	v_sub_f32_e32 v12, v14, v21
	;; [unrolled: 1-line block ×6, first 2 shown]
	v_mul_f32_e32 v20, 0x3fb8aa3b, v0
	v_mul_f32_e32 v21, 0x3fb8aa3b, v12
	;; [unrolled: 1-line block ×4, first 2 shown]
	v_cmp_ngt_f32_e64 s9, 0xc2ce8ed0, v0
	v_fma_f32 v26, 0x3fb8aa3b, v0, -v20
	v_rndne_f32_e32 v27, v20
	v_fma_f32 v28, 0x3fb8aa3b, v12, -v21
	v_rndne_f32_e32 v29, v21
	v_fma_f32 v30, 0x3fb8aa3b, v14, -v22
	v_fmac_f32_e32 v26, 0x32a5705f, v0
	v_sub_f32_e32 v20, v20, v27
	v_fmac_f32_e32 v28, 0x32a5705f, v12
	v_sub_f32_e32 v21, v21, v29
	v_rndne_f32_e32 v31, v22
	v_cvt_i32_f32_e32 v27, v27
	v_add_f32_e32 v20, v20, v26
	v_fmac_f32_e32 v30, 0x32a5705f, v14
	v_add_f32_e32 v21, v21, v28
	v_cvt_i32_f32_e32 v28, v29
	v_sub_f32_e32 v22, v22, v31
	v_exp_f32_e32 v20, v20
	v_fma_f32 v32, 0x3fb8aa3b, v15, -v23
	v_exp_f32_e32 v21, v21
	v_rndne_f32_e32 v33, v23
	v_add_f32_e32 v22, v22, v30
	v_mul_f32_e32 v24, 0x3fb8aa3b, v17
	v_fmac_f32_e32 v32, 0x32a5705f, v15
	v_cvt_i32_f32_e32 v29, v31
	v_sub_f32_e32 v23, v23, v33
	v_exp_f32_e32 v22, v22
	v_ldexp_f32 v20, v20, v27
	v_fma_f32 v34, 0x3fb8aa3b, v17, -v24
	v_ldexp_f32 v21, v21, v28
	v_rndne_f32_e32 v35, v24
	v_add_f32_e32 v23, v23, v32
	v_cndmask_b32_e64 v20, 0, v20, s9
	v_cmp_ngt_f32_e64 s9, 0xc2ce8ed0, v12
	v_mul_f32_e32 v25, 0x3fb8aa3b, v18
	v_fmac_f32_e32 v34, 0x32a5705f, v17
	v_sub_f32_e32 v24, v24, v35
	v_exp_f32_e32 v23, v23
	v_cndmask_b32_e64 v21, 0, v21, s9
	v_cmp_nlt_f32_e64 s9, 0x42b17218, v0
	v_ldexp_f32 v22, v22, v29
	v_fma_f32 v36, 0x3fb8aa3b, v18, -v25
	v_rndne_f32_e32 v26, v25
	v_cvt_i32_f32_e32 v30, v33
	v_cndmask_b32_e64 v20, 0x7f800000, v20, s9
	v_cmp_nlt_f32_e64 s9, 0x42b17218, v12
	v_add_f32_e32 v24, v24, v34
	v_fmac_f32_e32 v36, 0x32a5705f, v18
	v_ldexp_f32 v23, v23, v30
	v_cndmask_b32_e32 v20, 0, v20, vcc_lo
	v_cndmask_b32_e64 v21, 0x7f800000, v21, s9
	v_cmp_ngt_f32_e64 s9, 0xc2ce8ed0, v14
	v_exp_f32_e32 v24, v24
	v_add_f32_e32 v21, v20, v21
	v_cndmask_b32_e64 v22, 0, v22, s9
	v_cmp_nlt_f32_e64 s9, 0x42b17218, v14
	v_cndmask_b32_e64 v20, v20, v21, s0
	v_sub_f32_e32 v21, v25, v26
	v_cndmask_b32_e64 v22, 0x7f800000, v22, s9
	v_cmp_ngt_f32_e64 s9, 0xc2ce8ed0, v15
	v_cvt_i32_f32_e32 v25, v35
	v_add_f32_e32 v21, v21, v36
	v_add_f32_e32 v22, v20, v22
	v_cndmask_b32_e64 v23, 0, v23, s9
	v_cmp_nlt_f32_e64 s9, 0x42b17218, v15
	v_ldexp_f32 v24, v24, v25
	v_exp_f32_e32 v21, v21
	v_cndmask_b32_e64 v20, v20, v22, s1
	v_cndmask_b32_e64 v23, 0x7f800000, v23, s9
	v_cmp_ngt_f32_e64 s9, 0xc2ce8ed0, v17
	v_add_f32_e32 v23, v20, v23
	v_cndmask_b32_e64 v22, 0, v24, s9
	v_cvt_i32_f32_e32 v24, v26
	v_cmp_nlt_f32_e64 s9, 0x42b17218, v17
	v_cndmask_b32_e64 v20, v20, v23, s2
	v_ldexp_f32 v21, v21, v24
	v_cndmask_b32_e64 v22, 0x7f800000, v22, s9
	v_cmp_ngt_f32_e64 s9, 0xc2ce8ed0, v18
	v_add_f32_e32 v22, v20, v22
	v_cndmask_b32_e64 v21, 0, v21, s9
	v_cmp_nlt_f32_e64 s9, 0x42b17218, v18
	v_cndmask_b32_e64 v20, v20, v22, s3
	v_cndmask_b32_e64 v21, 0x7f800000, v21, s9
	v_add_f32_e32 v21, v20, v21
	v_cndmask_b32_e64 v20, v20, v21, s4
	ds_bpermute_b32 v21, v2, v20
	s_waitcnt lgkmcnt(0)
	v_add_f32_e32 v20, v20, v21
	ds_bpermute_b32 v21, v8, v20
	s_waitcnt lgkmcnt(0)
	v_add_f32_e32 v20, v20, v21
	;; [unrolled: 3-line block ×4, first 2 shown]
	ds_bpermute_b32 v21, v11, v20
	s_and_saveexec_b32 s9, s5
	s_cbranch_execz .LBB99_20
; %bb.19:
	v_add_nc_u32_e32 v13, 0, v13
	s_waitcnt lgkmcnt(0)
	v_add_f32_e32 v20, v20, v21
	ds_write_b32 v13, v20
.LBB99_20:
	s_or_b32 exec_lo, exec_lo, s9
	s_waitcnt lgkmcnt(0)
	s_barrier
	buffer_gl0_inv
	s_and_saveexec_b32 s5, s6
	s_cbranch_execnz .LBB99_33
; %bb.21:
	s_or_b32 exec_lo, exec_lo, s5
	s_and_saveexec_b32 s5, s7
	s_cbranch_execnz .LBB99_34
.LBB99_22:
	s_or_b32 exec_lo, exec_lo, s5
	s_and_saveexec_b32 s5, s8
	s_cbranch_execz .LBB99_24
.LBB99_23:
	v_mov_b32_e32 v2, 0
	s_waitcnt lgkmcnt(0)
	ds_write_b32 v2, v19
.LBB99_24:
	s_or_b32 exec_lo, exec_lo, s5
	v_mov_b32_e32 v2, 0
	s_waitcnt lgkmcnt(0)
	s_barrier
	buffer_gl0_inv
	s_add_u32 s6, s12, s10
	ds_read_b32 v2, v2
	s_addc_u32 s7, s13, s11
	s_waitcnt lgkmcnt(0)
	v_cmp_gt_f32_e64 s5, 0x800000, v2
	v_cndmask_b32_e64 v8, 0, 0x41b17218, s5
	s_and_b32 s5, s5, exec_lo
	s_cselect_b32 s5, 32, 0
	v_ldexp_f32 v2, v2, s5
	v_log_f32_e32 v2, v2
	v_mul_f32_e32 v9, 0x3f317217, v2
	v_cmp_gt_f32_e64 s5, 0x7f800000, |v2|
	v_fma_f32 v9, 0x3f317217, v2, -v9
	v_fmamk_f32 v9, v2, 0x3377d1cf, v9
	v_fmac_f32_e32 v9, 0x3f317217, v2
	v_cndmask_b32_e64 v2, v2, v9, s5
	v_sub_f32_e32 v2, v2, v8
	s_and_saveexec_b32 s5, vcc_lo
	s_cbranch_execnz .LBB99_35
; %bb.25:
	s_or_b32 exec_lo, exec_lo, s5
	s_and_saveexec_b32 s5, s0
	s_cbranch_execnz .LBB99_36
.LBB99_26:
	s_or_b32 exec_lo, exec_lo, s5
	s_and_saveexec_b32 s0, s1
	s_cbranch_execnz .LBB99_37
.LBB99_27:
	s_or_b32 exec_lo, exec_lo, s0
	s_and_saveexec_b32 s0, s2
	s_cbranch_execnz .LBB99_38
.LBB99_28:
	s_or_b32 exec_lo, exec_lo, s0
	s_and_saveexec_b32 s0, s3
	s_cbranch_execnz .LBB99_39
.LBB99_29:
	s_or_b32 exec_lo, exec_lo, s0
	s_and_saveexec_b32 s0, s4
	s_cbranch_execnz .LBB99_40
.LBB99_30:
	s_endpgm
.LBB99_31:
	ds_read_b32 v19, v16
	s_or_b32 exec_lo, exec_lo, s7
	v_cmp_gt_u32_e64 s7, 32, v0
	s_and_saveexec_b32 s9, s7
	s_cbranch_execz .LBB99_16
.LBB99_32:
	s_waitcnt lgkmcnt(0)
	ds_bpermute_b32 v21, v2, v19
	s_waitcnt lgkmcnt(0)
	v_cmp_lt_f32_e64 s8, v19, v21
	v_cndmask_b32_e64 v19, v19, v21, s8
	ds_bpermute_b32 v21, v8, v19
	s_waitcnt lgkmcnt(0)
	v_cmp_lt_f32_e64 s8, v19, v21
	v_cndmask_b32_e64 v19, v19, v21, s8
	;; [unrolled: 4-line block ×5, first 2 shown]
	s_or_b32 exec_lo, exec_lo, s9
	v_cmp_eq_u32_e64 s8, 0, v0
	s_and_saveexec_b32 s9, s8
	s_cbranch_execnz .LBB99_17
	s_branch .LBB99_18
.LBB99_33:
	ds_read_b32 v19, v16
	s_or_b32 exec_lo, exec_lo, s5
	s_and_saveexec_b32 s5, s7
	s_cbranch_execz .LBB99_22
.LBB99_34:
	s_waitcnt lgkmcnt(0)
	ds_bpermute_b32 v2, v2, v19
	s_waitcnt lgkmcnt(0)
	v_add_f32_e32 v2, v19, v2
	ds_bpermute_b32 v8, v8, v2
	s_waitcnt lgkmcnt(0)
	v_add_f32_e32 v2, v2, v8
	;; [unrolled: 3-line block ×5, first 2 shown]
	s_or_b32 exec_lo, exec_lo, s5
	s_and_saveexec_b32 s5, s8
	s_cbranch_execnz .LBB99_23
	s_branch .LBB99_24
.LBB99_35:
	v_sub_f32_e32 v0, v0, v2
	v_cvt_f16_f32_e32 v0, v0
	global_store_short v3, v0, s[6:7]
	s_or_b32 exec_lo, exec_lo, s5
	s_and_saveexec_b32 s5, s0
	s_cbranch_execz .LBB99_26
.LBB99_36:
	v_sub_f32_e32 v0, v12, v2
	v_cvt_f16_f32_e32 v0, v0
	global_store_short v4, v0, s[6:7]
	s_or_b32 exec_lo, exec_lo, s5
	s_and_saveexec_b32 s0, s1
	s_cbranch_execz .LBB99_27
.LBB99_37:
	v_sub_f32_e32 v0, v14, v2
	v_cvt_f16_f32_e32 v0, v0
	global_store_short v5, v0, s[6:7]
	s_or_b32 exec_lo, exec_lo, s0
	s_and_saveexec_b32 s0, s2
	s_cbranch_execz .LBB99_28
.LBB99_38:
	v_sub_f32_e32 v0, v15, v2
	v_cvt_f16_f32_e32 v0, v0
	global_store_short v6, v0, s[6:7]
	s_or_b32 exec_lo, exec_lo, s0
	s_and_saveexec_b32 s0, s3
	s_cbranch_execz .LBB99_29
.LBB99_39:
	v_sub_f32_e32 v0, v17, v2
	v_cvt_f16_f32_e32 v0, v0
	global_store_short v7, v0, s[6:7]
	s_or_b32 exec_lo, exec_lo, s0
	s_and_saveexec_b32 s0, s4
	s_cbranch_execz .LBB99_30
.LBB99_40:
	v_sub_f32_e32 v0, v18, v2
	v_cvt_f16_f32_e32 v0, v0
	global_store_short v1, v0, s[6:7]
	s_endpgm
	.section	.rodata,"a",@progbits
	.p2align	6, 0x0
	.amdhsa_kernel _ZN2at6native12_GLOBAL__N_122cunn_SoftMaxForwardRegIN3c104HalfEfS4_NS1_25LogSoftMaxForwardEpilogueElLi6EEEvPT1_PKT_T3_
		.amdhsa_group_segment_fixed_size 0
		.amdhsa_private_segment_fixed_size 0
		.amdhsa_kernarg_size 280
		.amdhsa_user_sgpr_count 6
		.amdhsa_user_sgpr_private_segment_buffer 1
		.amdhsa_user_sgpr_dispatch_ptr 0
		.amdhsa_user_sgpr_queue_ptr 0
		.amdhsa_user_sgpr_kernarg_segment_ptr 1
		.amdhsa_user_sgpr_dispatch_id 0
		.amdhsa_user_sgpr_flat_scratch_init 0
		.amdhsa_user_sgpr_private_segment_size 0
		.amdhsa_wavefront_size32 1
		.amdhsa_uses_dynamic_stack 0
		.amdhsa_system_sgpr_private_segment_wavefront_offset 0
		.amdhsa_system_sgpr_workgroup_id_x 1
		.amdhsa_system_sgpr_workgroup_id_y 0
		.amdhsa_system_sgpr_workgroup_id_z 0
		.amdhsa_system_sgpr_workgroup_info 0
		.amdhsa_system_vgpr_workitem_id 0
		.amdhsa_next_free_vgpr 37
		.amdhsa_next_free_sgpr 16
		.amdhsa_reserve_vcc 1
		.amdhsa_reserve_flat_scratch 0
		.amdhsa_float_round_mode_32 0
		.amdhsa_float_round_mode_16_64 0
		.amdhsa_float_denorm_mode_32 3
		.amdhsa_float_denorm_mode_16_64 3
		.amdhsa_dx10_clamp 1
		.amdhsa_ieee_mode 1
		.amdhsa_fp16_overflow 0
		.amdhsa_workgroup_processor_mode 1
		.amdhsa_memory_ordered 1
		.amdhsa_forward_progress 1
		.amdhsa_shared_vgpr_count 0
		.amdhsa_exception_fp_ieee_invalid_op 0
		.amdhsa_exception_fp_denorm_src 0
		.amdhsa_exception_fp_ieee_div_zero 0
		.amdhsa_exception_fp_ieee_overflow 0
		.amdhsa_exception_fp_ieee_underflow 0
		.amdhsa_exception_fp_ieee_inexact 0
		.amdhsa_exception_int_div_zero 0
	.end_amdhsa_kernel
	.section	.text._ZN2at6native12_GLOBAL__N_122cunn_SoftMaxForwardRegIN3c104HalfEfS4_NS1_25LogSoftMaxForwardEpilogueElLi6EEEvPT1_PKT_T3_,"axG",@progbits,_ZN2at6native12_GLOBAL__N_122cunn_SoftMaxForwardRegIN3c104HalfEfS4_NS1_25LogSoftMaxForwardEpilogueElLi6EEEvPT1_PKT_T3_,comdat
.Lfunc_end99:
	.size	_ZN2at6native12_GLOBAL__N_122cunn_SoftMaxForwardRegIN3c104HalfEfS4_NS1_25LogSoftMaxForwardEpilogueElLi6EEEvPT1_PKT_T3_, .Lfunc_end99-_ZN2at6native12_GLOBAL__N_122cunn_SoftMaxForwardRegIN3c104HalfEfS4_NS1_25LogSoftMaxForwardEpilogueElLi6EEEvPT1_PKT_T3_
                                        ; -- End function
	.set _ZN2at6native12_GLOBAL__N_122cunn_SoftMaxForwardRegIN3c104HalfEfS4_NS1_25LogSoftMaxForwardEpilogueElLi6EEEvPT1_PKT_T3_.num_vgpr, 37
	.set _ZN2at6native12_GLOBAL__N_122cunn_SoftMaxForwardRegIN3c104HalfEfS4_NS1_25LogSoftMaxForwardEpilogueElLi6EEEvPT1_PKT_T3_.num_agpr, 0
	.set _ZN2at6native12_GLOBAL__N_122cunn_SoftMaxForwardRegIN3c104HalfEfS4_NS1_25LogSoftMaxForwardEpilogueElLi6EEEvPT1_PKT_T3_.numbered_sgpr, 16
	.set _ZN2at6native12_GLOBAL__N_122cunn_SoftMaxForwardRegIN3c104HalfEfS4_NS1_25LogSoftMaxForwardEpilogueElLi6EEEvPT1_PKT_T3_.num_named_barrier, 0
	.set _ZN2at6native12_GLOBAL__N_122cunn_SoftMaxForwardRegIN3c104HalfEfS4_NS1_25LogSoftMaxForwardEpilogueElLi6EEEvPT1_PKT_T3_.private_seg_size, 0
	.set _ZN2at6native12_GLOBAL__N_122cunn_SoftMaxForwardRegIN3c104HalfEfS4_NS1_25LogSoftMaxForwardEpilogueElLi6EEEvPT1_PKT_T3_.uses_vcc, 1
	.set _ZN2at6native12_GLOBAL__N_122cunn_SoftMaxForwardRegIN3c104HalfEfS4_NS1_25LogSoftMaxForwardEpilogueElLi6EEEvPT1_PKT_T3_.uses_flat_scratch, 0
	.set _ZN2at6native12_GLOBAL__N_122cunn_SoftMaxForwardRegIN3c104HalfEfS4_NS1_25LogSoftMaxForwardEpilogueElLi6EEEvPT1_PKT_T3_.has_dyn_sized_stack, 0
	.set _ZN2at6native12_GLOBAL__N_122cunn_SoftMaxForwardRegIN3c104HalfEfS4_NS1_25LogSoftMaxForwardEpilogueElLi6EEEvPT1_PKT_T3_.has_recursion, 0
	.set _ZN2at6native12_GLOBAL__N_122cunn_SoftMaxForwardRegIN3c104HalfEfS4_NS1_25LogSoftMaxForwardEpilogueElLi6EEEvPT1_PKT_T3_.has_indirect_call, 0
	.section	.AMDGPU.csdata,"",@progbits
; Kernel info:
; codeLenInByte = 2408
; TotalNumSgprs: 18
; NumVgprs: 37
; ScratchSize: 0
; MemoryBound: 0
; FloatMode: 240
; IeeeMode: 1
; LDSByteSize: 0 bytes/workgroup (compile time only)
; SGPRBlocks: 0
; VGPRBlocks: 4
; NumSGPRsForWavesPerEU: 18
; NumVGPRsForWavesPerEU: 37
; Occupancy: 16
; WaveLimiterHint : 0
; COMPUTE_PGM_RSRC2:SCRATCH_EN: 0
; COMPUTE_PGM_RSRC2:USER_SGPR: 6
; COMPUTE_PGM_RSRC2:TRAP_HANDLER: 0
; COMPUTE_PGM_RSRC2:TGID_X_EN: 1
; COMPUTE_PGM_RSRC2:TGID_Y_EN: 0
; COMPUTE_PGM_RSRC2:TGID_Z_EN: 0
; COMPUTE_PGM_RSRC2:TIDIG_COMP_CNT: 0
	.section	.text._ZN2at6native12_GLOBAL__N_122cunn_SoftMaxForwardRegIN3c104HalfEfS4_NS1_25LogSoftMaxForwardEpilogueElLi7EEEvPT1_PKT_T3_,"axG",@progbits,_ZN2at6native12_GLOBAL__N_122cunn_SoftMaxForwardRegIN3c104HalfEfS4_NS1_25LogSoftMaxForwardEpilogueElLi7EEEvPT1_PKT_T3_,comdat
	.globl	_ZN2at6native12_GLOBAL__N_122cunn_SoftMaxForwardRegIN3c104HalfEfS4_NS1_25LogSoftMaxForwardEpilogueElLi7EEEvPT1_PKT_T3_ ; -- Begin function _ZN2at6native12_GLOBAL__N_122cunn_SoftMaxForwardRegIN3c104HalfEfS4_NS1_25LogSoftMaxForwardEpilogueElLi7EEEvPT1_PKT_T3_
	.p2align	8
	.type	_ZN2at6native12_GLOBAL__N_122cunn_SoftMaxForwardRegIN3c104HalfEfS4_NS1_25LogSoftMaxForwardEpilogueElLi7EEEvPT1_PKT_T3_,@function
_ZN2at6native12_GLOBAL__N_122cunn_SoftMaxForwardRegIN3c104HalfEfS4_NS1_25LogSoftMaxForwardEpilogueElLi7EEEvPT1_PKT_T3_: ; @_ZN2at6native12_GLOBAL__N_122cunn_SoftMaxForwardRegIN3c104HalfEfS4_NS1_25LogSoftMaxForwardEpilogueElLi7EEEvPT1_PKT_T3_
; %bb.0:
	s_clause 0x2
	s_load_dwordx2 s[8:9], s[4:5], 0x10
	s_load_dwordx4 s[12:15], s[4:5], 0x0
	s_load_dword s0, s[4:5], 0x24
	v_mov_b32_e32 v2, 0
	v_mov_b32_e32 v10, 0xff7fffff
	v_lshlrev_b32_e32 v3, 1, v0
                                        ; implicit-def: $vgpr13
	v_mov_b32_e32 v1, v2
	s_waitcnt lgkmcnt(0)
	s_mul_i32 s1, s9, s6
	s_mul_hi_u32 s3, s8, s6
	s_mul_i32 s2, s8, s6
	s_add_i32 s3, s3, s1
	v_cmp_gt_i64_e32 vcc_lo, s[8:9], v[0:1]
	s_lshl_b64 s[16:17], s[2:3], 1
	s_add_u32 s6, s14, s16
	s_addc_u32 s7, s15, s17
	s_and_saveexec_b32 s1, vcc_lo
	s_cbranch_execz .LBB100_2
; %bb.1:
	global_load_ushort v1, v3, s[6:7]
	s_waitcnt vmcnt(0)
	v_cvt_f32_f16_e32 v13, v1
	v_max_f32_e32 v10, 0xff7fffff, v13
.LBB100_2:
	s_or_b32 exec_lo, exec_lo, s1
	s_and_b32 s10, 0xffff, s0
                                        ; implicit-def: $vgpr15
	v_add_nc_u32_e32 v1, s10, v0
	v_cmp_gt_i64_e64 s0, s[8:9], v[1:2]
	v_lshlrev_b32_e32 v4, 1, v1
	s_and_saveexec_b32 s1, s0
	s_cbranch_execz .LBB100_4
; %bb.3:
	global_load_ushort v2, v4, s[6:7]
	s_waitcnt vmcnt(0)
	v_cvt_f32_f16_e32 v15, v2
	v_max_f32_e32 v2, v10, v10
	v_max_f32_e32 v10, v2, v15
.LBB100_4:
	s_or_b32 exec_lo, exec_lo, s1
	v_add_nc_u32_e32 v1, s10, v1
	v_mov_b32_e32 v2, 0
                                        ; implicit-def: $vgpr16
	v_lshlrev_b32_e32 v5, 1, v1
	v_cmp_gt_i64_e64 s1, s[8:9], v[1:2]
	s_and_saveexec_b32 s2, s1
	s_cbranch_execz .LBB100_6
; %bb.5:
	global_load_ushort v6, v5, s[6:7]
	s_waitcnt vmcnt(0)
	v_cvt_f32_f16_e32 v16, v6
	v_max_f32_e32 v6, v10, v10
	v_max_f32_e32 v10, v6, v16
.LBB100_6:
	s_or_b32 exec_lo, exec_lo, s2
	v_add_nc_u32_e32 v1, s10, v1
                                        ; implicit-def: $vgpr18
	v_cmp_gt_i64_e64 s2, s[8:9], v[1:2]
	v_lshlrev_b32_e32 v6, 1, v1
	s_and_saveexec_b32 s3, s2
	s_cbranch_execz .LBB100_8
; %bb.7:
	global_load_ushort v2, v6, s[6:7]
	s_waitcnt vmcnt(0)
	v_cvt_f32_f16_e32 v18, v2
	v_max_f32_e32 v2, v10, v10
	v_max_f32_e32 v10, v2, v18
.LBB100_8:
	s_or_b32 exec_lo, exec_lo, s3
	v_add_nc_u32_e32 v1, s10, v1
	v_mov_b32_e32 v2, 0
                                        ; implicit-def: $vgpr19
	v_lshlrev_b32_e32 v7, 1, v1
	v_cmp_gt_i64_e64 s3, s[8:9], v[1:2]
	s_and_saveexec_b32 s4, s3
	s_cbranch_execz .LBB100_10
; %bb.9:
	global_load_ushort v8, v7, s[6:7]
	s_waitcnt vmcnt(0)
	v_cvt_f32_f16_e32 v19, v8
	v_max_f32_e32 v8, v10, v10
	v_max_f32_e32 v10, v8, v19
.LBB100_10:
	s_or_b32 exec_lo, exec_lo, s4
	v_add_nc_u32_e32 v1, s10, v1
                                        ; implicit-def: $vgpr20
	v_cmp_gt_i64_e64 s4, s[8:9], v[1:2]
	v_lshlrev_b32_e32 v2, 1, v1
	s_and_saveexec_b32 s5, s4
	s_cbranch_execz .LBB100_12
; %bb.11:
	global_load_ushort v8, v2, s[6:7]
	s_waitcnt vmcnt(0)
	v_cvt_f32_f16_e32 v20, v8
	v_max_f32_e32 v8, v10, v10
	v_max_f32_e32 v10, v8, v20
.LBB100_12:
	s_or_b32 exec_lo, exec_lo, s5
	v_add_nc_u32_e32 v8, s10, v1
	v_mov_b32_e32 v9, 0
                                        ; implicit-def: $vgpr22
	v_lshlrev_b32_e32 v1, 1, v8
	v_cmp_gt_i64_e64 s5, s[8:9], v[8:9]
	s_and_saveexec_b32 s8, s5
	s_cbranch_execz .LBB100_14
; %bb.13:
	global_load_ushort v8, v1, s[6:7]
	s_waitcnt vmcnt(0)
	v_cvt_f32_f16_e32 v22, v8
	v_max_f32_e32 v8, v10, v10
	v_max_f32_e32 v10, v8, v22
.LBB100_14:
	s_or_b32 exec_lo, exec_lo, s8
	v_mbcnt_lo_u32_b32 v12, -1, 0
	s_barrier
	buffer_gl0_inv
	v_lshl_or_b32 v8, v12, 2, 64
	v_cmp_gt_u32_e64 s6, 24, v12
	ds_bpermute_b32 v11, v8, v10
	v_cndmask_b32_e64 v9, 0, 8, s6
	v_add_lshl_u32 v9, v9, v12, 2
	s_waitcnt lgkmcnt(0)
	v_cmp_lt_f32_e64 s6, v10, v11
	v_cndmask_b32_e64 v11, v10, v11, s6
	v_cmp_gt_u32_e64 s6, 28, v12
	ds_bpermute_b32 v14, v9, v11
	v_cndmask_b32_e64 v10, 0, 4, s6
	v_add_lshl_u32 v10, v10, v12, 2
	s_waitcnt lgkmcnt(0)
	v_cmp_lt_f32_e64 s6, v11, v14
	v_cndmask_b32_e64 v14, v11, v14, s6
	;; [unrolled: 7-line block ×3, first 2 shown]
	v_cmp_ne_u32_e64 s6, 31, v12
	ds_bpermute_b32 v17, v11, v14
	v_add_co_ci_u32_e64 v12, null, 0, v12, s6
	v_lshlrev_b32_e32 v12, 2, v12
	s_waitcnt lgkmcnt(0)
	v_cmp_lt_f32_e64 s6, v14, v17
	v_cndmask_b32_e64 v21, v14, v17, s6
	v_and_b32_e32 v17, 31, v0
	v_lshrrev_b32_e32 v14, 3, v0
	ds_bpermute_b32 v23, v12, v21
	v_cmp_eq_u32_e64 s6, 0, v17
	s_and_saveexec_b32 s7, s6
	s_xor_b32 s8, exec_lo, s7
	s_cbranch_execz .LBB100_16
; %bb.15:
	s_waitcnt lgkmcnt(0)
	v_cmp_lt_f32_e64 s7, v21, v23
	v_add_nc_u32_e32 v24, 0, v14
	v_cndmask_b32_e64 v21, v21, v23, s7
	ds_write_b32 v24, v21
.LBB100_16:
	s_or_b32 exec_lo, exec_lo, s8
	s_lshr_b32 s7, s10, 5
	v_mov_b32_e32 v21, 0xff7fffff
	v_cmp_gt_u32_e64 s7, s7, v0
	v_lshl_add_u32 v17, v17, 2, 0
	s_waitcnt lgkmcnt(0)
	s_barrier
	buffer_gl0_inv
	s_and_saveexec_b32 s8, s7
	s_cbranch_execnz .LBB100_34
; %bb.17:
	s_or_b32 exec_lo, exec_lo, s8
	v_cmp_gt_u32_e64 s8, 32, v0
	s_and_saveexec_b32 s10, s8
	s_cbranch_execnz .LBB100_35
.LBB100_18:
	s_or_b32 exec_lo, exec_lo, s10
	v_cmp_eq_u32_e64 s9, 0, v0
	s_and_saveexec_b32 s10, s9
	s_cbranch_execz .LBB100_20
.LBB100_19:
	v_mov_b32_e32 v0, 0
	s_waitcnt lgkmcnt(0)
	ds_write_b32 v0, v21
.LBB100_20:
	s_or_b32 exec_lo, exec_lo, s10
	s_waitcnt lgkmcnt(0)
	v_mov_b32_e32 v21, 0
	s_barrier
	buffer_gl0_inv
	ds_read_b32 v23, v21
	s_waitcnt lgkmcnt(0)
	s_barrier
	buffer_gl0_inv
	v_sub_f32_e32 v0, v13, v23
	v_sub_f32_e32 v13, v15, v23
	;; [unrolled: 1-line block ×7, first 2 shown]
	v_mul_f32_e32 v22, 0x3fb8aa3b, v0
	v_mul_f32_e32 v23, 0x3fb8aa3b, v13
	;; [unrolled: 1-line block ×4, first 2 shown]
	v_cmp_ngt_f32_e64 s10, 0xc2ce8ed0, v0
	v_fma_f32 v29, 0x3fb8aa3b, v0, -v22
	v_rndne_f32_e32 v30, v22
	v_fma_f32 v31, 0x3fb8aa3b, v13, -v23
	v_rndne_f32_e32 v32, v23
	v_fma_f32 v33, 0x3fb8aa3b, v15, -v24
	v_fmac_f32_e32 v29, 0x32a5705f, v0
	v_sub_f32_e32 v22, v22, v30
	v_fmac_f32_e32 v31, 0x32a5705f, v13
	v_sub_f32_e32 v23, v23, v32
	v_rndne_f32_e32 v34, v24
	v_cvt_i32_f32_e32 v30, v30
	v_add_f32_e32 v22, v22, v29
	v_cvt_i32_f32_e32 v29, v32
	v_add_f32_e32 v23, v23, v31
	v_fmac_f32_e32 v33, 0x32a5705f, v15
	v_sub_f32_e32 v24, v24, v34
	v_exp_f32_e32 v22, v22
	v_fma_f32 v35, 0x3fb8aa3b, v16, -v25
	v_exp_f32_e32 v23, v23
	v_rndne_f32_e32 v36, v25
	v_add_f32_e32 v24, v24, v33
	v_mul_f32_e32 v26, 0x3fb8aa3b, v18
	v_fmac_f32_e32 v35, 0x32a5705f, v16
	v_cvt_i32_f32_e32 v31, v34
	v_sub_f32_e32 v25, v25, v36
	v_exp_f32_e32 v24, v24
	v_ldexp_f32 v22, v22, v30
	v_fma_f32 v37, 0x3fb8aa3b, v18, -v26
	v_ldexp_f32 v23, v23, v29
	v_rndne_f32_e32 v38, v26
	v_add_f32_e32 v25, v25, v35
	v_cndmask_b32_e64 v22, 0, v22, s10
	v_cmp_ngt_f32_e64 s10, 0xc2ce8ed0, v13
	v_mul_f32_e32 v27, 0x3fb8aa3b, v19
	v_fmac_f32_e32 v37, 0x32a5705f, v18
	v_sub_f32_e32 v26, v26, v38
	v_exp_f32_e32 v25, v25
	v_cndmask_b32_e64 v23, 0, v23, s10
	v_cmp_nlt_f32_e64 s10, 0x42b17218, v0
	v_ldexp_f32 v24, v24, v31
	v_fma_f32 v39, 0x3fb8aa3b, v19, -v27
	v_rndne_f32_e32 v40, v27
	v_cvt_i32_f32_e32 v32, v36
	v_cndmask_b32_e64 v22, 0x7f800000, v22, s10
	v_cmp_nlt_f32_e64 s10, 0x42b17218, v13
	v_add_f32_e32 v26, v26, v37
	v_mul_f32_e32 v28, 0x3fb8aa3b, v20
	v_fmac_f32_e32 v39, 0x32a5705f, v19
	v_cndmask_b32_e32 v22, 0, v22, vcc_lo
	v_cndmask_b32_e64 v23, 0x7f800000, v23, s10
	v_cmp_ngt_f32_e64 s10, 0xc2ce8ed0, v15
	v_sub_f32_e32 v27, v27, v40
	v_exp_f32_e32 v26, v26
	v_ldexp_f32 v25, v25, v32
	v_add_f32_e32 v23, v22, v23
	v_cndmask_b32_e64 v24, 0, v24, s10
	v_cmp_nlt_f32_e64 s10, 0x42b17218, v15
	v_fma_f32 v41, 0x3fb8aa3b, v20, -v28
	v_rndne_f32_e32 v42, v28
	v_cndmask_b32_e64 v22, v22, v23, s0
	v_cvt_i32_f32_e32 v33, v38
	v_cndmask_b32_e64 v24, 0x7f800000, v24, s10
	v_cmp_ngt_f32_e64 s10, 0xc2ce8ed0, v16
	v_add_f32_e32 v23, v27, v39
	v_fmac_f32_e32 v41, 0x32a5705f, v20
	v_ldexp_f32 v26, v26, v33
	v_add_f32_e32 v24, v22, v24
	v_cndmask_b32_e64 v25, 0, v25, s10
	v_cmp_nlt_f32_e64 s10, 0x42b17218, v16
	v_exp_f32_e32 v23, v23
	v_cvt_i32_f32_e32 v27, v40
	v_cndmask_b32_e64 v22, v22, v24, s1
	v_sub_f32_e32 v24, v28, v42
	v_cndmask_b32_e64 v25, 0x7f800000, v25, s10
	v_cmp_ngt_f32_e64 s10, 0xc2ce8ed0, v18
	v_add_f32_e32 v24, v24, v41
	v_add_f32_e32 v25, v22, v25
	v_cndmask_b32_e64 v26, 0, v26, s10
	v_cmp_nlt_f32_e64 s10, 0x42b17218, v18
	v_ldexp_f32 v23, v23, v27
	v_exp_f32_e32 v24, v24
	v_cndmask_b32_e64 v22, v22, v25, s2
	v_cndmask_b32_e64 v26, 0x7f800000, v26, s10
	v_cmp_ngt_f32_e64 s10, 0xc2ce8ed0, v19
	v_add_f32_e32 v25, v22, v26
	v_cndmask_b32_e64 v23, 0, v23, s10
	v_cvt_i32_f32_e32 v26, v42
	v_cmp_nlt_f32_e64 s10, 0x42b17218, v19
	v_cndmask_b32_e64 v22, v22, v25, s3
	v_ldexp_f32 v24, v24, v26
	v_cndmask_b32_e64 v23, 0x7f800000, v23, s10
	v_cmp_ngt_f32_e64 s10, 0xc2ce8ed0, v20
	v_add_f32_e32 v23, v22, v23
	v_cndmask_b32_e64 v24, 0, v24, s10
	v_cmp_nlt_f32_e64 s10, 0x42b17218, v20
	v_cndmask_b32_e64 v22, v22, v23, s4
	v_cndmask_b32_e64 v23, 0x7f800000, v24, s10
	v_add_f32_e32 v23, v22, v23
	v_cndmask_b32_e64 v22, v22, v23, s5
	ds_bpermute_b32 v23, v8, v22
	s_waitcnt lgkmcnt(0)
	v_add_f32_e32 v22, v22, v23
	ds_bpermute_b32 v23, v9, v22
	s_waitcnt lgkmcnt(0)
	v_add_f32_e32 v22, v22, v23
	;; [unrolled: 3-line block ×4, first 2 shown]
	ds_bpermute_b32 v23, v12, v22
	s_and_saveexec_b32 s10, s6
	s_cbranch_execz .LBB100_22
; %bb.21:
	v_add_nc_u32_e32 v14, 0, v14
	s_waitcnt lgkmcnt(0)
	v_add_f32_e32 v22, v22, v23
	ds_write_b32 v14, v22
.LBB100_22:
	s_or_b32 exec_lo, exec_lo, s10
	s_waitcnt lgkmcnt(0)
	s_barrier
	buffer_gl0_inv
	s_and_saveexec_b32 s6, s7
	s_cbranch_execnz .LBB100_36
; %bb.23:
	s_or_b32 exec_lo, exec_lo, s6
	s_and_saveexec_b32 s6, s8
	s_cbranch_execnz .LBB100_37
.LBB100_24:
	s_or_b32 exec_lo, exec_lo, s6
	s_and_saveexec_b32 s6, s9
	s_cbranch_execz .LBB100_26
.LBB100_25:
	v_mov_b32_e32 v8, 0
	s_waitcnt lgkmcnt(0)
	ds_write_b32 v8, v21
.LBB100_26:
	s_or_b32 exec_lo, exec_lo, s6
	v_mov_b32_e32 v8, 0
	s_waitcnt lgkmcnt(0)
	s_barrier
	buffer_gl0_inv
	s_add_u32 s8, s12, s16
	ds_read_b32 v8, v8
	s_addc_u32 s9, s13, s17
	s_waitcnt lgkmcnt(0)
	v_cmp_gt_f32_e64 s6, 0x800000, v8
	v_cndmask_b32_e64 v9, 0, 0x41b17218, s6
	s_and_b32 s6, s6, exec_lo
	s_cselect_b32 s6, 32, 0
	v_ldexp_f32 v8, v8, s6
	v_log_f32_e32 v8, v8
	v_mul_f32_e32 v10, 0x3f317217, v8
	v_cmp_gt_f32_e64 s6, 0x7f800000, |v8|
	v_fma_f32 v10, 0x3f317217, v8, -v10
	v_fmamk_f32 v10, v8, 0x3377d1cf, v10
	v_fmac_f32_e32 v10, 0x3f317217, v8
	v_cndmask_b32_e64 v8, v8, v10, s6
	v_sub_f32_e32 v8, v8, v9
	s_and_saveexec_b32 s6, vcc_lo
	s_cbranch_execnz .LBB100_38
; %bb.27:
	s_or_b32 exec_lo, exec_lo, s6
	s_and_saveexec_b32 s6, s0
	s_cbranch_execnz .LBB100_39
.LBB100_28:
	s_or_b32 exec_lo, exec_lo, s6
	s_and_saveexec_b32 s0, s1
	s_cbranch_execnz .LBB100_40
.LBB100_29:
	s_or_b32 exec_lo, exec_lo, s0
	s_and_saveexec_b32 s0, s2
	s_cbranch_execnz .LBB100_41
.LBB100_30:
	s_or_b32 exec_lo, exec_lo, s0
	s_and_saveexec_b32 s0, s3
	s_cbranch_execnz .LBB100_42
.LBB100_31:
	s_or_b32 exec_lo, exec_lo, s0
	s_and_saveexec_b32 s0, s4
	s_cbranch_execnz .LBB100_43
.LBB100_32:
	s_or_b32 exec_lo, exec_lo, s0
	s_and_saveexec_b32 s0, s5
	s_cbranch_execnz .LBB100_44
.LBB100_33:
	s_endpgm
.LBB100_34:
	ds_read_b32 v21, v17
	s_or_b32 exec_lo, exec_lo, s8
	v_cmp_gt_u32_e64 s8, 32, v0
	s_and_saveexec_b32 s10, s8
	s_cbranch_execz .LBB100_18
.LBB100_35:
	s_waitcnt lgkmcnt(0)
	ds_bpermute_b32 v23, v8, v21
	s_waitcnt lgkmcnt(0)
	v_cmp_lt_f32_e64 s9, v21, v23
	v_cndmask_b32_e64 v21, v21, v23, s9
	ds_bpermute_b32 v23, v9, v21
	s_waitcnt lgkmcnt(0)
	v_cmp_lt_f32_e64 s9, v21, v23
	v_cndmask_b32_e64 v21, v21, v23, s9
	;; [unrolled: 4-line block ×5, first 2 shown]
	s_or_b32 exec_lo, exec_lo, s10
	v_cmp_eq_u32_e64 s9, 0, v0
	s_and_saveexec_b32 s10, s9
	s_cbranch_execnz .LBB100_19
	s_branch .LBB100_20
.LBB100_36:
	ds_read_b32 v21, v17
	s_or_b32 exec_lo, exec_lo, s6
	s_and_saveexec_b32 s6, s8
	s_cbranch_execz .LBB100_24
.LBB100_37:
	s_waitcnt lgkmcnt(0)
	ds_bpermute_b32 v8, v8, v21
	s_waitcnt lgkmcnt(0)
	v_add_f32_e32 v8, v21, v8
	ds_bpermute_b32 v9, v9, v8
	s_waitcnt lgkmcnt(0)
	v_add_f32_e32 v8, v8, v9
	;; [unrolled: 3-line block ×5, first 2 shown]
	s_or_b32 exec_lo, exec_lo, s6
	s_and_saveexec_b32 s6, s9
	s_cbranch_execnz .LBB100_25
	s_branch .LBB100_26
.LBB100_38:
	v_sub_f32_e32 v0, v0, v8
	v_cvt_f16_f32_e32 v0, v0
	global_store_short v3, v0, s[8:9]
	s_or_b32 exec_lo, exec_lo, s6
	s_and_saveexec_b32 s6, s0
	s_cbranch_execz .LBB100_28
.LBB100_39:
	v_sub_f32_e32 v0, v13, v8
	v_cvt_f16_f32_e32 v0, v0
	global_store_short v4, v0, s[8:9]
	s_or_b32 exec_lo, exec_lo, s6
	s_and_saveexec_b32 s0, s1
	s_cbranch_execz .LBB100_29
.LBB100_40:
	v_sub_f32_e32 v0, v15, v8
	v_cvt_f16_f32_e32 v0, v0
	global_store_short v5, v0, s[8:9]
	s_or_b32 exec_lo, exec_lo, s0
	s_and_saveexec_b32 s0, s2
	s_cbranch_execz .LBB100_30
.LBB100_41:
	v_sub_f32_e32 v0, v16, v8
	v_cvt_f16_f32_e32 v0, v0
	global_store_short v6, v0, s[8:9]
	s_or_b32 exec_lo, exec_lo, s0
	s_and_saveexec_b32 s0, s3
	s_cbranch_execz .LBB100_31
.LBB100_42:
	v_sub_f32_e32 v0, v18, v8
	v_cvt_f16_f32_e32 v0, v0
	global_store_short v7, v0, s[8:9]
	s_or_b32 exec_lo, exec_lo, s0
	s_and_saveexec_b32 s0, s4
	s_cbranch_execz .LBB100_32
.LBB100_43:
	v_sub_f32_e32 v0, v19, v8
	v_cvt_f16_f32_e32 v0, v0
	global_store_short v2, v0, s[8:9]
	s_or_b32 exec_lo, exec_lo, s0
	s_and_saveexec_b32 s0, s5
	s_cbranch_execz .LBB100_33
.LBB100_44:
	v_sub_f32_e32 v0, v20, v8
	v_cvt_f16_f32_e32 v0, v0
	global_store_short v1, v0, s[8:9]
	s_endpgm
	.section	.rodata,"a",@progbits
	.p2align	6, 0x0
	.amdhsa_kernel _ZN2at6native12_GLOBAL__N_122cunn_SoftMaxForwardRegIN3c104HalfEfS4_NS1_25LogSoftMaxForwardEpilogueElLi7EEEvPT1_PKT_T3_
		.amdhsa_group_segment_fixed_size 0
		.amdhsa_private_segment_fixed_size 0
		.amdhsa_kernarg_size 280
		.amdhsa_user_sgpr_count 6
		.amdhsa_user_sgpr_private_segment_buffer 1
		.amdhsa_user_sgpr_dispatch_ptr 0
		.amdhsa_user_sgpr_queue_ptr 0
		.amdhsa_user_sgpr_kernarg_segment_ptr 1
		.amdhsa_user_sgpr_dispatch_id 0
		.amdhsa_user_sgpr_flat_scratch_init 0
		.amdhsa_user_sgpr_private_segment_size 0
		.amdhsa_wavefront_size32 1
		.amdhsa_uses_dynamic_stack 0
		.amdhsa_system_sgpr_private_segment_wavefront_offset 0
		.amdhsa_system_sgpr_workgroup_id_x 1
		.amdhsa_system_sgpr_workgroup_id_y 0
		.amdhsa_system_sgpr_workgroup_id_z 0
		.amdhsa_system_sgpr_workgroup_info 0
		.amdhsa_system_vgpr_workitem_id 0
		.amdhsa_next_free_vgpr 43
		.amdhsa_next_free_sgpr 18
		.amdhsa_reserve_vcc 1
		.amdhsa_reserve_flat_scratch 0
		.amdhsa_float_round_mode_32 0
		.amdhsa_float_round_mode_16_64 0
		.amdhsa_float_denorm_mode_32 3
		.amdhsa_float_denorm_mode_16_64 3
		.amdhsa_dx10_clamp 1
		.amdhsa_ieee_mode 1
		.amdhsa_fp16_overflow 0
		.amdhsa_workgroup_processor_mode 1
		.amdhsa_memory_ordered 1
		.amdhsa_forward_progress 1
		.amdhsa_shared_vgpr_count 0
		.amdhsa_exception_fp_ieee_invalid_op 0
		.amdhsa_exception_fp_denorm_src 0
		.amdhsa_exception_fp_ieee_div_zero 0
		.amdhsa_exception_fp_ieee_overflow 0
		.amdhsa_exception_fp_ieee_underflow 0
		.amdhsa_exception_fp_ieee_inexact 0
		.amdhsa_exception_int_div_zero 0
	.end_amdhsa_kernel
	.section	.text._ZN2at6native12_GLOBAL__N_122cunn_SoftMaxForwardRegIN3c104HalfEfS4_NS1_25LogSoftMaxForwardEpilogueElLi7EEEvPT1_PKT_T3_,"axG",@progbits,_ZN2at6native12_GLOBAL__N_122cunn_SoftMaxForwardRegIN3c104HalfEfS4_NS1_25LogSoftMaxForwardEpilogueElLi7EEEvPT1_PKT_T3_,comdat
.Lfunc_end100:
	.size	_ZN2at6native12_GLOBAL__N_122cunn_SoftMaxForwardRegIN3c104HalfEfS4_NS1_25LogSoftMaxForwardEpilogueElLi7EEEvPT1_PKT_T3_, .Lfunc_end100-_ZN2at6native12_GLOBAL__N_122cunn_SoftMaxForwardRegIN3c104HalfEfS4_NS1_25LogSoftMaxForwardEpilogueElLi7EEEvPT1_PKT_T3_
                                        ; -- End function
	.set _ZN2at6native12_GLOBAL__N_122cunn_SoftMaxForwardRegIN3c104HalfEfS4_NS1_25LogSoftMaxForwardEpilogueElLi7EEEvPT1_PKT_T3_.num_vgpr, 43
	.set _ZN2at6native12_GLOBAL__N_122cunn_SoftMaxForwardRegIN3c104HalfEfS4_NS1_25LogSoftMaxForwardEpilogueElLi7EEEvPT1_PKT_T3_.num_agpr, 0
	.set _ZN2at6native12_GLOBAL__N_122cunn_SoftMaxForwardRegIN3c104HalfEfS4_NS1_25LogSoftMaxForwardEpilogueElLi7EEEvPT1_PKT_T3_.numbered_sgpr, 18
	.set _ZN2at6native12_GLOBAL__N_122cunn_SoftMaxForwardRegIN3c104HalfEfS4_NS1_25LogSoftMaxForwardEpilogueElLi7EEEvPT1_PKT_T3_.num_named_barrier, 0
	.set _ZN2at6native12_GLOBAL__N_122cunn_SoftMaxForwardRegIN3c104HalfEfS4_NS1_25LogSoftMaxForwardEpilogueElLi7EEEvPT1_PKT_T3_.private_seg_size, 0
	.set _ZN2at6native12_GLOBAL__N_122cunn_SoftMaxForwardRegIN3c104HalfEfS4_NS1_25LogSoftMaxForwardEpilogueElLi7EEEvPT1_PKT_T3_.uses_vcc, 1
	.set _ZN2at6native12_GLOBAL__N_122cunn_SoftMaxForwardRegIN3c104HalfEfS4_NS1_25LogSoftMaxForwardEpilogueElLi7EEEvPT1_PKT_T3_.uses_flat_scratch, 0
	.set _ZN2at6native12_GLOBAL__N_122cunn_SoftMaxForwardRegIN3c104HalfEfS4_NS1_25LogSoftMaxForwardEpilogueElLi7EEEvPT1_PKT_T3_.has_dyn_sized_stack, 0
	.set _ZN2at6native12_GLOBAL__N_122cunn_SoftMaxForwardRegIN3c104HalfEfS4_NS1_25LogSoftMaxForwardEpilogueElLi7EEEvPT1_PKT_T3_.has_recursion, 0
	.set _ZN2at6native12_GLOBAL__N_122cunn_SoftMaxForwardRegIN3c104HalfEfS4_NS1_25LogSoftMaxForwardEpilogueElLi7EEEvPT1_PKT_T3_.has_indirect_call, 0
	.section	.AMDGPU.csdata,"",@progbits
; Kernel info:
; codeLenInByte = 2620
; TotalNumSgprs: 20
; NumVgprs: 43
; ScratchSize: 0
; MemoryBound: 0
; FloatMode: 240
; IeeeMode: 1
; LDSByteSize: 0 bytes/workgroup (compile time only)
; SGPRBlocks: 0
; VGPRBlocks: 5
; NumSGPRsForWavesPerEU: 20
; NumVGPRsForWavesPerEU: 43
; Occupancy: 16
; WaveLimiterHint : 0
; COMPUTE_PGM_RSRC2:SCRATCH_EN: 0
; COMPUTE_PGM_RSRC2:USER_SGPR: 6
; COMPUTE_PGM_RSRC2:TRAP_HANDLER: 0
; COMPUTE_PGM_RSRC2:TGID_X_EN: 1
; COMPUTE_PGM_RSRC2:TGID_Y_EN: 0
; COMPUTE_PGM_RSRC2:TGID_Z_EN: 0
; COMPUTE_PGM_RSRC2:TIDIG_COMP_CNT: 0
	.section	.text._ZN2at6native12_GLOBAL__N_122cunn_SoftMaxForwardRegIN3c104HalfEfS4_NS1_25LogSoftMaxForwardEpilogueElLi8EEEvPT1_PKT_T3_,"axG",@progbits,_ZN2at6native12_GLOBAL__N_122cunn_SoftMaxForwardRegIN3c104HalfEfS4_NS1_25LogSoftMaxForwardEpilogueElLi8EEEvPT1_PKT_T3_,comdat
	.globl	_ZN2at6native12_GLOBAL__N_122cunn_SoftMaxForwardRegIN3c104HalfEfS4_NS1_25LogSoftMaxForwardEpilogueElLi8EEEvPT1_PKT_T3_ ; -- Begin function _ZN2at6native12_GLOBAL__N_122cunn_SoftMaxForwardRegIN3c104HalfEfS4_NS1_25LogSoftMaxForwardEpilogueElLi8EEEvPT1_PKT_T3_
	.p2align	8
	.type	_ZN2at6native12_GLOBAL__N_122cunn_SoftMaxForwardRegIN3c104HalfEfS4_NS1_25LogSoftMaxForwardEpilogueElLi8EEEvPT1_PKT_T3_,@function
_ZN2at6native12_GLOBAL__N_122cunn_SoftMaxForwardRegIN3c104HalfEfS4_NS1_25LogSoftMaxForwardEpilogueElLi8EEEvPT1_PKT_T3_: ; @_ZN2at6native12_GLOBAL__N_122cunn_SoftMaxForwardRegIN3c104HalfEfS4_NS1_25LogSoftMaxForwardEpilogueElLi8EEEvPT1_PKT_T3_
; %bb.0:
	s_clause 0x2
	s_load_dwordx2 s[8:9], s[4:5], 0x10
	s_load_dwordx4 s[12:15], s[4:5], 0x0
	s_load_dword s0, s[4:5], 0x24
	v_mov_b32_e32 v2, 0
	v_mov_b32_e32 v11, 0xff7fffff
	v_lshlrev_b32_e32 v3, 1, v0
                                        ; implicit-def: $vgpr14
	v_mov_b32_e32 v1, v2
	s_waitcnt lgkmcnt(0)
	s_mul_i32 s1, s9, s6
	s_mul_hi_u32 s3, s8, s6
	s_mul_i32 s2, s8, s6
	s_add_i32 s3, s3, s1
	v_cmp_gt_i64_e32 vcc_lo, s[8:9], v[0:1]
	s_lshl_b64 s[16:17], s[2:3], 1
	s_add_u32 s10, s14, s16
	s_addc_u32 s11, s15, s17
	s_and_saveexec_b32 s1, vcc_lo
	s_cbranch_execz .LBB101_2
; %bb.1:
	global_load_ushort v1, v3, s[10:11]
	s_waitcnt vmcnt(0)
	v_cvt_f32_f16_e32 v14, v1
	v_max_f32_e32 v11, 0xff7fffff, v14
.LBB101_2:
	s_or_b32 exec_lo, exec_lo, s1
	s_and_b32 s14, 0xffff, s0
                                        ; implicit-def: $vgpr16
	v_add_nc_u32_e32 v1, s14, v0
	v_cmp_gt_i64_e64 s0, s[8:9], v[1:2]
	v_lshlrev_b32_e32 v4, 1, v1
	s_and_saveexec_b32 s1, s0
	s_cbranch_execz .LBB101_4
; %bb.3:
	global_load_ushort v2, v4, s[10:11]
	s_waitcnt vmcnt(0)
	v_cvt_f32_f16_e32 v16, v2
	v_max_f32_e32 v2, v11, v11
	v_max_f32_e32 v11, v2, v16
.LBB101_4:
	s_or_b32 exec_lo, exec_lo, s1
	v_add_nc_u32_e32 v1, s14, v1
	v_mov_b32_e32 v2, 0
                                        ; implicit-def: $vgpr17
	v_lshlrev_b32_e32 v5, 1, v1
	v_cmp_gt_i64_e64 s1, s[8:9], v[1:2]
	s_and_saveexec_b32 s2, s1
	s_cbranch_execz .LBB101_6
; %bb.5:
	global_load_ushort v6, v5, s[10:11]
	s_waitcnt vmcnt(0)
	v_cvt_f32_f16_e32 v17, v6
	v_max_f32_e32 v6, v11, v11
	v_max_f32_e32 v11, v6, v17
.LBB101_6:
	s_or_b32 exec_lo, exec_lo, s2
	v_add_nc_u32_e32 v1, s14, v1
                                        ; implicit-def: $vgpr19
	v_cmp_gt_i64_e64 s2, s[8:9], v[1:2]
	v_lshlrev_b32_e32 v6, 1, v1
	s_and_saveexec_b32 s3, s2
	s_cbranch_execz .LBB101_8
; %bb.7:
	global_load_ushort v2, v6, s[10:11]
	s_waitcnt vmcnt(0)
	v_cvt_f32_f16_e32 v19, v2
	v_max_f32_e32 v2, v11, v11
	v_max_f32_e32 v11, v2, v19
.LBB101_8:
	s_or_b32 exec_lo, exec_lo, s3
	v_add_nc_u32_e32 v1, s14, v1
	v_mov_b32_e32 v2, 0
                                        ; implicit-def: $vgpr20
	v_lshlrev_b32_e32 v7, 1, v1
	v_cmp_gt_i64_e64 s3, s[8:9], v[1:2]
	s_and_saveexec_b32 s4, s3
	s_cbranch_execz .LBB101_10
; %bb.9:
	global_load_ushort v8, v7, s[10:11]
	s_waitcnt vmcnt(0)
	v_cvt_f32_f16_e32 v20, v8
	v_max_f32_e32 v8, v11, v11
	v_max_f32_e32 v11, v8, v20
.LBB101_10:
	s_or_b32 exec_lo, exec_lo, s4
	v_add_nc_u32_e32 v1, s14, v1
                                        ; implicit-def: $vgpr21
	v_cmp_gt_i64_e64 s4, s[8:9], v[1:2]
	v_lshlrev_b32_e32 v8, 1, v1
	s_and_saveexec_b32 s5, s4
	s_cbranch_execz .LBB101_12
; %bb.11:
	global_load_ushort v2, v8, s[10:11]
	s_waitcnt vmcnt(0)
	v_cvt_f32_f16_e32 v21, v2
	v_max_f32_e32 v2, v11, v11
	v_max_f32_e32 v11, v2, v21
.LBB101_12:
	s_or_b32 exec_lo, exec_lo, s5
	v_add_nc_u32_e32 v1, s14, v1
	v_mov_b32_e32 v2, 0
                                        ; implicit-def: $vgpr22
	v_lshlrev_b32_e32 v9, 1, v1
	v_cmp_gt_i64_e64 s5, s[8:9], v[1:2]
	s_and_saveexec_b32 s6, s5
	s_cbranch_execz .LBB101_14
; %bb.13:
	global_load_ushort v10, v9, s[10:11]
	s_waitcnt vmcnt(0)
	v_cvt_f32_f16_e32 v22, v10
	v_max_f32_e32 v10, v11, v11
	v_max_f32_e32 v11, v10, v22
.LBB101_14:
	s_or_b32 exec_lo, exec_lo, s6
	v_add_nc_u32_e32 v1, s14, v1
                                        ; implicit-def: $vgpr24
	v_cmp_gt_i64_e64 s6, s[8:9], v[1:2]
	v_lshlrev_b32_e32 v1, 1, v1
	s_and_saveexec_b32 s7, s6
	s_cbranch_execz .LBB101_16
; %bb.15:
	global_load_ushort v2, v1, s[10:11]
	s_waitcnt vmcnt(0)
	v_cvt_f32_f16_e32 v24, v2
	v_max_f32_e32 v2, v11, v11
	v_max_f32_e32 v11, v2, v24
.LBB101_16:
	s_or_b32 exec_lo, exec_lo, s7
	v_mbcnt_lo_u32_b32 v13, -1, 0
	s_barrier
	buffer_gl0_inv
	v_lshl_or_b32 v2, v13, 2, 64
	v_cmp_gt_u32_e64 s7, 24, v13
	ds_bpermute_b32 v12, v2, v11
	v_cndmask_b32_e64 v10, 0, 8, s7
	v_add_lshl_u32 v10, v10, v13, 2
	s_waitcnt lgkmcnt(0)
	v_cmp_lt_f32_e64 s7, v11, v12
	v_cndmask_b32_e64 v12, v11, v12, s7
	v_cmp_gt_u32_e64 s7, 28, v13
	ds_bpermute_b32 v15, v10, v12
	v_cndmask_b32_e64 v11, 0, 4, s7
	v_add_lshl_u32 v11, v11, v13, 2
	s_waitcnt lgkmcnt(0)
	v_cmp_lt_f32_e64 s7, v12, v15
	v_cndmask_b32_e64 v15, v12, v15, s7
	v_cmp_gt_u32_e64 s7, 30, v13
	ds_bpermute_b32 v18, v11, v15
	v_cndmask_b32_e64 v12, 0, 2, s7
	v_add_lshl_u32 v12, v12, v13, 2
	s_waitcnt lgkmcnt(0)
	v_cmp_lt_f32_e64 s7, v15, v18
	v_cndmask_b32_e64 v15, v15, v18, s7
	v_cmp_ne_u32_e64 s7, 31, v13
	ds_bpermute_b32 v18, v12, v15
	v_add_co_ci_u32_e64 v13, null, 0, v13, s7
	v_lshlrev_b32_e32 v13, 2, v13
	s_waitcnt lgkmcnt(0)
	v_cmp_lt_f32_e64 s7, v15, v18
	v_cndmask_b32_e64 v23, v15, v18, s7
	v_and_b32_e32 v18, 31, v0
	v_lshrrev_b32_e32 v15, 3, v0
	ds_bpermute_b32 v25, v13, v23
	v_cmp_eq_u32_e64 s7, 0, v18
	s_and_saveexec_b32 s8, s7
	s_xor_b32 s9, exec_lo, s8
	s_cbranch_execz .LBB101_18
; %bb.17:
	s_waitcnt lgkmcnt(0)
	v_cmp_lt_f32_e64 s8, v23, v25
	v_add_nc_u32_e32 v26, 0, v15
	v_cndmask_b32_e64 v23, v23, v25, s8
	ds_write_b32 v26, v23
.LBB101_18:
	s_or_b32 exec_lo, exec_lo, s9
	s_lshr_b32 s8, s14, 5
	v_mov_b32_e32 v23, 0xff7fffff
	v_cmp_gt_u32_e64 s8, s8, v0
	v_lshl_add_u32 v18, v18, 2, 0
	s_waitcnt lgkmcnt(0)
	s_barrier
	buffer_gl0_inv
	s_and_saveexec_b32 s9, s8
	s_cbranch_execnz .LBB101_37
; %bb.19:
	s_or_b32 exec_lo, exec_lo, s9
	v_cmp_gt_u32_e64 s9, 32, v0
	s_and_saveexec_b32 s11, s9
	s_cbranch_execnz .LBB101_38
.LBB101_20:
	s_or_b32 exec_lo, exec_lo, s11
	v_cmp_eq_u32_e64 s10, 0, v0
	s_and_saveexec_b32 s11, s10
	s_cbranch_execz .LBB101_22
.LBB101_21:
	v_mov_b32_e32 v0, 0
	s_waitcnt lgkmcnt(0)
	ds_write_b32 v0, v23
.LBB101_22:
	s_or_b32 exec_lo, exec_lo, s11
	s_waitcnt lgkmcnt(0)
	v_mov_b32_e32 v23, 0
	s_barrier
	buffer_gl0_inv
	ds_read_b32 v25, v23
	s_waitcnt lgkmcnt(0)
	s_barrier
	buffer_gl0_inv
	v_sub_f32_e32 v0, v14, v25
	v_sub_f32_e32 v14, v16, v25
	;; [unrolled: 1-line block ×8, first 2 shown]
	v_mul_f32_e32 v24, 0x3fb8aa3b, v0
	v_mul_f32_e32 v25, 0x3fb8aa3b, v14
	;; [unrolled: 1-line block ×4, first 2 shown]
	v_cmp_ngt_f32_e64 s11, 0xc2ce8ed0, v0
	v_fma_f32 v32, 0x3fb8aa3b, v0, -v24
	v_rndne_f32_e32 v33, v24
	v_fma_f32 v34, 0x3fb8aa3b, v14, -v25
	v_rndne_f32_e32 v35, v25
	v_fma_f32 v36, 0x3fb8aa3b, v16, -v26
	v_fmac_f32_e32 v32, 0x32a5705f, v0
	v_sub_f32_e32 v24, v24, v33
	v_fmac_f32_e32 v34, 0x32a5705f, v14
	v_sub_f32_e32 v25, v25, v35
	v_rndne_f32_e32 v37, v26
	v_cvt_i32_f32_e32 v33, v33
	v_add_f32_e32 v24, v24, v32
	v_cvt_i32_f32_e32 v35, v35
	v_add_f32_e32 v25, v25, v34
	v_fmac_f32_e32 v36, 0x32a5705f, v16
	v_sub_f32_e32 v26, v26, v37
	v_exp_f32_e32 v24, v24
	v_fma_f32 v38, 0x3fb8aa3b, v17, -v27
	v_exp_f32_e32 v25, v25
	v_rndne_f32_e32 v39, v27
	v_add_f32_e32 v26, v26, v36
	v_mul_f32_e32 v28, 0x3fb8aa3b, v19
	v_fmac_f32_e32 v38, 0x32a5705f, v17
	v_cvt_i32_f32_e32 v32, v37
	v_sub_f32_e32 v27, v27, v39
	v_exp_f32_e32 v26, v26
	v_ldexp_f32 v24, v24, v33
	v_fma_f32 v40, 0x3fb8aa3b, v19, -v28
	v_ldexp_f32 v25, v25, v35
	v_rndne_f32_e32 v41, v28
	v_add_f32_e32 v27, v27, v38
	v_cndmask_b32_e64 v24, 0, v24, s11
	v_cmp_ngt_f32_e64 s11, 0xc2ce8ed0, v14
	v_mul_f32_e32 v29, 0x3fb8aa3b, v20
	v_fmac_f32_e32 v40, 0x32a5705f, v19
	v_sub_f32_e32 v28, v28, v41
	v_exp_f32_e32 v27, v27
	v_cndmask_b32_e64 v25, 0, v25, s11
	v_cmp_nlt_f32_e64 s11, 0x42b17218, v0
	v_ldexp_f32 v26, v26, v32
	v_fma_f32 v42, 0x3fb8aa3b, v20, -v29
	v_rndne_f32_e32 v43, v29
	v_cvt_i32_f32_e32 v34, v39
	v_cndmask_b32_e64 v24, 0x7f800000, v24, s11
	v_cmp_nlt_f32_e64 s11, 0x42b17218, v14
	v_add_f32_e32 v28, v28, v40
	v_mul_f32_e32 v30, 0x3fb8aa3b, v21
	v_fmac_f32_e32 v42, 0x32a5705f, v20
	v_cndmask_b32_e32 v24, 0, v24, vcc_lo
	v_cndmask_b32_e64 v25, 0x7f800000, v25, s11
	v_cmp_ngt_f32_e64 s11, 0xc2ce8ed0, v16
	v_sub_f32_e32 v29, v29, v43
	v_exp_f32_e32 v28, v28
	v_ldexp_f32 v27, v27, v34
	v_add_f32_e32 v25, v24, v25
	v_cndmask_b32_e64 v26, 0, v26, s11
	v_cmp_nlt_f32_e64 s11, 0x42b17218, v16
	v_fma_f32 v44, 0x3fb8aa3b, v21, -v30
	v_rndne_f32_e32 v45, v30
	v_cndmask_b32_e64 v24, v24, v25, s0
	v_cvt_i32_f32_e32 v37, v41
	v_cndmask_b32_e64 v26, 0x7f800000, v26, s11
	v_cmp_ngt_f32_e64 s11, 0xc2ce8ed0, v17
	v_add_f32_e32 v25, v29, v42
	v_mul_f32_e32 v31, 0x3fb8aa3b, v22
	v_fmac_f32_e32 v44, 0x32a5705f, v21
	v_add_f32_e32 v26, v24, v26
	v_cndmask_b32_e64 v27, 0, v27, s11
	v_cmp_nlt_f32_e64 s11, 0x42b17218, v17
	v_sub_f32_e32 v29, v30, v45
	v_exp_f32_e32 v25, v25
	v_ldexp_f32 v28, v28, v37
	v_cndmask_b32_e64 v24, v24, v26, s1
	v_cndmask_b32_e64 v27, 0x7f800000, v27, s11
	v_cmp_ngt_f32_e64 s11, 0xc2ce8ed0, v19
	v_fma_f32 v46, 0x3fb8aa3b, v22, -v31
	v_rndne_f32_e32 v47, v31
	v_cvt_i32_f32_e32 v33, v43
	v_add_f32_e32 v26, v29, v44
	v_cndmask_b32_e64 v28, 0, v28, s11
	v_add_f32_e32 v27, v24, v27
	v_cmp_nlt_f32_e64 s11, 0x42b17218, v19
	v_fmac_f32_e32 v46, 0x32a5705f, v22
	v_exp_f32_e32 v26, v26
	v_ldexp_f32 v25, v25, v33
	v_cndmask_b32_e64 v24, v24, v27, s2
	v_cndmask_b32_e64 v28, 0x7f800000, v28, s11
	v_sub_f32_e32 v27, v31, v47
	v_cmp_ngt_f32_e64 s11, 0xc2ce8ed0, v20
	v_cvt_i32_f32_e32 v29, v45
	v_add_f32_e32 v28, v24, v28
	v_add_f32_e32 v27, v27, v46
	v_cndmask_b32_e64 v25, 0, v25, s11
	v_cmp_nlt_f32_e64 s11, 0x42b17218, v20
	v_ldexp_f32 v26, v26, v29
	v_cndmask_b32_e64 v24, v24, v28, s3
	v_exp_f32_e32 v27, v27
	v_cvt_i32_f32_e32 v28, v47
	v_cndmask_b32_e64 v25, 0x7f800000, v25, s11
	v_cmp_ngt_f32_e64 s11, 0xc2ce8ed0, v21
	v_add_f32_e32 v25, v24, v25
	v_cndmask_b32_e64 v26, 0, v26, s11
	v_cmp_nlt_f32_e64 s11, 0x42b17218, v21
	v_cndmask_b32_e64 v24, v24, v25, s4
	v_ldexp_f32 v25, v27, v28
	v_cndmask_b32_e64 v26, 0x7f800000, v26, s11
	v_cmp_ngt_f32_e64 s11, 0xc2ce8ed0, v22
	v_add_f32_e32 v26, v24, v26
	v_cndmask_b32_e64 v25, 0, v25, s11
	v_cmp_nlt_f32_e64 s11, 0x42b17218, v22
	v_cndmask_b32_e64 v24, v24, v26, s5
	v_cndmask_b32_e64 v25, 0x7f800000, v25, s11
	v_add_f32_e32 v25, v24, v25
	v_cndmask_b32_e64 v24, v24, v25, s6
	ds_bpermute_b32 v25, v2, v24
	s_waitcnt lgkmcnt(0)
	v_add_f32_e32 v24, v24, v25
	ds_bpermute_b32 v25, v10, v24
	s_waitcnt lgkmcnt(0)
	v_add_f32_e32 v24, v24, v25
	;; [unrolled: 3-line block ×4, first 2 shown]
	ds_bpermute_b32 v25, v13, v24
	s_and_saveexec_b32 s11, s7
	s_cbranch_execz .LBB101_24
; %bb.23:
	v_add_nc_u32_e32 v15, 0, v15
	s_waitcnt lgkmcnt(0)
	v_add_f32_e32 v24, v24, v25
	ds_write_b32 v15, v24
.LBB101_24:
	s_or_b32 exec_lo, exec_lo, s11
	s_waitcnt lgkmcnt(0)
	s_barrier
	buffer_gl0_inv
	s_and_saveexec_b32 s7, s8
	s_cbranch_execnz .LBB101_39
; %bb.25:
	s_or_b32 exec_lo, exec_lo, s7
	s_and_saveexec_b32 s7, s9
	s_cbranch_execnz .LBB101_40
.LBB101_26:
	s_or_b32 exec_lo, exec_lo, s7
	s_and_saveexec_b32 s7, s10
	s_cbranch_execz .LBB101_28
.LBB101_27:
	v_mov_b32_e32 v2, 0
	s_waitcnt lgkmcnt(0)
	ds_write_b32 v2, v23
.LBB101_28:
	s_or_b32 exec_lo, exec_lo, s7
	v_mov_b32_e32 v2, 0
	s_waitcnt lgkmcnt(0)
	s_barrier
	buffer_gl0_inv
	s_add_u32 s8, s12, s16
	ds_read_b32 v2, v2
	s_addc_u32 s9, s13, s17
	s_waitcnt lgkmcnt(0)
	v_cmp_gt_f32_e64 s7, 0x800000, v2
	v_cndmask_b32_e64 v10, 0, 0x41b17218, s7
	s_and_b32 s7, s7, exec_lo
	s_cselect_b32 s7, 32, 0
	v_ldexp_f32 v2, v2, s7
	v_log_f32_e32 v2, v2
	v_mul_f32_e32 v11, 0x3f317217, v2
	v_cmp_gt_f32_e64 s7, 0x7f800000, |v2|
	v_fma_f32 v11, 0x3f317217, v2, -v11
	v_fmamk_f32 v11, v2, 0x3377d1cf, v11
	v_fmac_f32_e32 v11, 0x3f317217, v2
	v_cndmask_b32_e64 v2, v2, v11, s7
	v_sub_f32_e32 v2, v2, v10
	s_and_saveexec_b32 s7, vcc_lo
	s_cbranch_execnz .LBB101_41
; %bb.29:
	s_or_b32 exec_lo, exec_lo, s7
	s_and_saveexec_b32 s7, s0
	s_cbranch_execnz .LBB101_42
.LBB101_30:
	s_or_b32 exec_lo, exec_lo, s7
	s_and_saveexec_b32 s0, s1
	s_cbranch_execnz .LBB101_43
.LBB101_31:
	s_or_b32 exec_lo, exec_lo, s0
	s_and_saveexec_b32 s0, s2
	s_cbranch_execnz .LBB101_44
.LBB101_32:
	s_or_b32 exec_lo, exec_lo, s0
	s_and_saveexec_b32 s0, s3
	s_cbranch_execnz .LBB101_45
.LBB101_33:
	s_or_b32 exec_lo, exec_lo, s0
	s_and_saveexec_b32 s0, s4
	s_cbranch_execnz .LBB101_46
.LBB101_34:
	s_or_b32 exec_lo, exec_lo, s0
	s_and_saveexec_b32 s0, s5
	s_cbranch_execnz .LBB101_47
.LBB101_35:
	s_or_b32 exec_lo, exec_lo, s0
	s_and_saveexec_b32 s0, s6
	s_cbranch_execnz .LBB101_48
.LBB101_36:
	s_endpgm
.LBB101_37:
	ds_read_b32 v23, v18
	s_or_b32 exec_lo, exec_lo, s9
	v_cmp_gt_u32_e64 s9, 32, v0
	s_and_saveexec_b32 s11, s9
	s_cbranch_execz .LBB101_20
.LBB101_38:
	s_waitcnt lgkmcnt(0)
	ds_bpermute_b32 v25, v2, v23
	s_waitcnt lgkmcnt(0)
	v_cmp_lt_f32_e64 s10, v23, v25
	v_cndmask_b32_e64 v23, v23, v25, s10
	ds_bpermute_b32 v25, v10, v23
	s_waitcnt lgkmcnt(0)
	v_cmp_lt_f32_e64 s10, v23, v25
	v_cndmask_b32_e64 v23, v23, v25, s10
	;; [unrolled: 4-line block ×5, first 2 shown]
	s_or_b32 exec_lo, exec_lo, s11
	v_cmp_eq_u32_e64 s10, 0, v0
	s_and_saveexec_b32 s11, s10
	s_cbranch_execnz .LBB101_21
	s_branch .LBB101_22
.LBB101_39:
	ds_read_b32 v23, v18
	s_or_b32 exec_lo, exec_lo, s7
	s_and_saveexec_b32 s7, s9
	s_cbranch_execz .LBB101_26
.LBB101_40:
	s_waitcnt lgkmcnt(0)
	ds_bpermute_b32 v2, v2, v23
	s_waitcnt lgkmcnt(0)
	v_add_f32_e32 v2, v23, v2
	ds_bpermute_b32 v10, v10, v2
	s_waitcnt lgkmcnt(0)
	v_add_f32_e32 v2, v2, v10
	;; [unrolled: 3-line block ×5, first 2 shown]
	s_or_b32 exec_lo, exec_lo, s7
	s_and_saveexec_b32 s7, s10
	s_cbranch_execnz .LBB101_27
	s_branch .LBB101_28
.LBB101_41:
	v_sub_f32_e32 v0, v0, v2
	v_cvt_f16_f32_e32 v0, v0
	global_store_short v3, v0, s[8:9]
	s_or_b32 exec_lo, exec_lo, s7
	s_and_saveexec_b32 s7, s0
	s_cbranch_execz .LBB101_30
.LBB101_42:
	v_sub_f32_e32 v0, v14, v2
	v_cvt_f16_f32_e32 v0, v0
	global_store_short v4, v0, s[8:9]
	s_or_b32 exec_lo, exec_lo, s7
	s_and_saveexec_b32 s0, s1
	s_cbranch_execz .LBB101_31
.LBB101_43:
	v_sub_f32_e32 v0, v16, v2
	v_cvt_f16_f32_e32 v0, v0
	global_store_short v5, v0, s[8:9]
	s_or_b32 exec_lo, exec_lo, s0
	s_and_saveexec_b32 s0, s2
	s_cbranch_execz .LBB101_32
.LBB101_44:
	v_sub_f32_e32 v0, v17, v2
	v_cvt_f16_f32_e32 v0, v0
	global_store_short v6, v0, s[8:9]
	s_or_b32 exec_lo, exec_lo, s0
	s_and_saveexec_b32 s0, s3
	s_cbranch_execz .LBB101_33
.LBB101_45:
	v_sub_f32_e32 v0, v19, v2
	v_cvt_f16_f32_e32 v0, v0
	global_store_short v7, v0, s[8:9]
	s_or_b32 exec_lo, exec_lo, s0
	s_and_saveexec_b32 s0, s4
	s_cbranch_execz .LBB101_34
.LBB101_46:
	v_sub_f32_e32 v0, v20, v2
	v_cvt_f16_f32_e32 v0, v0
	global_store_short v8, v0, s[8:9]
	s_or_b32 exec_lo, exec_lo, s0
	s_and_saveexec_b32 s0, s5
	s_cbranch_execz .LBB101_35
.LBB101_47:
	v_sub_f32_e32 v0, v21, v2
	v_cvt_f16_f32_e32 v0, v0
	global_store_short v9, v0, s[8:9]
	s_or_b32 exec_lo, exec_lo, s0
	s_and_saveexec_b32 s0, s6
	s_cbranch_execz .LBB101_36
.LBB101_48:
	v_sub_f32_e32 v0, v22, v2
	v_cvt_f16_f32_e32 v0, v0
	global_store_short v1, v0, s[8:9]
	s_endpgm
	.section	.rodata,"a",@progbits
	.p2align	6, 0x0
	.amdhsa_kernel _ZN2at6native12_GLOBAL__N_122cunn_SoftMaxForwardRegIN3c104HalfEfS4_NS1_25LogSoftMaxForwardEpilogueElLi8EEEvPT1_PKT_T3_
		.amdhsa_group_segment_fixed_size 0
		.amdhsa_private_segment_fixed_size 0
		.amdhsa_kernarg_size 280
		.amdhsa_user_sgpr_count 6
		.amdhsa_user_sgpr_private_segment_buffer 1
		.amdhsa_user_sgpr_dispatch_ptr 0
		.amdhsa_user_sgpr_queue_ptr 0
		.amdhsa_user_sgpr_kernarg_segment_ptr 1
		.amdhsa_user_sgpr_dispatch_id 0
		.amdhsa_user_sgpr_flat_scratch_init 0
		.amdhsa_user_sgpr_private_segment_size 0
		.amdhsa_wavefront_size32 1
		.amdhsa_uses_dynamic_stack 0
		.amdhsa_system_sgpr_private_segment_wavefront_offset 0
		.amdhsa_system_sgpr_workgroup_id_x 1
		.amdhsa_system_sgpr_workgroup_id_y 0
		.amdhsa_system_sgpr_workgroup_id_z 0
		.amdhsa_system_sgpr_workgroup_info 0
		.amdhsa_system_vgpr_workitem_id 0
		.amdhsa_next_free_vgpr 48
		.amdhsa_next_free_sgpr 18
		.amdhsa_reserve_vcc 1
		.amdhsa_reserve_flat_scratch 0
		.amdhsa_float_round_mode_32 0
		.amdhsa_float_round_mode_16_64 0
		.amdhsa_float_denorm_mode_32 3
		.amdhsa_float_denorm_mode_16_64 3
		.amdhsa_dx10_clamp 1
		.amdhsa_ieee_mode 1
		.amdhsa_fp16_overflow 0
		.amdhsa_workgroup_processor_mode 1
		.amdhsa_memory_ordered 1
		.amdhsa_forward_progress 1
		.amdhsa_shared_vgpr_count 0
		.amdhsa_exception_fp_ieee_invalid_op 0
		.amdhsa_exception_fp_denorm_src 0
		.amdhsa_exception_fp_ieee_div_zero 0
		.amdhsa_exception_fp_ieee_overflow 0
		.amdhsa_exception_fp_ieee_underflow 0
		.amdhsa_exception_fp_ieee_inexact 0
		.amdhsa_exception_int_div_zero 0
	.end_amdhsa_kernel
	.section	.text._ZN2at6native12_GLOBAL__N_122cunn_SoftMaxForwardRegIN3c104HalfEfS4_NS1_25LogSoftMaxForwardEpilogueElLi8EEEvPT1_PKT_T3_,"axG",@progbits,_ZN2at6native12_GLOBAL__N_122cunn_SoftMaxForwardRegIN3c104HalfEfS4_NS1_25LogSoftMaxForwardEpilogueElLi8EEEvPT1_PKT_T3_,comdat
.Lfunc_end101:
	.size	_ZN2at6native12_GLOBAL__N_122cunn_SoftMaxForwardRegIN3c104HalfEfS4_NS1_25LogSoftMaxForwardEpilogueElLi8EEEvPT1_PKT_T3_, .Lfunc_end101-_ZN2at6native12_GLOBAL__N_122cunn_SoftMaxForwardRegIN3c104HalfEfS4_NS1_25LogSoftMaxForwardEpilogueElLi8EEEvPT1_PKT_T3_
                                        ; -- End function
	.set _ZN2at6native12_GLOBAL__N_122cunn_SoftMaxForwardRegIN3c104HalfEfS4_NS1_25LogSoftMaxForwardEpilogueElLi8EEEvPT1_PKT_T3_.num_vgpr, 48
	.set _ZN2at6native12_GLOBAL__N_122cunn_SoftMaxForwardRegIN3c104HalfEfS4_NS1_25LogSoftMaxForwardEpilogueElLi8EEEvPT1_PKT_T3_.num_agpr, 0
	.set _ZN2at6native12_GLOBAL__N_122cunn_SoftMaxForwardRegIN3c104HalfEfS4_NS1_25LogSoftMaxForwardEpilogueElLi8EEEvPT1_PKT_T3_.numbered_sgpr, 18
	.set _ZN2at6native12_GLOBAL__N_122cunn_SoftMaxForwardRegIN3c104HalfEfS4_NS1_25LogSoftMaxForwardEpilogueElLi8EEEvPT1_PKT_T3_.num_named_barrier, 0
	.set _ZN2at6native12_GLOBAL__N_122cunn_SoftMaxForwardRegIN3c104HalfEfS4_NS1_25LogSoftMaxForwardEpilogueElLi8EEEvPT1_PKT_T3_.private_seg_size, 0
	.set _ZN2at6native12_GLOBAL__N_122cunn_SoftMaxForwardRegIN3c104HalfEfS4_NS1_25LogSoftMaxForwardEpilogueElLi8EEEvPT1_PKT_T3_.uses_vcc, 1
	.set _ZN2at6native12_GLOBAL__N_122cunn_SoftMaxForwardRegIN3c104HalfEfS4_NS1_25LogSoftMaxForwardEpilogueElLi8EEEvPT1_PKT_T3_.uses_flat_scratch, 0
	.set _ZN2at6native12_GLOBAL__N_122cunn_SoftMaxForwardRegIN3c104HalfEfS4_NS1_25LogSoftMaxForwardEpilogueElLi8EEEvPT1_PKT_T3_.has_dyn_sized_stack, 0
	.set _ZN2at6native12_GLOBAL__N_122cunn_SoftMaxForwardRegIN3c104HalfEfS4_NS1_25LogSoftMaxForwardEpilogueElLi8EEEvPT1_PKT_T3_.has_recursion, 0
	.set _ZN2at6native12_GLOBAL__N_122cunn_SoftMaxForwardRegIN3c104HalfEfS4_NS1_25LogSoftMaxForwardEpilogueElLi8EEEvPT1_PKT_T3_.has_indirect_call, 0
	.section	.AMDGPU.csdata,"",@progbits
; Kernel info:
; codeLenInByte = 2828
; TotalNumSgprs: 20
; NumVgprs: 48
; ScratchSize: 0
; MemoryBound: 0
; FloatMode: 240
; IeeeMode: 1
; LDSByteSize: 0 bytes/workgroup (compile time only)
; SGPRBlocks: 0
; VGPRBlocks: 5
; NumSGPRsForWavesPerEU: 20
; NumVGPRsForWavesPerEU: 48
; Occupancy: 16
; WaveLimiterHint : 0
; COMPUTE_PGM_RSRC2:SCRATCH_EN: 0
; COMPUTE_PGM_RSRC2:USER_SGPR: 6
; COMPUTE_PGM_RSRC2:TRAP_HANDLER: 0
; COMPUTE_PGM_RSRC2:TGID_X_EN: 1
; COMPUTE_PGM_RSRC2:TGID_Y_EN: 0
; COMPUTE_PGM_RSRC2:TGID_Z_EN: 0
; COMPUTE_PGM_RSRC2:TIDIG_COMP_CNT: 0
	.section	.text._ZN2at6native12_GLOBAL__N_122cunn_SoftMaxForwardRegIN3c104HalfEfS4_NS1_25LogSoftMaxForwardEpilogueElLi9EEEvPT1_PKT_T3_,"axG",@progbits,_ZN2at6native12_GLOBAL__N_122cunn_SoftMaxForwardRegIN3c104HalfEfS4_NS1_25LogSoftMaxForwardEpilogueElLi9EEEvPT1_PKT_T3_,comdat
	.globl	_ZN2at6native12_GLOBAL__N_122cunn_SoftMaxForwardRegIN3c104HalfEfS4_NS1_25LogSoftMaxForwardEpilogueElLi9EEEvPT1_PKT_T3_ ; -- Begin function _ZN2at6native12_GLOBAL__N_122cunn_SoftMaxForwardRegIN3c104HalfEfS4_NS1_25LogSoftMaxForwardEpilogueElLi9EEEvPT1_PKT_T3_
	.p2align	8
	.type	_ZN2at6native12_GLOBAL__N_122cunn_SoftMaxForwardRegIN3c104HalfEfS4_NS1_25LogSoftMaxForwardEpilogueElLi9EEEvPT1_PKT_T3_,@function
_ZN2at6native12_GLOBAL__N_122cunn_SoftMaxForwardRegIN3c104HalfEfS4_NS1_25LogSoftMaxForwardEpilogueElLi9EEEvPT1_PKT_T3_: ; @_ZN2at6native12_GLOBAL__N_122cunn_SoftMaxForwardRegIN3c104HalfEfS4_NS1_25LogSoftMaxForwardEpilogueElLi9EEEvPT1_PKT_T3_
; %bb.0:
	s_clause 0x2
	s_load_dwordx2 s[8:9], s[4:5], 0x10
	s_load_dwordx4 s[16:19], s[4:5], 0x0
	s_load_dword s0, s[4:5], 0x24
	v_mov_b32_e32 v2, 0
	v_mov_b32_e32 v12, 0xff7fffff
	v_lshlrev_b32_e32 v3, 1, v0
                                        ; implicit-def: $vgpr15
	v_mov_b32_e32 v1, v2
	s_waitcnt lgkmcnt(0)
	s_mul_i32 s1, s9, s6
	s_mul_hi_u32 s3, s8, s6
	s_mul_i32 s2, s8, s6
	s_add_i32 s3, s3, s1
	v_cmp_gt_i64_e32 vcc_lo, s[8:9], v[0:1]
	s_lshl_b64 s[14:15], s[2:3], 1
	s_add_u32 s10, s18, s14
	s_addc_u32 s11, s19, s15
	s_and_saveexec_b32 s1, vcc_lo
	s_cbranch_execz .LBB102_2
; %bb.1:
	global_load_ushort v1, v3, s[10:11]
	s_waitcnt vmcnt(0)
	v_cvt_f32_f16_e32 v15, v1
	v_max_f32_e32 v12, 0xff7fffff, v15
.LBB102_2:
	s_or_b32 exec_lo, exec_lo, s1
	s_and_b32 s12, 0xffff, s0
                                        ; implicit-def: $vgpr17
	v_add_nc_u32_e32 v1, s12, v0
	v_cmp_gt_i64_e64 s0, s[8:9], v[1:2]
	v_lshlrev_b32_e32 v4, 1, v1
	s_and_saveexec_b32 s1, s0
	s_cbranch_execz .LBB102_4
; %bb.3:
	global_load_ushort v2, v4, s[10:11]
	s_waitcnt vmcnt(0)
	v_cvt_f32_f16_e32 v17, v2
	v_max_f32_e32 v2, v12, v12
	v_max_f32_e32 v12, v2, v17
.LBB102_4:
	s_or_b32 exec_lo, exec_lo, s1
	v_add_nc_u32_e32 v1, s12, v1
	v_mov_b32_e32 v2, 0
                                        ; implicit-def: $vgpr18
	v_lshlrev_b32_e32 v5, 1, v1
	v_cmp_gt_i64_e64 s1, s[8:9], v[1:2]
	s_and_saveexec_b32 s2, s1
	s_cbranch_execz .LBB102_6
; %bb.5:
	global_load_ushort v6, v5, s[10:11]
	s_waitcnt vmcnt(0)
	v_cvt_f32_f16_e32 v18, v6
	v_max_f32_e32 v6, v12, v12
	v_max_f32_e32 v12, v6, v18
.LBB102_6:
	s_or_b32 exec_lo, exec_lo, s2
	v_add_nc_u32_e32 v1, s12, v1
                                        ; implicit-def: $vgpr20
	v_cmp_gt_i64_e64 s2, s[8:9], v[1:2]
	v_lshlrev_b32_e32 v6, 1, v1
	s_and_saveexec_b32 s3, s2
	s_cbranch_execz .LBB102_8
; %bb.7:
	global_load_ushort v2, v6, s[10:11]
	s_waitcnt vmcnt(0)
	v_cvt_f32_f16_e32 v20, v2
	v_max_f32_e32 v2, v12, v12
	v_max_f32_e32 v12, v2, v20
.LBB102_8:
	s_or_b32 exec_lo, exec_lo, s3
	v_add_nc_u32_e32 v1, s12, v1
	v_mov_b32_e32 v2, 0
                                        ; implicit-def: $vgpr21
	v_lshlrev_b32_e32 v7, 1, v1
	v_cmp_gt_i64_e64 s3, s[8:9], v[1:2]
	s_and_saveexec_b32 s4, s3
	s_cbranch_execz .LBB102_10
; %bb.9:
	global_load_ushort v8, v7, s[10:11]
	s_waitcnt vmcnt(0)
	v_cvt_f32_f16_e32 v21, v8
	v_max_f32_e32 v8, v12, v12
	v_max_f32_e32 v12, v8, v21
.LBB102_10:
	s_or_b32 exec_lo, exec_lo, s4
	v_add_nc_u32_e32 v1, s12, v1
                                        ; implicit-def: $vgpr22
	v_cmp_gt_i64_e64 s4, s[8:9], v[1:2]
	v_lshlrev_b32_e32 v8, 1, v1
	s_and_saveexec_b32 s5, s4
	s_cbranch_execz .LBB102_12
; %bb.11:
	global_load_ushort v2, v8, s[10:11]
	s_waitcnt vmcnt(0)
	v_cvt_f32_f16_e32 v22, v2
	v_max_f32_e32 v2, v12, v12
	v_max_f32_e32 v12, v2, v22
.LBB102_12:
	s_or_b32 exec_lo, exec_lo, s5
	v_add_nc_u32_e32 v1, s12, v1
	v_mov_b32_e32 v2, 0
                                        ; implicit-def: $vgpr23
	v_lshlrev_b32_e32 v9, 1, v1
	v_cmp_gt_i64_e64 s5, s[8:9], v[1:2]
	s_and_saveexec_b32 s6, s5
	s_cbranch_execz .LBB102_14
; %bb.13:
	global_load_ushort v10, v9, s[10:11]
	s_waitcnt vmcnt(0)
	v_cvt_f32_f16_e32 v23, v10
	v_max_f32_e32 v10, v12, v12
	v_max_f32_e32 v12, v10, v23
.LBB102_14:
	s_or_b32 exec_lo, exec_lo, s6
	v_add_nc_u32_e32 v1, s12, v1
                                        ; implicit-def: $vgpr24
	v_cmp_gt_i64_e64 s6, s[8:9], v[1:2]
	v_lshlrev_b32_e32 v2, 1, v1
	s_and_saveexec_b32 s7, s6
	s_cbranch_execz .LBB102_16
; %bb.15:
	global_load_ushort v10, v2, s[10:11]
	s_waitcnt vmcnt(0)
	v_cvt_f32_f16_e32 v24, v10
	v_max_f32_e32 v10, v12, v12
	v_max_f32_e32 v12, v10, v24
.LBB102_16:
	s_or_b32 exec_lo, exec_lo, s7
	v_add_nc_u32_e32 v10, s12, v1
	v_mov_b32_e32 v11, 0
                                        ; implicit-def: $vgpr26
	v_lshlrev_b32_e32 v1, 1, v10
	v_cmp_gt_i64_e64 s7, s[8:9], v[10:11]
	s_and_saveexec_b32 s8, s7
	s_cbranch_execz .LBB102_18
; %bb.17:
	global_load_ushort v10, v1, s[10:11]
	s_waitcnt vmcnt(0)
	v_cvt_f32_f16_e32 v26, v10
	v_max_f32_e32 v10, v12, v12
	v_max_f32_e32 v12, v10, v26
.LBB102_18:
	s_or_b32 exec_lo, exec_lo, s8
	v_mbcnt_lo_u32_b32 v14, -1, 0
	s_barrier
	buffer_gl0_inv
	v_lshl_or_b32 v10, v14, 2, 64
	v_cmp_gt_u32_e64 s8, 24, v14
	ds_bpermute_b32 v13, v10, v12
	v_cndmask_b32_e64 v11, 0, 8, s8
	v_add_lshl_u32 v11, v11, v14, 2
	s_waitcnt lgkmcnt(0)
	v_cmp_lt_f32_e64 s8, v12, v13
	v_cndmask_b32_e64 v13, v12, v13, s8
	v_cmp_gt_u32_e64 s8, 28, v14
	ds_bpermute_b32 v16, v11, v13
	v_cndmask_b32_e64 v12, 0, 4, s8
	v_add_lshl_u32 v12, v12, v14, 2
	s_waitcnt lgkmcnt(0)
	v_cmp_lt_f32_e64 s8, v13, v16
	v_cndmask_b32_e64 v16, v13, v16, s8
	;; [unrolled: 7-line block ×3, first 2 shown]
	v_cmp_ne_u32_e64 s8, 31, v14
	ds_bpermute_b32 v19, v13, v16
	v_add_co_ci_u32_e64 v14, null, 0, v14, s8
	v_lshlrev_b32_e32 v14, 2, v14
	s_waitcnt lgkmcnt(0)
	v_cmp_lt_f32_e64 s8, v16, v19
	v_cndmask_b32_e64 v25, v16, v19, s8
	v_and_b32_e32 v19, 31, v0
	v_lshrrev_b32_e32 v16, 3, v0
	ds_bpermute_b32 v27, v14, v25
	v_cmp_eq_u32_e64 s8, 0, v19
	s_and_saveexec_b32 s9, s8
	s_xor_b32 s10, exec_lo, s9
	s_cbranch_execz .LBB102_20
; %bb.19:
	s_waitcnt lgkmcnt(0)
	v_cmp_lt_f32_e64 s9, v25, v27
	v_add_nc_u32_e32 v28, 0, v16
	v_cndmask_b32_e64 v25, v25, v27, s9
	ds_write_b32 v28, v25
.LBB102_20:
	s_or_b32 exec_lo, exec_lo, s10
	s_lshr_b32 s9, s12, 5
	v_mov_b32_e32 v25, 0xff7fffff
	v_cmp_gt_u32_e64 s9, s9, v0
	v_lshl_add_u32 v19, v19, 2, 0
	s_waitcnt lgkmcnt(0)
	s_barrier
	buffer_gl0_inv
	s_and_saveexec_b32 s10, s9
	s_cbranch_execnz .LBB102_40
; %bb.21:
	s_or_b32 exec_lo, exec_lo, s10
	v_cmp_gt_u32_e64 s10, 32, v0
	s_and_saveexec_b32 s12, s10
	s_cbranch_execnz .LBB102_41
.LBB102_22:
	s_or_b32 exec_lo, exec_lo, s12
	v_cmp_eq_u32_e64 s11, 0, v0
	s_and_saveexec_b32 s12, s11
	s_cbranch_execz .LBB102_24
.LBB102_23:
	v_mov_b32_e32 v0, 0
	s_waitcnt lgkmcnt(0)
	ds_write_b32 v0, v25
.LBB102_24:
	s_or_b32 exec_lo, exec_lo, s12
	s_waitcnt lgkmcnt(0)
	v_mov_b32_e32 v25, 0
	s_barrier
	buffer_gl0_inv
	ds_read_b32 v27, v25
	s_waitcnt lgkmcnt(0)
	s_barrier
	buffer_gl0_inv
	v_sub_f32_e32 v0, v15, v27
	v_sub_f32_e32 v15, v17, v27
	;; [unrolled: 1-line block ×9, first 2 shown]
	v_mul_f32_e32 v26, 0x3fb8aa3b, v0
	v_mul_f32_e32 v27, 0x3fb8aa3b, v15
	;; [unrolled: 1-line block ×4, first 2 shown]
	v_cmp_ngt_f32_e64 s12, 0xc2ce8ed0, v0
	v_fma_f32 v35, 0x3fb8aa3b, v0, -v26
	v_rndne_f32_e32 v36, v26
	v_fma_f32 v37, 0x3fb8aa3b, v15, -v27
	v_rndne_f32_e32 v38, v27
	v_fma_f32 v39, 0x3fb8aa3b, v17, -v28
	v_fmac_f32_e32 v35, 0x32a5705f, v0
	v_sub_f32_e32 v26, v26, v36
	v_fmac_f32_e32 v37, 0x32a5705f, v15
	v_sub_f32_e32 v27, v27, v38
	v_rndne_f32_e32 v40, v28
	v_cvt_i32_f32_e32 v36, v36
	v_add_f32_e32 v26, v26, v35
	v_cvt_i32_f32_e32 v35, v38
	v_add_f32_e32 v27, v27, v37
	v_fmac_f32_e32 v39, 0x32a5705f, v17
	v_sub_f32_e32 v28, v28, v40
	v_exp_f32_e32 v26, v26
	v_fma_f32 v41, 0x3fb8aa3b, v18, -v29
	v_exp_f32_e32 v27, v27
	v_rndne_f32_e32 v42, v29
	v_add_f32_e32 v28, v28, v39
	v_mul_f32_e32 v30, 0x3fb8aa3b, v20
	v_fmac_f32_e32 v41, 0x32a5705f, v18
	v_cvt_i32_f32_e32 v37, v40
	v_sub_f32_e32 v29, v29, v42
	v_exp_f32_e32 v28, v28
	v_ldexp_f32 v26, v26, v36
	v_fma_f32 v43, 0x3fb8aa3b, v20, -v30
	v_ldexp_f32 v27, v27, v35
	v_rndne_f32_e32 v44, v30
	v_add_f32_e32 v29, v29, v41
	v_cndmask_b32_e64 v26, 0, v26, s12
	v_cmp_ngt_f32_e64 s12, 0xc2ce8ed0, v15
	v_mul_f32_e32 v31, 0x3fb8aa3b, v21
	v_fmac_f32_e32 v43, 0x32a5705f, v20
	v_sub_f32_e32 v30, v30, v44
	v_exp_f32_e32 v29, v29
	v_cndmask_b32_e64 v27, 0, v27, s12
	v_cmp_nlt_f32_e64 s12, 0x42b17218, v0
	v_ldexp_f32 v28, v28, v37
	v_fma_f32 v45, 0x3fb8aa3b, v21, -v31
	v_rndne_f32_e32 v46, v31
	v_cvt_i32_f32_e32 v38, v42
	v_cndmask_b32_e64 v26, 0x7f800000, v26, s12
	v_cmp_nlt_f32_e64 s12, 0x42b17218, v15
	v_add_f32_e32 v30, v30, v43
	v_fmac_f32_e32 v45, 0x32a5705f, v21
	v_sub_f32_e32 v31, v31, v46
	v_cndmask_b32_e32 v26, 0, v26, vcc_lo
	v_cndmask_b32_e64 v27, 0x7f800000, v27, s12
	v_cmp_ngt_f32_e64 s12, 0xc2ce8ed0, v17
	v_exp_f32_e32 v30, v30
	v_ldexp_f32 v29, v29, v38
	v_mul_f32_e32 v32, 0x3fb8aa3b, v22
	v_add_f32_e32 v27, v26, v27
	v_cndmask_b32_e64 v28, 0, v28, s12
	v_cmp_nlt_f32_e64 s12, 0x42b17218, v17
	v_cvt_i32_f32_e32 v39, v44
	v_fma_f32 v47, 0x3fb8aa3b, v22, -v32
	v_cndmask_b32_e64 v26, v26, v27, s0
	v_add_f32_e32 v27, v31, v45
	v_cndmask_b32_e64 v28, 0x7f800000, v28, s12
	v_cmp_ngt_f32_e64 s12, 0xc2ce8ed0, v18
	v_rndne_f32_e32 v48, v32
	v_ldexp_f32 v30, v30, v39
	v_exp_f32_e32 v27, v27
	v_add_f32_e32 v28, v26, v28
	v_cndmask_b32_e64 v29, 0, v29, s12
	v_cmp_nlt_f32_e64 s12, 0x42b17218, v18
	v_mul_f32_e32 v33, 0x3fb8aa3b, v23
	v_fmac_f32_e32 v47, 0x32a5705f, v22
	v_cndmask_b32_e64 v26, v26, v28, s1
	v_sub_f32_e32 v28, v32, v48
	v_cndmask_b32_e64 v29, 0x7f800000, v29, s12
	v_cmp_ngt_f32_e64 s12, 0xc2ce8ed0, v20
	v_cvt_i32_f32_e32 v31, v46
	v_fma_f32 v49, 0x3fb8aa3b, v23, -v33
	v_rndne_f32_e32 v50, v33
	v_add_f32_e32 v29, v26, v29
	v_cndmask_b32_e64 v30, 0, v30, s12
	v_cmp_nlt_f32_e64 s12, 0x42b17218, v20
	v_add_f32_e32 v28, v28, v47
	v_ldexp_f32 v27, v27, v31
	v_cndmask_b32_e64 v26, v26, v29, s2
	v_mul_f32_e32 v34, 0x3fb8aa3b, v24
	v_cndmask_b32_e64 v30, 0x7f800000, v30, s12
	v_cmp_ngt_f32_e64 s12, 0xc2ce8ed0, v21
	v_fmac_f32_e32 v49, 0x32a5705f, v23
	v_exp_f32_e32 v28, v28
	v_fma_f32 v51, 0x3fb8aa3b, v24, -v34
	v_add_f32_e32 v29, v26, v30
	v_cndmask_b32_e64 v27, 0, v27, s12
	v_sub_f32_e32 v30, v33, v50
	v_cmp_nlt_f32_e64 s12, 0x42b17218, v21
	v_cvt_i32_f32_e32 v31, v48
	v_cndmask_b32_e64 v26, v26, v29, s3
	v_fmac_f32_e32 v51, 0x32a5705f, v24
	v_add_f32_e32 v29, v30, v49
	v_cndmask_b32_e64 v27, 0x7f800000, v27, s12
	v_rndne_f32_e32 v30, v34
	v_ldexp_f32 v28, v28, v31
	v_cmp_ngt_f32_e64 s12, 0xc2ce8ed0, v22
	v_exp_f32_e32 v29, v29
	v_add_f32_e32 v27, v26, v27
	v_sub_f32_e32 v31, v34, v30
	v_cvt_i32_f32_e32 v30, v30
	v_cndmask_b32_e64 v28, 0, v28, s12
	v_cmp_nlt_f32_e64 s12, 0x42b17218, v22
	v_cndmask_b32_e64 v26, v26, v27, s4
	v_cvt_i32_f32_e32 v27, v50
	v_add_f32_e32 v31, v31, v51
	v_cndmask_b32_e64 v28, 0x7f800000, v28, s12
	v_cmp_ngt_f32_e64 s12, 0xc2ce8ed0, v23
	v_ldexp_f32 v27, v29, v27
	v_exp_f32_e32 v29, v31
	v_add_f32_e32 v28, v26, v28
	v_cndmask_b32_e64 v27, 0, v27, s12
	v_cmp_nlt_f32_e64 s12, 0x42b17218, v23
	v_cndmask_b32_e64 v26, v26, v28, s5
	v_cndmask_b32_e64 v27, 0x7f800000, v27, s12
	v_ldexp_f32 v28, v29, v30
	v_cmp_ngt_f32_e64 s12, 0xc2ce8ed0, v24
	v_add_f32_e32 v27, v26, v27
	v_cndmask_b32_e64 v28, 0, v28, s12
	v_cmp_nlt_f32_e64 s12, 0x42b17218, v24
	v_cndmask_b32_e64 v26, v26, v27, s6
	v_cndmask_b32_e64 v27, 0x7f800000, v28, s12
	v_add_f32_e32 v27, v26, v27
	v_cndmask_b32_e64 v26, v26, v27, s7
	ds_bpermute_b32 v27, v10, v26
	s_waitcnt lgkmcnt(0)
	v_add_f32_e32 v26, v26, v27
	ds_bpermute_b32 v27, v11, v26
	s_waitcnt lgkmcnt(0)
	v_add_f32_e32 v26, v26, v27
	;; [unrolled: 3-line block ×4, first 2 shown]
	ds_bpermute_b32 v27, v14, v26
	s_and_saveexec_b32 s12, s8
	s_cbranch_execz .LBB102_26
; %bb.25:
	v_add_nc_u32_e32 v16, 0, v16
	s_waitcnt lgkmcnt(0)
	v_add_f32_e32 v26, v26, v27
	ds_write_b32 v16, v26
.LBB102_26:
	s_or_b32 exec_lo, exec_lo, s12
	s_waitcnt lgkmcnt(0)
	s_barrier
	buffer_gl0_inv
	s_and_saveexec_b32 s8, s9
	s_cbranch_execnz .LBB102_42
; %bb.27:
	s_or_b32 exec_lo, exec_lo, s8
	s_and_saveexec_b32 s8, s10
	s_cbranch_execnz .LBB102_43
.LBB102_28:
	s_or_b32 exec_lo, exec_lo, s8
	s_and_saveexec_b32 s8, s11
	s_cbranch_execz .LBB102_30
.LBB102_29:
	v_mov_b32_e32 v10, 0
	s_waitcnt lgkmcnt(0)
	ds_write_b32 v10, v25
.LBB102_30:
	s_or_b32 exec_lo, exec_lo, s8
	v_mov_b32_e32 v10, 0
	s_waitcnt lgkmcnt(0)
	s_barrier
	buffer_gl0_inv
	s_add_u32 s10, s16, s14
	ds_read_b32 v10, v10
	s_addc_u32 s11, s17, s15
	s_waitcnt lgkmcnt(0)
	v_cmp_gt_f32_e64 s8, 0x800000, v10
	v_cndmask_b32_e64 v11, 0, 0x41b17218, s8
	s_and_b32 s8, s8, exec_lo
	s_cselect_b32 s8, 32, 0
	v_ldexp_f32 v10, v10, s8
	v_log_f32_e32 v10, v10
	v_mul_f32_e32 v12, 0x3f317217, v10
	v_cmp_gt_f32_e64 s8, 0x7f800000, |v10|
	v_fma_f32 v12, 0x3f317217, v10, -v12
	v_fmamk_f32 v12, v10, 0x3377d1cf, v12
	v_fmac_f32_e32 v12, 0x3f317217, v10
	v_cndmask_b32_e64 v10, v10, v12, s8
	v_sub_f32_e32 v10, v10, v11
	s_and_saveexec_b32 s8, vcc_lo
	s_cbranch_execnz .LBB102_44
; %bb.31:
	s_or_b32 exec_lo, exec_lo, s8
	s_and_saveexec_b32 s8, s0
	s_cbranch_execnz .LBB102_45
.LBB102_32:
	s_or_b32 exec_lo, exec_lo, s8
	s_and_saveexec_b32 s0, s1
	s_cbranch_execnz .LBB102_46
.LBB102_33:
	s_or_b32 exec_lo, exec_lo, s0
	s_and_saveexec_b32 s0, s2
	s_cbranch_execnz .LBB102_47
.LBB102_34:
	s_or_b32 exec_lo, exec_lo, s0
	s_and_saveexec_b32 s0, s3
	s_cbranch_execnz .LBB102_48
.LBB102_35:
	s_or_b32 exec_lo, exec_lo, s0
	s_and_saveexec_b32 s0, s4
	s_cbranch_execnz .LBB102_49
.LBB102_36:
	s_or_b32 exec_lo, exec_lo, s0
	s_and_saveexec_b32 s0, s5
	s_cbranch_execnz .LBB102_50
.LBB102_37:
	s_or_b32 exec_lo, exec_lo, s0
	s_and_saveexec_b32 s0, s6
	s_cbranch_execnz .LBB102_51
.LBB102_38:
	s_or_b32 exec_lo, exec_lo, s0
	s_and_saveexec_b32 s0, s7
	s_cbranch_execnz .LBB102_52
.LBB102_39:
	s_endpgm
.LBB102_40:
	ds_read_b32 v25, v19
	s_or_b32 exec_lo, exec_lo, s10
	v_cmp_gt_u32_e64 s10, 32, v0
	s_and_saveexec_b32 s12, s10
	s_cbranch_execz .LBB102_22
.LBB102_41:
	s_waitcnt lgkmcnt(0)
	ds_bpermute_b32 v27, v10, v25
	s_waitcnt lgkmcnt(0)
	v_cmp_lt_f32_e64 s11, v25, v27
	v_cndmask_b32_e64 v25, v25, v27, s11
	ds_bpermute_b32 v27, v11, v25
	s_waitcnt lgkmcnt(0)
	v_cmp_lt_f32_e64 s11, v25, v27
	v_cndmask_b32_e64 v25, v25, v27, s11
	;; [unrolled: 4-line block ×5, first 2 shown]
	s_or_b32 exec_lo, exec_lo, s12
	v_cmp_eq_u32_e64 s11, 0, v0
	s_and_saveexec_b32 s12, s11
	s_cbranch_execnz .LBB102_23
	s_branch .LBB102_24
.LBB102_42:
	ds_read_b32 v25, v19
	s_or_b32 exec_lo, exec_lo, s8
	s_and_saveexec_b32 s8, s10
	s_cbranch_execz .LBB102_28
.LBB102_43:
	s_waitcnt lgkmcnt(0)
	ds_bpermute_b32 v10, v10, v25
	s_waitcnt lgkmcnt(0)
	v_add_f32_e32 v10, v25, v10
	ds_bpermute_b32 v11, v11, v10
	s_waitcnt lgkmcnt(0)
	v_add_f32_e32 v10, v10, v11
	;; [unrolled: 3-line block ×5, first 2 shown]
	s_or_b32 exec_lo, exec_lo, s8
	s_and_saveexec_b32 s8, s11
	s_cbranch_execnz .LBB102_29
	s_branch .LBB102_30
.LBB102_44:
	v_sub_f32_e32 v0, v0, v10
	v_cvt_f16_f32_e32 v0, v0
	global_store_short v3, v0, s[10:11]
	s_or_b32 exec_lo, exec_lo, s8
	s_and_saveexec_b32 s8, s0
	s_cbranch_execz .LBB102_32
.LBB102_45:
	v_sub_f32_e32 v0, v15, v10
	v_cvt_f16_f32_e32 v0, v0
	global_store_short v4, v0, s[10:11]
	s_or_b32 exec_lo, exec_lo, s8
	s_and_saveexec_b32 s0, s1
	s_cbranch_execz .LBB102_33
.LBB102_46:
	v_sub_f32_e32 v0, v17, v10
	v_cvt_f16_f32_e32 v0, v0
	global_store_short v5, v0, s[10:11]
	s_or_b32 exec_lo, exec_lo, s0
	s_and_saveexec_b32 s0, s2
	s_cbranch_execz .LBB102_34
.LBB102_47:
	v_sub_f32_e32 v0, v18, v10
	v_cvt_f16_f32_e32 v0, v0
	global_store_short v6, v0, s[10:11]
	s_or_b32 exec_lo, exec_lo, s0
	s_and_saveexec_b32 s0, s3
	s_cbranch_execz .LBB102_35
.LBB102_48:
	v_sub_f32_e32 v0, v20, v10
	v_cvt_f16_f32_e32 v0, v0
	global_store_short v7, v0, s[10:11]
	s_or_b32 exec_lo, exec_lo, s0
	s_and_saveexec_b32 s0, s4
	s_cbranch_execz .LBB102_36
.LBB102_49:
	v_sub_f32_e32 v0, v21, v10
	v_cvt_f16_f32_e32 v0, v0
	global_store_short v8, v0, s[10:11]
	s_or_b32 exec_lo, exec_lo, s0
	s_and_saveexec_b32 s0, s5
	s_cbranch_execz .LBB102_37
.LBB102_50:
	v_sub_f32_e32 v0, v22, v10
	v_cvt_f16_f32_e32 v0, v0
	global_store_short v9, v0, s[10:11]
	s_or_b32 exec_lo, exec_lo, s0
	s_and_saveexec_b32 s0, s6
	s_cbranch_execz .LBB102_38
.LBB102_51:
	v_sub_f32_e32 v0, v23, v10
	v_cvt_f16_f32_e32 v0, v0
	global_store_short v2, v0, s[10:11]
	s_or_b32 exec_lo, exec_lo, s0
	s_and_saveexec_b32 s0, s7
	s_cbranch_execz .LBB102_39
.LBB102_52:
	v_sub_f32_e32 v0, v24, v10
	v_cvt_f16_f32_e32 v0, v0
	global_store_short v1, v0, s[10:11]
	s_endpgm
	.section	.rodata,"a",@progbits
	.p2align	6, 0x0
	.amdhsa_kernel _ZN2at6native12_GLOBAL__N_122cunn_SoftMaxForwardRegIN3c104HalfEfS4_NS1_25LogSoftMaxForwardEpilogueElLi9EEEvPT1_PKT_T3_
		.amdhsa_group_segment_fixed_size 0
		.amdhsa_private_segment_fixed_size 0
		.amdhsa_kernarg_size 280
		.amdhsa_user_sgpr_count 6
		.amdhsa_user_sgpr_private_segment_buffer 1
		.amdhsa_user_sgpr_dispatch_ptr 0
		.amdhsa_user_sgpr_queue_ptr 0
		.amdhsa_user_sgpr_kernarg_segment_ptr 1
		.amdhsa_user_sgpr_dispatch_id 0
		.amdhsa_user_sgpr_flat_scratch_init 0
		.amdhsa_user_sgpr_private_segment_size 0
		.amdhsa_wavefront_size32 1
		.amdhsa_uses_dynamic_stack 0
		.amdhsa_system_sgpr_private_segment_wavefront_offset 0
		.amdhsa_system_sgpr_workgroup_id_x 1
		.amdhsa_system_sgpr_workgroup_id_y 0
		.amdhsa_system_sgpr_workgroup_id_z 0
		.amdhsa_system_sgpr_workgroup_info 0
		.amdhsa_system_vgpr_workitem_id 0
		.amdhsa_next_free_vgpr 52
		.amdhsa_next_free_sgpr 20
		.amdhsa_reserve_vcc 1
		.amdhsa_reserve_flat_scratch 0
		.amdhsa_float_round_mode_32 0
		.amdhsa_float_round_mode_16_64 0
		.amdhsa_float_denorm_mode_32 3
		.amdhsa_float_denorm_mode_16_64 3
		.amdhsa_dx10_clamp 1
		.amdhsa_ieee_mode 1
		.amdhsa_fp16_overflow 0
		.amdhsa_workgroup_processor_mode 1
		.amdhsa_memory_ordered 1
		.amdhsa_forward_progress 1
		.amdhsa_shared_vgpr_count 0
		.amdhsa_exception_fp_ieee_invalid_op 0
		.amdhsa_exception_fp_denorm_src 0
		.amdhsa_exception_fp_ieee_div_zero 0
		.amdhsa_exception_fp_ieee_overflow 0
		.amdhsa_exception_fp_ieee_underflow 0
		.amdhsa_exception_fp_ieee_inexact 0
		.amdhsa_exception_int_div_zero 0
	.end_amdhsa_kernel
	.section	.text._ZN2at6native12_GLOBAL__N_122cunn_SoftMaxForwardRegIN3c104HalfEfS4_NS1_25LogSoftMaxForwardEpilogueElLi9EEEvPT1_PKT_T3_,"axG",@progbits,_ZN2at6native12_GLOBAL__N_122cunn_SoftMaxForwardRegIN3c104HalfEfS4_NS1_25LogSoftMaxForwardEpilogueElLi9EEEvPT1_PKT_T3_,comdat
.Lfunc_end102:
	.size	_ZN2at6native12_GLOBAL__N_122cunn_SoftMaxForwardRegIN3c104HalfEfS4_NS1_25LogSoftMaxForwardEpilogueElLi9EEEvPT1_PKT_T3_, .Lfunc_end102-_ZN2at6native12_GLOBAL__N_122cunn_SoftMaxForwardRegIN3c104HalfEfS4_NS1_25LogSoftMaxForwardEpilogueElLi9EEEvPT1_PKT_T3_
                                        ; -- End function
	.set _ZN2at6native12_GLOBAL__N_122cunn_SoftMaxForwardRegIN3c104HalfEfS4_NS1_25LogSoftMaxForwardEpilogueElLi9EEEvPT1_PKT_T3_.num_vgpr, 52
	.set _ZN2at6native12_GLOBAL__N_122cunn_SoftMaxForwardRegIN3c104HalfEfS4_NS1_25LogSoftMaxForwardEpilogueElLi9EEEvPT1_PKT_T3_.num_agpr, 0
	.set _ZN2at6native12_GLOBAL__N_122cunn_SoftMaxForwardRegIN3c104HalfEfS4_NS1_25LogSoftMaxForwardEpilogueElLi9EEEvPT1_PKT_T3_.numbered_sgpr, 20
	.set _ZN2at6native12_GLOBAL__N_122cunn_SoftMaxForwardRegIN3c104HalfEfS4_NS1_25LogSoftMaxForwardEpilogueElLi9EEEvPT1_PKT_T3_.num_named_barrier, 0
	.set _ZN2at6native12_GLOBAL__N_122cunn_SoftMaxForwardRegIN3c104HalfEfS4_NS1_25LogSoftMaxForwardEpilogueElLi9EEEvPT1_PKT_T3_.private_seg_size, 0
	.set _ZN2at6native12_GLOBAL__N_122cunn_SoftMaxForwardRegIN3c104HalfEfS4_NS1_25LogSoftMaxForwardEpilogueElLi9EEEvPT1_PKT_T3_.uses_vcc, 1
	.set _ZN2at6native12_GLOBAL__N_122cunn_SoftMaxForwardRegIN3c104HalfEfS4_NS1_25LogSoftMaxForwardEpilogueElLi9EEEvPT1_PKT_T3_.uses_flat_scratch, 0
	.set _ZN2at6native12_GLOBAL__N_122cunn_SoftMaxForwardRegIN3c104HalfEfS4_NS1_25LogSoftMaxForwardEpilogueElLi9EEEvPT1_PKT_T3_.has_dyn_sized_stack, 0
	.set _ZN2at6native12_GLOBAL__N_122cunn_SoftMaxForwardRegIN3c104HalfEfS4_NS1_25LogSoftMaxForwardEpilogueElLi9EEEvPT1_PKT_T3_.has_recursion, 0
	.set _ZN2at6native12_GLOBAL__N_122cunn_SoftMaxForwardRegIN3c104HalfEfS4_NS1_25LogSoftMaxForwardEpilogueElLi9EEEvPT1_PKT_T3_.has_indirect_call, 0
	.section	.AMDGPU.csdata,"",@progbits
; Kernel info:
; codeLenInByte = 3040
; TotalNumSgprs: 22
; NumVgprs: 52
; ScratchSize: 0
; MemoryBound: 0
; FloatMode: 240
; IeeeMode: 1
; LDSByteSize: 0 bytes/workgroup (compile time only)
; SGPRBlocks: 0
; VGPRBlocks: 6
; NumSGPRsForWavesPerEU: 22
; NumVGPRsForWavesPerEU: 52
; Occupancy: 16
; WaveLimiterHint : 0
; COMPUTE_PGM_RSRC2:SCRATCH_EN: 0
; COMPUTE_PGM_RSRC2:USER_SGPR: 6
; COMPUTE_PGM_RSRC2:TRAP_HANDLER: 0
; COMPUTE_PGM_RSRC2:TGID_X_EN: 1
; COMPUTE_PGM_RSRC2:TGID_Y_EN: 0
; COMPUTE_PGM_RSRC2:TGID_Z_EN: 0
; COMPUTE_PGM_RSRC2:TIDIG_COMP_CNT: 0
	.section	.text._ZN2at6native12_GLOBAL__N_123cunn_SoftMaxForwardSmemILi8EN3c104HalfEfS4_NS1_25LogSoftMaxForwardEpilogueElEEvPT2_PKT0_T4_,"axG",@progbits,_ZN2at6native12_GLOBAL__N_123cunn_SoftMaxForwardSmemILi8EN3c104HalfEfS4_NS1_25LogSoftMaxForwardEpilogueElEEvPT2_PKT0_T4_,comdat
	.globl	_ZN2at6native12_GLOBAL__N_123cunn_SoftMaxForwardSmemILi8EN3c104HalfEfS4_NS1_25LogSoftMaxForwardEpilogueElEEvPT2_PKT0_T4_ ; -- Begin function _ZN2at6native12_GLOBAL__N_123cunn_SoftMaxForwardSmemILi8EN3c104HalfEfS4_NS1_25LogSoftMaxForwardEpilogueElEEvPT2_PKT0_T4_
	.p2align	8
	.type	_ZN2at6native12_GLOBAL__N_123cunn_SoftMaxForwardSmemILi8EN3c104HalfEfS4_NS1_25LogSoftMaxForwardEpilogueElEEvPT2_PKT0_T4_,@function
_ZN2at6native12_GLOBAL__N_123cunn_SoftMaxForwardSmemILi8EN3c104HalfEfS4_NS1_25LogSoftMaxForwardEpilogueElEEvPT2_PKT0_T4_: ; @_ZN2at6native12_GLOBAL__N_123cunn_SoftMaxForwardSmemILi8EN3c104HalfEfS4_NS1_25LogSoftMaxForwardEpilogueElEEvPT2_PKT0_T4_
; %bb.0:
	s_clause 0x1
	s_load_dwordx2 s[12:13], s[4:5], 0x10
	s_load_dwordx4 s[8:11], s[4:5], 0x0
	v_mov_b32_e32 v1, 0
	v_lshlrev_b32_e32 v2, 3, v0
	v_mov_b32_e32 v8, 0xff7fffff
	v_lshlrev_b32_e32 v6, 4, v0
	s_mov_b32 s2, 0
	v_mov_b32_e32 v3, v1
	s_waitcnt lgkmcnt(0)
	v_cmp_gt_i64_e32 vcc_lo, s[12:13], v[2:3]
	s_mul_i32 s14, s13, s6
	s_mul_hi_u32 s15, s12, s6
	s_mul_i32 s6, s12, s6
	s_and_saveexec_b32 s3, vcc_lo
	s_cbranch_execz .LBB103_4
; %bb.1:
	s_load_dword s0, s[4:5], 0x24
	s_add_i32 s7, s15, s14
	v_mov_b32_e32 v5, v1
	v_add_nc_u32_e32 v7, 0, v6
	v_mov_b32_e32 v8, 0xff7fffff
	v_mov_b32_e32 v4, v0
	s_waitcnt lgkmcnt(0)
	s_and_b32 s16, s0, 0xffff
	s_lshl_b64 s[0:1], s[6:7], 1
	s_lshl_b32 s7, s16, 4
	s_add_u32 s0, s10, s0
	s_addc_u32 s1, s11, s1
	v_add_co_u32 v2, s0, s0, v6
	v_add_co_ci_u32_e64 v3, null, s1, 0, s0
	v_add_co_u32 v2, s0, v2, 8
	v_add_co_ci_u32_e64 v3, null, 0, v3, s0
	s_inst_prefetch 0x1
	.p2align	6
.LBB103_2:                              ; =>This Inner Loop Header: Depth=1
	global_load_dwordx4 v[9:12], v[2:3], off offset:-8
	v_add_co_u32 v4, s0, v4, s16
	v_add_co_ci_u32_e64 v5, null, 0, v5, s0
	v_add_co_u32 v2, s0, v2, s7
	v_add_co_ci_u32_e64 v3, null, 0, v3, s0
	s_waitcnt vmcnt(0)
	v_cvt_f32_f16_e32 v13, v9
	v_cvt_f32_f16_sdwa v14, v9 dst_sel:DWORD dst_unused:UNUSED_PAD src0_sel:WORD_1
	v_cvt_f32_f16_e32 v15, v10
	v_cvt_f32_f16_sdwa v16, v10 dst_sel:DWORD dst_unused:UNUSED_PAD src0_sel:WORD_1
	;; [unrolled: 2-line block ×3, first 2 shown]
	v_max3_f32 v8, v8, v13, v14
	v_lshlrev_b64 v[13:14], 3, v[4:5]
	ds_write_b128 v7, v[9:12]
	v_add_nc_u32_e32 v7, s7, v7
	v_max3_f32 v8, v8, v15, v16
	v_cmp_le_i64_e64 s1, s[12:13], v[13:14]
	v_cvt_f32_f16_e32 v13, v12
	v_cvt_f32_f16_sdwa v14, v12 dst_sel:DWORD dst_unused:UNUSED_PAD src0_sel:WORD_1
	v_max3_f32 v8, v8, v17, v18
	s_or_b32 s2, s1, s2
	v_max3_f32 v8, v8, v13, v14
	s_andn2_b32 exec_lo, exec_lo, s2
	s_cbranch_execnz .LBB103_2
; %bb.3:
	s_inst_prefetch 0x2
	s_or_b32 exec_lo, exec_lo, s2
.LBB103_4:
	s_or_b32 exec_lo, exec_lo, s3
	v_mbcnt_lo_u32_b32 v2, -1, 0
	v_lshrrev_b32_e32 v11, 3, v0
	s_lshl_b32 s1, s12, 1
	s_waitcnt lgkmcnt(0)
	s_add_i32 s7, s1, 0
	v_lshl_or_b32 v5, v2, 2, 64
	v_cmp_gt_u32_e64 s0, 24, v2
	s_barrier
	buffer_gl0_inv
	ds_bpermute_b32 v3, v5, v8
	v_cndmask_b32_e64 v4, 0, 8, s0
	v_add_lshl_u32 v7, v4, v2, 2
	s_waitcnt lgkmcnt(0)
	v_cmp_lt_f32_e64 s0, v8, v3
	v_cndmask_b32_e64 v3, v8, v3, s0
	v_cmp_gt_u32_e64 s0, 28, v2
	ds_bpermute_b32 v4, v7, v3
	v_cndmask_b32_e64 v8, 0, 4, s0
	v_add_lshl_u32 v8, v8, v2, 2
	s_waitcnt lgkmcnt(0)
	v_cmp_lt_f32_e64 s0, v3, v4
	v_cndmask_b32_e64 v3, v3, v4, s0
	v_cmp_gt_u32_e64 s0, 30, v2
	ds_bpermute_b32 v4, v8, v3
	v_cndmask_b32_e64 v9, 0, 2, s0
	v_add_lshl_u32 v9, v9, v2, 2
	s_waitcnt lgkmcnt(0)
	v_cmp_lt_f32_e64 s0, v3, v4
	v_cndmask_b32_e64 v3, v3, v4, s0
	v_cmp_ne_u32_e64 s0, 31, v2
	ds_bpermute_b32 v4, v9, v3
	v_add_co_ci_u32_e64 v10, null, 0, v2, s0
	v_lshlrev_b32_e32 v10, 2, v10
	s_waitcnt lgkmcnt(0)
	v_cmp_lt_f32_e64 s0, v3, v4
	v_cndmask_b32_e64 v2, v3, v4, s0
	v_and_b32_e32 v3, 31, v0
	ds_bpermute_b32 v4, v10, v2
	v_cmp_eq_u32_e64 s0, 0, v3
	s_and_saveexec_b32 s2, s0
	s_cbranch_execz .LBB103_6
; %bb.5:
	s_waitcnt lgkmcnt(0)
	v_cmp_lt_f32_e64 s1, v2, v4
	v_add_nc_u32_e32 v12, s7, v11
	v_cndmask_b32_e64 v2, v2, v4, s1
	ds_write_b32 v12, v2
.LBB103_6:
	s_or_b32 exec_lo, exec_lo, s2
	s_waitcnt lgkmcnt(0)
	s_barrier
	buffer_gl0_inv
	s_load_dword s4, s[4:5], 0x24
	v_mov_b32_e32 v2, 0xff7fffff
	v_lshl_add_u32 v12, v3, 2, s7
	s_waitcnt lgkmcnt(0)
	s_bfe_u32 s1, s4, 0xb0005
	v_cmp_gt_u32_e64 s1, s1, v0
	s_and_saveexec_b32 s2, s1
	s_cbranch_execnz .LBB103_24
; %bb.7:
	s_or_b32 exec_lo, exec_lo, s2
	v_cmp_gt_u32_e64 s2, 32, v0
	s_and_saveexec_b32 s5, s2
	s_cbranch_execnz .LBB103_25
.LBB103_8:
	s_or_b32 exec_lo, exec_lo, s5
	v_cmp_eq_u32_e64 s3, 0, v0
	s_and_saveexec_b32 s5, s3
	s_cbranch_execz .LBB103_10
.LBB103_9:
	v_mov_b32_e32 v3, s7
	s_waitcnt lgkmcnt(0)
	ds_write_b32 v3, v2
.LBB103_10:
	s_or_b32 exec_lo, exec_lo, s5
	s_waitcnt lgkmcnt(0)
	v_mov_b32_e32 v2, s7
	s_barrier
	buffer_gl0_inv
	v_mov_b32_e32 v14, 0
	ds_read_b32 v4, v2
	s_and_b32 s5, 0xffff, s4
	s_and_saveexec_b32 s10, vcc_lo
	s_cbranch_execz .LBB103_14
; %bb.11:
	v_mov_b32_e32 v3, v1
	v_lshl_add_u32 v13, v0, 4, 0
	v_mov_b32_e32 v14, 0
	v_mov_b32_e32 v2, v0
	s_mov_b32 s11, 0
	s_lshl_b32 s16, s5, 4
.LBB103_12:                             ; =>This Inner Loop Header: Depth=1
	ds_read_b128 v[15:18], v13
	v_add_co_u32 v2, s4, v2, s5
	v_add_co_ci_u32_e64 v3, null, 0, v3, s4
	v_add_nc_u32_e32 v13, s16, v13
	v_lshlrev_b64 v[19:20], 3, v[2:3]
	s_waitcnt lgkmcnt(0)
	v_cvt_f32_f16_e32 v21, v15
	v_cvt_f32_f16_sdwa v15, v15 dst_sel:DWORD dst_unused:UNUSED_PAD src0_sel:WORD_1
	v_cvt_f32_f16_e32 v22, v16
	v_cvt_f32_f16_sdwa v16, v16 dst_sel:DWORD dst_unused:UNUSED_PAD src0_sel:WORD_1
	v_cvt_f32_f16_e32 v23, v17
	v_sub_f32_e32 v21, v21, v4
	v_sub_f32_e32 v15, v15, v4
	;; [unrolled: 1-line block ×5, first 2 shown]
	v_mul_f32_e32 v25, 0x3fb8aa3b, v21
	v_mul_f32_e32 v26, 0x3fb8aa3b, v15
	;; [unrolled: 1-line block ×4, first 2 shown]
	v_cmp_ngt_f32_e64 s4, 0xc2ce8ed0, v21
	v_fma_f32 v33, 0x3fb8aa3b, v21, -v25
	v_rndne_f32_e32 v34, v25
	v_fma_f32 v35, 0x3fb8aa3b, v15, -v26
	v_rndne_f32_e32 v36, v26
	v_fma_f32 v37, 0x3fb8aa3b, v22, -v27
	v_fmac_f32_e32 v33, 0x32a5705f, v21
	v_sub_f32_e32 v25, v25, v34
	v_fmac_f32_e32 v35, 0x32a5705f, v15
	v_sub_f32_e32 v26, v26, v36
	v_rndne_f32_e32 v38, v27
	v_cvt_i32_f32_e32 v34, v34
	v_add_f32_e32 v25, v25, v33
	v_fmac_f32_e32 v37, 0x32a5705f, v22
	v_add_f32_e32 v26, v26, v35
	v_sub_f32_e32 v27, v27, v38
	v_fma_f32 v39, 0x3fb8aa3b, v16, -v28
	v_exp_f32_e32 v25, v25
	v_rndne_f32_e32 v40, v28
	v_exp_f32_e32 v26, v26
	v_cvt_i32_f32_e32 v36, v36
	v_add_f32_e32 v27, v27, v37
	v_cvt_f32_f16_sdwa v17, v17 dst_sel:DWORD dst_unused:UNUSED_PAD src0_sel:WORD_1
	v_mul_f32_e32 v29, 0x3fb8aa3b, v23
	v_fmac_f32_e32 v39, 0x32a5705f, v16
	v_sub_f32_e32 v28, v28, v40
	v_exp_f32_e32 v27, v27
	v_ldexp_f32 v25, v25, v34
	v_sub_f32_e32 v17, v17, v4
	v_ldexp_f32 v26, v26, v36
	v_fma_f32 v41, 0x3fb8aa3b, v23, -v29
	v_rndne_f32_e32 v42, v29
	v_cndmask_b32_e64 v25, 0, v25, s4
	v_cmp_ngt_f32_e64 s4, 0xc2ce8ed0, v15
	v_cvt_i32_f32_e32 v38, v38
	v_add_f32_e32 v28, v28, v39
	v_cvt_f32_f16_e32 v24, v18
	v_mul_f32_e32 v30, 0x3fb8aa3b, v17
	v_cndmask_b32_e64 v26, 0, v26, s4
	v_cmp_nlt_f32_e64 s4, 0x42b17218, v21
	v_fmac_f32_e32 v41, 0x32a5705f, v23
	v_sub_f32_e32 v29, v29, v42
	v_exp_f32_e32 v28, v28
	v_ldexp_f32 v27, v27, v38
	v_cndmask_b32_e64 v21, 0x7f800000, v25, s4
	v_cmp_ngt_f32_e64 s4, 0xc2ce8ed0, v22
	v_sub_f32_e32 v24, v24, v4
	v_fma_f32 v43, 0x3fb8aa3b, v17, -v30
	v_rndne_f32_e32 v44, v30
	v_cvt_i32_f32_e32 v40, v40
	v_add_f32_e32 v29, v29, v41
	v_cndmask_b32_e64 v25, 0, v27, s4
	v_cmp_nlt_f32_e64 s4, 0x42b17218, v15
	v_cvt_f32_f16_sdwa v18, v18 dst_sel:DWORD dst_unused:UNUSED_PAD src0_sel:WORD_1
	v_mul_f32_e32 v31, 0x3fb8aa3b, v24
	v_fmac_f32_e32 v43, 0x32a5705f, v17
	v_sub_f32_e32 v30, v30, v44
	v_exp_f32_e32 v29, v29
	v_ldexp_f32 v28, v28, v40
	v_cndmask_b32_e64 v15, 0x7f800000, v26, s4
	v_cmp_ngt_f32_e64 s4, 0xc2ce8ed0, v16
	v_sub_f32_e32 v18, v18, v4
	v_fma_f32 v45, 0x3fb8aa3b, v24, -v31
	v_rndne_f32_e32 v46, v31
	v_cvt_i32_f32_e32 v42, v42
	v_add_f32_e32 v30, v30, v43
	v_add_f32_e32 v14, v14, v21
	v_cndmask_b32_e64 v21, 0, v28, s4
	v_cmp_nlt_f32_e64 s4, 0x42b17218, v22
	v_mul_f32_e32 v32, 0x3fb8aa3b, v18
	v_fmac_f32_e32 v45, 0x32a5705f, v24
	v_sub_f32_e32 v31, v31, v46
	v_exp_f32_e32 v30, v30
	v_ldexp_f32 v29, v29, v42
	v_cndmask_b32_e64 v22, 0x7f800000, v25, s4
	v_cmp_ngt_f32_e64 s4, 0xc2ce8ed0, v23
	v_fma_f32 v47, 0x3fb8aa3b, v18, -v32
	v_rndne_f32_e32 v48, v32
	v_cvt_i32_f32_e32 v44, v44
	v_add_f32_e32 v31, v31, v45
	v_add_f32_e32 v14, v14, v15
	v_cndmask_b32_e64 v15, 0, v29, s4
	v_cmp_nlt_f32_e64 s4, 0x42b17218, v16
	v_fmac_f32_e32 v47, 0x32a5705f, v18
	v_sub_f32_e32 v32, v32, v48
	v_exp_f32_e32 v31, v31
	v_ldexp_f32 v30, v30, v44
	v_cndmask_b32_e64 v16, 0x7f800000, v21, s4
	v_cmp_ngt_f32_e64 s4, 0xc2ce8ed0, v17
	v_cvt_i32_f32_e32 v46, v46
	v_add_f32_e32 v32, v32, v47
	v_add_f32_e32 v14, v14, v22
	v_cvt_i32_f32_e32 v48, v48
	v_cndmask_b32_e64 v21, 0, v30, s4
	v_cmp_nlt_f32_e64 s4, 0x42b17218, v23
	v_exp_f32_e32 v32, v32
	v_ldexp_f32 v31, v31, v46
	v_add_f32_e32 v14, v14, v16
	v_cndmask_b32_e64 v15, 0x7f800000, v15, s4
	v_cmp_ngt_f32_e64 s4, 0xc2ce8ed0, v24
	v_add_f32_e32 v14, v14, v15
	v_cndmask_b32_e64 v16, 0, v31, s4
	v_cmp_nlt_f32_e64 s4, 0x42b17218, v17
	v_ldexp_f32 v32, v32, v48
	v_cndmask_b32_e64 v17, 0x7f800000, v21, s4
	v_cmp_ngt_f32_e64 s4, 0xc2ce8ed0, v18
	v_add_f32_e32 v14, v14, v17
	v_cndmask_b32_e64 v15, 0, v32, s4
	v_cmp_nlt_f32_e64 s4, 0x42b17218, v24
	v_cndmask_b32_e64 v16, 0x7f800000, v16, s4
	v_cmp_nlt_f32_e64 s4, 0x42b17218, v18
	v_add_f32_e32 v14, v14, v16
	v_cndmask_b32_e64 v15, 0x7f800000, v15, s4
	v_cmp_le_i64_e64 s4, s[12:13], v[19:20]
	v_add_f32_e32 v14, v14, v15
	s_or_b32 s11, s4, s11
	s_andn2_b32 exec_lo, exec_lo, s11
	s_cbranch_execnz .LBB103_12
; %bb.13:
	s_or_b32 exec_lo, exec_lo, s11
.LBB103_14:
	s_or_b32 exec_lo, exec_lo, s10
	ds_bpermute_b32 v2, v5, v14
	s_waitcnt lgkmcnt(0)
	s_barrier
	buffer_gl0_inv
	v_add_f32_e32 v2, v14, v2
	ds_bpermute_b32 v3, v7, v2
	s_waitcnt lgkmcnt(0)
	v_add_f32_e32 v2, v2, v3
	ds_bpermute_b32 v3, v8, v2
	s_waitcnt lgkmcnt(0)
	;; [unrolled: 3-line block ×3, first 2 shown]
	v_add_f32_e32 v2, v2, v3
	ds_bpermute_b32 v3, v10, v2
	s_and_saveexec_b32 s4, s0
	s_cbranch_execz .LBB103_16
; %bb.15:
	v_add_nc_u32_e32 v11, s7, v11
	s_waitcnt lgkmcnt(0)
	v_add_f32_e32 v2, v2, v3
	ds_write_b32 v11, v2
.LBB103_16:
	s_or_b32 exec_lo, exec_lo, s4
	v_mov_b32_e32 v2, 0
	s_waitcnt lgkmcnt(0)
	s_barrier
	buffer_gl0_inv
	s_and_saveexec_b32 s0, s1
	s_cbranch_execnz .LBB103_26
; %bb.17:
	s_or_b32 exec_lo, exec_lo, s0
	s_and_saveexec_b32 s0, s2
	s_cbranch_execnz .LBB103_27
.LBB103_18:
	s_or_b32 exec_lo, exec_lo, s0
	s_and_saveexec_b32 s0, s3
	s_cbranch_execz .LBB103_20
.LBB103_19:
	v_mov_b32_e32 v3, s7
	s_waitcnt lgkmcnt(0)
	ds_write_b32 v3, v2
.LBB103_20:
	s_or_b32 exec_lo, exec_lo, s0
	s_waitcnt lgkmcnt(0)
	s_barrier
	buffer_gl0_inv
	s_and_saveexec_b32 s0, vcc_lo
	s_cbranch_execz .LBB103_23
; %bb.21:
	v_mov_b32_e32 v2, s7
	ds_read_b32 v2, v2
	s_waitcnt lgkmcnt(0)
	v_cmp_gt_f32_e32 vcc_lo, 0x800000, v2
	s_and_b32 s0, vcc_lo, exec_lo
	s_cselect_b32 s0, 32, 0
	s_add_i32 s7, s15, s14
	v_ldexp_f32 v2, v2, s0
	v_cndmask_b32_e64 v3, 0, 0x41b17218, vcc_lo
	s_lshl_b64 s[2:3], s[6:7], 1
	s_lshl_b32 s1, s5, 4
	s_add_u32 s0, s8, s2
	v_log_f32_e32 v2, v2
	s_addc_u32 s2, s9, s3
	v_mul_f32_e32 v5, 0x3f317217, v2
	v_cmp_gt_f32_e64 vcc_lo, 0x7f800000, |v2|
	v_fma_f32 v5, 0x3f317217, v2, -v5
	v_fmamk_f32 v7, v2, 0x3377d1cf, v5
	v_add_nc_u32_e32 v5, 0, v6
	v_fmac_f32_e32 v7, 0x3f317217, v2
	v_cndmask_b32_e32 v2, v2, v7, vcc_lo
	v_add_co_u32 v7, s0, s0, v6
	v_add_co_ci_u32_e64 v8, null, s2, 0, s0
	v_sub_f32_e32 v6, v2, v3
	v_add_co_u32 v2, vcc_lo, v7, 14
	v_add_co_ci_u32_e64 v3, null, 0, v8, vcc_lo
	s_mov_b32 s2, 0
.LBB103_22:                             ; =>This Inner Loop Header: Depth=1
	ds_read_b128 v[7:10], v5
	v_add_co_u32 v0, vcc_lo, v0, s5
	v_add_co_ci_u32_e64 v1, null, 0, v1, vcc_lo
	v_add_nc_u32_e32 v5, s1, v5
	v_lshlrev_b64 v[11:12], 3, v[0:1]
	v_cmp_le_i64_e32 vcc_lo, s[12:13], v[11:12]
	s_or_b32 s2, vcc_lo, s2
	s_waitcnt lgkmcnt(0)
	v_cvt_f32_f16_e32 v11, v7
	v_cvt_f32_f16_sdwa v7, v7 dst_sel:DWORD dst_unused:UNUSED_PAD src0_sel:WORD_1
	v_cvt_f32_f16_e32 v12, v8
	v_cvt_f32_f16_sdwa v8, v8 dst_sel:DWORD dst_unused:UNUSED_PAD src0_sel:WORD_1
	;; [unrolled: 2-line block ×4, first 2 shown]
	v_sub_f32_e32 v11, v11, v4
	v_sub_f32_e32 v7, v7, v4
	;; [unrolled: 1-line block ×16, first 2 shown]
	v_cvt_f16_f32_e32 v11, v11
	v_cvt_f16_f32_e32 v12, v12
	;; [unrolled: 1-line block ×8, first 2 shown]
	v_pack_b32_f16 v10, v14, v10
	v_pack_b32_f16 v9, v13, v9
	;; [unrolled: 1-line block ×4, first 2 shown]
	global_store_dwordx4 v[2:3], v[7:10], off offset:-14
	v_add_co_u32 v2, s0, v2, s1
	v_add_co_ci_u32_e64 v3, null, 0, v3, s0
	s_andn2_b32 exec_lo, exec_lo, s2
	s_cbranch_execnz .LBB103_22
.LBB103_23:
	s_endpgm
.LBB103_24:
	ds_read_b32 v2, v12
	s_or_b32 exec_lo, exec_lo, s2
	v_cmp_gt_u32_e64 s2, 32, v0
	s_and_saveexec_b32 s5, s2
	s_cbranch_execz .LBB103_8
.LBB103_25:
	s_waitcnt lgkmcnt(0)
	ds_bpermute_b32 v3, v5, v2
	s_waitcnt lgkmcnt(0)
	v_cmp_lt_f32_e64 s3, v2, v3
	v_cndmask_b32_e64 v2, v2, v3, s3
	ds_bpermute_b32 v3, v7, v2
	s_waitcnt lgkmcnt(0)
	v_cmp_lt_f32_e64 s3, v2, v3
	v_cndmask_b32_e64 v2, v2, v3, s3
	;; [unrolled: 4-line block ×5, first 2 shown]
	s_or_b32 exec_lo, exec_lo, s5
	v_cmp_eq_u32_e64 s3, 0, v0
	s_and_saveexec_b32 s5, s3
	s_cbranch_execnz .LBB103_9
	s_branch .LBB103_10
.LBB103_26:
	ds_read_b32 v2, v12
	s_or_b32 exec_lo, exec_lo, s0
	s_and_saveexec_b32 s0, s2
	s_cbranch_execz .LBB103_18
.LBB103_27:
	s_waitcnt lgkmcnt(0)
	ds_bpermute_b32 v3, v5, v2
	s_waitcnt lgkmcnt(0)
	v_add_f32_e32 v2, v2, v3
	ds_bpermute_b32 v3, v7, v2
	s_waitcnt lgkmcnt(0)
	v_add_f32_e32 v2, v2, v3
	;; [unrolled: 3-line block ×5, first 2 shown]
	s_or_b32 exec_lo, exec_lo, s0
	s_and_saveexec_b32 s0, s3
	s_cbranch_execnz .LBB103_19
	s_branch .LBB103_20
	.section	.rodata,"a",@progbits
	.p2align	6, 0x0
	.amdhsa_kernel _ZN2at6native12_GLOBAL__N_123cunn_SoftMaxForwardSmemILi8EN3c104HalfEfS4_NS1_25LogSoftMaxForwardEpilogueElEEvPT2_PKT0_T4_
		.amdhsa_group_segment_fixed_size 0
		.amdhsa_private_segment_fixed_size 0
		.amdhsa_kernarg_size 280
		.amdhsa_user_sgpr_count 6
		.amdhsa_user_sgpr_private_segment_buffer 1
		.amdhsa_user_sgpr_dispatch_ptr 0
		.amdhsa_user_sgpr_queue_ptr 0
		.amdhsa_user_sgpr_kernarg_segment_ptr 1
		.amdhsa_user_sgpr_dispatch_id 0
		.amdhsa_user_sgpr_flat_scratch_init 0
		.amdhsa_user_sgpr_private_segment_size 0
		.amdhsa_wavefront_size32 1
		.amdhsa_uses_dynamic_stack 0
		.amdhsa_system_sgpr_private_segment_wavefront_offset 0
		.amdhsa_system_sgpr_workgroup_id_x 1
		.amdhsa_system_sgpr_workgroup_id_y 0
		.amdhsa_system_sgpr_workgroup_id_z 0
		.amdhsa_system_sgpr_workgroup_info 0
		.amdhsa_system_vgpr_workitem_id 0
		.amdhsa_next_free_vgpr 49
		.amdhsa_next_free_sgpr 17
		.amdhsa_reserve_vcc 1
		.amdhsa_reserve_flat_scratch 0
		.amdhsa_float_round_mode_32 0
		.amdhsa_float_round_mode_16_64 0
		.amdhsa_float_denorm_mode_32 3
		.amdhsa_float_denorm_mode_16_64 3
		.amdhsa_dx10_clamp 1
		.amdhsa_ieee_mode 1
		.amdhsa_fp16_overflow 0
		.amdhsa_workgroup_processor_mode 1
		.amdhsa_memory_ordered 1
		.amdhsa_forward_progress 1
		.amdhsa_shared_vgpr_count 0
		.amdhsa_exception_fp_ieee_invalid_op 0
		.amdhsa_exception_fp_denorm_src 0
		.amdhsa_exception_fp_ieee_div_zero 0
		.amdhsa_exception_fp_ieee_overflow 0
		.amdhsa_exception_fp_ieee_underflow 0
		.amdhsa_exception_fp_ieee_inexact 0
		.amdhsa_exception_int_div_zero 0
	.end_amdhsa_kernel
	.section	.text._ZN2at6native12_GLOBAL__N_123cunn_SoftMaxForwardSmemILi8EN3c104HalfEfS4_NS1_25LogSoftMaxForwardEpilogueElEEvPT2_PKT0_T4_,"axG",@progbits,_ZN2at6native12_GLOBAL__N_123cunn_SoftMaxForwardSmemILi8EN3c104HalfEfS4_NS1_25LogSoftMaxForwardEpilogueElEEvPT2_PKT0_T4_,comdat
.Lfunc_end103:
	.size	_ZN2at6native12_GLOBAL__N_123cunn_SoftMaxForwardSmemILi8EN3c104HalfEfS4_NS1_25LogSoftMaxForwardEpilogueElEEvPT2_PKT0_T4_, .Lfunc_end103-_ZN2at6native12_GLOBAL__N_123cunn_SoftMaxForwardSmemILi8EN3c104HalfEfS4_NS1_25LogSoftMaxForwardEpilogueElEEvPT2_PKT0_T4_
                                        ; -- End function
	.set _ZN2at6native12_GLOBAL__N_123cunn_SoftMaxForwardSmemILi8EN3c104HalfEfS4_NS1_25LogSoftMaxForwardEpilogueElEEvPT2_PKT0_T4_.num_vgpr, 49
	.set _ZN2at6native12_GLOBAL__N_123cunn_SoftMaxForwardSmemILi8EN3c104HalfEfS4_NS1_25LogSoftMaxForwardEpilogueElEEvPT2_PKT0_T4_.num_agpr, 0
	.set _ZN2at6native12_GLOBAL__N_123cunn_SoftMaxForwardSmemILi8EN3c104HalfEfS4_NS1_25LogSoftMaxForwardEpilogueElEEvPT2_PKT0_T4_.numbered_sgpr, 17
	.set _ZN2at6native12_GLOBAL__N_123cunn_SoftMaxForwardSmemILi8EN3c104HalfEfS4_NS1_25LogSoftMaxForwardEpilogueElEEvPT2_PKT0_T4_.num_named_barrier, 0
	.set _ZN2at6native12_GLOBAL__N_123cunn_SoftMaxForwardSmemILi8EN3c104HalfEfS4_NS1_25LogSoftMaxForwardEpilogueElEEvPT2_PKT0_T4_.private_seg_size, 0
	.set _ZN2at6native12_GLOBAL__N_123cunn_SoftMaxForwardSmemILi8EN3c104HalfEfS4_NS1_25LogSoftMaxForwardEpilogueElEEvPT2_PKT0_T4_.uses_vcc, 1
	.set _ZN2at6native12_GLOBAL__N_123cunn_SoftMaxForwardSmemILi8EN3c104HalfEfS4_NS1_25LogSoftMaxForwardEpilogueElEEvPT2_PKT0_T4_.uses_flat_scratch, 0
	.set _ZN2at6native12_GLOBAL__N_123cunn_SoftMaxForwardSmemILi8EN3c104HalfEfS4_NS1_25LogSoftMaxForwardEpilogueElEEvPT2_PKT0_T4_.has_dyn_sized_stack, 0
	.set _ZN2at6native12_GLOBAL__N_123cunn_SoftMaxForwardSmemILi8EN3c104HalfEfS4_NS1_25LogSoftMaxForwardEpilogueElEEvPT2_PKT0_T4_.has_recursion, 0
	.set _ZN2at6native12_GLOBAL__N_123cunn_SoftMaxForwardSmemILi8EN3c104HalfEfS4_NS1_25LogSoftMaxForwardEpilogueElEEvPT2_PKT0_T4_.has_indirect_call, 0
	.section	.AMDGPU.csdata,"",@progbits
; Kernel info:
; codeLenInByte = 2824
; TotalNumSgprs: 19
; NumVgprs: 49
; ScratchSize: 0
; MemoryBound: 0
; FloatMode: 240
; IeeeMode: 1
; LDSByteSize: 0 bytes/workgroup (compile time only)
; SGPRBlocks: 0
; VGPRBlocks: 6
; NumSGPRsForWavesPerEU: 19
; NumVGPRsForWavesPerEU: 49
; Occupancy: 16
; WaveLimiterHint : 0
; COMPUTE_PGM_RSRC2:SCRATCH_EN: 0
; COMPUTE_PGM_RSRC2:USER_SGPR: 6
; COMPUTE_PGM_RSRC2:TRAP_HANDLER: 0
; COMPUTE_PGM_RSRC2:TGID_X_EN: 1
; COMPUTE_PGM_RSRC2:TGID_Y_EN: 0
; COMPUTE_PGM_RSRC2:TGID_Z_EN: 0
; COMPUTE_PGM_RSRC2:TIDIG_COMP_CNT: 0
	.section	.text._ZN2at6native12_GLOBAL__N_119cunn_SoftMaxForwardILi8EN3c104HalfEfS4_NS1_25LogSoftMaxForwardEpilogueEEEvPT2_PKT0_i,"axG",@progbits,_ZN2at6native12_GLOBAL__N_119cunn_SoftMaxForwardILi8EN3c104HalfEfS4_NS1_25LogSoftMaxForwardEpilogueEEEvPT2_PKT0_i,comdat
	.globl	_ZN2at6native12_GLOBAL__N_119cunn_SoftMaxForwardILi8EN3c104HalfEfS4_NS1_25LogSoftMaxForwardEpilogueEEEvPT2_PKT0_i ; -- Begin function _ZN2at6native12_GLOBAL__N_119cunn_SoftMaxForwardILi8EN3c104HalfEfS4_NS1_25LogSoftMaxForwardEpilogueEEEvPT2_PKT0_i
	.p2align	8
	.type	_ZN2at6native12_GLOBAL__N_119cunn_SoftMaxForwardILi8EN3c104HalfEfS4_NS1_25LogSoftMaxForwardEpilogueEEEvPT2_PKT0_i,@function
_ZN2at6native12_GLOBAL__N_119cunn_SoftMaxForwardILi8EN3c104HalfEfS4_NS1_25LogSoftMaxForwardEpilogueEEEvPT2_PKT0_i: ; @_ZN2at6native12_GLOBAL__N_119cunn_SoftMaxForwardILi8EN3c104HalfEfS4_NS1_25LogSoftMaxForwardEpilogueEEEvPT2_PKT0_i
; %bb.0:
	s_clause 0x1
	s_load_dword s7, s[4:5], 0x10
	s_load_dwordx4 s[8:11], s[4:5], 0x0
	s_mov_b32 s13, 0
	s_waitcnt lgkmcnt(0)
	s_ashr_i32 s0, s7, 31
	s_mul_hi_u32 s1, s7, s6
	s_mul_i32 s2, s0, s6
	s_mul_i32 s0, s7, s6
	s_add_i32 s1, s1, s2
	s_lshl_b64 s[14:15], s[0:1], 1
	s_add_u32 s10, s10, s14
	s_addc_u32 s11, s11, s15
	s_bfe_u32 s12, s10, 0x30001
	s_cmp_lg_u32 s12, 0
	s_cselect_b32 s18, -1, 0
	s_add_u32 s2, s4, 24
	s_addc_u32 s3, s5, 0
	s_and_b32 vcc_lo, exec_lo, s18
	s_cbranch_vccz .LBB104_25
; %bb.1:
	s_lshl_b64 s[0:1], s[12:13], 1
	v_cmp_le_u32_e32 vcc_lo, s12, v0
	s_sub_u32 s16, s10, s0
	s_subb_u32 s17, s11, s1
	s_add_i32 s1, s12, s7
	v_mov_b32_e32 v4, 0xff7fffff
	v_cmp_gt_i32_e64 s0, s1, v0
	s_and_b32 s2, vcc_lo, s0
	s_and_saveexec_b32 s0, s2
	s_cbranch_execz .LBB104_3
; %bb.2:
	v_lshlrev_b32_e32 v1, 1, v0
	global_load_ushort v1, v1, s[16:17]
	s_waitcnt vmcnt(0)
	v_cvt_f32_f16_e32 v1, v1
	v_max_f32_e32 v4, 0xff7fffff, v1
.LBB104_3:
	s_or_b32 exec_lo, exec_lo, s0
	s_load_dword s0, s[4:5], 0x24
	s_add_u32 s2, s4, 24
	s_addc_u32 s3, s5, 0
	s_waitcnt lgkmcnt(0)
	s_and_b32 s0, s0, 0xffff
	v_sub_nc_u32_e64 v1, s1, s0 clamp
	s_lshl_b32 s0, s0, 1
	s_add_u32 s0, s16, s0
	s_addc_u32 s1, s17, 0
	v_readfirstlane_b32 s13, v1
	s_branch .LBB104_5
.LBB104_4:
	v_mov_b32_e32 v4, 0xff7fffff
	s_mov_b32 s13, s7
	s_mov_b64 s[0:1], s[10:11]
.LBB104_5:
	s_load_dword s16, s[2:3], 0x0
	v_mov_b32_e32 v1, 0
	v_lshlrev_b32_e32 v3, 3, v0
	s_waitcnt lgkmcnt(0)
	s_cmp_lt_u32 s6, s16
	s_cselect_b32 s16, 12, 18
	s_add_u32 s2, s2, s16
	s_addc_u32 s3, s3, 0
	global_load_ushort v5, v1, s[2:3]
	s_waitcnt vmcnt(0)
	v_readfirstlane_b32 s2, v5
	s_lshl_b32 s2, s2, 3
	v_cvt_f32_u32_e32 v1, s2
	s_sub_i32 s16, 0, s2
	v_rcp_iflag_f32_e32 v1, v1
	v_mul_f32_e32 v1, 0x4f7ffffe, v1
	v_cvt_u32_f32_e32 v1, v1
	v_readfirstlane_b32 s3, v1
	s_mul_i32 s16, s16, s3
	s_mul_hi_u32 s16, s3, s16
	s_add_i32 s3, s3, s16
	s_mul_hi_u32 s3, s13, s3
	s_mul_i32 s3, s3, s2
	s_sub_i32 s3, s13, s3
	s_sub_i32 s16, s3, s2
	s_cmp_ge_u32 s3, s2
	s_cselect_b32 s3, s16, s3
	s_sub_i32 s16, s3, s2
	s_cmp_ge_u32 s3, s2
	s_cselect_b32 s2, s16, s3
	s_mov_b32 s16, 0
	s_sub_i32 s2, s13, s2
	s_mov_b32 s3, exec_lo
	v_cmpx_gt_i32_e64 s2, v3
	s_cbranch_execz .LBB104_9
; %bb.6:
	v_mov_b32_e32 v1, v0
	s_inst_prefetch 0x1
	.p2align	6
.LBB104_7:                              ; =>This Inner Loop Header: Depth=1
	v_ashrrev_i32_e32 v2, 31, v1
	v_lshlrev_b64 v[6:7], 4, v[1:2]
	v_add_nc_u32_e32 v1, v1, v5
	v_add_co_u32 v6, vcc_lo, s0, v6
	v_add_co_ci_u32_e64 v7, null, s1, v7, vcc_lo
	global_load_dwordx4 v[6:9], v[6:7], off
	s_waitcnt vmcnt(0)
	v_cvt_f32_f16_e32 v2, v6
	v_cvt_f32_f16_sdwa v6, v6 dst_sel:DWORD dst_unused:UNUSED_PAD src0_sel:WORD_1
	v_cvt_f32_f16_e32 v10, v7
	v_cvt_f32_f16_sdwa v7, v7 dst_sel:DWORD dst_unused:UNUSED_PAD src0_sel:WORD_1
	v_max3_f32 v2, v4, v2, v6
	v_cvt_f32_f16_e32 v4, v8
	v_cvt_f32_f16_sdwa v6, v8 dst_sel:DWORD dst_unused:UNUSED_PAD src0_sel:WORD_1
	v_cvt_f32_f16_e32 v8, v9
	v_cvt_f32_f16_sdwa v9, v9 dst_sel:DWORD dst_unused:UNUSED_PAD src0_sel:WORD_1
	v_max3_f32 v2, v2, v10, v7
	v_lshlrev_b32_e32 v7, 3, v1
	v_max3_f32 v2, v2, v4, v6
	v_cmp_le_i32_e32 vcc_lo, s2, v7
	v_max3_f32 v4, v2, v8, v9
	s_or_b32 s16, vcc_lo, s16
	s_andn2_b32 exec_lo, exec_lo, s16
	s_cbranch_execnz .LBB104_7
; %bb.8:
	s_inst_prefetch 0x2
	s_or_b32 exec_lo, exec_lo, s16
.LBB104_9:
	s_or_b32 exec_lo, exec_lo, s3
	v_add_nc_u32_e32 v1, s2, v0
	s_mov_b32 s2, exec_lo
	v_cmpx_gt_i32_e64 s13, v1
	s_cbranch_execz .LBB104_13
; %bb.10:
	s_mov_b32 s3, 0
	.p2align	6
.LBB104_11:                             ; =>This Inner Loop Header: Depth=1
	v_ashrrev_i32_e32 v2, 31, v1
	v_max_f32_e32 v4, v4, v4
	v_lshlrev_b64 v[6:7], 1, v[1:2]
	v_add_nc_u32_e32 v1, v1, v5
	v_add_co_u32 v6, vcc_lo, s0, v6
	v_add_co_ci_u32_e64 v7, null, s1, v7, vcc_lo
	v_cmp_le_i32_e32 vcc_lo, s13, v1
	global_load_ushort v2, v[6:7], off
	s_or_b32 s3, vcc_lo, s3
	s_waitcnt vmcnt(0)
	v_cvt_f32_f16_e32 v2, v2
	v_max_f32_e32 v4, v4, v2
	s_andn2_b32 exec_lo, exec_lo, s3
	s_cbranch_execnz .LBB104_11
; %bb.12:
	s_or_b32 exec_lo, exec_lo, s3
.LBB104_13:
	s_or_b32 exec_lo, exec_lo, s2
	v_mbcnt_lo_u32_b32 v1, -1, 0
	v_lshrrev_b32_e32 v12, 3, v0
	s_barrier
	buffer_gl0_inv
	v_lshl_or_b32 v7, v1, 2, 64
	v_cmp_gt_u32_e32 vcc_lo, 24, v1
	ds_bpermute_b32 v2, v7, v4
	v_cndmask_b32_e64 v5, 0, 8, vcc_lo
	v_add_lshl_u32 v8, v5, v1, 2
	s_waitcnt lgkmcnt(0)
	v_cmp_lt_f32_e32 vcc_lo, v4, v2
	v_cndmask_b32_e32 v2, v4, v2, vcc_lo
	v_cmp_gt_u32_e32 vcc_lo, 28, v1
	ds_bpermute_b32 v4, v8, v2
	v_cndmask_b32_e64 v5, 0, 4, vcc_lo
	v_add_lshl_u32 v9, v5, v1, 2
	s_waitcnt lgkmcnt(0)
	v_cmp_lt_f32_e32 vcc_lo, v2, v4
	v_cndmask_b32_e32 v2, v2, v4, vcc_lo
	;; [unrolled: 7-line block ×3, first 2 shown]
	v_cmp_ne_u32_e32 vcc_lo, 31, v1
	ds_bpermute_b32 v4, v10, v2
	v_add_co_ci_u32_e64 v5, null, 0, v1, vcc_lo
	v_lshlrev_b32_e32 v11, 2, v5
	s_waitcnt lgkmcnt(0)
	v_cmp_lt_f32_e32 vcc_lo, v2, v4
	v_cndmask_b32_e32 v1, v2, v4, vcc_lo
	v_and_b32_e32 v2, 31, v0
	ds_bpermute_b32 v4, v11, v1
	v_cmp_eq_u32_e64 s0, 0, v2
	s_and_saveexec_b32 s1, s0
	s_cbranch_execz .LBB104_15
; %bb.14:
	s_waitcnt lgkmcnt(0)
	v_cmp_lt_f32_e32 vcc_lo, v1, v4
	v_add_nc_u32_e32 v5, 0, v12
	v_cndmask_b32_e32 v1, v1, v4, vcc_lo
	ds_write_b32 v5, v1
.LBB104_15:
	s_or_b32 exec_lo, exec_lo, s1
	s_waitcnt lgkmcnt(0)
	s_barrier
	buffer_gl0_inv
	s_load_dword s20, s[4:5], 0x24
	s_add_u32 s16, s4, 24
	s_addc_u32 s17, s5, 0
	v_mov_b32_e32 v1, 0xff7fffff
	v_lshl_add_u32 v13, v2, 2, 0
	s_waitcnt lgkmcnt(0)
	s_bfe_u32 s1, s20, 0xb0005
	v_cmp_gt_u32_e64 s1, s1, v0
	s_and_saveexec_b32 s2, s1
	s_cbranch_execnz .LBB104_23
; %bb.16:
	s_or_b32 exec_lo, exec_lo, s2
	v_cmp_gt_u32_e64 s2, 32, v0
	s_and_saveexec_b32 s3, s2
	s_cbranch_execnz .LBB104_24
.LBB104_17:
	s_or_b32 exec_lo, exec_lo, s3
	v_cmp_eq_u32_e64 s3, 0, v0
	s_and_saveexec_b32 s4, s3
	s_cbranch_execz .LBB104_19
.LBB104_18:
	v_mov_b32_e32 v2, 0
	s_waitcnt lgkmcnt(0)
	ds_write_b32 v2, v1
.LBB104_19:
	s_or_b32 exec_lo, exec_lo, s4
	v_mov_b32_e32 v14, 0
	s_waitcnt lgkmcnt(0)
	s_barrier
	buffer_gl0_inv
	v_cndmask_b32_e64 v6, 0, 1, s18
	ds_read_b32 v4, v14
	s_andn2_b32 vcc_lo, exec_lo, s18
	s_mov_b32 s13, 0
	s_cbranch_vccnz .LBB104_26
; %bb.20:
	s_lshl_b64 s[4:5], s[12:13], 1
	v_cmp_le_u32_e32 vcc_lo, s12, v0
	s_sub_u32 s18, s10, s4
	s_subb_u32 s19, s11, s5
	s_add_i32 s5, s12, s7
	v_mov_b32_e32 v14, 0
	v_cmp_gt_i32_e64 s4, s5, v0
	s_and_b32 s13, vcc_lo, s4
	s_and_saveexec_b32 s4, s13
	s_cbranch_execz .LBB104_22
; %bb.21:
	v_lshlrev_b32_e32 v1, 1, v0
	global_load_ushort v1, v1, s[18:19]
	s_waitcnt vmcnt(0)
	v_cvt_f32_f16_e32 v1, v1
	s_waitcnt lgkmcnt(0)
	v_sub_f32_e32 v1, v1, v4
	v_mul_f32_e32 v2, 0x3fb8aa3b, v1
	v_cmp_ngt_f32_e32 vcc_lo, 0xc2ce8ed0, v1
	v_fma_f32 v5, 0x3fb8aa3b, v1, -v2
	v_rndne_f32_e32 v14, v2
	v_fmamk_f32 v5, v1, 0x32a5705f, v5
	v_sub_f32_e32 v2, v2, v14
	v_add_f32_e32 v2, v2, v5
	v_cvt_i32_f32_e32 v5, v14
	v_exp_f32_e32 v2, v2
	v_ldexp_f32 v2, v2, v5
	v_cndmask_b32_e32 v2, 0, v2, vcc_lo
	v_cmp_nlt_f32_e32 vcc_lo, 0x42b17218, v1
	v_cndmask_b32_e32 v14, 0x7f800000, v2, vcc_lo
.LBB104_22:
	s_or_b32 exec_lo, exec_lo, s4
	s_and_b32 s4, 0xffff, s20
	v_sub_nc_u32_e64 v1, s5, s4 clamp
	s_lshl_b32 s4, s4, 1
	s_add_u32 s4, s18, s4
	s_addc_u32 s5, s19, 0
	v_readfirstlane_b32 s13, v1
	s_branch .LBB104_27
.LBB104_23:
	ds_read_b32 v1, v13
	s_or_b32 exec_lo, exec_lo, s2
	v_cmp_gt_u32_e64 s2, 32, v0
	s_and_saveexec_b32 s3, s2
	s_cbranch_execz .LBB104_17
.LBB104_24:
	s_waitcnt lgkmcnt(0)
	ds_bpermute_b32 v2, v7, v1
	s_waitcnt lgkmcnt(0)
	v_cmp_lt_f32_e32 vcc_lo, v1, v2
	v_cndmask_b32_e32 v1, v1, v2, vcc_lo
	ds_bpermute_b32 v2, v8, v1
	s_waitcnt lgkmcnt(0)
	v_cmp_lt_f32_e32 vcc_lo, v1, v2
	v_cndmask_b32_e32 v1, v1, v2, vcc_lo
	;; [unrolled: 4-line block ×5, first 2 shown]
	s_or_b32 exec_lo, exec_lo, s3
	v_cmp_eq_u32_e64 s3, 0, v0
	s_and_saveexec_b32 s4, s3
	s_cbranch_execnz .LBB104_18
	s_branch .LBB104_19
.LBB104_25:
                                        ; implicit-def: $sgpr0_sgpr1
                                        ; implicit-def: $sgpr13
                                        ; implicit-def: $vgpr4
	s_cbranch_execnz .LBB104_4
	s_branch .LBB104_5
.LBB104_26:
	s_mov_b64 s[4:5], s[10:11]
	s_mov_b32 s13, s7
.LBB104_27:
	s_load_dword s18, s[16:17], 0x0
	v_mov_b32_e32 v1, 0
	s_mov_b32 s19, 0
	s_waitcnt lgkmcnt(0)
	s_cmp_lt_u32 s6, s18
	s_cselect_b32 s6, 12, 18
	s_add_u32 s16, s16, s6
	s_addc_u32 s17, s17, 0
	global_load_ushort v5, v1, s[16:17]
	s_waitcnt vmcnt(0)
	v_readfirstlane_b32 s6, v5
	s_lshl_b32 s6, s6, 3
	v_cvt_f32_u32_e32 v1, s6
	s_sub_i32 s17, 0, s6
	v_rcp_iflag_f32_e32 v1, v1
	v_mul_f32_e32 v1, 0x4f7ffffe, v1
	v_cvt_u32_f32_e32 v1, v1
	v_readfirstlane_b32 s16, v1
	s_mul_i32 s17, s17, s16
	s_mul_hi_u32 s17, s16, s17
	s_add_i32 s16, s16, s17
	s_mul_hi_u32 s17, s13, s16
	s_mul_i32 s17, s17, s6
	s_sub_i32 s17, s13, s17
	s_sub_i32 s18, s17, s6
	s_cmp_ge_u32 s17, s6
	s_cselect_b32 s17, s18, s17
	s_sub_i32 s18, s17, s6
	s_cmp_ge_u32 s17, s6
	s_cselect_b32 s17, s18, s17
	s_mov_b32 s18, exec_lo
	s_sub_i32 s17, s13, s17
	v_cmpx_gt_i32_e64 s17, v3
	s_cbranch_execz .LBB104_31
; %bb.28:
	v_mov_b32_e32 v1, v0
.LBB104_29:                             ; =>This Inner Loop Header: Depth=1
	v_ashrrev_i32_e32 v2, 31, v1
	v_lshlrev_b64 v[15:16], 4, v[1:2]
	v_add_nc_u32_e32 v1, v1, v5
	v_add_co_u32 v15, vcc_lo, s4, v15
	v_add_co_ci_u32_e64 v16, null, s5, v16, vcc_lo
	global_load_dwordx4 v[15:18], v[15:16], off
	s_waitcnt vmcnt(0)
	v_cvt_f32_f16_e32 v2, v15
	v_cvt_f32_f16_sdwa v15, v15 dst_sel:DWORD dst_unused:UNUSED_PAD src0_sel:WORD_1
	v_cvt_f32_f16_e32 v19, v16
	v_cvt_f32_f16_sdwa v16, v16 dst_sel:DWORD dst_unused:UNUSED_PAD src0_sel:WORD_1
	v_cvt_f32_f16_e32 v20, v17
	v_sub_f32_e32 v2, v2, v4
	v_sub_f32_e32 v15, v15, v4
	;; [unrolled: 1-line block ×5, first 2 shown]
	v_mul_f32_e32 v22, 0x3fb8aa3b, v2
	v_mul_f32_e32 v23, 0x3fb8aa3b, v15
	;; [unrolled: 1-line block ×4, first 2 shown]
	v_cmp_ngt_f32_e32 vcc_lo, 0xc2ce8ed0, v2
	v_fma_f32 v30, 0x3fb8aa3b, v2, -v22
	v_rndne_f32_e32 v31, v22
	v_fma_f32 v32, 0x3fb8aa3b, v15, -v23
	v_rndne_f32_e32 v33, v23
	v_fma_f32 v34, 0x3fb8aa3b, v19, -v24
	v_fmac_f32_e32 v30, 0x32a5705f, v2
	v_sub_f32_e32 v22, v22, v31
	v_fmac_f32_e32 v32, 0x32a5705f, v15
	v_sub_f32_e32 v23, v23, v33
	v_rndne_f32_e32 v35, v24
	v_cvt_i32_f32_e32 v31, v31
	v_add_f32_e32 v22, v22, v30
	v_fmac_f32_e32 v34, 0x32a5705f, v19
	v_add_f32_e32 v23, v23, v32
	v_sub_f32_e32 v24, v24, v35
	v_fma_f32 v36, 0x3fb8aa3b, v16, -v25
	v_exp_f32_e32 v22, v22
	v_rndne_f32_e32 v37, v25
	v_exp_f32_e32 v23, v23
	v_cvt_i32_f32_e32 v33, v33
	v_add_f32_e32 v24, v24, v34
	v_cvt_f32_f16_sdwa v17, v17 dst_sel:DWORD dst_unused:UNUSED_PAD src0_sel:WORD_1
	v_mul_f32_e32 v26, 0x3fb8aa3b, v20
	v_fmac_f32_e32 v36, 0x32a5705f, v16
	v_sub_f32_e32 v25, v25, v37
	v_exp_f32_e32 v24, v24
	v_ldexp_f32 v22, v22, v31
	v_sub_f32_e32 v17, v17, v4
	v_ldexp_f32 v23, v23, v33
	v_fma_f32 v38, 0x3fb8aa3b, v20, -v26
	v_rndne_f32_e32 v39, v26
	v_cndmask_b32_e32 v22, 0, v22, vcc_lo
	v_cmp_ngt_f32_e32 vcc_lo, 0xc2ce8ed0, v15
	v_cvt_i32_f32_e32 v35, v35
	v_add_f32_e32 v25, v25, v36
	v_cvt_f32_f16_e32 v21, v18
	v_mul_f32_e32 v27, 0x3fb8aa3b, v17
	v_cndmask_b32_e32 v23, 0, v23, vcc_lo
	v_cmp_nlt_f32_e32 vcc_lo, 0x42b17218, v2
	v_fmac_f32_e32 v38, 0x32a5705f, v20
	v_sub_f32_e32 v26, v26, v39
	v_exp_f32_e32 v25, v25
	v_ldexp_f32 v24, v24, v35
	v_cndmask_b32_e32 v2, 0x7f800000, v22, vcc_lo
	v_cmp_ngt_f32_e32 vcc_lo, 0xc2ce8ed0, v19
	v_sub_f32_e32 v21, v21, v4
	v_fma_f32 v40, 0x3fb8aa3b, v17, -v27
	v_rndne_f32_e32 v41, v27
	v_cvt_i32_f32_e32 v37, v37
	v_add_f32_e32 v26, v26, v38
	v_cndmask_b32_e32 v22, 0, v24, vcc_lo
	v_cmp_nlt_f32_e32 vcc_lo, 0x42b17218, v15
	v_cvt_f32_f16_sdwa v18, v18 dst_sel:DWORD dst_unused:UNUSED_PAD src0_sel:WORD_1
	v_mul_f32_e32 v28, 0x3fb8aa3b, v21
	v_fmac_f32_e32 v40, 0x32a5705f, v17
	v_sub_f32_e32 v27, v27, v41
	v_exp_f32_e32 v26, v26
	v_ldexp_f32 v25, v25, v37
	v_cndmask_b32_e32 v15, 0x7f800000, v23, vcc_lo
	v_cmp_ngt_f32_e32 vcc_lo, 0xc2ce8ed0, v16
	v_sub_f32_e32 v18, v18, v4
	v_fma_f32 v42, 0x3fb8aa3b, v21, -v28
	v_rndne_f32_e32 v43, v28
	v_cvt_i32_f32_e32 v39, v39
	v_add_f32_e32 v27, v27, v40
	v_add_f32_e32 v2, v14, v2
	v_cndmask_b32_e32 v14, 0, v25, vcc_lo
	v_cmp_nlt_f32_e32 vcc_lo, 0x42b17218, v19
	v_mul_f32_e32 v29, 0x3fb8aa3b, v18
	v_fmac_f32_e32 v42, 0x32a5705f, v21
	v_sub_f32_e32 v28, v28, v43
	v_exp_f32_e32 v27, v27
	v_ldexp_f32 v26, v26, v39
	v_cndmask_b32_e32 v19, 0x7f800000, v22, vcc_lo
	v_cmp_ngt_f32_e32 vcc_lo, 0xc2ce8ed0, v20
	v_fma_f32 v44, 0x3fb8aa3b, v18, -v29
	v_rndne_f32_e32 v45, v29
	v_cvt_i32_f32_e32 v41, v41
	v_add_f32_e32 v28, v28, v42
	v_add_f32_e32 v2, v2, v15
	v_cndmask_b32_e32 v15, 0, v26, vcc_lo
	v_cmp_nlt_f32_e32 vcc_lo, 0x42b17218, v16
	v_fmac_f32_e32 v44, 0x32a5705f, v18
	v_sub_f32_e32 v29, v29, v45
	v_exp_f32_e32 v28, v28
	v_ldexp_f32 v27, v27, v41
	v_cndmask_b32_e32 v14, 0x7f800000, v14, vcc_lo
	v_cmp_ngt_f32_e32 vcc_lo, 0xc2ce8ed0, v17
	v_cvt_i32_f32_e32 v43, v43
	v_add_f32_e32 v29, v29, v44
	v_add_f32_e32 v2, v2, v19
	v_cvt_i32_f32_e32 v45, v45
	v_cndmask_b32_e32 v16, 0, v27, vcc_lo
	v_cmp_nlt_f32_e32 vcc_lo, 0x42b17218, v20
	v_exp_f32_e32 v29, v29
	v_ldexp_f32 v28, v28, v43
	v_add_f32_e32 v2, v2, v14
	v_cndmask_b32_e32 v15, 0x7f800000, v15, vcc_lo
	v_cmp_ngt_f32_e32 vcc_lo, 0xc2ce8ed0, v21
	v_add_f32_e32 v2, v2, v15
	v_cndmask_b32_e32 v14, 0, v28, vcc_lo
	v_cmp_nlt_f32_e32 vcc_lo, 0x42b17218, v17
	v_ldexp_f32 v29, v29, v45
	v_cndmask_b32_e32 v16, 0x7f800000, v16, vcc_lo
	v_cmp_ngt_f32_e32 vcc_lo, 0xc2ce8ed0, v18
	v_add_f32_e32 v2, v2, v16
	v_cndmask_b32_e32 v15, 0, v29, vcc_lo
	v_cmp_nlt_f32_e32 vcc_lo, 0x42b17218, v21
	v_lshlrev_b32_e32 v16, 3, v1
	v_cndmask_b32_e32 v14, 0x7f800000, v14, vcc_lo
	v_cmp_nlt_f32_e32 vcc_lo, 0x42b17218, v18
	v_add_f32_e32 v2, v2, v14
	v_cndmask_b32_e32 v15, 0x7f800000, v15, vcc_lo
	v_cmp_le_i32_e32 vcc_lo, s17, v16
	v_add_f32_e32 v14, v2, v15
	s_or_b32 s19, vcc_lo, s19
	s_andn2_b32 exec_lo, exec_lo, s19
	s_cbranch_execnz .LBB104_29
; %bb.30:
	s_or_b32 exec_lo, exec_lo, s19
.LBB104_31:
	s_or_b32 exec_lo, exec_lo, s18
	v_add_nc_u32_e32 v1, s17, v0
	s_mov_b32 s17, exec_lo
	v_cmpx_gt_i32_e64 s13, v1
	s_cbranch_execz .LBB104_35
; %bb.32:
	s_mov_b32 s18, 0
	s_inst_prefetch 0x1
	.p2align	6
.LBB104_33:                             ; =>This Inner Loop Header: Depth=1
	v_ashrrev_i32_e32 v2, 31, v1
	v_lshlrev_b64 v[15:16], 1, v[1:2]
	v_add_nc_u32_e32 v1, v1, v5
	v_add_co_u32 v15, vcc_lo, s4, v15
	v_add_co_ci_u32_e64 v16, null, s5, v16, vcc_lo
	global_load_ushort v2, v[15:16], off
	s_waitcnt vmcnt(0)
	v_cvt_f32_f16_e32 v2, v2
	v_sub_f32_e32 v2, v2, v4
	v_mul_f32_e32 v15, 0x3fb8aa3b, v2
	v_cmp_ngt_f32_e32 vcc_lo, 0xc2ce8ed0, v2
	v_fma_f32 v16, 0x3fb8aa3b, v2, -v15
	v_rndne_f32_e32 v17, v15
	v_fmac_f32_e32 v16, 0x32a5705f, v2
	v_sub_f32_e32 v15, v15, v17
	v_add_f32_e32 v15, v15, v16
	v_cvt_i32_f32_e32 v16, v17
	v_exp_f32_e32 v15, v15
	v_ldexp_f32 v15, v15, v16
	v_cndmask_b32_e32 v15, 0, v15, vcc_lo
	v_cmp_nlt_f32_e32 vcc_lo, 0x42b17218, v2
	v_cndmask_b32_e32 v2, 0x7f800000, v15, vcc_lo
	v_cmp_le_i32_e32 vcc_lo, s13, v1
	v_add_f32_e32 v14, v14, v2
	s_or_b32 s18, vcc_lo, s18
	s_andn2_b32 exec_lo, exec_lo, s18
	s_cbranch_execnz .LBB104_33
; %bb.34:
	s_inst_prefetch 0x2
	s_or_b32 exec_lo, exec_lo, s18
.LBB104_35:
	s_or_b32 exec_lo, exec_lo, s17
	ds_bpermute_b32 v1, v7, v14
	s_waitcnt lgkmcnt(0)
	s_barrier
	buffer_gl0_inv
	v_add_f32_e32 v1, v14, v1
	ds_bpermute_b32 v2, v8, v1
	s_waitcnt lgkmcnt(0)
	v_add_f32_e32 v1, v1, v2
	ds_bpermute_b32 v2, v9, v1
	s_waitcnt lgkmcnt(0)
	;; [unrolled: 3-line block ×3, first 2 shown]
	v_add_f32_e32 v1, v1, v2
	ds_bpermute_b32 v2, v11, v1
	s_and_saveexec_b32 s4, s0
	s_cbranch_execz .LBB104_37
; %bb.36:
	v_add_nc_u32_e32 v12, 0, v12
	s_waitcnt lgkmcnt(0)
	v_add_f32_e32 v1, v1, v2
	ds_write_b32 v12, v1
.LBB104_37:
	s_or_b32 exec_lo, exec_lo, s4
	v_mov_b32_e32 v1, 0
	s_waitcnt lgkmcnt(0)
	s_barrier
	buffer_gl0_inv
	s_and_saveexec_b32 s0, s1
	s_cbranch_execnz .LBB104_58
; %bb.38:
	s_or_b32 exec_lo, exec_lo, s0
	s_and_saveexec_b32 s0, s2
	s_cbranch_execnz .LBB104_59
.LBB104_39:
	s_or_b32 exec_lo, exec_lo, s0
	s_and_saveexec_b32 s0, s3
	s_cbranch_execz .LBB104_41
.LBB104_40:
	v_mov_b32_e32 v2, 0
	s_waitcnt lgkmcnt(0)
	ds_write_b32 v2, v1
.LBB104_41:
	s_or_b32 exec_lo, exec_lo, s0
	s_waitcnt lgkmcnt(0)
	v_mov_b32_e32 v1, 0
	s_barrier
	buffer_gl0_inv
	s_and_b32 s17, 0xffff, s20
	ds_read_b32 v1, v1
	s_add_u32 s1, s8, s14
	s_addc_u32 s5, s9, s15
	s_bfe_u32 s0, s1, 0x30001
	s_waitcnt lgkmcnt(0)
	v_cmp_gt_f32_e32 vcc_lo, 0x800000, v1
	s_and_b32 s2, vcc_lo, exec_lo
	s_cselect_b32 s2, 32, 0
	v_cndmask_b32_e64 v2, 0, 0x41b17218, vcc_lo
	v_ldexp_f32 v1, v1, s2
	s_cmp_lg_u32 s12, s0
	s_mov_b32 s0, -1
	v_log_f32_e32 v1, v1
	v_mul_f32_e32 v7, 0x3f317217, v1
	v_cmp_gt_f32_e64 vcc_lo, 0x7f800000, |v1|
	v_fma_f32 v7, 0x3f317217, v1, -v7
	v_fmamk_f32 v7, v1, 0x3377d1cf, v7
	v_fmac_f32_e32 v7, 0x3f317217, v1
	v_cndmask_b32_e32 v1, v1, v7, vcc_lo
	v_sub_f32_e32 v7, v1, v2
	s_cbranch_scc0 .LBB104_46
; %bb.42:
	s_mov_b32 s2, exec_lo
	v_cmpx_gt_i32_e64 s7, v0
	s_cbranch_execz .LBB104_45
; %bb.43:
	v_mov_b32_e32 v1, v0
	s_mov_b32 s3, 0
	.p2align	6
.LBB104_44:                             ; =>This Inner Loop Header: Depth=1
	v_ashrrev_i32_e32 v2, 31, v1
	v_lshlrev_b64 v[8:9], 1, v[1:2]
	v_add_nc_u32_e32 v1, s17, v1
	v_add_co_u32 v10, vcc_lo, s10, v8
	v_add_co_ci_u32_e64 v11, null, s11, v9, vcc_lo
	v_cmp_le_i32_e32 vcc_lo, s7, v1
	v_add_co_u32 v8, s0, s1, v8
	global_load_ushort v2, v[10:11], off
	v_add_co_ci_u32_e64 v9, null, s5, v9, s0
	s_or_b32 s3, vcc_lo, s3
	s_waitcnt vmcnt(0)
	v_cvt_f32_f16_e32 v2, v2
	v_sub_f32_e32 v2, v2, v4
	v_sub_f32_e32 v2, v2, v7
	v_cvt_f16_f32_e32 v2, v2
	global_store_short v[8:9], v2, off
	s_andn2_b32 exec_lo, exec_lo, s3
	s_cbranch_execnz .LBB104_44
.LBB104_45:
	s_or_b32 exec_lo, exec_lo, s2
	s_mov_b32 s0, 0
.LBB104_46:
	s_andn2_b32 vcc_lo, exec_lo, s0
	s_cbranch_vccnz .LBB104_57
; %bb.47:
	v_cmp_ne_u32_e32 vcc_lo, 1, v6
	s_cbranch_vccnz .LBB104_51
; %bb.48:
	s_mov_b32 s13, 0
	v_cmp_le_u32_e32 vcc_lo, s12, v0
	s_lshl_b64 s[8:9], s[12:13], 1
	s_sub_u32 s2, s10, s8
	s_subb_u32 s3, s11, s9
	s_sub_u32 s4, s1, s8
	s_subb_u32 s5, s5, s9
	s_add_i32 s1, s12, s7
	v_cmp_gt_i32_e64 s0, s1, v0
	s_and_b32 s7, vcc_lo, s0
	s_and_saveexec_b32 s0, s7
	s_cbranch_execz .LBB104_50
; %bb.49:
	v_lshlrev_b32_e32 v1, 1, v0
	global_load_ushort v2, v1, s[2:3]
	s_waitcnt vmcnt(0)
	v_cvt_f32_f16_e32 v2, v2
	v_sub_f32_e32 v2, v2, v4
	v_sub_f32_e32 v2, v2, v7
	v_cvt_f16_f32_e32 v2, v2
	global_store_short v1, v2, s[4:5]
.LBB104_50:
	s_or_b32 exec_lo, exec_lo, s0
	v_sub_nc_u32_e64 v1, s1, s17 clamp
	s_lshl_b32 s0, s17, 1
	s_add_u32 s10, s2, s0
	s_addc_u32 s11, s3, 0
	v_readfirstlane_b32 s7, v1
	s_add_u32 s1, s4, s0
	s_addc_u32 s5, s5, 0
.LBB104_51:
	s_mul_hi_u32 s0, s7, s16
	s_mul_i32 s0, s0, s6
	s_sub_i32 s0, s7, s0
	s_sub_i32 s2, s0, s6
	s_cmp_ge_u32 s0, s6
	s_cselect_b32 s0, s2, s0
	s_sub_i32 s2, s0, s6
	s_cmp_ge_u32 s0, s6
	s_cselect_b32 s0, s2, s0
	s_mov_b32 s2, exec_lo
	s_sub_i32 s0, s7, s0
	v_cmpx_gt_i32_e64 s0, v3
	s_cbranch_execz .LBB104_54
; %bb.52:
	v_mov_b32_e32 v1, v0
	s_mov_b32 s3, 0
.LBB104_53:                             ; =>This Inner Loop Header: Depth=1
	v_ashrrev_i32_e32 v2, 31, v1
	v_lshlrev_b64 v[2:3], 4, v[1:2]
	v_add_nc_u32_e32 v1, v1, v5
	v_lshlrev_b32_e32 v6, 3, v1
	v_add_co_u32 v8, vcc_lo, s10, v2
	v_add_co_ci_u32_e64 v9, null, s11, v3, vcc_lo
	v_add_co_u32 v2, vcc_lo, s1, v2
	v_add_co_ci_u32_e64 v3, null, s5, v3, vcc_lo
	global_load_dwordx4 v[8:11], v[8:9], off
	v_cmp_le_i32_e32 vcc_lo, s0, v6
	s_or_b32 s3, vcc_lo, s3
	s_waitcnt vmcnt(0)
	v_cvt_f32_f16_e32 v12, v8
	v_cvt_f32_f16_sdwa v8, v8 dst_sel:DWORD dst_unused:UNUSED_PAD src0_sel:WORD_1
	v_cvt_f32_f16_e32 v13, v9
	v_cvt_f32_f16_sdwa v9, v9 dst_sel:DWORD dst_unused:UNUSED_PAD src0_sel:WORD_1
	;; [unrolled: 2-line block ×4, first 2 shown]
	v_sub_f32_e32 v12, v12, v4
	v_sub_f32_e32 v8, v8, v4
	;; [unrolled: 1-line block ×16, first 2 shown]
	v_cvt_f16_f32_e32 v12, v12
	v_cvt_f16_f32_e32 v13, v13
	v_cvt_f16_f32_e32 v14, v14
	v_cvt_f16_f32_e32 v15, v15
	v_cvt_f16_f32_e32 v11, v11
	v_cvt_f16_f32_e32 v10, v10
	v_cvt_f16_f32_e32 v9, v9
	v_cvt_f16_f32_e32 v8, v8
	v_pack_b32_f16 v11, v15, v11
	v_pack_b32_f16 v10, v14, v10
	;; [unrolled: 1-line block ×4, first 2 shown]
	global_store_dwordx4 v[2:3], v[8:11], off
	s_andn2_b32 exec_lo, exec_lo, s3
	s_cbranch_execnz .LBB104_53
.LBB104_54:
	s_or_b32 exec_lo, exec_lo, s2
	v_add_nc_u32_e32 v0, s0, v0
	s_mov_b32 s0, exec_lo
	v_cmpx_gt_i32_e64 s7, v0
	s_cbranch_execz .LBB104_57
; %bb.55:
	s_mov_b32 s2, 0
	.p2align	6
.LBB104_56:                             ; =>This Inner Loop Header: Depth=1
	v_ashrrev_i32_e32 v1, 31, v0
	v_lshlrev_b64 v[1:2], 1, v[0:1]
	v_add_nc_u32_e32 v0, v0, v5
	v_add_co_u32 v8, vcc_lo, s10, v1
	v_add_co_ci_u32_e64 v9, null, s11, v2, vcc_lo
	v_cmp_le_i32_e32 vcc_lo, s7, v0
	v_add_co_u32 v1, s0, s1, v1
	global_load_ushort v3, v[8:9], off
	v_add_co_ci_u32_e64 v2, null, s5, v2, s0
	s_or_b32 s2, vcc_lo, s2
	s_waitcnt vmcnt(0)
	v_cvt_f32_f16_e32 v3, v3
	v_sub_f32_e32 v3, v3, v4
	v_sub_f32_e32 v3, v3, v7
	v_cvt_f16_f32_e32 v3, v3
	global_store_short v[1:2], v3, off
	s_andn2_b32 exec_lo, exec_lo, s2
	s_cbranch_execnz .LBB104_56
.LBB104_57:
	s_endpgm
.LBB104_58:
	ds_read_b32 v1, v13
	s_or_b32 exec_lo, exec_lo, s0
	s_and_saveexec_b32 s0, s2
	s_cbranch_execz .LBB104_39
.LBB104_59:
	s_waitcnt lgkmcnt(0)
	ds_bpermute_b32 v2, v7, v1
	s_waitcnt lgkmcnt(0)
	v_add_f32_e32 v1, v1, v2
	ds_bpermute_b32 v2, v8, v1
	s_waitcnt lgkmcnt(0)
	v_add_f32_e32 v1, v1, v2
	;; [unrolled: 3-line block ×5, first 2 shown]
	s_or_b32 exec_lo, exec_lo, s0
	s_and_saveexec_b32 s0, s3
	s_cbranch_execnz .LBB104_40
	s_branch .LBB104_41
	.section	.rodata,"a",@progbits
	.p2align	6, 0x0
	.amdhsa_kernel _ZN2at6native12_GLOBAL__N_119cunn_SoftMaxForwardILi8EN3c104HalfEfS4_NS1_25LogSoftMaxForwardEpilogueEEEvPT2_PKT0_i
		.amdhsa_group_segment_fixed_size 0
		.amdhsa_private_segment_fixed_size 0
		.amdhsa_kernarg_size 280
		.amdhsa_user_sgpr_count 6
		.amdhsa_user_sgpr_private_segment_buffer 1
		.amdhsa_user_sgpr_dispatch_ptr 0
		.amdhsa_user_sgpr_queue_ptr 0
		.amdhsa_user_sgpr_kernarg_segment_ptr 1
		.amdhsa_user_sgpr_dispatch_id 0
		.amdhsa_user_sgpr_flat_scratch_init 0
		.amdhsa_user_sgpr_private_segment_size 0
		.amdhsa_wavefront_size32 1
		.amdhsa_uses_dynamic_stack 0
		.amdhsa_system_sgpr_private_segment_wavefront_offset 0
		.amdhsa_system_sgpr_workgroup_id_x 1
		.amdhsa_system_sgpr_workgroup_id_y 0
		.amdhsa_system_sgpr_workgroup_id_z 0
		.amdhsa_system_sgpr_workgroup_info 0
		.amdhsa_system_vgpr_workitem_id 0
		.amdhsa_next_free_vgpr 46
		.amdhsa_next_free_sgpr 21
		.amdhsa_reserve_vcc 1
		.amdhsa_reserve_flat_scratch 0
		.amdhsa_float_round_mode_32 0
		.amdhsa_float_round_mode_16_64 0
		.amdhsa_float_denorm_mode_32 3
		.amdhsa_float_denorm_mode_16_64 3
		.amdhsa_dx10_clamp 1
		.amdhsa_ieee_mode 1
		.amdhsa_fp16_overflow 0
		.amdhsa_workgroup_processor_mode 1
		.amdhsa_memory_ordered 1
		.amdhsa_forward_progress 1
		.amdhsa_shared_vgpr_count 0
		.amdhsa_exception_fp_ieee_invalid_op 0
		.amdhsa_exception_fp_denorm_src 0
		.amdhsa_exception_fp_ieee_div_zero 0
		.amdhsa_exception_fp_ieee_overflow 0
		.amdhsa_exception_fp_ieee_underflow 0
		.amdhsa_exception_fp_ieee_inexact 0
		.amdhsa_exception_int_div_zero 0
	.end_amdhsa_kernel
	.section	.text._ZN2at6native12_GLOBAL__N_119cunn_SoftMaxForwardILi8EN3c104HalfEfS4_NS1_25LogSoftMaxForwardEpilogueEEEvPT2_PKT0_i,"axG",@progbits,_ZN2at6native12_GLOBAL__N_119cunn_SoftMaxForwardILi8EN3c104HalfEfS4_NS1_25LogSoftMaxForwardEpilogueEEEvPT2_PKT0_i,comdat
.Lfunc_end104:
	.size	_ZN2at6native12_GLOBAL__N_119cunn_SoftMaxForwardILi8EN3c104HalfEfS4_NS1_25LogSoftMaxForwardEpilogueEEEvPT2_PKT0_i, .Lfunc_end104-_ZN2at6native12_GLOBAL__N_119cunn_SoftMaxForwardILi8EN3c104HalfEfS4_NS1_25LogSoftMaxForwardEpilogueEEEvPT2_PKT0_i
                                        ; -- End function
	.set _ZN2at6native12_GLOBAL__N_119cunn_SoftMaxForwardILi8EN3c104HalfEfS4_NS1_25LogSoftMaxForwardEpilogueEEEvPT2_PKT0_i.num_vgpr, 46
	.set _ZN2at6native12_GLOBAL__N_119cunn_SoftMaxForwardILi8EN3c104HalfEfS4_NS1_25LogSoftMaxForwardEpilogueEEEvPT2_PKT0_i.num_agpr, 0
	.set _ZN2at6native12_GLOBAL__N_119cunn_SoftMaxForwardILi8EN3c104HalfEfS4_NS1_25LogSoftMaxForwardEpilogueEEEvPT2_PKT0_i.numbered_sgpr, 21
	.set _ZN2at6native12_GLOBAL__N_119cunn_SoftMaxForwardILi8EN3c104HalfEfS4_NS1_25LogSoftMaxForwardEpilogueEEEvPT2_PKT0_i.num_named_barrier, 0
	.set _ZN2at6native12_GLOBAL__N_119cunn_SoftMaxForwardILi8EN3c104HalfEfS4_NS1_25LogSoftMaxForwardEpilogueEEEvPT2_PKT0_i.private_seg_size, 0
	.set _ZN2at6native12_GLOBAL__N_119cunn_SoftMaxForwardILi8EN3c104HalfEfS4_NS1_25LogSoftMaxForwardEpilogueEEEvPT2_PKT0_i.uses_vcc, 1
	.set _ZN2at6native12_GLOBAL__N_119cunn_SoftMaxForwardILi8EN3c104HalfEfS4_NS1_25LogSoftMaxForwardEpilogueEEEvPT2_PKT0_i.uses_flat_scratch, 0
	.set _ZN2at6native12_GLOBAL__N_119cunn_SoftMaxForwardILi8EN3c104HalfEfS4_NS1_25LogSoftMaxForwardEpilogueEEEvPT2_PKT0_i.has_dyn_sized_stack, 0
	.set _ZN2at6native12_GLOBAL__N_119cunn_SoftMaxForwardILi8EN3c104HalfEfS4_NS1_25LogSoftMaxForwardEpilogueEEEvPT2_PKT0_i.has_recursion, 0
	.set _ZN2at6native12_GLOBAL__N_119cunn_SoftMaxForwardILi8EN3c104HalfEfS4_NS1_25LogSoftMaxForwardEpilogueEEEvPT2_PKT0_i.has_indirect_call, 0
	.section	.AMDGPU.csdata,"",@progbits
; Kernel info:
; codeLenInByte = 4000
; TotalNumSgprs: 23
; NumVgprs: 46
; ScratchSize: 0
; MemoryBound: 0
; FloatMode: 240
; IeeeMode: 1
; LDSByteSize: 0 bytes/workgroup (compile time only)
; SGPRBlocks: 0
; VGPRBlocks: 5
; NumSGPRsForWavesPerEU: 23
; NumVGPRsForWavesPerEU: 46
; Occupancy: 16
; WaveLimiterHint : 0
; COMPUTE_PGM_RSRC2:SCRATCH_EN: 0
; COMPUTE_PGM_RSRC2:USER_SGPR: 6
; COMPUTE_PGM_RSRC2:TRAP_HANDLER: 0
; COMPUTE_PGM_RSRC2:TGID_X_EN: 1
; COMPUTE_PGM_RSRC2:TGID_Y_EN: 0
; COMPUTE_PGM_RSRC2:TGID_Z_EN: 0
; COMPUTE_PGM_RSRC2:TIDIG_COMP_CNT: 0
	.section	.text._ZN12_GLOBAL__N_120softmax_warp_forwardIN3c104HalfEffLi0ELb1ELb0ELi64EEEvPT0_PKT_iiiPKbib,"axG",@progbits,_ZN12_GLOBAL__N_120softmax_warp_forwardIN3c104HalfEffLi0ELb1ELb0ELi64EEEvPT0_PKT_iiiPKbib,comdat
	.globl	_ZN12_GLOBAL__N_120softmax_warp_forwardIN3c104HalfEffLi0ELb1ELb0ELi64EEEvPT0_PKT_iiiPKbib ; -- Begin function _ZN12_GLOBAL__N_120softmax_warp_forwardIN3c104HalfEffLi0ELb1ELb0ELi64EEEvPT0_PKT_iiiPKbib
	.p2align	8
	.type	_ZN12_GLOBAL__N_120softmax_warp_forwardIN3c104HalfEffLi0ELb1ELb0ELi64EEEvPT0_PKT_iiiPKbib,@function
_ZN12_GLOBAL__N_120softmax_warp_forwardIN3c104HalfEffLi0ELb1ELb0ELi64EEEvPT0_PKT_iiiPKbib: ; @_ZN12_GLOBAL__N_120softmax_warp_forwardIN3c104HalfEffLi0ELb1ELb0ELi64EEEvPT0_PKT_iiiPKbib
; %bb.0:
	s_clause 0x1
	s_load_dword s0, s[4:5], 0x3c
	s_load_dwordx8 s[8:15], s[4:5], 0x0
	v_mov_b32_e32 v6, 0xff800000
	v_mov_b32_e32 v7, 0xff800000
	s_waitcnt lgkmcnt(0)
	s_lshr_b32 s0, s0, 16
	v_cmp_gt_i32_e32 vcc_lo, s14, v0
	s_and_b32 s0, s0, 0xffff
	s_mul_i32 s6, s6, s0
	v_add_lshl_u32 v3, s6, v1, 1
	v_mad_u64_u32 v[1:2], null, v3, s13, v[0:1]
	v_sub_nc_u32_e32 v5, s12, v3
	v_cmp_lt_i32_e64 s0, 0, v5
	v_ashrrev_i32_e32 v2, 31, v1
	s_and_b32 s2, vcc_lo, s0
	v_lshlrev_b64 v[3:4], 1, v[1:2]
	v_add_co_u32 v3, s1, s10, v3
	v_add_co_ci_u32_e64 v4, null, s11, v4, s1
	s_and_saveexec_b32 s1, s2
	s_cbranch_execz .LBB105_2
; %bb.1:
	global_load_ushort v0, v[3:4], off
	s_waitcnt vmcnt(0)
	v_cvt_f32_f16_e32 v7, v0
.LBB105_2:
	s_or_b32 exec_lo, exec_lo, s1
	v_cmp_lt_i32_e64 s1, 1, v5
	s_and_b32 s1, vcc_lo, s1
	s_and_saveexec_b32 s2, s1
	s_cbranch_execz .LBB105_4
; %bb.3:
	s_mov_b32 s15, 0
	s_lshl_b64 s[4:5], s[14:15], 1
	v_add_co_u32 v3, s1, v3, s4
	v_add_co_ci_u32_e64 v4, null, s5, v4, s1
	global_load_ushort v0, v[3:4], off
	s_waitcnt vmcnt(0)
	v_cvt_f32_f16_e32 v6, v0
.LBB105_4:
	s_or_b32 exec_lo, exec_lo, s2
	s_and_saveexec_b32 s1, s0
	s_cbranch_execz .LBB105_9
; %bb.5:
	v_lshlrev_b64 v[0:1], 2, v[1:2]
	v_add_co_u32 v0, s0, s8, v0
	v_add_co_ci_u32_e64 v1, null, s9, v1, s0
	s_and_saveexec_b32 s2, vcc_lo
	s_cbranch_execz .LBB105_7
; %bb.6:
	v_sub_f32_e32 v2, v7, v7
	v_mul_f32_e32 v3, 0x3fb8aa3b, v2
	v_cmp_ngt_f32_e64 s0, 0xc2ce8ed0, v2
	v_rndne_f32_e32 v4, v3
	v_fma_f32 v7, 0x3fb8aa3b, v2, -v3
	v_sub_f32_e32 v3, v3, v4
	v_fmamk_f32 v7, v2, 0x32a5705f, v7
	v_cvt_i32_f32_e32 v4, v4
	v_add_f32_e32 v3, v3, v7
	v_exp_f32_e32 v3, v3
	v_ldexp_f32 v3, v3, v4
	v_cndmask_b32_e64 v3, 0, v3, s0
	v_cmp_nlt_f32_e64 s0, 0x42b17218, v2
	v_cndmask_b32_e64 v3, 0x7f800000, v3, s0
	v_cmp_gt_f32_e64 s0, 0x800000, v3
	v_cndmask_b32_e64 v4, 0, 32, s0
	v_ldexp_f32 v3, v3, v4
	v_log_f32_e32 v3, v3
	v_mul_f32_e32 v4, 0x3f317217, v3
	v_cmp_gt_f32_e64 s1, 0x7f800000, |v3|
	v_fma_f32 v4, 0x3f317217, v3, -v4
	v_fmamk_f32 v4, v3, 0x3377d1cf, v4
	v_fmac_f32_e32 v4, 0x3f317217, v3
	v_cndmask_b32_e64 v3, v3, v4, s1
	v_cndmask_b32_e64 v4, 0, 0x41b17218, s0
	v_sub_f32_e32 v3, v3, v4
	v_sub_f32_e32 v2, v2, v3
	global_store_dword v[0:1], v2, off
.LBB105_7:
	s_or_b32 exec_lo, exec_lo, s2
	v_cmp_ne_u32_e64 s0, 1, v5
	s_and_b32 s0, s0, vcc_lo
	s_and_b32 exec_lo, exec_lo, s0
	s_cbranch_execz .LBB105_9
; %bb.8:
	v_sub_f32_e32 v2, v6, v6
	s_mov_b32 s15, 0
	s_lshl_b64 s[0:1], s[14:15], 2
	v_mul_f32_e32 v3, 0x3fb8aa3b, v2
	v_cmp_ngt_f32_e32 vcc_lo, 0xc2ce8ed0, v2
	v_rndne_f32_e32 v4, v3
	v_fma_f32 v5, 0x3fb8aa3b, v2, -v3
	v_sub_f32_e32 v3, v3, v4
	v_fmamk_f32 v5, v2, 0x32a5705f, v5
	v_cvt_i32_f32_e32 v4, v4
	v_add_f32_e32 v3, v3, v5
	v_exp_f32_e32 v3, v3
	v_ldexp_f32 v3, v3, v4
	v_cndmask_b32_e32 v3, 0, v3, vcc_lo
	v_cmp_nlt_f32_e32 vcc_lo, 0x42b17218, v2
	v_cndmask_b32_e32 v3, 0x7f800000, v3, vcc_lo
	v_cmp_gt_f32_e32 vcc_lo, 0x800000, v3
	v_cndmask_b32_e64 v4, 0, 32, vcc_lo
	v_cndmask_b32_e64 v5, 0, 0x41b17218, vcc_lo
	v_ldexp_f32 v3, v3, v4
	v_log_f32_e32 v3, v3
	v_mul_f32_e32 v4, 0x3f317217, v3
	v_cmp_gt_f32_e64 vcc_lo, 0x7f800000, |v3|
	v_fma_f32 v4, 0x3f317217, v3, -v4
	v_fmamk_f32 v4, v3, 0x3377d1cf, v4
	v_fmac_f32_e32 v4, 0x3f317217, v3
	v_cndmask_b32_e32 v3, v3, v4, vcc_lo
	v_add_co_u32 v0, vcc_lo, v0, s0
	v_add_co_ci_u32_e64 v1, null, s1, v1, vcc_lo
	v_sub_f32_e32 v3, v3, v5
	v_sub_f32_e32 v2, v2, v3
	global_store_dword v[0:1], v2, off
.LBB105_9:
	s_endpgm
	.section	.rodata,"a",@progbits
	.p2align	6, 0x0
	.amdhsa_kernel _ZN12_GLOBAL__N_120softmax_warp_forwardIN3c104HalfEffLi0ELb1ELb0ELi64EEEvPT0_PKT_iiiPKbib
		.amdhsa_group_segment_fixed_size 0
		.amdhsa_private_segment_fixed_size 0
		.amdhsa_kernarg_size 304
		.amdhsa_user_sgpr_count 6
		.amdhsa_user_sgpr_private_segment_buffer 1
		.amdhsa_user_sgpr_dispatch_ptr 0
		.amdhsa_user_sgpr_queue_ptr 0
		.amdhsa_user_sgpr_kernarg_segment_ptr 1
		.amdhsa_user_sgpr_dispatch_id 0
		.amdhsa_user_sgpr_flat_scratch_init 0
		.amdhsa_user_sgpr_private_segment_size 0
		.amdhsa_wavefront_size32 1
		.amdhsa_uses_dynamic_stack 0
		.amdhsa_system_sgpr_private_segment_wavefront_offset 0
		.amdhsa_system_sgpr_workgroup_id_x 1
		.amdhsa_system_sgpr_workgroup_id_y 0
		.amdhsa_system_sgpr_workgroup_id_z 0
		.amdhsa_system_sgpr_workgroup_info 0
		.amdhsa_system_vgpr_workitem_id 1
		.amdhsa_next_free_vgpr 8
		.amdhsa_next_free_sgpr 16
		.amdhsa_reserve_vcc 1
		.amdhsa_reserve_flat_scratch 0
		.amdhsa_float_round_mode_32 0
		.amdhsa_float_round_mode_16_64 0
		.amdhsa_float_denorm_mode_32 3
		.amdhsa_float_denorm_mode_16_64 3
		.amdhsa_dx10_clamp 1
		.amdhsa_ieee_mode 1
		.amdhsa_fp16_overflow 0
		.amdhsa_workgroup_processor_mode 1
		.amdhsa_memory_ordered 1
		.amdhsa_forward_progress 1
		.amdhsa_shared_vgpr_count 0
		.amdhsa_exception_fp_ieee_invalid_op 0
		.amdhsa_exception_fp_denorm_src 0
		.amdhsa_exception_fp_ieee_div_zero 0
		.amdhsa_exception_fp_ieee_overflow 0
		.amdhsa_exception_fp_ieee_underflow 0
		.amdhsa_exception_fp_ieee_inexact 0
		.amdhsa_exception_int_div_zero 0
	.end_amdhsa_kernel
	.section	.text._ZN12_GLOBAL__N_120softmax_warp_forwardIN3c104HalfEffLi0ELb1ELb0ELi64EEEvPT0_PKT_iiiPKbib,"axG",@progbits,_ZN12_GLOBAL__N_120softmax_warp_forwardIN3c104HalfEffLi0ELb1ELb0ELi64EEEvPT0_PKT_iiiPKbib,comdat
.Lfunc_end105:
	.size	_ZN12_GLOBAL__N_120softmax_warp_forwardIN3c104HalfEffLi0ELb1ELb0ELi64EEEvPT0_PKT_iiiPKbib, .Lfunc_end105-_ZN12_GLOBAL__N_120softmax_warp_forwardIN3c104HalfEffLi0ELb1ELb0ELi64EEEvPT0_PKT_iiiPKbib
                                        ; -- End function
	.set _ZN12_GLOBAL__N_120softmax_warp_forwardIN3c104HalfEffLi0ELb1ELb0ELi64EEEvPT0_PKT_iiiPKbib.num_vgpr, 8
	.set _ZN12_GLOBAL__N_120softmax_warp_forwardIN3c104HalfEffLi0ELb1ELb0ELi64EEEvPT0_PKT_iiiPKbib.num_agpr, 0
	.set _ZN12_GLOBAL__N_120softmax_warp_forwardIN3c104HalfEffLi0ELb1ELb0ELi64EEEvPT0_PKT_iiiPKbib.numbered_sgpr, 16
	.set _ZN12_GLOBAL__N_120softmax_warp_forwardIN3c104HalfEffLi0ELb1ELb0ELi64EEEvPT0_PKT_iiiPKbib.num_named_barrier, 0
	.set _ZN12_GLOBAL__N_120softmax_warp_forwardIN3c104HalfEffLi0ELb1ELb0ELi64EEEvPT0_PKT_iiiPKbib.private_seg_size, 0
	.set _ZN12_GLOBAL__N_120softmax_warp_forwardIN3c104HalfEffLi0ELb1ELb0ELi64EEEvPT0_PKT_iiiPKbib.uses_vcc, 1
	.set _ZN12_GLOBAL__N_120softmax_warp_forwardIN3c104HalfEffLi0ELb1ELb0ELi64EEEvPT0_PKT_iiiPKbib.uses_flat_scratch, 0
	.set _ZN12_GLOBAL__N_120softmax_warp_forwardIN3c104HalfEffLi0ELb1ELb0ELi64EEEvPT0_PKT_iiiPKbib.has_dyn_sized_stack, 0
	.set _ZN12_GLOBAL__N_120softmax_warp_forwardIN3c104HalfEffLi0ELb1ELb0ELi64EEEvPT0_PKT_iiiPKbib.has_recursion, 0
	.set _ZN12_GLOBAL__N_120softmax_warp_forwardIN3c104HalfEffLi0ELb1ELb0ELi64EEEvPT0_PKT_iiiPKbib.has_indirect_call, 0
	.section	.AMDGPU.csdata,"",@progbits
; Kernel info:
; codeLenInByte = 720
; TotalNumSgprs: 18
; NumVgprs: 8
; ScratchSize: 0
; MemoryBound: 0
; FloatMode: 240
; IeeeMode: 1
; LDSByteSize: 0 bytes/workgroup (compile time only)
; SGPRBlocks: 0
; VGPRBlocks: 0
; NumSGPRsForWavesPerEU: 18
; NumVGPRsForWavesPerEU: 8
; Occupancy: 16
; WaveLimiterHint : 0
; COMPUTE_PGM_RSRC2:SCRATCH_EN: 0
; COMPUTE_PGM_RSRC2:USER_SGPR: 6
; COMPUTE_PGM_RSRC2:TRAP_HANDLER: 0
; COMPUTE_PGM_RSRC2:TGID_X_EN: 1
; COMPUTE_PGM_RSRC2:TGID_Y_EN: 0
; COMPUTE_PGM_RSRC2:TGID_Z_EN: 0
; COMPUTE_PGM_RSRC2:TIDIG_COMP_CNT: 1
	.section	.text._ZN12_GLOBAL__N_120softmax_warp_forwardIN3c104HalfEffLi0ELb1ELb0ELi32EEEvPT0_PKT_iiiPKbib,"axG",@progbits,_ZN12_GLOBAL__N_120softmax_warp_forwardIN3c104HalfEffLi0ELb1ELb0ELi32EEEvPT0_PKT_iiiPKbib,comdat
	.globl	_ZN12_GLOBAL__N_120softmax_warp_forwardIN3c104HalfEffLi0ELb1ELb0ELi32EEEvPT0_PKT_iiiPKbib ; -- Begin function _ZN12_GLOBAL__N_120softmax_warp_forwardIN3c104HalfEffLi0ELb1ELb0ELi32EEEvPT0_PKT_iiiPKbib
	.p2align	8
	.type	_ZN12_GLOBAL__N_120softmax_warp_forwardIN3c104HalfEffLi0ELb1ELb0ELi32EEEvPT0_PKT_iiiPKbib,@function
_ZN12_GLOBAL__N_120softmax_warp_forwardIN3c104HalfEffLi0ELb1ELb0ELi32EEEvPT0_PKT_iiiPKbib: ; @_ZN12_GLOBAL__N_120softmax_warp_forwardIN3c104HalfEffLi0ELb1ELb0ELi32EEEvPT0_PKT_iiiPKbib
; %bb.0:
	s_clause 0x1
	s_load_dword s0, s[4:5], 0x3c
	s_load_dwordx8 s[8:15], s[4:5], 0x0
	v_mov_b32_e32 v6, 0xff800000
	v_mov_b32_e32 v7, 0xff800000
	s_waitcnt lgkmcnt(0)
	s_lshr_b32 s0, s0, 16
	v_cmp_gt_i32_e32 vcc_lo, s14, v0
	s_and_b32 s0, s0, 0xffff
	s_mul_i32 s6, s6, s0
	v_add_lshl_u32 v3, s6, v1, 1
	v_mad_u64_u32 v[1:2], null, v3, s13, v[0:1]
	v_sub_nc_u32_e32 v5, s12, v3
	v_cmp_lt_i32_e64 s0, 0, v5
	v_ashrrev_i32_e32 v2, 31, v1
	s_and_b32 s2, vcc_lo, s0
	v_lshlrev_b64 v[3:4], 1, v[1:2]
	v_add_co_u32 v3, s1, s10, v3
	v_add_co_ci_u32_e64 v4, null, s11, v4, s1
	s_and_saveexec_b32 s1, s2
	s_cbranch_execz .LBB106_2
; %bb.1:
	global_load_ushort v0, v[3:4], off
	s_waitcnt vmcnt(0)
	v_cvt_f32_f16_e32 v7, v0
.LBB106_2:
	s_or_b32 exec_lo, exec_lo, s1
	v_cmp_lt_i32_e64 s1, 1, v5
	s_and_b32 s1, vcc_lo, s1
	s_and_saveexec_b32 s2, s1
	s_cbranch_execz .LBB106_4
; %bb.3:
	s_mov_b32 s15, 0
	s_lshl_b64 s[4:5], s[14:15], 1
	v_add_co_u32 v3, s1, v3, s4
	v_add_co_ci_u32_e64 v4, null, s5, v4, s1
	global_load_ushort v0, v[3:4], off
	s_waitcnt vmcnt(0)
	v_cvt_f32_f16_e32 v6, v0
.LBB106_4:
	s_or_b32 exec_lo, exec_lo, s2
	s_and_saveexec_b32 s1, s0
	s_cbranch_execz .LBB106_9
; %bb.5:
	v_lshlrev_b64 v[0:1], 2, v[1:2]
	v_add_co_u32 v0, s0, s8, v0
	v_add_co_ci_u32_e64 v1, null, s9, v1, s0
	s_and_saveexec_b32 s2, vcc_lo
	s_cbranch_execz .LBB106_7
; %bb.6:
	v_sub_f32_e32 v2, v7, v7
	v_mul_f32_e32 v3, 0x3fb8aa3b, v2
	v_cmp_ngt_f32_e64 s0, 0xc2ce8ed0, v2
	v_rndne_f32_e32 v4, v3
	v_fma_f32 v7, 0x3fb8aa3b, v2, -v3
	v_sub_f32_e32 v3, v3, v4
	v_fmamk_f32 v7, v2, 0x32a5705f, v7
	v_cvt_i32_f32_e32 v4, v4
	v_add_f32_e32 v3, v3, v7
	v_exp_f32_e32 v3, v3
	v_ldexp_f32 v3, v3, v4
	v_cndmask_b32_e64 v3, 0, v3, s0
	v_cmp_nlt_f32_e64 s0, 0x42b17218, v2
	v_cndmask_b32_e64 v3, 0x7f800000, v3, s0
	v_cmp_gt_f32_e64 s0, 0x800000, v3
	v_cndmask_b32_e64 v4, 0, 32, s0
	v_ldexp_f32 v3, v3, v4
	v_log_f32_e32 v3, v3
	v_mul_f32_e32 v4, 0x3f317217, v3
	v_cmp_gt_f32_e64 s1, 0x7f800000, |v3|
	v_fma_f32 v4, 0x3f317217, v3, -v4
	v_fmamk_f32 v4, v3, 0x3377d1cf, v4
	v_fmac_f32_e32 v4, 0x3f317217, v3
	v_cndmask_b32_e64 v3, v3, v4, s1
	v_cndmask_b32_e64 v4, 0, 0x41b17218, s0
	v_sub_f32_e32 v3, v3, v4
	v_sub_f32_e32 v2, v2, v3
	global_store_dword v[0:1], v2, off
.LBB106_7:
	s_or_b32 exec_lo, exec_lo, s2
	v_cmp_ne_u32_e64 s0, 1, v5
	s_and_b32 s0, s0, vcc_lo
	s_and_b32 exec_lo, exec_lo, s0
	s_cbranch_execz .LBB106_9
; %bb.8:
	v_sub_f32_e32 v2, v6, v6
	s_mov_b32 s15, 0
	s_lshl_b64 s[0:1], s[14:15], 2
	v_mul_f32_e32 v3, 0x3fb8aa3b, v2
	v_cmp_ngt_f32_e32 vcc_lo, 0xc2ce8ed0, v2
	v_rndne_f32_e32 v4, v3
	v_fma_f32 v5, 0x3fb8aa3b, v2, -v3
	v_sub_f32_e32 v3, v3, v4
	v_fmamk_f32 v5, v2, 0x32a5705f, v5
	v_cvt_i32_f32_e32 v4, v4
	v_add_f32_e32 v3, v3, v5
	v_exp_f32_e32 v3, v3
	v_ldexp_f32 v3, v3, v4
	v_cndmask_b32_e32 v3, 0, v3, vcc_lo
	v_cmp_nlt_f32_e32 vcc_lo, 0x42b17218, v2
	v_cndmask_b32_e32 v3, 0x7f800000, v3, vcc_lo
	v_cmp_gt_f32_e32 vcc_lo, 0x800000, v3
	v_cndmask_b32_e64 v4, 0, 32, vcc_lo
	v_cndmask_b32_e64 v5, 0, 0x41b17218, vcc_lo
	v_ldexp_f32 v3, v3, v4
	v_log_f32_e32 v3, v3
	v_mul_f32_e32 v4, 0x3f317217, v3
	v_cmp_gt_f32_e64 vcc_lo, 0x7f800000, |v3|
	v_fma_f32 v4, 0x3f317217, v3, -v4
	v_fmamk_f32 v4, v3, 0x3377d1cf, v4
	v_fmac_f32_e32 v4, 0x3f317217, v3
	v_cndmask_b32_e32 v3, v3, v4, vcc_lo
	v_add_co_u32 v0, vcc_lo, v0, s0
	v_add_co_ci_u32_e64 v1, null, s1, v1, vcc_lo
	v_sub_f32_e32 v3, v3, v5
	v_sub_f32_e32 v2, v2, v3
	global_store_dword v[0:1], v2, off
.LBB106_9:
	s_endpgm
	.section	.rodata,"a",@progbits
	.p2align	6, 0x0
	.amdhsa_kernel _ZN12_GLOBAL__N_120softmax_warp_forwardIN3c104HalfEffLi0ELb1ELb0ELi32EEEvPT0_PKT_iiiPKbib
		.amdhsa_group_segment_fixed_size 0
		.amdhsa_private_segment_fixed_size 0
		.amdhsa_kernarg_size 304
		.amdhsa_user_sgpr_count 6
		.amdhsa_user_sgpr_private_segment_buffer 1
		.amdhsa_user_sgpr_dispatch_ptr 0
		.amdhsa_user_sgpr_queue_ptr 0
		.amdhsa_user_sgpr_kernarg_segment_ptr 1
		.amdhsa_user_sgpr_dispatch_id 0
		.amdhsa_user_sgpr_flat_scratch_init 0
		.amdhsa_user_sgpr_private_segment_size 0
		.amdhsa_wavefront_size32 1
		.amdhsa_uses_dynamic_stack 0
		.amdhsa_system_sgpr_private_segment_wavefront_offset 0
		.amdhsa_system_sgpr_workgroup_id_x 1
		.amdhsa_system_sgpr_workgroup_id_y 0
		.amdhsa_system_sgpr_workgroup_id_z 0
		.amdhsa_system_sgpr_workgroup_info 0
		.amdhsa_system_vgpr_workitem_id 1
		.amdhsa_next_free_vgpr 8
		.amdhsa_next_free_sgpr 16
		.amdhsa_reserve_vcc 1
		.amdhsa_reserve_flat_scratch 0
		.amdhsa_float_round_mode_32 0
		.amdhsa_float_round_mode_16_64 0
		.amdhsa_float_denorm_mode_32 3
		.amdhsa_float_denorm_mode_16_64 3
		.amdhsa_dx10_clamp 1
		.amdhsa_ieee_mode 1
		.amdhsa_fp16_overflow 0
		.amdhsa_workgroup_processor_mode 1
		.amdhsa_memory_ordered 1
		.amdhsa_forward_progress 1
		.amdhsa_shared_vgpr_count 0
		.amdhsa_exception_fp_ieee_invalid_op 0
		.amdhsa_exception_fp_denorm_src 0
		.amdhsa_exception_fp_ieee_div_zero 0
		.amdhsa_exception_fp_ieee_overflow 0
		.amdhsa_exception_fp_ieee_underflow 0
		.amdhsa_exception_fp_ieee_inexact 0
		.amdhsa_exception_int_div_zero 0
	.end_amdhsa_kernel
	.section	.text._ZN12_GLOBAL__N_120softmax_warp_forwardIN3c104HalfEffLi0ELb1ELb0ELi32EEEvPT0_PKT_iiiPKbib,"axG",@progbits,_ZN12_GLOBAL__N_120softmax_warp_forwardIN3c104HalfEffLi0ELb1ELb0ELi32EEEvPT0_PKT_iiiPKbib,comdat
.Lfunc_end106:
	.size	_ZN12_GLOBAL__N_120softmax_warp_forwardIN3c104HalfEffLi0ELb1ELb0ELi32EEEvPT0_PKT_iiiPKbib, .Lfunc_end106-_ZN12_GLOBAL__N_120softmax_warp_forwardIN3c104HalfEffLi0ELb1ELb0ELi32EEEvPT0_PKT_iiiPKbib
                                        ; -- End function
	.set _ZN12_GLOBAL__N_120softmax_warp_forwardIN3c104HalfEffLi0ELb1ELb0ELi32EEEvPT0_PKT_iiiPKbib.num_vgpr, 8
	.set _ZN12_GLOBAL__N_120softmax_warp_forwardIN3c104HalfEffLi0ELb1ELb0ELi32EEEvPT0_PKT_iiiPKbib.num_agpr, 0
	.set _ZN12_GLOBAL__N_120softmax_warp_forwardIN3c104HalfEffLi0ELb1ELb0ELi32EEEvPT0_PKT_iiiPKbib.numbered_sgpr, 16
	.set _ZN12_GLOBAL__N_120softmax_warp_forwardIN3c104HalfEffLi0ELb1ELb0ELi32EEEvPT0_PKT_iiiPKbib.num_named_barrier, 0
	.set _ZN12_GLOBAL__N_120softmax_warp_forwardIN3c104HalfEffLi0ELb1ELb0ELi32EEEvPT0_PKT_iiiPKbib.private_seg_size, 0
	.set _ZN12_GLOBAL__N_120softmax_warp_forwardIN3c104HalfEffLi0ELb1ELb0ELi32EEEvPT0_PKT_iiiPKbib.uses_vcc, 1
	.set _ZN12_GLOBAL__N_120softmax_warp_forwardIN3c104HalfEffLi0ELb1ELb0ELi32EEEvPT0_PKT_iiiPKbib.uses_flat_scratch, 0
	.set _ZN12_GLOBAL__N_120softmax_warp_forwardIN3c104HalfEffLi0ELb1ELb0ELi32EEEvPT0_PKT_iiiPKbib.has_dyn_sized_stack, 0
	.set _ZN12_GLOBAL__N_120softmax_warp_forwardIN3c104HalfEffLi0ELb1ELb0ELi32EEEvPT0_PKT_iiiPKbib.has_recursion, 0
	.set _ZN12_GLOBAL__N_120softmax_warp_forwardIN3c104HalfEffLi0ELb1ELb0ELi32EEEvPT0_PKT_iiiPKbib.has_indirect_call, 0
	.section	.AMDGPU.csdata,"",@progbits
; Kernel info:
; codeLenInByte = 720
; TotalNumSgprs: 18
; NumVgprs: 8
; ScratchSize: 0
; MemoryBound: 0
; FloatMode: 240
; IeeeMode: 1
; LDSByteSize: 0 bytes/workgroup (compile time only)
; SGPRBlocks: 0
; VGPRBlocks: 0
; NumSGPRsForWavesPerEU: 18
; NumVGPRsForWavesPerEU: 8
; Occupancy: 16
; WaveLimiterHint : 0
; COMPUTE_PGM_RSRC2:SCRATCH_EN: 0
; COMPUTE_PGM_RSRC2:USER_SGPR: 6
; COMPUTE_PGM_RSRC2:TRAP_HANDLER: 0
; COMPUTE_PGM_RSRC2:TGID_X_EN: 1
; COMPUTE_PGM_RSRC2:TGID_Y_EN: 0
; COMPUTE_PGM_RSRC2:TGID_Z_EN: 0
; COMPUTE_PGM_RSRC2:TIDIG_COMP_CNT: 1
	.section	.text._ZN12_GLOBAL__N_120softmax_warp_forwardIN3c104HalfEffLi1ELb1ELb0ELi64EEEvPT0_PKT_iiiPKbib,"axG",@progbits,_ZN12_GLOBAL__N_120softmax_warp_forwardIN3c104HalfEffLi1ELb1ELb0ELi64EEEvPT0_PKT_iiiPKbib,comdat
	.globl	_ZN12_GLOBAL__N_120softmax_warp_forwardIN3c104HalfEffLi1ELb1ELb0ELi64EEEvPT0_PKT_iiiPKbib ; -- Begin function _ZN12_GLOBAL__N_120softmax_warp_forwardIN3c104HalfEffLi1ELb1ELb0ELi64EEEvPT0_PKT_iiiPKbib
	.p2align	8
	.type	_ZN12_GLOBAL__N_120softmax_warp_forwardIN3c104HalfEffLi1ELb1ELb0ELi64EEEvPT0_PKT_iiiPKbib,@function
_ZN12_GLOBAL__N_120softmax_warp_forwardIN3c104HalfEffLi1ELb1ELb0ELi64EEEvPT0_PKT_iiiPKbib: ; @_ZN12_GLOBAL__N_120softmax_warp_forwardIN3c104HalfEffLi1ELb1ELb0ELi64EEEvPT0_PKT_iiiPKbib
; %bb.0:
	s_clause 0x1
	s_load_dword s0, s[4:5], 0x3c
	s_load_dwordx8 s[8:15], s[4:5], 0x0
	v_mov_b32_e32 v6, 0xff800000
	s_waitcnt lgkmcnt(0)
	s_lshr_b32 s0, s0, 16
	v_cmp_gt_i32_e32 vcc_lo, s14, v0
	s_and_b32 s0, s0, 0xffff
	s_mul_i32 s6, s6, s0
	v_add_lshl_u32 v3, s6, v1, 1
	v_mad_u64_u32 v[1:2], null, v3, s13, v[0:1]
	v_sub_nc_u32_e32 v5, s12, v3
	v_mov_b32_e32 v0, 0xff800000
	v_cmp_lt_i32_e64 s0, 0, v5
	v_ashrrev_i32_e32 v2, 31, v1
	s_and_b32 s2, vcc_lo, s0
	v_lshlrev_b64 v[3:4], 1, v[1:2]
	v_add_co_u32 v3, s1, s10, v3
	v_add_co_ci_u32_e64 v4, null, s11, v4, s1
	s_and_saveexec_b32 s1, s2
	s_cbranch_execz .LBB107_2
; %bb.1:
	global_load_ushort v0, v[3:4], off
	s_waitcnt vmcnt(0)
	v_cvt_f32_f16_e32 v0, v0
.LBB107_2:
	s_or_b32 exec_lo, exec_lo, s1
	v_cmp_lt_i32_e64 s1, 1, v5
	s_and_b32 s1, vcc_lo, s1
	s_and_saveexec_b32 s2, s1
	s_cbranch_execz .LBB107_4
; %bb.3:
	s_mov_b32 s15, 0
	s_lshl_b64 s[4:5], s[14:15], 1
	v_add_co_u32 v3, s1, v3, s4
	v_add_co_ci_u32_e64 v4, null, s5, v4, s1
	global_load_ushort v3, v[3:4], off
	s_waitcnt vmcnt(0)
	v_cvt_f32_f16_e32 v6, v3
.LBB107_4:
	s_or_b32 exec_lo, exec_lo, s2
	v_mbcnt_lo_u32_b32 v3, -1, 0
	v_and_b32_e32 v4, 30, v3
	v_xor_b32_e32 v7, 1, v3
	v_add_nc_u32_e32 v4, 2, v4
	v_cmp_lt_i32_e64 s1, v7, v4
	v_cndmask_b32_e64 v3, v3, v7, s1
	v_lshlrev_b32_e32 v7, 2, v3
	ds_bpermute_b32 v3, v7, v0
	ds_bpermute_b32 v4, v7, v6
	s_waitcnt lgkmcnt(1)
	v_cmp_lt_f32_e64 s1, v0, v3
	v_cndmask_b32_e64 v3, v0, v3, s1
	s_waitcnt lgkmcnt(0)
	v_cmp_lt_f32_e64 s1, v6, v4
	v_cndmask_b32_e64 v8, v6, v4, s1
	v_sub_f32_e32 v4, v0, v3
	v_sub_f32_e32 v3, v6, v8
	v_mul_f32_e32 v0, 0x3fb8aa3b, v4
	v_cmp_ngt_f32_e64 s1, 0xc2ce8ed0, v4
	v_mul_f32_e32 v6, 0x3fb8aa3b, v3
	v_fma_f32 v8, 0x3fb8aa3b, v4, -v0
	v_rndne_f32_e32 v9, v0
	v_fma_f32 v10, 0x3fb8aa3b, v3, -v6
	v_rndne_f32_e32 v11, v6
	v_fmac_f32_e32 v8, 0x32a5705f, v4
	v_sub_f32_e32 v0, v0, v9
	v_fmac_f32_e32 v10, 0x32a5705f, v3
	v_sub_f32_e32 v6, v6, v11
	v_add_f32_e32 v0, v0, v8
	v_cvt_i32_f32_e32 v8, v9
	v_cvt_i32_f32_e32 v9, v11
	v_add_f32_e32 v6, v6, v10
	v_exp_f32_e32 v0, v0
	v_exp_f32_e32 v6, v6
	v_ldexp_f32 v0, v0, v8
	v_ldexp_f32 v6, v6, v9
	v_cndmask_b32_e64 v0, 0, v0, s1
	v_cmp_ngt_f32_e64 s1, 0xc2ce8ed0, v3
	v_cndmask_b32_e64 v6, 0, v6, s1
	v_cmp_nlt_f32_e64 s1, 0x42b17218, v4
	v_cndmask_b32_e64 v8, 0x7f800000, v0, s1
	v_cmp_nlt_f32_e64 s1, 0x42b17218, v3
	ds_bpermute_b32 v9, v7, v8
	v_cndmask_b32_e64 v6, 0x7f800000, v6, s1
	ds_bpermute_b32 v7, v7, v6
	s_and_saveexec_b32 s1, s0
	s_cbranch_execz .LBB107_9
; %bb.5:
	v_lshlrev_b64 v[0:1], 2, v[1:2]
	v_add_co_u32 v0, s0, s8, v0
	v_add_co_ci_u32_e64 v1, null, s9, v1, s0
	s_and_saveexec_b32 s2, vcc_lo
	s_cbranch_execz .LBB107_7
; %bb.6:
	s_waitcnt lgkmcnt(1)
	v_add_f32_e32 v2, v8, v9
	v_cmp_gt_f32_e64 s0, 0x800000, v2
	v_cndmask_b32_e64 v8, 0, 32, s0
	v_ldexp_f32 v2, v2, v8
	v_log_f32_e32 v2, v2
	v_mul_f32_e32 v8, 0x3f317217, v2
	v_cmp_gt_f32_e64 s1, 0x7f800000, |v2|
	v_fma_f32 v8, 0x3f317217, v2, -v8
	v_fmamk_f32 v8, v2, 0x3377d1cf, v8
	v_fmac_f32_e32 v8, 0x3f317217, v2
	v_cndmask_b32_e64 v2, v2, v8, s1
	v_cndmask_b32_e64 v8, 0, 0x41b17218, s0
	v_sub_f32_e32 v2, v2, v8
	v_sub_f32_e32 v2, v4, v2
	global_store_dword v[0:1], v2, off
.LBB107_7:
	s_or_b32 exec_lo, exec_lo, s2
	v_cmp_ne_u32_e64 s0, 1, v5
	s_and_b32 s0, s0, vcc_lo
	s_and_b32 exec_lo, exec_lo, s0
	s_cbranch_execz .LBB107_9
; %bb.8:
	s_waitcnt lgkmcnt(0)
	v_add_f32_e32 v2, v6, v7
	s_mov_b32 s15, 0
	s_lshl_b64 s[0:1], s[14:15], 2
	v_cmp_gt_f32_e32 vcc_lo, 0x800000, v2
	v_cndmask_b32_e64 v4, 0, 32, vcc_lo
	v_cndmask_b32_e64 v5, 0, 0x41b17218, vcc_lo
	v_ldexp_f32 v2, v2, v4
	v_log_f32_e32 v2, v2
	v_mul_f32_e32 v4, 0x3f317217, v2
	v_cmp_gt_f32_e64 vcc_lo, 0x7f800000, |v2|
	v_fma_f32 v4, 0x3f317217, v2, -v4
	v_fmamk_f32 v4, v2, 0x3377d1cf, v4
	v_fmac_f32_e32 v4, 0x3f317217, v2
	v_cndmask_b32_e32 v2, v2, v4, vcc_lo
	v_add_co_u32 v0, vcc_lo, v0, s0
	v_add_co_ci_u32_e64 v1, null, s1, v1, vcc_lo
	v_sub_f32_e32 v2, v2, v5
	v_sub_f32_e32 v2, v3, v2
	global_store_dword v[0:1], v2, off
.LBB107_9:
	s_endpgm
	.section	.rodata,"a",@progbits
	.p2align	6, 0x0
	.amdhsa_kernel _ZN12_GLOBAL__N_120softmax_warp_forwardIN3c104HalfEffLi1ELb1ELb0ELi64EEEvPT0_PKT_iiiPKbib
		.amdhsa_group_segment_fixed_size 0
		.amdhsa_private_segment_fixed_size 0
		.amdhsa_kernarg_size 304
		.amdhsa_user_sgpr_count 6
		.amdhsa_user_sgpr_private_segment_buffer 1
		.amdhsa_user_sgpr_dispatch_ptr 0
		.amdhsa_user_sgpr_queue_ptr 0
		.amdhsa_user_sgpr_kernarg_segment_ptr 1
		.amdhsa_user_sgpr_dispatch_id 0
		.amdhsa_user_sgpr_flat_scratch_init 0
		.amdhsa_user_sgpr_private_segment_size 0
		.amdhsa_wavefront_size32 1
		.amdhsa_uses_dynamic_stack 0
		.amdhsa_system_sgpr_private_segment_wavefront_offset 0
		.amdhsa_system_sgpr_workgroup_id_x 1
		.amdhsa_system_sgpr_workgroup_id_y 0
		.amdhsa_system_sgpr_workgroup_id_z 0
		.amdhsa_system_sgpr_workgroup_info 0
		.amdhsa_system_vgpr_workitem_id 1
		.amdhsa_next_free_vgpr 12
		.amdhsa_next_free_sgpr 16
		.amdhsa_reserve_vcc 1
		.amdhsa_reserve_flat_scratch 0
		.amdhsa_float_round_mode_32 0
		.amdhsa_float_round_mode_16_64 0
		.amdhsa_float_denorm_mode_32 3
		.amdhsa_float_denorm_mode_16_64 3
		.amdhsa_dx10_clamp 1
		.amdhsa_ieee_mode 1
		.amdhsa_fp16_overflow 0
		.amdhsa_workgroup_processor_mode 1
		.amdhsa_memory_ordered 1
		.amdhsa_forward_progress 1
		.amdhsa_shared_vgpr_count 0
		.amdhsa_exception_fp_ieee_invalid_op 0
		.amdhsa_exception_fp_denorm_src 0
		.amdhsa_exception_fp_ieee_div_zero 0
		.amdhsa_exception_fp_ieee_overflow 0
		.amdhsa_exception_fp_ieee_underflow 0
		.amdhsa_exception_fp_ieee_inexact 0
		.amdhsa_exception_int_div_zero 0
	.end_amdhsa_kernel
	.section	.text._ZN12_GLOBAL__N_120softmax_warp_forwardIN3c104HalfEffLi1ELb1ELb0ELi64EEEvPT0_PKT_iiiPKbib,"axG",@progbits,_ZN12_GLOBAL__N_120softmax_warp_forwardIN3c104HalfEffLi1ELb1ELb0ELi64EEEvPT0_PKT_iiiPKbib,comdat
.Lfunc_end107:
	.size	_ZN12_GLOBAL__N_120softmax_warp_forwardIN3c104HalfEffLi1ELb1ELb0ELi64EEEvPT0_PKT_iiiPKbib, .Lfunc_end107-_ZN12_GLOBAL__N_120softmax_warp_forwardIN3c104HalfEffLi1ELb1ELb0ELi64EEEvPT0_PKT_iiiPKbib
                                        ; -- End function
	.set _ZN12_GLOBAL__N_120softmax_warp_forwardIN3c104HalfEffLi1ELb1ELb0ELi64EEEvPT0_PKT_iiiPKbib.num_vgpr, 12
	.set _ZN12_GLOBAL__N_120softmax_warp_forwardIN3c104HalfEffLi1ELb1ELb0ELi64EEEvPT0_PKT_iiiPKbib.num_agpr, 0
	.set _ZN12_GLOBAL__N_120softmax_warp_forwardIN3c104HalfEffLi1ELb1ELb0ELi64EEEvPT0_PKT_iiiPKbib.numbered_sgpr, 16
	.set _ZN12_GLOBAL__N_120softmax_warp_forwardIN3c104HalfEffLi1ELb1ELb0ELi64EEEvPT0_PKT_iiiPKbib.num_named_barrier, 0
	.set _ZN12_GLOBAL__N_120softmax_warp_forwardIN3c104HalfEffLi1ELb1ELb0ELi64EEEvPT0_PKT_iiiPKbib.private_seg_size, 0
	.set _ZN12_GLOBAL__N_120softmax_warp_forwardIN3c104HalfEffLi1ELb1ELb0ELi64EEEvPT0_PKT_iiiPKbib.uses_vcc, 1
	.set _ZN12_GLOBAL__N_120softmax_warp_forwardIN3c104HalfEffLi1ELb1ELb0ELi64EEEvPT0_PKT_iiiPKbib.uses_flat_scratch, 0
	.set _ZN12_GLOBAL__N_120softmax_warp_forwardIN3c104HalfEffLi1ELb1ELb0ELi64EEEvPT0_PKT_iiiPKbib.has_dyn_sized_stack, 0
	.set _ZN12_GLOBAL__N_120softmax_warp_forwardIN3c104HalfEffLi1ELb1ELb0ELi64EEEvPT0_PKT_iiiPKbib.has_recursion, 0
	.set _ZN12_GLOBAL__N_120softmax_warp_forwardIN3c104HalfEffLi1ELb1ELb0ELi64EEEvPT0_PKT_iiiPKbib.has_indirect_call, 0
	.section	.AMDGPU.csdata,"",@progbits
; Kernel info:
; codeLenInByte = 864
; TotalNumSgprs: 18
; NumVgprs: 12
; ScratchSize: 0
; MemoryBound: 0
; FloatMode: 240
; IeeeMode: 1
; LDSByteSize: 0 bytes/workgroup (compile time only)
; SGPRBlocks: 0
; VGPRBlocks: 1
; NumSGPRsForWavesPerEU: 18
; NumVGPRsForWavesPerEU: 12
; Occupancy: 16
; WaveLimiterHint : 0
; COMPUTE_PGM_RSRC2:SCRATCH_EN: 0
; COMPUTE_PGM_RSRC2:USER_SGPR: 6
; COMPUTE_PGM_RSRC2:TRAP_HANDLER: 0
; COMPUTE_PGM_RSRC2:TGID_X_EN: 1
; COMPUTE_PGM_RSRC2:TGID_Y_EN: 0
; COMPUTE_PGM_RSRC2:TGID_Z_EN: 0
; COMPUTE_PGM_RSRC2:TIDIG_COMP_CNT: 1
	.section	.text._ZN12_GLOBAL__N_120softmax_warp_forwardIN3c104HalfEffLi1ELb1ELb0ELi32EEEvPT0_PKT_iiiPKbib,"axG",@progbits,_ZN12_GLOBAL__N_120softmax_warp_forwardIN3c104HalfEffLi1ELb1ELb0ELi32EEEvPT0_PKT_iiiPKbib,comdat
	.globl	_ZN12_GLOBAL__N_120softmax_warp_forwardIN3c104HalfEffLi1ELb1ELb0ELi32EEEvPT0_PKT_iiiPKbib ; -- Begin function _ZN12_GLOBAL__N_120softmax_warp_forwardIN3c104HalfEffLi1ELb1ELb0ELi32EEEvPT0_PKT_iiiPKbib
	.p2align	8
	.type	_ZN12_GLOBAL__N_120softmax_warp_forwardIN3c104HalfEffLi1ELb1ELb0ELi32EEEvPT0_PKT_iiiPKbib,@function
_ZN12_GLOBAL__N_120softmax_warp_forwardIN3c104HalfEffLi1ELb1ELb0ELi32EEEvPT0_PKT_iiiPKbib: ; @_ZN12_GLOBAL__N_120softmax_warp_forwardIN3c104HalfEffLi1ELb1ELb0ELi32EEEvPT0_PKT_iiiPKbib
; %bb.0:
	s_clause 0x1
	s_load_dword s0, s[4:5], 0x3c
	s_load_dwordx8 s[8:15], s[4:5], 0x0
	v_mov_b32_e32 v6, 0xff800000
	s_waitcnt lgkmcnt(0)
	s_lshr_b32 s0, s0, 16
	v_cmp_gt_i32_e32 vcc_lo, s14, v0
	s_and_b32 s0, s0, 0xffff
	s_mul_i32 s6, s6, s0
	v_add_lshl_u32 v3, s6, v1, 1
	v_mad_u64_u32 v[1:2], null, v3, s13, v[0:1]
	v_sub_nc_u32_e32 v5, s12, v3
	v_mov_b32_e32 v0, 0xff800000
	v_cmp_lt_i32_e64 s0, 0, v5
	v_ashrrev_i32_e32 v2, 31, v1
	s_and_b32 s2, vcc_lo, s0
	v_lshlrev_b64 v[3:4], 1, v[1:2]
	v_add_co_u32 v3, s1, s10, v3
	v_add_co_ci_u32_e64 v4, null, s11, v4, s1
	s_and_saveexec_b32 s1, s2
	s_cbranch_execz .LBB108_2
; %bb.1:
	global_load_ushort v0, v[3:4], off
	s_waitcnt vmcnt(0)
	v_cvt_f32_f16_e32 v0, v0
.LBB108_2:
	s_or_b32 exec_lo, exec_lo, s1
	v_cmp_lt_i32_e64 s1, 1, v5
	s_and_b32 s1, vcc_lo, s1
	s_and_saveexec_b32 s2, s1
	s_cbranch_execz .LBB108_4
; %bb.3:
	s_mov_b32 s15, 0
	s_lshl_b64 s[4:5], s[14:15], 1
	v_add_co_u32 v3, s1, v3, s4
	v_add_co_ci_u32_e64 v4, null, s5, v4, s1
	global_load_ushort v3, v[3:4], off
	s_waitcnt vmcnt(0)
	v_cvt_f32_f16_e32 v6, v3
.LBB108_4:
	s_or_b32 exec_lo, exec_lo, s2
	v_mbcnt_lo_u32_b32 v3, -1, 0
	v_and_b32_e32 v4, 30, v3
	v_xor_b32_e32 v7, 1, v3
	v_add_nc_u32_e32 v4, 2, v4
	v_cmp_lt_i32_e64 s1, v7, v4
	v_cndmask_b32_e64 v3, v3, v7, s1
	v_lshlrev_b32_e32 v7, 2, v3
	ds_bpermute_b32 v3, v7, v0
	ds_bpermute_b32 v4, v7, v6
	s_waitcnt lgkmcnt(1)
	v_cmp_lt_f32_e64 s1, v0, v3
	v_cndmask_b32_e64 v3, v0, v3, s1
	s_waitcnt lgkmcnt(0)
	v_cmp_lt_f32_e64 s1, v6, v4
	v_cndmask_b32_e64 v8, v6, v4, s1
	v_sub_f32_e32 v4, v0, v3
	v_sub_f32_e32 v3, v6, v8
	v_mul_f32_e32 v0, 0x3fb8aa3b, v4
	v_cmp_ngt_f32_e64 s1, 0xc2ce8ed0, v4
	v_mul_f32_e32 v6, 0x3fb8aa3b, v3
	v_fma_f32 v8, 0x3fb8aa3b, v4, -v0
	v_rndne_f32_e32 v9, v0
	v_fma_f32 v10, 0x3fb8aa3b, v3, -v6
	v_rndne_f32_e32 v11, v6
	v_fmac_f32_e32 v8, 0x32a5705f, v4
	v_sub_f32_e32 v0, v0, v9
	v_fmac_f32_e32 v10, 0x32a5705f, v3
	v_sub_f32_e32 v6, v6, v11
	v_add_f32_e32 v0, v0, v8
	v_cvt_i32_f32_e32 v8, v9
	v_cvt_i32_f32_e32 v9, v11
	v_add_f32_e32 v6, v6, v10
	v_exp_f32_e32 v0, v0
	v_exp_f32_e32 v6, v6
	v_ldexp_f32 v0, v0, v8
	v_ldexp_f32 v6, v6, v9
	v_cndmask_b32_e64 v0, 0, v0, s1
	v_cmp_ngt_f32_e64 s1, 0xc2ce8ed0, v3
	v_cndmask_b32_e64 v6, 0, v6, s1
	v_cmp_nlt_f32_e64 s1, 0x42b17218, v4
	v_cndmask_b32_e64 v8, 0x7f800000, v0, s1
	v_cmp_nlt_f32_e64 s1, 0x42b17218, v3
	ds_bpermute_b32 v9, v7, v8
	v_cndmask_b32_e64 v6, 0x7f800000, v6, s1
	ds_bpermute_b32 v7, v7, v6
	s_and_saveexec_b32 s1, s0
	s_cbranch_execz .LBB108_9
; %bb.5:
	v_lshlrev_b64 v[0:1], 2, v[1:2]
	v_add_co_u32 v0, s0, s8, v0
	v_add_co_ci_u32_e64 v1, null, s9, v1, s0
	s_and_saveexec_b32 s2, vcc_lo
	s_cbranch_execz .LBB108_7
; %bb.6:
	s_waitcnt lgkmcnt(1)
	v_add_f32_e32 v2, v8, v9
	v_cmp_gt_f32_e64 s0, 0x800000, v2
	v_cndmask_b32_e64 v8, 0, 32, s0
	v_ldexp_f32 v2, v2, v8
	v_log_f32_e32 v2, v2
	v_mul_f32_e32 v8, 0x3f317217, v2
	v_cmp_gt_f32_e64 s1, 0x7f800000, |v2|
	v_fma_f32 v8, 0x3f317217, v2, -v8
	v_fmamk_f32 v8, v2, 0x3377d1cf, v8
	v_fmac_f32_e32 v8, 0x3f317217, v2
	v_cndmask_b32_e64 v2, v2, v8, s1
	v_cndmask_b32_e64 v8, 0, 0x41b17218, s0
	v_sub_f32_e32 v2, v2, v8
	v_sub_f32_e32 v2, v4, v2
	global_store_dword v[0:1], v2, off
.LBB108_7:
	s_or_b32 exec_lo, exec_lo, s2
	v_cmp_ne_u32_e64 s0, 1, v5
	s_and_b32 s0, s0, vcc_lo
	s_and_b32 exec_lo, exec_lo, s0
	s_cbranch_execz .LBB108_9
; %bb.8:
	s_waitcnt lgkmcnt(0)
	v_add_f32_e32 v2, v6, v7
	s_mov_b32 s15, 0
	s_lshl_b64 s[0:1], s[14:15], 2
	v_cmp_gt_f32_e32 vcc_lo, 0x800000, v2
	v_cndmask_b32_e64 v4, 0, 32, vcc_lo
	v_cndmask_b32_e64 v5, 0, 0x41b17218, vcc_lo
	v_ldexp_f32 v2, v2, v4
	v_log_f32_e32 v2, v2
	v_mul_f32_e32 v4, 0x3f317217, v2
	v_cmp_gt_f32_e64 vcc_lo, 0x7f800000, |v2|
	v_fma_f32 v4, 0x3f317217, v2, -v4
	v_fmamk_f32 v4, v2, 0x3377d1cf, v4
	v_fmac_f32_e32 v4, 0x3f317217, v2
	v_cndmask_b32_e32 v2, v2, v4, vcc_lo
	v_add_co_u32 v0, vcc_lo, v0, s0
	v_add_co_ci_u32_e64 v1, null, s1, v1, vcc_lo
	v_sub_f32_e32 v2, v2, v5
	v_sub_f32_e32 v2, v3, v2
	global_store_dword v[0:1], v2, off
.LBB108_9:
	s_endpgm
	.section	.rodata,"a",@progbits
	.p2align	6, 0x0
	.amdhsa_kernel _ZN12_GLOBAL__N_120softmax_warp_forwardIN3c104HalfEffLi1ELb1ELb0ELi32EEEvPT0_PKT_iiiPKbib
		.amdhsa_group_segment_fixed_size 0
		.amdhsa_private_segment_fixed_size 0
		.amdhsa_kernarg_size 304
		.amdhsa_user_sgpr_count 6
		.amdhsa_user_sgpr_private_segment_buffer 1
		.amdhsa_user_sgpr_dispatch_ptr 0
		.amdhsa_user_sgpr_queue_ptr 0
		.amdhsa_user_sgpr_kernarg_segment_ptr 1
		.amdhsa_user_sgpr_dispatch_id 0
		.amdhsa_user_sgpr_flat_scratch_init 0
		.amdhsa_user_sgpr_private_segment_size 0
		.amdhsa_wavefront_size32 1
		.amdhsa_uses_dynamic_stack 0
		.amdhsa_system_sgpr_private_segment_wavefront_offset 0
		.amdhsa_system_sgpr_workgroup_id_x 1
		.amdhsa_system_sgpr_workgroup_id_y 0
		.amdhsa_system_sgpr_workgroup_id_z 0
		.amdhsa_system_sgpr_workgroup_info 0
		.amdhsa_system_vgpr_workitem_id 1
		.amdhsa_next_free_vgpr 12
		.amdhsa_next_free_sgpr 16
		.amdhsa_reserve_vcc 1
		.amdhsa_reserve_flat_scratch 0
		.amdhsa_float_round_mode_32 0
		.amdhsa_float_round_mode_16_64 0
		.amdhsa_float_denorm_mode_32 3
		.amdhsa_float_denorm_mode_16_64 3
		.amdhsa_dx10_clamp 1
		.amdhsa_ieee_mode 1
		.amdhsa_fp16_overflow 0
		.amdhsa_workgroup_processor_mode 1
		.amdhsa_memory_ordered 1
		.amdhsa_forward_progress 1
		.amdhsa_shared_vgpr_count 0
		.amdhsa_exception_fp_ieee_invalid_op 0
		.amdhsa_exception_fp_denorm_src 0
		.amdhsa_exception_fp_ieee_div_zero 0
		.amdhsa_exception_fp_ieee_overflow 0
		.amdhsa_exception_fp_ieee_underflow 0
		.amdhsa_exception_fp_ieee_inexact 0
		.amdhsa_exception_int_div_zero 0
	.end_amdhsa_kernel
	.section	.text._ZN12_GLOBAL__N_120softmax_warp_forwardIN3c104HalfEffLi1ELb1ELb0ELi32EEEvPT0_PKT_iiiPKbib,"axG",@progbits,_ZN12_GLOBAL__N_120softmax_warp_forwardIN3c104HalfEffLi1ELb1ELb0ELi32EEEvPT0_PKT_iiiPKbib,comdat
.Lfunc_end108:
	.size	_ZN12_GLOBAL__N_120softmax_warp_forwardIN3c104HalfEffLi1ELb1ELb0ELi32EEEvPT0_PKT_iiiPKbib, .Lfunc_end108-_ZN12_GLOBAL__N_120softmax_warp_forwardIN3c104HalfEffLi1ELb1ELb0ELi32EEEvPT0_PKT_iiiPKbib
                                        ; -- End function
	.set _ZN12_GLOBAL__N_120softmax_warp_forwardIN3c104HalfEffLi1ELb1ELb0ELi32EEEvPT0_PKT_iiiPKbib.num_vgpr, 12
	.set _ZN12_GLOBAL__N_120softmax_warp_forwardIN3c104HalfEffLi1ELb1ELb0ELi32EEEvPT0_PKT_iiiPKbib.num_agpr, 0
	.set _ZN12_GLOBAL__N_120softmax_warp_forwardIN3c104HalfEffLi1ELb1ELb0ELi32EEEvPT0_PKT_iiiPKbib.numbered_sgpr, 16
	.set _ZN12_GLOBAL__N_120softmax_warp_forwardIN3c104HalfEffLi1ELb1ELb0ELi32EEEvPT0_PKT_iiiPKbib.num_named_barrier, 0
	.set _ZN12_GLOBAL__N_120softmax_warp_forwardIN3c104HalfEffLi1ELb1ELb0ELi32EEEvPT0_PKT_iiiPKbib.private_seg_size, 0
	.set _ZN12_GLOBAL__N_120softmax_warp_forwardIN3c104HalfEffLi1ELb1ELb0ELi32EEEvPT0_PKT_iiiPKbib.uses_vcc, 1
	.set _ZN12_GLOBAL__N_120softmax_warp_forwardIN3c104HalfEffLi1ELb1ELb0ELi32EEEvPT0_PKT_iiiPKbib.uses_flat_scratch, 0
	.set _ZN12_GLOBAL__N_120softmax_warp_forwardIN3c104HalfEffLi1ELb1ELb0ELi32EEEvPT0_PKT_iiiPKbib.has_dyn_sized_stack, 0
	.set _ZN12_GLOBAL__N_120softmax_warp_forwardIN3c104HalfEffLi1ELb1ELb0ELi32EEEvPT0_PKT_iiiPKbib.has_recursion, 0
	.set _ZN12_GLOBAL__N_120softmax_warp_forwardIN3c104HalfEffLi1ELb1ELb0ELi32EEEvPT0_PKT_iiiPKbib.has_indirect_call, 0
	.section	.AMDGPU.csdata,"",@progbits
; Kernel info:
; codeLenInByte = 864
; TotalNumSgprs: 18
; NumVgprs: 12
; ScratchSize: 0
; MemoryBound: 0
; FloatMode: 240
; IeeeMode: 1
; LDSByteSize: 0 bytes/workgroup (compile time only)
; SGPRBlocks: 0
; VGPRBlocks: 1
; NumSGPRsForWavesPerEU: 18
; NumVGPRsForWavesPerEU: 12
; Occupancy: 16
; WaveLimiterHint : 0
; COMPUTE_PGM_RSRC2:SCRATCH_EN: 0
; COMPUTE_PGM_RSRC2:USER_SGPR: 6
; COMPUTE_PGM_RSRC2:TRAP_HANDLER: 0
; COMPUTE_PGM_RSRC2:TGID_X_EN: 1
; COMPUTE_PGM_RSRC2:TGID_Y_EN: 0
; COMPUTE_PGM_RSRC2:TGID_Z_EN: 0
; COMPUTE_PGM_RSRC2:TIDIG_COMP_CNT: 1
	.section	.text._ZN12_GLOBAL__N_120softmax_warp_forwardIN3c104HalfEffLi2ELb1ELb0ELi64EEEvPT0_PKT_iiiPKbib,"axG",@progbits,_ZN12_GLOBAL__N_120softmax_warp_forwardIN3c104HalfEffLi2ELb1ELb0ELi64EEEvPT0_PKT_iiiPKbib,comdat
	.globl	_ZN12_GLOBAL__N_120softmax_warp_forwardIN3c104HalfEffLi2ELb1ELb0ELi64EEEvPT0_PKT_iiiPKbib ; -- Begin function _ZN12_GLOBAL__N_120softmax_warp_forwardIN3c104HalfEffLi2ELb1ELb0ELi64EEEvPT0_PKT_iiiPKbib
	.p2align	8
	.type	_ZN12_GLOBAL__N_120softmax_warp_forwardIN3c104HalfEffLi2ELb1ELb0ELi64EEEvPT0_PKT_iiiPKbib,@function
_ZN12_GLOBAL__N_120softmax_warp_forwardIN3c104HalfEffLi2ELb1ELb0ELi64EEEvPT0_PKT_iiiPKbib: ; @_ZN12_GLOBAL__N_120softmax_warp_forwardIN3c104HalfEffLi2ELb1ELb0ELi64EEEvPT0_PKT_iiiPKbib
; %bb.0:
	s_clause 0x1
	s_load_dword s0, s[4:5], 0x3c
	s_load_dwordx8 s[8:15], s[4:5], 0x0
	v_mov_b32_e32 v6, 0xff800000
	s_waitcnt lgkmcnt(0)
	s_lshr_b32 s0, s0, 16
	v_cmp_gt_i32_e32 vcc_lo, s14, v0
	s_and_b32 s0, s0, 0xffff
	s_mul_i32 s6, s6, s0
	v_add_lshl_u32 v3, s6, v1, 1
	v_mad_u64_u32 v[1:2], null, v3, s13, v[0:1]
	v_sub_nc_u32_e32 v5, s12, v3
	v_mov_b32_e32 v0, 0xff800000
	v_cmp_lt_i32_e64 s0, 0, v5
	v_ashrrev_i32_e32 v2, 31, v1
	s_and_b32 s2, vcc_lo, s0
	v_lshlrev_b64 v[3:4], 1, v[1:2]
	v_add_co_u32 v3, s1, s10, v3
	v_add_co_ci_u32_e64 v4, null, s11, v4, s1
	s_and_saveexec_b32 s1, s2
	s_cbranch_execz .LBB109_2
; %bb.1:
	global_load_ushort v0, v[3:4], off
	s_waitcnt vmcnt(0)
	v_cvt_f32_f16_e32 v0, v0
.LBB109_2:
	s_or_b32 exec_lo, exec_lo, s1
	v_cmp_lt_i32_e64 s1, 1, v5
	s_and_b32 s1, vcc_lo, s1
	s_and_saveexec_b32 s2, s1
	s_cbranch_execz .LBB109_4
; %bb.3:
	s_mov_b32 s15, 0
	s_lshl_b64 s[4:5], s[14:15], 1
	v_add_co_u32 v3, s1, v3, s4
	v_add_co_ci_u32_e64 v4, null, s5, v4, s1
	global_load_ushort v3, v[3:4], off
	s_waitcnt vmcnt(0)
	v_cvt_f32_f16_e32 v6, v3
.LBB109_4:
	s_or_b32 exec_lo, exec_lo, s2
	v_mbcnt_lo_u32_b32 v3, -1, 0
	v_and_b32_e32 v4, 28, v3
	v_xor_b32_e32 v7, 2, v3
	v_xor_b32_e32 v10, 1, v3
	v_add_nc_u32_e32 v4, 4, v4
	v_cmp_lt_i32_e64 s1, v7, v4
	v_cndmask_b32_e64 v7, v3, v7, s1
	v_cmp_lt_i32_e64 s1, v10, v4
	v_lshlrev_b32_e32 v7, 2, v7
	v_cndmask_b32_e64 v3, v3, v10, s1
	ds_bpermute_b32 v8, v7, v0
	ds_bpermute_b32 v9, v7, v6
	v_lshlrev_b32_e32 v10, 2, v3
	s_waitcnt lgkmcnt(1)
	v_cmp_lt_f32_e64 s1, v0, v8
	v_cndmask_b32_e64 v3, v0, v8, s1
	s_waitcnt lgkmcnt(0)
	v_cmp_lt_f32_e64 s1, v6, v9
	ds_bpermute_b32 v8, v10, v3
	v_cndmask_b32_e64 v4, v6, v9, s1
	ds_bpermute_b32 v9, v10, v4
	s_waitcnt lgkmcnt(1)
	v_cmp_lt_f32_e64 s1, v3, v8
	v_cndmask_b32_e64 v3, v3, v8, s1
	s_waitcnt lgkmcnt(0)
	v_cmp_lt_f32_e64 s1, v4, v9
	v_cndmask_b32_e64 v8, v4, v9, s1
	v_sub_f32_e32 v4, v0, v3
	v_sub_f32_e32 v3, v6, v8
	v_mul_f32_e32 v0, 0x3fb8aa3b, v4
	v_cmp_ngt_f32_e64 s1, 0xc2ce8ed0, v4
	v_mul_f32_e32 v6, 0x3fb8aa3b, v3
	v_fma_f32 v8, 0x3fb8aa3b, v4, -v0
	v_rndne_f32_e32 v9, v0
	v_fma_f32 v11, 0x3fb8aa3b, v3, -v6
	v_rndne_f32_e32 v12, v6
	v_fmac_f32_e32 v8, 0x32a5705f, v4
	v_sub_f32_e32 v0, v0, v9
	v_fmac_f32_e32 v11, 0x32a5705f, v3
	v_sub_f32_e32 v6, v6, v12
	v_add_f32_e32 v0, v0, v8
	v_cvt_i32_f32_e32 v8, v9
	v_cvt_i32_f32_e32 v9, v12
	v_add_f32_e32 v6, v6, v11
	v_exp_f32_e32 v0, v0
	v_exp_f32_e32 v6, v6
	v_ldexp_f32 v0, v0, v8
	v_ldexp_f32 v6, v6, v9
	v_cndmask_b32_e64 v0, 0, v0, s1
	v_cmp_ngt_f32_e64 s1, 0xc2ce8ed0, v3
	v_cndmask_b32_e64 v6, 0, v6, s1
	v_cmp_nlt_f32_e64 s1, 0x42b17218, v4
	v_cndmask_b32_e64 v0, 0x7f800000, v0, s1
	v_cmp_nlt_f32_e64 s1, 0x42b17218, v3
	ds_bpermute_b32 v8, v7, v0
	v_cndmask_b32_e64 v6, 0x7f800000, v6, s1
	ds_bpermute_b32 v7, v7, v6
	s_waitcnt lgkmcnt(1)
	v_add_f32_e32 v8, v0, v8
	ds_bpermute_b32 v9, v10, v8
	s_waitcnt lgkmcnt(1)
	v_add_f32_e32 v6, v6, v7
	ds_bpermute_b32 v7, v10, v6
	s_and_saveexec_b32 s1, s0
	s_cbranch_execz .LBB109_9
; %bb.5:
	v_lshlrev_b64 v[0:1], 2, v[1:2]
	v_add_co_u32 v0, s0, s8, v0
	v_add_co_ci_u32_e64 v1, null, s9, v1, s0
	s_and_saveexec_b32 s2, vcc_lo
	s_cbranch_execz .LBB109_7
; %bb.6:
	s_waitcnt lgkmcnt(1)
	v_add_f32_e32 v2, v8, v9
	v_cmp_gt_f32_e64 s0, 0x800000, v2
	v_cndmask_b32_e64 v8, 0, 32, s0
	v_ldexp_f32 v2, v2, v8
	v_log_f32_e32 v2, v2
	v_mul_f32_e32 v8, 0x3f317217, v2
	v_cmp_gt_f32_e64 s1, 0x7f800000, |v2|
	v_fma_f32 v8, 0x3f317217, v2, -v8
	v_fmamk_f32 v8, v2, 0x3377d1cf, v8
	v_fmac_f32_e32 v8, 0x3f317217, v2
	v_cndmask_b32_e64 v2, v2, v8, s1
	v_cndmask_b32_e64 v8, 0, 0x41b17218, s0
	v_sub_f32_e32 v2, v2, v8
	v_sub_f32_e32 v2, v4, v2
	global_store_dword v[0:1], v2, off
.LBB109_7:
	s_or_b32 exec_lo, exec_lo, s2
	v_cmp_ne_u32_e64 s0, 1, v5
	s_and_b32 s0, s0, vcc_lo
	s_and_b32 exec_lo, exec_lo, s0
	s_cbranch_execz .LBB109_9
; %bb.8:
	s_waitcnt lgkmcnt(0)
	v_add_f32_e32 v2, v6, v7
	s_mov_b32 s15, 0
	s_lshl_b64 s[0:1], s[14:15], 2
	v_cmp_gt_f32_e32 vcc_lo, 0x800000, v2
	v_cndmask_b32_e64 v4, 0, 32, vcc_lo
	v_cndmask_b32_e64 v5, 0, 0x41b17218, vcc_lo
	v_ldexp_f32 v2, v2, v4
	v_log_f32_e32 v2, v2
	v_mul_f32_e32 v4, 0x3f317217, v2
	v_cmp_gt_f32_e64 vcc_lo, 0x7f800000, |v2|
	v_fma_f32 v4, 0x3f317217, v2, -v4
	v_fmamk_f32 v4, v2, 0x3377d1cf, v4
	v_fmac_f32_e32 v4, 0x3f317217, v2
	v_cndmask_b32_e32 v2, v2, v4, vcc_lo
	v_add_co_u32 v0, vcc_lo, v0, s0
	v_add_co_ci_u32_e64 v1, null, s1, v1, vcc_lo
	v_sub_f32_e32 v2, v2, v5
	v_sub_f32_e32 v2, v3, v2
	global_store_dword v[0:1], v2, off
.LBB109_9:
	s_endpgm
	.section	.rodata,"a",@progbits
	.p2align	6, 0x0
	.amdhsa_kernel _ZN12_GLOBAL__N_120softmax_warp_forwardIN3c104HalfEffLi2ELb1ELb0ELi64EEEvPT0_PKT_iiiPKbib
		.amdhsa_group_segment_fixed_size 0
		.amdhsa_private_segment_fixed_size 0
		.amdhsa_kernarg_size 304
		.amdhsa_user_sgpr_count 6
		.amdhsa_user_sgpr_private_segment_buffer 1
		.amdhsa_user_sgpr_dispatch_ptr 0
		.amdhsa_user_sgpr_queue_ptr 0
		.amdhsa_user_sgpr_kernarg_segment_ptr 1
		.amdhsa_user_sgpr_dispatch_id 0
		.amdhsa_user_sgpr_flat_scratch_init 0
		.amdhsa_user_sgpr_private_segment_size 0
		.amdhsa_wavefront_size32 1
		.amdhsa_uses_dynamic_stack 0
		.amdhsa_system_sgpr_private_segment_wavefront_offset 0
		.amdhsa_system_sgpr_workgroup_id_x 1
		.amdhsa_system_sgpr_workgroup_id_y 0
		.amdhsa_system_sgpr_workgroup_id_z 0
		.amdhsa_system_sgpr_workgroup_info 0
		.amdhsa_system_vgpr_workitem_id 1
		.amdhsa_next_free_vgpr 13
		.amdhsa_next_free_sgpr 16
		.amdhsa_reserve_vcc 1
		.amdhsa_reserve_flat_scratch 0
		.amdhsa_float_round_mode_32 0
		.amdhsa_float_round_mode_16_64 0
		.amdhsa_float_denorm_mode_32 3
		.amdhsa_float_denorm_mode_16_64 3
		.amdhsa_dx10_clamp 1
		.amdhsa_ieee_mode 1
		.amdhsa_fp16_overflow 0
		.amdhsa_workgroup_processor_mode 1
		.amdhsa_memory_ordered 1
		.amdhsa_forward_progress 1
		.amdhsa_shared_vgpr_count 0
		.amdhsa_exception_fp_ieee_invalid_op 0
		.amdhsa_exception_fp_denorm_src 0
		.amdhsa_exception_fp_ieee_div_zero 0
		.amdhsa_exception_fp_ieee_overflow 0
		.amdhsa_exception_fp_ieee_underflow 0
		.amdhsa_exception_fp_ieee_inexact 0
		.amdhsa_exception_int_div_zero 0
	.end_amdhsa_kernel
	.section	.text._ZN12_GLOBAL__N_120softmax_warp_forwardIN3c104HalfEffLi2ELb1ELb0ELi64EEEvPT0_PKT_iiiPKbib,"axG",@progbits,_ZN12_GLOBAL__N_120softmax_warp_forwardIN3c104HalfEffLi2ELb1ELb0ELi64EEEvPT0_PKT_iiiPKbib,comdat
.Lfunc_end109:
	.size	_ZN12_GLOBAL__N_120softmax_warp_forwardIN3c104HalfEffLi2ELb1ELb0ELi64EEEvPT0_PKT_iiiPKbib, .Lfunc_end109-_ZN12_GLOBAL__N_120softmax_warp_forwardIN3c104HalfEffLi2ELb1ELb0ELi64EEEvPT0_PKT_iiiPKbib
                                        ; -- End function
	.set _ZN12_GLOBAL__N_120softmax_warp_forwardIN3c104HalfEffLi2ELb1ELb0ELi64EEEvPT0_PKT_iiiPKbib.num_vgpr, 13
	.set _ZN12_GLOBAL__N_120softmax_warp_forwardIN3c104HalfEffLi2ELb1ELb0ELi64EEEvPT0_PKT_iiiPKbib.num_agpr, 0
	.set _ZN12_GLOBAL__N_120softmax_warp_forwardIN3c104HalfEffLi2ELb1ELb0ELi64EEEvPT0_PKT_iiiPKbib.numbered_sgpr, 16
	.set _ZN12_GLOBAL__N_120softmax_warp_forwardIN3c104HalfEffLi2ELb1ELb0ELi64EEEvPT0_PKT_iiiPKbib.num_named_barrier, 0
	.set _ZN12_GLOBAL__N_120softmax_warp_forwardIN3c104HalfEffLi2ELb1ELb0ELi64EEEvPT0_PKT_iiiPKbib.private_seg_size, 0
	.set _ZN12_GLOBAL__N_120softmax_warp_forwardIN3c104HalfEffLi2ELb1ELb0ELi64EEEvPT0_PKT_iiiPKbib.uses_vcc, 1
	.set _ZN12_GLOBAL__N_120softmax_warp_forwardIN3c104HalfEffLi2ELb1ELb0ELi64EEEvPT0_PKT_iiiPKbib.uses_flat_scratch, 0
	.set _ZN12_GLOBAL__N_120softmax_warp_forwardIN3c104HalfEffLi2ELb1ELb0ELi64EEEvPT0_PKT_iiiPKbib.has_dyn_sized_stack, 0
	.set _ZN12_GLOBAL__N_120softmax_warp_forwardIN3c104HalfEffLi2ELb1ELb0ELi64EEEvPT0_PKT_iiiPKbib.has_recursion, 0
	.set _ZN12_GLOBAL__N_120softmax_warp_forwardIN3c104HalfEffLi2ELb1ELb0ELi64EEEvPT0_PKT_iiiPKbib.has_indirect_call, 0
	.section	.AMDGPU.csdata,"",@progbits
; Kernel info:
; codeLenInByte = 976
; TotalNumSgprs: 18
; NumVgprs: 13
; ScratchSize: 0
; MemoryBound: 0
; FloatMode: 240
; IeeeMode: 1
; LDSByteSize: 0 bytes/workgroup (compile time only)
; SGPRBlocks: 0
; VGPRBlocks: 1
; NumSGPRsForWavesPerEU: 18
; NumVGPRsForWavesPerEU: 13
; Occupancy: 16
; WaveLimiterHint : 0
; COMPUTE_PGM_RSRC2:SCRATCH_EN: 0
; COMPUTE_PGM_RSRC2:USER_SGPR: 6
; COMPUTE_PGM_RSRC2:TRAP_HANDLER: 0
; COMPUTE_PGM_RSRC2:TGID_X_EN: 1
; COMPUTE_PGM_RSRC2:TGID_Y_EN: 0
; COMPUTE_PGM_RSRC2:TGID_Z_EN: 0
; COMPUTE_PGM_RSRC2:TIDIG_COMP_CNT: 1
	.section	.text._ZN12_GLOBAL__N_120softmax_warp_forwardIN3c104HalfEffLi2ELb1ELb0ELi32EEEvPT0_PKT_iiiPKbib,"axG",@progbits,_ZN12_GLOBAL__N_120softmax_warp_forwardIN3c104HalfEffLi2ELb1ELb0ELi32EEEvPT0_PKT_iiiPKbib,comdat
	.globl	_ZN12_GLOBAL__N_120softmax_warp_forwardIN3c104HalfEffLi2ELb1ELb0ELi32EEEvPT0_PKT_iiiPKbib ; -- Begin function _ZN12_GLOBAL__N_120softmax_warp_forwardIN3c104HalfEffLi2ELb1ELb0ELi32EEEvPT0_PKT_iiiPKbib
	.p2align	8
	.type	_ZN12_GLOBAL__N_120softmax_warp_forwardIN3c104HalfEffLi2ELb1ELb0ELi32EEEvPT0_PKT_iiiPKbib,@function
_ZN12_GLOBAL__N_120softmax_warp_forwardIN3c104HalfEffLi2ELb1ELb0ELi32EEEvPT0_PKT_iiiPKbib: ; @_ZN12_GLOBAL__N_120softmax_warp_forwardIN3c104HalfEffLi2ELb1ELb0ELi32EEEvPT0_PKT_iiiPKbib
; %bb.0:
	s_clause 0x1
	s_load_dword s0, s[4:5], 0x3c
	s_load_dwordx8 s[8:15], s[4:5], 0x0
	v_mov_b32_e32 v6, 0xff800000
	s_waitcnt lgkmcnt(0)
	s_lshr_b32 s0, s0, 16
	v_cmp_gt_i32_e32 vcc_lo, s14, v0
	s_and_b32 s0, s0, 0xffff
	s_mul_i32 s6, s6, s0
	v_add_lshl_u32 v3, s6, v1, 1
	v_mad_u64_u32 v[1:2], null, v3, s13, v[0:1]
	v_sub_nc_u32_e32 v5, s12, v3
	v_mov_b32_e32 v0, 0xff800000
	v_cmp_lt_i32_e64 s0, 0, v5
	v_ashrrev_i32_e32 v2, 31, v1
	s_and_b32 s2, vcc_lo, s0
	v_lshlrev_b64 v[3:4], 1, v[1:2]
	v_add_co_u32 v3, s1, s10, v3
	v_add_co_ci_u32_e64 v4, null, s11, v4, s1
	s_and_saveexec_b32 s1, s2
	s_cbranch_execz .LBB110_2
; %bb.1:
	global_load_ushort v0, v[3:4], off
	s_waitcnt vmcnt(0)
	v_cvt_f32_f16_e32 v0, v0
.LBB110_2:
	s_or_b32 exec_lo, exec_lo, s1
	v_cmp_lt_i32_e64 s1, 1, v5
	s_and_b32 s1, vcc_lo, s1
	s_and_saveexec_b32 s2, s1
	s_cbranch_execz .LBB110_4
; %bb.3:
	s_mov_b32 s15, 0
	s_lshl_b64 s[4:5], s[14:15], 1
	v_add_co_u32 v3, s1, v3, s4
	v_add_co_ci_u32_e64 v4, null, s5, v4, s1
	global_load_ushort v3, v[3:4], off
	s_waitcnt vmcnt(0)
	v_cvt_f32_f16_e32 v6, v3
.LBB110_4:
	s_or_b32 exec_lo, exec_lo, s2
	v_mbcnt_lo_u32_b32 v3, -1, 0
	v_and_b32_e32 v4, 28, v3
	v_xor_b32_e32 v7, 2, v3
	v_xor_b32_e32 v10, 1, v3
	v_add_nc_u32_e32 v4, 4, v4
	v_cmp_lt_i32_e64 s1, v7, v4
	v_cndmask_b32_e64 v7, v3, v7, s1
	v_cmp_lt_i32_e64 s1, v10, v4
	v_lshlrev_b32_e32 v7, 2, v7
	v_cndmask_b32_e64 v3, v3, v10, s1
	ds_bpermute_b32 v8, v7, v0
	ds_bpermute_b32 v9, v7, v6
	v_lshlrev_b32_e32 v10, 2, v3
	s_waitcnt lgkmcnt(1)
	v_cmp_lt_f32_e64 s1, v0, v8
	v_cndmask_b32_e64 v3, v0, v8, s1
	s_waitcnt lgkmcnt(0)
	v_cmp_lt_f32_e64 s1, v6, v9
	ds_bpermute_b32 v8, v10, v3
	v_cndmask_b32_e64 v4, v6, v9, s1
	ds_bpermute_b32 v9, v10, v4
	s_waitcnt lgkmcnt(1)
	v_cmp_lt_f32_e64 s1, v3, v8
	v_cndmask_b32_e64 v3, v3, v8, s1
	s_waitcnt lgkmcnt(0)
	v_cmp_lt_f32_e64 s1, v4, v9
	v_cndmask_b32_e64 v8, v4, v9, s1
	v_sub_f32_e32 v4, v0, v3
	v_sub_f32_e32 v3, v6, v8
	v_mul_f32_e32 v0, 0x3fb8aa3b, v4
	v_cmp_ngt_f32_e64 s1, 0xc2ce8ed0, v4
	v_mul_f32_e32 v6, 0x3fb8aa3b, v3
	v_fma_f32 v8, 0x3fb8aa3b, v4, -v0
	v_rndne_f32_e32 v9, v0
	v_fma_f32 v11, 0x3fb8aa3b, v3, -v6
	v_rndne_f32_e32 v12, v6
	v_fmac_f32_e32 v8, 0x32a5705f, v4
	v_sub_f32_e32 v0, v0, v9
	v_fmac_f32_e32 v11, 0x32a5705f, v3
	v_sub_f32_e32 v6, v6, v12
	v_add_f32_e32 v0, v0, v8
	v_cvt_i32_f32_e32 v8, v9
	v_cvt_i32_f32_e32 v9, v12
	v_add_f32_e32 v6, v6, v11
	v_exp_f32_e32 v0, v0
	v_exp_f32_e32 v6, v6
	v_ldexp_f32 v0, v0, v8
	v_ldexp_f32 v6, v6, v9
	v_cndmask_b32_e64 v0, 0, v0, s1
	v_cmp_ngt_f32_e64 s1, 0xc2ce8ed0, v3
	v_cndmask_b32_e64 v6, 0, v6, s1
	v_cmp_nlt_f32_e64 s1, 0x42b17218, v4
	v_cndmask_b32_e64 v0, 0x7f800000, v0, s1
	v_cmp_nlt_f32_e64 s1, 0x42b17218, v3
	ds_bpermute_b32 v8, v7, v0
	v_cndmask_b32_e64 v6, 0x7f800000, v6, s1
	ds_bpermute_b32 v7, v7, v6
	s_waitcnt lgkmcnt(1)
	v_add_f32_e32 v8, v0, v8
	ds_bpermute_b32 v9, v10, v8
	s_waitcnt lgkmcnt(1)
	v_add_f32_e32 v6, v6, v7
	ds_bpermute_b32 v7, v10, v6
	s_and_saveexec_b32 s1, s0
	s_cbranch_execz .LBB110_9
; %bb.5:
	v_lshlrev_b64 v[0:1], 2, v[1:2]
	v_add_co_u32 v0, s0, s8, v0
	v_add_co_ci_u32_e64 v1, null, s9, v1, s0
	s_and_saveexec_b32 s2, vcc_lo
	s_cbranch_execz .LBB110_7
; %bb.6:
	s_waitcnt lgkmcnt(1)
	v_add_f32_e32 v2, v8, v9
	v_cmp_gt_f32_e64 s0, 0x800000, v2
	v_cndmask_b32_e64 v8, 0, 32, s0
	v_ldexp_f32 v2, v2, v8
	v_log_f32_e32 v2, v2
	v_mul_f32_e32 v8, 0x3f317217, v2
	v_cmp_gt_f32_e64 s1, 0x7f800000, |v2|
	v_fma_f32 v8, 0x3f317217, v2, -v8
	v_fmamk_f32 v8, v2, 0x3377d1cf, v8
	v_fmac_f32_e32 v8, 0x3f317217, v2
	v_cndmask_b32_e64 v2, v2, v8, s1
	v_cndmask_b32_e64 v8, 0, 0x41b17218, s0
	v_sub_f32_e32 v2, v2, v8
	v_sub_f32_e32 v2, v4, v2
	global_store_dword v[0:1], v2, off
.LBB110_7:
	s_or_b32 exec_lo, exec_lo, s2
	v_cmp_ne_u32_e64 s0, 1, v5
	s_and_b32 s0, s0, vcc_lo
	s_and_b32 exec_lo, exec_lo, s0
	s_cbranch_execz .LBB110_9
; %bb.8:
	s_waitcnt lgkmcnt(0)
	v_add_f32_e32 v2, v6, v7
	s_mov_b32 s15, 0
	s_lshl_b64 s[0:1], s[14:15], 2
	v_cmp_gt_f32_e32 vcc_lo, 0x800000, v2
	v_cndmask_b32_e64 v4, 0, 32, vcc_lo
	v_cndmask_b32_e64 v5, 0, 0x41b17218, vcc_lo
	v_ldexp_f32 v2, v2, v4
	v_log_f32_e32 v2, v2
	v_mul_f32_e32 v4, 0x3f317217, v2
	v_cmp_gt_f32_e64 vcc_lo, 0x7f800000, |v2|
	v_fma_f32 v4, 0x3f317217, v2, -v4
	v_fmamk_f32 v4, v2, 0x3377d1cf, v4
	v_fmac_f32_e32 v4, 0x3f317217, v2
	v_cndmask_b32_e32 v2, v2, v4, vcc_lo
	v_add_co_u32 v0, vcc_lo, v0, s0
	v_add_co_ci_u32_e64 v1, null, s1, v1, vcc_lo
	v_sub_f32_e32 v2, v2, v5
	v_sub_f32_e32 v2, v3, v2
	global_store_dword v[0:1], v2, off
.LBB110_9:
	s_endpgm
	.section	.rodata,"a",@progbits
	.p2align	6, 0x0
	.amdhsa_kernel _ZN12_GLOBAL__N_120softmax_warp_forwardIN3c104HalfEffLi2ELb1ELb0ELi32EEEvPT0_PKT_iiiPKbib
		.amdhsa_group_segment_fixed_size 0
		.amdhsa_private_segment_fixed_size 0
		.amdhsa_kernarg_size 304
		.amdhsa_user_sgpr_count 6
		.amdhsa_user_sgpr_private_segment_buffer 1
		.amdhsa_user_sgpr_dispatch_ptr 0
		.amdhsa_user_sgpr_queue_ptr 0
		.amdhsa_user_sgpr_kernarg_segment_ptr 1
		.amdhsa_user_sgpr_dispatch_id 0
		.amdhsa_user_sgpr_flat_scratch_init 0
		.amdhsa_user_sgpr_private_segment_size 0
		.amdhsa_wavefront_size32 1
		.amdhsa_uses_dynamic_stack 0
		.amdhsa_system_sgpr_private_segment_wavefront_offset 0
		.amdhsa_system_sgpr_workgroup_id_x 1
		.amdhsa_system_sgpr_workgroup_id_y 0
		.amdhsa_system_sgpr_workgroup_id_z 0
		.amdhsa_system_sgpr_workgroup_info 0
		.amdhsa_system_vgpr_workitem_id 1
		.amdhsa_next_free_vgpr 13
		.amdhsa_next_free_sgpr 16
		.amdhsa_reserve_vcc 1
		.amdhsa_reserve_flat_scratch 0
		.amdhsa_float_round_mode_32 0
		.amdhsa_float_round_mode_16_64 0
		.amdhsa_float_denorm_mode_32 3
		.amdhsa_float_denorm_mode_16_64 3
		.amdhsa_dx10_clamp 1
		.amdhsa_ieee_mode 1
		.amdhsa_fp16_overflow 0
		.amdhsa_workgroup_processor_mode 1
		.amdhsa_memory_ordered 1
		.amdhsa_forward_progress 1
		.amdhsa_shared_vgpr_count 0
		.amdhsa_exception_fp_ieee_invalid_op 0
		.amdhsa_exception_fp_denorm_src 0
		.amdhsa_exception_fp_ieee_div_zero 0
		.amdhsa_exception_fp_ieee_overflow 0
		.amdhsa_exception_fp_ieee_underflow 0
		.amdhsa_exception_fp_ieee_inexact 0
		.amdhsa_exception_int_div_zero 0
	.end_amdhsa_kernel
	.section	.text._ZN12_GLOBAL__N_120softmax_warp_forwardIN3c104HalfEffLi2ELb1ELb0ELi32EEEvPT0_PKT_iiiPKbib,"axG",@progbits,_ZN12_GLOBAL__N_120softmax_warp_forwardIN3c104HalfEffLi2ELb1ELb0ELi32EEEvPT0_PKT_iiiPKbib,comdat
.Lfunc_end110:
	.size	_ZN12_GLOBAL__N_120softmax_warp_forwardIN3c104HalfEffLi2ELb1ELb0ELi32EEEvPT0_PKT_iiiPKbib, .Lfunc_end110-_ZN12_GLOBAL__N_120softmax_warp_forwardIN3c104HalfEffLi2ELb1ELb0ELi32EEEvPT0_PKT_iiiPKbib
                                        ; -- End function
	.set _ZN12_GLOBAL__N_120softmax_warp_forwardIN3c104HalfEffLi2ELb1ELb0ELi32EEEvPT0_PKT_iiiPKbib.num_vgpr, 13
	.set _ZN12_GLOBAL__N_120softmax_warp_forwardIN3c104HalfEffLi2ELb1ELb0ELi32EEEvPT0_PKT_iiiPKbib.num_agpr, 0
	.set _ZN12_GLOBAL__N_120softmax_warp_forwardIN3c104HalfEffLi2ELb1ELb0ELi32EEEvPT0_PKT_iiiPKbib.numbered_sgpr, 16
	.set _ZN12_GLOBAL__N_120softmax_warp_forwardIN3c104HalfEffLi2ELb1ELb0ELi32EEEvPT0_PKT_iiiPKbib.num_named_barrier, 0
	.set _ZN12_GLOBAL__N_120softmax_warp_forwardIN3c104HalfEffLi2ELb1ELb0ELi32EEEvPT0_PKT_iiiPKbib.private_seg_size, 0
	.set _ZN12_GLOBAL__N_120softmax_warp_forwardIN3c104HalfEffLi2ELb1ELb0ELi32EEEvPT0_PKT_iiiPKbib.uses_vcc, 1
	.set _ZN12_GLOBAL__N_120softmax_warp_forwardIN3c104HalfEffLi2ELb1ELb0ELi32EEEvPT0_PKT_iiiPKbib.uses_flat_scratch, 0
	.set _ZN12_GLOBAL__N_120softmax_warp_forwardIN3c104HalfEffLi2ELb1ELb0ELi32EEEvPT0_PKT_iiiPKbib.has_dyn_sized_stack, 0
	.set _ZN12_GLOBAL__N_120softmax_warp_forwardIN3c104HalfEffLi2ELb1ELb0ELi32EEEvPT0_PKT_iiiPKbib.has_recursion, 0
	.set _ZN12_GLOBAL__N_120softmax_warp_forwardIN3c104HalfEffLi2ELb1ELb0ELi32EEEvPT0_PKT_iiiPKbib.has_indirect_call, 0
	.section	.AMDGPU.csdata,"",@progbits
; Kernel info:
; codeLenInByte = 976
; TotalNumSgprs: 18
; NumVgprs: 13
; ScratchSize: 0
; MemoryBound: 0
; FloatMode: 240
; IeeeMode: 1
; LDSByteSize: 0 bytes/workgroup (compile time only)
; SGPRBlocks: 0
; VGPRBlocks: 1
; NumSGPRsForWavesPerEU: 18
; NumVGPRsForWavesPerEU: 13
; Occupancy: 16
; WaveLimiterHint : 0
; COMPUTE_PGM_RSRC2:SCRATCH_EN: 0
; COMPUTE_PGM_RSRC2:USER_SGPR: 6
; COMPUTE_PGM_RSRC2:TRAP_HANDLER: 0
; COMPUTE_PGM_RSRC2:TGID_X_EN: 1
; COMPUTE_PGM_RSRC2:TGID_Y_EN: 0
; COMPUTE_PGM_RSRC2:TGID_Z_EN: 0
; COMPUTE_PGM_RSRC2:TIDIG_COMP_CNT: 1
	.section	.text._ZN12_GLOBAL__N_120softmax_warp_forwardIN3c104HalfEffLi3ELb1ELb0ELi64EEEvPT0_PKT_iiiPKbib,"axG",@progbits,_ZN12_GLOBAL__N_120softmax_warp_forwardIN3c104HalfEffLi3ELb1ELb0ELi64EEEvPT0_PKT_iiiPKbib,comdat
	.globl	_ZN12_GLOBAL__N_120softmax_warp_forwardIN3c104HalfEffLi3ELb1ELb0ELi64EEEvPT0_PKT_iiiPKbib ; -- Begin function _ZN12_GLOBAL__N_120softmax_warp_forwardIN3c104HalfEffLi3ELb1ELb0ELi64EEEvPT0_PKT_iiiPKbib
	.p2align	8
	.type	_ZN12_GLOBAL__N_120softmax_warp_forwardIN3c104HalfEffLi3ELb1ELb0ELi64EEEvPT0_PKT_iiiPKbib,@function
_ZN12_GLOBAL__N_120softmax_warp_forwardIN3c104HalfEffLi3ELb1ELb0ELi64EEEvPT0_PKT_iiiPKbib: ; @_ZN12_GLOBAL__N_120softmax_warp_forwardIN3c104HalfEffLi3ELb1ELb0ELi64EEEvPT0_PKT_iiiPKbib
; %bb.0:
	s_clause 0x1
	s_load_dword s0, s[4:5], 0x3c
	s_load_dwordx8 s[8:15], s[4:5], 0x0
	v_mov_b32_e32 v6, 0xff800000
	s_waitcnt lgkmcnt(0)
	s_lshr_b32 s0, s0, 16
	v_cmp_gt_i32_e32 vcc_lo, s14, v0
	s_and_b32 s0, s0, 0xffff
	s_mul_i32 s6, s6, s0
	v_add_lshl_u32 v3, s6, v1, 1
	v_mad_u64_u32 v[1:2], null, v3, s13, v[0:1]
	v_sub_nc_u32_e32 v5, s12, v3
	v_mov_b32_e32 v0, 0xff800000
	v_cmp_lt_i32_e64 s0, 0, v5
	v_ashrrev_i32_e32 v2, 31, v1
	s_and_b32 s2, vcc_lo, s0
	v_lshlrev_b64 v[3:4], 1, v[1:2]
	v_add_co_u32 v3, s1, s10, v3
	v_add_co_ci_u32_e64 v4, null, s11, v4, s1
	s_and_saveexec_b32 s1, s2
	s_cbranch_execz .LBB111_2
; %bb.1:
	global_load_ushort v0, v[3:4], off
	s_waitcnt vmcnt(0)
	v_cvt_f32_f16_e32 v0, v0
.LBB111_2:
	s_or_b32 exec_lo, exec_lo, s1
	v_cmp_lt_i32_e64 s1, 1, v5
	s_and_b32 s1, vcc_lo, s1
	s_and_saveexec_b32 s2, s1
	s_cbranch_execz .LBB111_4
; %bb.3:
	s_mov_b32 s15, 0
	s_lshl_b64 s[4:5], s[14:15], 1
	v_add_co_u32 v3, s1, v3, s4
	v_add_co_ci_u32_e64 v4, null, s5, v4, s1
	global_load_ushort v3, v[3:4], off
	s_waitcnt vmcnt(0)
	v_cvt_f32_f16_e32 v6, v3
.LBB111_4:
	s_or_b32 exec_lo, exec_lo, s2
	v_mbcnt_lo_u32_b32 v3, -1, 0
	v_and_b32_e32 v4, 24, v3
	v_xor_b32_e32 v7, 4, v3
	v_xor_b32_e32 v10, 2, v3
	v_xor_b32_e32 v13, 1, v3
	v_add_nc_u32_e32 v4, 8, v4
	v_cmp_lt_i32_e64 s1, v7, v4
	v_cndmask_b32_e64 v7, v3, v7, s1
	v_cmp_lt_i32_e64 s1, v10, v4
	v_lshlrev_b32_e32 v7, 2, v7
	v_cndmask_b32_e64 v10, v3, v10, s1
	ds_bpermute_b32 v8, v7, v0
	ds_bpermute_b32 v9, v7, v6
	v_lshlrev_b32_e32 v10, 2, v10
	s_waitcnt lgkmcnt(1)
	v_cmp_lt_f32_e64 s1, v0, v8
	v_cndmask_b32_e64 v8, v0, v8, s1
	s_waitcnt lgkmcnt(0)
	v_cmp_lt_f32_e64 s1, v6, v9
	ds_bpermute_b32 v11, v10, v8
	v_cndmask_b32_e64 v9, v6, v9, s1
	v_cmp_lt_i32_e64 s1, v13, v4
	ds_bpermute_b32 v12, v10, v9
	v_cndmask_b32_e64 v3, v3, v13, s1
	v_lshlrev_b32_e32 v13, 2, v3
	s_waitcnt lgkmcnt(1)
	v_cmp_lt_f32_e64 s1, v8, v11
	v_cndmask_b32_e64 v3, v8, v11, s1
	s_waitcnt lgkmcnt(0)
	v_cmp_lt_f32_e64 s1, v9, v12
	ds_bpermute_b32 v8, v13, v3
	v_cndmask_b32_e64 v4, v9, v12, s1
	ds_bpermute_b32 v9, v13, v4
	s_waitcnt lgkmcnt(1)
	v_cmp_lt_f32_e64 s1, v3, v8
	v_cndmask_b32_e64 v3, v3, v8, s1
	s_waitcnt lgkmcnt(0)
	v_cmp_lt_f32_e64 s1, v4, v9
	v_cndmask_b32_e64 v8, v4, v9, s1
	v_sub_f32_e32 v4, v0, v3
	v_sub_f32_e32 v3, v6, v8
	v_mul_f32_e32 v0, 0x3fb8aa3b, v4
	v_cmp_ngt_f32_e64 s1, 0xc2ce8ed0, v4
	v_mul_f32_e32 v6, 0x3fb8aa3b, v3
	v_fma_f32 v8, 0x3fb8aa3b, v4, -v0
	v_rndne_f32_e32 v9, v0
	v_fma_f32 v11, 0x3fb8aa3b, v3, -v6
	v_rndne_f32_e32 v12, v6
	v_fmac_f32_e32 v8, 0x32a5705f, v4
	v_sub_f32_e32 v0, v0, v9
	v_fmac_f32_e32 v11, 0x32a5705f, v3
	v_sub_f32_e32 v6, v6, v12
	v_add_f32_e32 v0, v0, v8
	v_cvt_i32_f32_e32 v8, v9
	v_cvt_i32_f32_e32 v9, v12
	v_add_f32_e32 v6, v6, v11
	v_exp_f32_e32 v0, v0
	v_exp_f32_e32 v6, v6
	v_ldexp_f32 v0, v0, v8
	v_ldexp_f32 v6, v6, v9
	v_cndmask_b32_e64 v0, 0, v0, s1
	v_cmp_ngt_f32_e64 s1, 0xc2ce8ed0, v3
	v_cndmask_b32_e64 v6, 0, v6, s1
	v_cmp_nlt_f32_e64 s1, 0x42b17218, v4
	v_cndmask_b32_e64 v0, 0x7f800000, v0, s1
	v_cmp_nlt_f32_e64 s1, 0x42b17218, v3
	ds_bpermute_b32 v8, v7, v0
	v_cndmask_b32_e64 v6, 0x7f800000, v6, s1
	ds_bpermute_b32 v7, v7, v6
	s_waitcnt lgkmcnt(1)
	v_add_f32_e32 v0, v0, v8
	s_waitcnt lgkmcnt(0)
	v_add_f32_e32 v6, v6, v7
	ds_bpermute_b32 v7, v10, v0
	ds_bpermute_b32 v9, v10, v6
	s_waitcnt lgkmcnt(1)
	v_add_f32_e32 v8, v0, v7
	s_waitcnt lgkmcnt(0)
	v_add_f32_e32 v6, v6, v9
	ds_bpermute_b32 v9, v13, v8
	ds_bpermute_b32 v7, v13, v6
	s_and_saveexec_b32 s1, s0
	s_cbranch_execz .LBB111_9
; %bb.5:
	v_lshlrev_b64 v[0:1], 2, v[1:2]
	v_add_co_u32 v0, s0, s8, v0
	v_add_co_ci_u32_e64 v1, null, s9, v1, s0
	s_and_saveexec_b32 s2, vcc_lo
	s_cbranch_execz .LBB111_7
; %bb.6:
	s_waitcnt lgkmcnt(1)
	v_add_f32_e32 v2, v8, v9
	v_cmp_gt_f32_e64 s0, 0x800000, v2
	v_cndmask_b32_e64 v8, 0, 32, s0
	v_ldexp_f32 v2, v2, v8
	v_log_f32_e32 v2, v2
	v_mul_f32_e32 v8, 0x3f317217, v2
	v_cmp_gt_f32_e64 s1, 0x7f800000, |v2|
	v_fma_f32 v8, 0x3f317217, v2, -v8
	v_fmamk_f32 v8, v2, 0x3377d1cf, v8
	v_fmac_f32_e32 v8, 0x3f317217, v2
	v_cndmask_b32_e64 v2, v2, v8, s1
	v_cndmask_b32_e64 v8, 0, 0x41b17218, s0
	v_sub_f32_e32 v2, v2, v8
	v_sub_f32_e32 v2, v4, v2
	global_store_dword v[0:1], v2, off
.LBB111_7:
	s_or_b32 exec_lo, exec_lo, s2
	v_cmp_ne_u32_e64 s0, 1, v5
	s_and_b32 s0, s0, vcc_lo
	s_and_b32 exec_lo, exec_lo, s0
	s_cbranch_execz .LBB111_9
; %bb.8:
	s_waitcnt lgkmcnt(0)
	v_add_f32_e32 v2, v6, v7
	s_mov_b32 s15, 0
	s_lshl_b64 s[0:1], s[14:15], 2
	v_cmp_gt_f32_e32 vcc_lo, 0x800000, v2
	v_cndmask_b32_e64 v4, 0, 32, vcc_lo
	v_cndmask_b32_e64 v5, 0, 0x41b17218, vcc_lo
	v_ldexp_f32 v2, v2, v4
	v_log_f32_e32 v2, v2
	v_mul_f32_e32 v4, 0x3f317217, v2
	v_cmp_gt_f32_e64 vcc_lo, 0x7f800000, |v2|
	v_fma_f32 v4, 0x3f317217, v2, -v4
	v_fmamk_f32 v4, v2, 0x3377d1cf, v4
	v_fmac_f32_e32 v4, 0x3f317217, v2
	v_cndmask_b32_e32 v2, v2, v4, vcc_lo
	v_add_co_u32 v0, vcc_lo, v0, s0
	v_add_co_ci_u32_e64 v1, null, s1, v1, vcc_lo
	v_sub_f32_e32 v2, v2, v5
	v_sub_f32_e32 v2, v3, v2
	global_store_dword v[0:1], v2, off
.LBB111_9:
	s_endpgm
	.section	.rodata,"a",@progbits
	.p2align	6, 0x0
	.amdhsa_kernel _ZN12_GLOBAL__N_120softmax_warp_forwardIN3c104HalfEffLi3ELb1ELb0ELi64EEEvPT0_PKT_iiiPKbib
		.amdhsa_group_segment_fixed_size 0
		.amdhsa_private_segment_fixed_size 0
		.amdhsa_kernarg_size 304
		.amdhsa_user_sgpr_count 6
		.amdhsa_user_sgpr_private_segment_buffer 1
		.amdhsa_user_sgpr_dispatch_ptr 0
		.amdhsa_user_sgpr_queue_ptr 0
		.amdhsa_user_sgpr_kernarg_segment_ptr 1
		.amdhsa_user_sgpr_dispatch_id 0
		.amdhsa_user_sgpr_flat_scratch_init 0
		.amdhsa_user_sgpr_private_segment_size 0
		.amdhsa_wavefront_size32 1
		.amdhsa_uses_dynamic_stack 0
		.amdhsa_system_sgpr_private_segment_wavefront_offset 0
		.amdhsa_system_sgpr_workgroup_id_x 1
		.amdhsa_system_sgpr_workgroup_id_y 0
		.amdhsa_system_sgpr_workgroup_id_z 0
		.amdhsa_system_sgpr_workgroup_info 0
		.amdhsa_system_vgpr_workitem_id 1
		.amdhsa_next_free_vgpr 14
		.amdhsa_next_free_sgpr 16
		.amdhsa_reserve_vcc 1
		.amdhsa_reserve_flat_scratch 0
		.amdhsa_float_round_mode_32 0
		.amdhsa_float_round_mode_16_64 0
		.amdhsa_float_denorm_mode_32 3
		.amdhsa_float_denorm_mode_16_64 3
		.amdhsa_dx10_clamp 1
		.amdhsa_ieee_mode 1
		.amdhsa_fp16_overflow 0
		.amdhsa_workgroup_processor_mode 1
		.amdhsa_memory_ordered 1
		.amdhsa_forward_progress 1
		.amdhsa_shared_vgpr_count 0
		.amdhsa_exception_fp_ieee_invalid_op 0
		.amdhsa_exception_fp_denorm_src 0
		.amdhsa_exception_fp_ieee_div_zero 0
		.amdhsa_exception_fp_ieee_overflow 0
		.amdhsa_exception_fp_ieee_underflow 0
		.amdhsa_exception_fp_ieee_inexact 0
		.amdhsa_exception_int_div_zero 0
	.end_amdhsa_kernel
	.section	.text._ZN12_GLOBAL__N_120softmax_warp_forwardIN3c104HalfEffLi3ELb1ELb0ELi64EEEvPT0_PKT_iiiPKbib,"axG",@progbits,_ZN12_GLOBAL__N_120softmax_warp_forwardIN3c104HalfEffLi3ELb1ELb0ELi64EEEvPT0_PKT_iiiPKbib,comdat
.Lfunc_end111:
	.size	_ZN12_GLOBAL__N_120softmax_warp_forwardIN3c104HalfEffLi3ELb1ELb0ELi64EEEvPT0_PKT_iiiPKbib, .Lfunc_end111-_ZN12_GLOBAL__N_120softmax_warp_forwardIN3c104HalfEffLi3ELb1ELb0ELi64EEEvPT0_PKT_iiiPKbib
                                        ; -- End function
	.set _ZN12_GLOBAL__N_120softmax_warp_forwardIN3c104HalfEffLi3ELb1ELb0ELi64EEEvPT0_PKT_iiiPKbib.num_vgpr, 14
	.set _ZN12_GLOBAL__N_120softmax_warp_forwardIN3c104HalfEffLi3ELb1ELb0ELi64EEEvPT0_PKT_iiiPKbib.num_agpr, 0
	.set _ZN12_GLOBAL__N_120softmax_warp_forwardIN3c104HalfEffLi3ELb1ELb0ELi64EEEvPT0_PKT_iiiPKbib.numbered_sgpr, 16
	.set _ZN12_GLOBAL__N_120softmax_warp_forwardIN3c104HalfEffLi3ELb1ELb0ELi64EEEvPT0_PKT_iiiPKbib.num_named_barrier, 0
	.set _ZN12_GLOBAL__N_120softmax_warp_forwardIN3c104HalfEffLi3ELb1ELb0ELi64EEEvPT0_PKT_iiiPKbib.private_seg_size, 0
	.set _ZN12_GLOBAL__N_120softmax_warp_forwardIN3c104HalfEffLi3ELb1ELb0ELi64EEEvPT0_PKT_iiiPKbib.uses_vcc, 1
	.set _ZN12_GLOBAL__N_120softmax_warp_forwardIN3c104HalfEffLi3ELb1ELb0ELi64EEEvPT0_PKT_iiiPKbib.uses_flat_scratch, 0
	.set _ZN12_GLOBAL__N_120softmax_warp_forwardIN3c104HalfEffLi3ELb1ELb0ELi64EEEvPT0_PKT_iiiPKbib.has_dyn_sized_stack, 0
	.set _ZN12_GLOBAL__N_120softmax_warp_forwardIN3c104HalfEffLi3ELb1ELb0ELi64EEEvPT0_PKT_iiiPKbib.has_recursion, 0
	.set _ZN12_GLOBAL__N_120softmax_warp_forwardIN3c104HalfEffLi3ELb1ELb0ELi64EEEvPT0_PKT_iiiPKbib.has_indirect_call, 0
	.section	.AMDGPU.csdata,"",@progbits
; Kernel info:
; codeLenInByte = 1088
; TotalNumSgprs: 18
; NumVgprs: 14
; ScratchSize: 0
; MemoryBound: 0
; FloatMode: 240
; IeeeMode: 1
; LDSByteSize: 0 bytes/workgroup (compile time only)
; SGPRBlocks: 0
; VGPRBlocks: 1
; NumSGPRsForWavesPerEU: 18
; NumVGPRsForWavesPerEU: 14
; Occupancy: 16
; WaveLimiterHint : 0
; COMPUTE_PGM_RSRC2:SCRATCH_EN: 0
; COMPUTE_PGM_RSRC2:USER_SGPR: 6
; COMPUTE_PGM_RSRC2:TRAP_HANDLER: 0
; COMPUTE_PGM_RSRC2:TGID_X_EN: 1
; COMPUTE_PGM_RSRC2:TGID_Y_EN: 0
; COMPUTE_PGM_RSRC2:TGID_Z_EN: 0
; COMPUTE_PGM_RSRC2:TIDIG_COMP_CNT: 1
	.section	.text._ZN12_GLOBAL__N_120softmax_warp_forwardIN3c104HalfEffLi3ELb1ELb0ELi32EEEvPT0_PKT_iiiPKbib,"axG",@progbits,_ZN12_GLOBAL__N_120softmax_warp_forwardIN3c104HalfEffLi3ELb1ELb0ELi32EEEvPT0_PKT_iiiPKbib,comdat
	.globl	_ZN12_GLOBAL__N_120softmax_warp_forwardIN3c104HalfEffLi3ELb1ELb0ELi32EEEvPT0_PKT_iiiPKbib ; -- Begin function _ZN12_GLOBAL__N_120softmax_warp_forwardIN3c104HalfEffLi3ELb1ELb0ELi32EEEvPT0_PKT_iiiPKbib
	.p2align	8
	.type	_ZN12_GLOBAL__N_120softmax_warp_forwardIN3c104HalfEffLi3ELb1ELb0ELi32EEEvPT0_PKT_iiiPKbib,@function
_ZN12_GLOBAL__N_120softmax_warp_forwardIN3c104HalfEffLi3ELb1ELb0ELi32EEEvPT0_PKT_iiiPKbib: ; @_ZN12_GLOBAL__N_120softmax_warp_forwardIN3c104HalfEffLi3ELb1ELb0ELi32EEEvPT0_PKT_iiiPKbib
; %bb.0:
	s_clause 0x1
	s_load_dword s0, s[4:5], 0x3c
	s_load_dwordx8 s[8:15], s[4:5], 0x0
	v_mov_b32_e32 v6, 0xff800000
	s_waitcnt lgkmcnt(0)
	s_lshr_b32 s0, s0, 16
	v_cmp_gt_i32_e32 vcc_lo, s14, v0
	s_and_b32 s0, s0, 0xffff
	s_mul_i32 s6, s6, s0
	v_add_lshl_u32 v3, s6, v1, 1
	v_mad_u64_u32 v[1:2], null, v3, s13, v[0:1]
	v_sub_nc_u32_e32 v5, s12, v3
	v_mov_b32_e32 v0, 0xff800000
	v_cmp_lt_i32_e64 s0, 0, v5
	v_ashrrev_i32_e32 v2, 31, v1
	s_and_b32 s2, vcc_lo, s0
	v_lshlrev_b64 v[3:4], 1, v[1:2]
	v_add_co_u32 v3, s1, s10, v3
	v_add_co_ci_u32_e64 v4, null, s11, v4, s1
	s_and_saveexec_b32 s1, s2
	s_cbranch_execz .LBB112_2
; %bb.1:
	global_load_ushort v0, v[3:4], off
	s_waitcnt vmcnt(0)
	v_cvt_f32_f16_e32 v0, v0
.LBB112_2:
	s_or_b32 exec_lo, exec_lo, s1
	v_cmp_lt_i32_e64 s1, 1, v5
	s_and_b32 s1, vcc_lo, s1
	s_and_saveexec_b32 s2, s1
	s_cbranch_execz .LBB112_4
; %bb.3:
	s_mov_b32 s15, 0
	s_lshl_b64 s[4:5], s[14:15], 1
	v_add_co_u32 v3, s1, v3, s4
	v_add_co_ci_u32_e64 v4, null, s5, v4, s1
	global_load_ushort v3, v[3:4], off
	s_waitcnt vmcnt(0)
	v_cvt_f32_f16_e32 v6, v3
.LBB112_4:
	s_or_b32 exec_lo, exec_lo, s2
	v_mbcnt_lo_u32_b32 v3, -1, 0
	v_and_b32_e32 v4, 24, v3
	v_xor_b32_e32 v7, 4, v3
	v_xor_b32_e32 v10, 2, v3
	;; [unrolled: 1-line block ×3, first 2 shown]
	v_add_nc_u32_e32 v4, 8, v4
	v_cmp_lt_i32_e64 s1, v7, v4
	v_cndmask_b32_e64 v7, v3, v7, s1
	v_cmp_lt_i32_e64 s1, v10, v4
	v_lshlrev_b32_e32 v7, 2, v7
	v_cndmask_b32_e64 v10, v3, v10, s1
	ds_bpermute_b32 v8, v7, v0
	ds_bpermute_b32 v9, v7, v6
	v_lshlrev_b32_e32 v10, 2, v10
	s_waitcnt lgkmcnt(1)
	v_cmp_lt_f32_e64 s1, v0, v8
	v_cndmask_b32_e64 v8, v0, v8, s1
	s_waitcnt lgkmcnt(0)
	v_cmp_lt_f32_e64 s1, v6, v9
	ds_bpermute_b32 v11, v10, v8
	v_cndmask_b32_e64 v9, v6, v9, s1
	v_cmp_lt_i32_e64 s1, v13, v4
	ds_bpermute_b32 v12, v10, v9
	v_cndmask_b32_e64 v3, v3, v13, s1
	v_lshlrev_b32_e32 v13, 2, v3
	s_waitcnt lgkmcnt(1)
	v_cmp_lt_f32_e64 s1, v8, v11
	v_cndmask_b32_e64 v3, v8, v11, s1
	s_waitcnt lgkmcnt(0)
	v_cmp_lt_f32_e64 s1, v9, v12
	ds_bpermute_b32 v8, v13, v3
	v_cndmask_b32_e64 v4, v9, v12, s1
	ds_bpermute_b32 v9, v13, v4
	s_waitcnt lgkmcnt(1)
	v_cmp_lt_f32_e64 s1, v3, v8
	v_cndmask_b32_e64 v3, v3, v8, s1
	s_waitcnt lgkmcnt(0)
	v_cmp_lt_f32_e64 s1, v4, v9
	v_cndmask_b32_e64 v8, v4, v9, s1
	v_sub_f32_e32 v4, v0, v3
	v_sub_f32_e32 v3, v6, v8
	v_mul_f32_e32 v0, 0x3fb8aa3b, v4
	v_cmp_ngt_f32_e64 s1, 0xc2ce8ed0, v4
	v_mul_f32_e32 v6, 0x3fb8aa3b, v3
	v_fma_f32 v8, 0x3fb8aa3b, v4, -v0
	v_rndne_f32_e32 v9, v0
	v_fma_f32 v11, 0x3fb8aa3b, v3, -v6
	v_rndne_f32_e32 v12, v6
	v_fmac_f32_e32 v8, 0x32a5705f, v4
	v_sub_f32_e32 v0, v0, v9
	v_fmac_f32_e32 v11, 0x32a5705f, v3
	v_sub_f32_e32 v6, v6, v12
	v_add_f32_e32 v0, v0, v8
	v_cvt_i32_f32_e32 v8, v9
	v_cvt_i32_f32_e32 v9, v12
	v_add_f32_e32 v6, v6, v11
	v_exp_f32_e32 v0, v0
	v_exp_f32_e32 v6, v6
	v_ldexp_f32 v0, v0, v8
	v_ldexp_f32 v6, v6, v9
	v_cndmask_b32_e64 v0, 0, v0, s1
	v_cmp_ngt_f32_e64 s1, 0xc2ce8ed0, v3
	v_cndmask_b32_e64 v6, 0, v6, s1
	v_cmp_nlt_f32_e64 s1, 0x42b17218, v4
	v_cndmask_b32_e64 v0, 0x7f800000, v0, s1
	v_cmp_nlt_f32_e64 s1, 0x42b17218, v3
	ds_bpermute_b32 v8, v7, v0
	v_cndmask_b32_e64 v6, 0x7f800000, v6, s1
	ds_bpermute_b32 v7, v7, v6
	s_waitcnt lgkmcnt(1)
	v_add_f32_e32 v0, v0, v8
	s_waitcnt lgkmcnt(0)
	v_add_f32_e32 v6, v6, v7
	ds_bpermute_b32 v7, v10, v0
	ds_bpermute_b32 v9, v10, v6
	s_waitcnt lgkmcnt(1)
	v_add_f32_e32 v8, v0, v7
	s_waitcnt lgkmcnt(0)
	v_add_f32_e32 v6, v6, v9
	ds_bpermute_b32 v9, v13, v8
	ds_bpermute_b32 v7, v13, v6
	s_and_saveexec_b32 s1, s0
	s_cbranch_execz .LBB112_9
; %bb.5:
	v_lshlrev_b64 v[0:1], 2, v[1:2]
	v_add_co_u32 v0, s0, s8, v0
	v_add_co_ci_u32_e64 v1, null, s9, v1, s0
	s_and_saveexec_b32 s2, vcc_lo
	s_cbranch_execz .LBB112_7
; %bb.6:
	s_waitcnt lgkmcnt(1)
	v_add_f32_e32 v2, v8, v9
	v_cmp_gt_f32_e64 s0, 0x800000, v2
	v_cndmask_b32_e64 v8, 0, 32, s0
	v_ldexp_f32 v2, v2, v8
	v_log_f32_e32 v2, v2
	v_mul_f32_e32 v8, 0x3f317217, v2
	v_cmp_gt_f32_e64 s1, 0x7f800000, |v2|
	v_fma_f32 v8, 0x3f317217, v2, -v8
	v_fmamk_f32 v8, v2, 0x3377d1cf, v8
	v_fmac_f32_e32 v8, 0x3f317217, v2
	v_cndmask_b32_e64 v2, v2, v8, s1
	v_cndmask_b32_e64 v8, 0, 0x41b17218, s0
	v_sub_f32_e32 v2, v2, v8
	v_sub_f32_e32 v2, v4, v2
	global_store_dword v[0:1], v2, off
.LBB112_7:
	s_or_b32 exec_lo, exec_lo, s2
	v_cmp_ne_u32_e64 s0, 1, v5
	s_and_b32 s0, s0, vcc_lo
	s_and_b32 exec_lo, exec_lo, s0
	s_cbranch_execz .LBB112_9
; %bb.8:
	s_waitcnt lgkmcnt(0)
	v_add_f32_e32 v2, v6, v7
	s_mov_b32 s15, 0
	s_lshl_b64 s[0:1], s[14:15], 2
	v_cmp_gt_f32_e32 vcc_lo, 0x800000, v2
	v_cndmask_b32_e64 v4, 0, 32, vcc_lo
	v_cndmask_b32_e64 v5, 0, 0x41b17218, vcc_lo
	v_ldexp_f32 v2, v2, v4
	v_log_f32_e32 v2, v2
	v_mul_f32_e32 v4, 0x3f317217, v2
	v_cmp_gt_f32_e64 vcc_lo, 0x7f800000, |v2|
	v_fma_f32 v4, 0x3f317217, v2, -v4
	v_fmamk_f32 v4, v2, 0x3377d1cf, v4
	v_fmac_f32_e32 v4, 0x3f317217, v2
	v_cndmask_b32_e32 v2, v2, v4, vcc_lo
	v_add_co_u32 v0, vcc_lo, v0, s0
	v_add_co_ci_u32_e64 v1, null, s1, v1, vcc_lo
	v_sub_f32_e32 v2, v2, v5
	v_sub_f32_e32 v2, v3, v2
	global_store_dword v[0:1], v2, off
.LBB112_9:
	s_endpgm
	.section	.rodata,"a",@progbits
	.p2align	6, 0x0
	.amdhsa_kernel _ZN12_GLOBAL__N_120softmax_warp_forwardIN3c104HalfEffLi3ELb1ELb0ELi32EEEvPT0_PKT_iiiPKbib
		.amdhsa_group_segment_fixed_size 0
		.amdhsa_private_segment_fixed_size 0
		.amdhsa_kernarg_size 304
		.amdhsa_user_sgpr_count 6
		.amdhsa_user_sgpr_private_segment_buffer 1
		.amdhsa_user_sgpr_dispatch_ptr 0
		.amdhsa_user_sgpr_queue_ptr 0
		.amdhsa_user_sgpr_kernarg_segment_ptr 1
		.amdhsa_user_sgpr_dispatch_id 0
		.amdhsa_user_sgpr_flat_scratch_init 0
		.amdhsa_user_sgpr_private_segment_size 0
		.amdhsa_wavefront_size32 1
		.amdhsa_uses_dynamic_stack 0
		.amdhsa_system_sgpr_private_segment_wavefront_offset 0
		.amdhsa_system_sgpr_workgroup_id_x 1
		.amdhsa_system_sgpr_workgroup_id_y 0
		.amdhsa_system_sgpr_workgroup_id_z 0
		.amdhsa_system_sgpr_workgroup_info 0
		.amdhsa_system_vgpr_workitem_id 1
		.amdhsa_next_free_vgpr 14
		.amdhsa_next_free_sgpr 16
		.amdhsa_reserve_vcc 1
		.amdhsa_reserve_flat_scratch 0
		.amdhsa_float_round_mode_32 0
		.amdhsa_float_round_mode_16_64 0
		.amdhsa_float_denorm_mode_32 3
		.amdhsa_float_denorm_mode_16_64 3
		.amdhsa_dx10_clamp 1
		.amdhsa_ieee_mode 1
		.amdhsa_fp16_overflow 0
		.amdhsa_workgroup_processor_mode 1
		.amdhsa_memory_ordered 1
		.amdhsa_forward_progress 1
		.amdhsa_shared_vgpr_count 0
		.amdhsa_exception_fp_ieee_invalid_op 0
		.amdhsa_exception_fp_denorm_src 0
		.amdhsa_exception_fp_ieee_div_zero 0
		.amdhsa_exception_fp_ieee_overflow 0
		.amdhsa_exception_fp_ieee_underflow 0
		.amdhsa_exception_fp_ieee_inexact 0
		.amdhsa_exception_int_div_zero 0
	.end_amdhsa_kernel
	.section	.text._ZN12_GLOBAL__N_120softmax_warp_forwardIN3c104HalfEffLi3ELb1ELb0ELi32EEEvPT0_PKT_iiiPKbib,"axG",@progbits,_ZN12_GLOBAL__N_120softmax_warp_forwardIN3c104HalfEffLi3ELb1ELb0ELi32EEEvPT0_PKT_iiiPKbib,comdat
.Lfunc_end112:
	.size	_ZN12_GLOBAL__N_120softmax_warp_forwardIN3c104HalfEffLi3ELb1ELb0ELi32EEEvPT0_PKT_iiiPKbib, .Lfunc_end112-_ZN12_GLOBAL__N_120softmax_warp_forwardIN3c104HalfEffLi3ELb1ELb0ELi32EEEvPT0_PKT_iiiPKbib
                                        ; -- End function
	.set _ZN12_GLOBAL__N_120softmax_warp_forwardIN3c104HalfEffLi3ELb1ELb0ELi32EEEvPT0_PKT_iiiPKbib.num_vgpr, 14
	.set _ZN12_GLOBAL__N_120softmax_warp_forwardIN3c104HalfEffLi3ELb1ELb0ELi32EEEvPT0_PKT_iiiPKbib.num_agpr, 0
	.set _ZN12_GLOBAL__N_120softmax_warp_forwardIN3c104HalfEffLi3ELb1ELb0ELi32EEEvPT0_PKT_iiiPKbib.numbered_sgpr, 16
	.set _ZN12_GLOBAL__N_120softmax_warp_forwardIN3c104HalfEffLi3ELb1ELb0ELi32EEEvPT0_PKT_iiiPKbib.num_named_barrier, 0
	.set _ZN12_GLOBAL__N_120softmax_warp_forwardIN3c104HalfEffLi3ELb1ELb0ELi32EEEvPT0_PKT_iiiPKbib.private_seg_size, 0
	.set _ZN12_GLOBAL__N_120softmax_warp_forwardIN3c104HalfEffLi3ELb1ELb0ELi32EEEvPT0_PKT_iiiPKbib.uses_vcc, 1
	.set _ZN12_GLOBAL__N_120softmax_warp_forwardIN3c104HalfEffLi3ELb1ELb0ELi32EEEvPT0_PKT_iiiPKbib.uses_flat_scratch, 0
	.set _ZN12_GLOBAL__N_120softmax_warp_forwardIN3c104HalfEffLi3ELb1ELb0ELi32EEEvPT0_PKT_iiiPKbib.has_dyn_sized_stack, 0
	.set _ZN12_GLOBAL__N_120softmax_warp_forwardIN3c104HalfEffLi3ELb1ELb0ELi32EEEvPT0_PKT_iiiPKbib.has_recursion, 0
	.set _ZN12_GLOBAL__N_120softmax_warp_forwardIN3c104HalfEffLi3ELb1ELb0ELi32EEEvPT0_PKT_iiiPKbib.has_indirect_call, 0
	.section	.AMDGPU.csdata,"",@progbits
; Kernel info:
; codeLenInByte = 1088
; TotalNumSgprs: 18
; NumVgprs: 14
; ScratchSize: 0
; MemoryBound: 0
; FloatMode: 240
; IeeeMode: 1
; LDSByteSize: 0 bytes/workgroup (compile time only)
; SGPRBlocks: 0
; VGPRBlocks: 1
; NumSGPRsForWavesPerEU: 18
; NumVGPRsForWavesPerEU: 14
; Occupancy: 16
; WaveLimiterHint : 0
; COMPUTE_PGM_RSRC2:SCRATCH_EN: 0
; COMPUTE_PGM_RSRC2:USER_SGPR: 6
; COMPUTE_PGM_RSRC2:TRAP_HANDLER: 0
; COMPUTE_PGM_RSRC2:TGID_X_EN: 1
; COMPUTE_PGM_RSRC2:TGID_Y_EN: 0
; COMPUTE_PGM_RSRC2:TGID_Z_EN: 0
; COMPUTE_PGM_RSRC2:TIDIG_COMP_CNT: 1
	.section	.text._ZN12_GLOBAL__N_120softmax_warp_forwardIN3c104HalfEffLi4ELb1ELb0ELi64EEEvPT0_PKT_iiiPKbib,"axG",@progbits,_ZN12_GLOBAL__N_120softmax_warp_forwardIN3c104HalfEffLi4ELb1ELb0ELi64EEEvPT0_PKT_iiiPKbib,comdat
	.globl	_ZN12_GLOBAL__N_120softmax_warp_forwardIN3c104HalfEffLi4ELb1ELb0ELi64EEEvPT0_PKT_iiiPKbib ; -- Begin function _ZN12_GLOBAL__N_120softmax_warp_forwardIN3c104HalfEffLi4ELb1ELb0ELi64EEEvPT0_PKT_iiiPKbib
	.p2align	8
	.type	_ZN12_GLOBAL__N_120softmax_warp_forwardIN3c104HalfEffLi4ELb1ELb0ELi64EEEvPT0_PKT_iiiPKbib,@function
_ZN12_GLOBAL__N_120softmax_warp_forwardIN3c104HalfEffLi4ELb1ELb0ELi64EEEvPT0_PKT_iiiPKbib: ; @_ZN12_GLOBAL__N_120softmax_warp_forwardIN3c104HalfEffLi4ELb1ELb0ELi64EEEvPT0_PKT_iiiPKbib
; %bb.0:
	s_clause 0x1
	s_load_dword s0, s[4:5], 0x3c
	s_load_dwordx8 s[8:15], s[4:5], 0x0
	v_mov_b32_e32 v6, 0xff800000
	s_waitcnt lgkmcnt(0)
	s_lshr_b32 s0, s0, 16
	v_cmp_gt_i32_e32 vcc_lo, s14, v0
	s_and_b32 s0, s0, 0xffff
	s_mul_i32 s6, s6, s0
	v_add_lshl_u32 v3, s6, v1, 1
	v_mad_u64_u32 v[1:2], null, v3, s13, v[0:1]
	v_sub_nc_u32_e32 v5, s12, v3
	v_mov_b32_e32 v0, 0xff800000
	v_cmp_lt_i32_e64 s0, 0, v5
	v_ashrrev_i32_e32 v2, 31, v1
	s_and_b32 s2, vcc_lo, s0
	v_lshlrev_b64 v[3:4], 1, v[1:2]
	v_add_co_u32 v3, s1, s10, v3
	v_add_co_ci_u32_e64 v4, null, s11, v4, s1
	s_and_saveexec_b32 s1, s2
	s_cbranch_execz .LBB113_2
; %bb.1:
	global_load_ushort v0, v[3:4], off
	s_waitcnt vmcnt(0)
	v_cvt_f32_f16_e32 v0, v0
.LBB113_2:
	s_or_b32 exec_lo, exec_lo, s1
	v_cmp_lt_i32_e64 s1, 1, v5
	s_and_b32 s1, vcc_lo, s1
	s_and_saveexec_b32 s2, s1
	s_cbranch_execz .LBB113_4
; %bb.3:
	s_mov_b32 s15, 0
	s_lshl_b64 s[4:5], s[14:15], 1
	v_add_co_u32 v3, s1, v3, s4
	v_add_co_ci_u32_e64 v4, null, s5, v4, s1
	global_load_ushort v3, v[3:4], off
	s_waitcnt vmcnt(0)
	v_cvt_f32_f16_e32 v6, v3
.LBB113_4:
	s_or_b32 exec_lo, exec_lo, s2
	v_mbcnt_lo_u32_b32 v3, -1, 0
	v_and_b32_e32 v4, 16, v3
	v_xor_b32_e32 v7, 8, v3
	v_xor_b32_e32 v10, 4, v3
	;; [unrolled: 1-line block ×4, first 2 shown]
	v_add_nc_u32_e32 v4, 16, v4
	v_cmp_lt_i32_e64 s1, v7, v4
	v_cndmask_b32_e64 v7, v3, v7, s1
	v_cmp_lt_i32_e64 s1, v10, v4
	v_lshlrev_b32_e32 v7, 2, v7
	v_cndmask_b32_e64 v10, v3, v10, s1
	ds_bpermute_b32 v8, v7, v0
	ds_bpermute_b32 v9, v7, v6
	v_lshlrev_b32_e32 v10, 2, v10
	s_waitcnt lgkmcnt(1)
	v_cmp_lt_f32_e64 s1, v0, v8
	v_cndmask_b32_e64 v8, v0, v8, s1
	s_waitcnt lgkmcnt(0)
	v_cmp_lt_f32_e64 s1, v6, v9
	ds_bpermute_b32 v11, v10, v8
	v_cndmask_b32_e64 v9, v6, v9, s1
	v_cmp_lt_i32_e64 s1, v13, v4
	ds_bpermute_b32 v12, v10, v9
	v_cndmask_b32_e64 v13, v3, v13, s1
	v_lshlrev_b32_e32 v13, 2, v13
	s_waitcnt lgkmcnt(1)
	v_cmp_lt_f32_e64 s1, v8, v11
	v_cndmask_b32_e64 v8, v8, v11, s1
	s_waitcnt lgkmcnt(0)
	v_cmp_lt_f32_e64 s1, v9, v12
	ds_bpermute_b32 v11, v13, v8
	v_cndmask_b32_e64 v9, v9, v12, s1
	v_cmp_lt_i32_e64 s1, v14, v4
	ds_bpermute_b32 v12, v13, v9
	v_cndmask_b32_e64 v3, v3, v14, s1
	v_lshlrev_b32_e32 v14, 2, v3
	s_waitcnt lgkmcnt(1)
	v_cmp_lt_f32_e64 s1, v8, v11
	v_cndmask_b32_e64 v3, v8, v11, s1
	s_waitcnt lgkmcnt(0)
	v_cmp_lt_f32_e64 s1, v9, v12
	ds_bpermute_b32 v8, v14, v3
	v_cndmask_b32_e64 v4, v9, v12, s1
	ds_bpermute_b32 v9, v14, v4
	s_waitcnt lgkmcnt(1)
	v_cmp_lt_f32_e64 s1, v3, v8
	v_cndmask_b32_e64 v3, v3, v8, s1
	s_waitcnt lgkmcnt(0)
	v_cmp_lt_f32_e64 s1, v4, v9
	v_cndmask_b32_e64 v8, v4, v9, s1
	v_sub_f32_e32 v4, v0, v3
	v_sub_f32_e32 v3, v6, v8
	v_mul_f32_e32 v0, 0x3fb8aa3b, v4
	v_cmp_ngt_f32_e64 s1, 0xc2ce8ed0, v4
	v_mul_f32_e32 v6, 0x3fb8aa3b, v3
	v_fma_f32 v8, 0x3fb8aa3b, v4, -v0
	v_rndne_f32_e32 v9, v0
	v_fma_f32 v11, 0x3fb8aa3b, v3, -v6
	v_rndne_f32_e32 v12, v6
	v_fmac_f32_e32 v8, 0x32a5705f, v4
	v_sub_f32_e32 v0, v0, v9
	v_fmac_f32_e32 v11, 0x32a5705f, v3
	v_sub_f32_e32 v6, v6, v12
	v_add_f32_e32 v0, v0, v8
	v_cvt_i32_f32_e32 v8, v9
	v_cvt_i32_f32_e32 v9, v12
	v_add_f32_e32 v6, v6, v11
	v_exp_f32_e32 v0, v0
	v_exp_f32_e32 v6, v6
	v_ldexp_f32 v0, v0, v8
	v_ldexp_f32 v6, v6, v9
	v_cndmask_b32_e64 v0, 0, v0, s1
	v_cmp_ngt_f32_e64 s1, 0xc2ce8ed0, v3
	v_cndmask_b32_e64 v6, 0, v6, s1
	v_cmp_nlt_f32_e64 s1, 0x42b17218, v4
	v_cndmask_b32_e64 v0, 0x7f800000, v0, s1
	v_cmp_nlt_f32_e64 s1, 0x42b17218, v3
	ds_bpermute_b32 v8, v7, v0
	v_cndmask_b32_e64 v6, 0x7f800000, v6, s1
	ds_bpermute_b32 v7, v7, v6
	s_waitcnt lgkmcnt(1)
	v_add_f32_e32 v0, v0, v8
	s_waitcnt lgkmcnt(0)
	v_add_f32_e32 v6, v6, v7
	ds_bpermute_b32 v7, v10, v0
	ds_bpermute_b32 v8, v10, v6
	s_waitcnt lgkmcnt(1)
	v_add_f32_e32 v0, v0, v7
	s_waitcnt lgkmcnt(0)
	v_add_f32_e32 v6, v6, v8
	ds_bpermute_b32 v7, v13, v0
	;; [unrolled: 6-line block ×3, first 2 shown]
	ds_bpermute_b32 v7, v14, v6
	s_and_saveexec_b32 s1, s0
	s_cbranch_execz .LBB113_9
; %bb.5:
	v_lshlrev_b64 v[0:1], 2, v[1:2]
	v_add_co_u32 v0, s0, s8, v0
	v_add_co_ci_u32_e64 v1, null, s9, v1, s0
	s_and_saveexec_b32 s2, vcc_lo
	s_cbranch_execz .LBB113_7
; %bb.6:
	s_waitcnt lgkmcnt(1)
	v_add_f32_e32 v2, v8, v9
	v_cmp_gt_f32_e64 s0, 0x800000, v2
	v_cndmask_b32_e64 v8, 0, 32, s0
	v_ldexp_f32 v2, v2, v8
	v_log_f32_e32 v2, v2
	v_mul_f32_e32 v8, 0x3f317217, v2
	v_cmp_gt_f32_e64 s1, 0x7f800000, |v2|
	v_fma_f32 v8, 0x3f317217, v2, -v8
	v_fmamk_f32 v8, v2, 0x3377d1cf, v8
	v_fmac_f32_e32 v8, 0x3f317217, v2
	v_cndmask_b32_e64 v2, v2, v8, s1
	v_cndmask_b32_e64 v8, 0, 0x41b17218, s0
	v_sub_f32_e32 v2, v2, v8
	v_sub_f32_e32 v2, v4, v2
	global_store_dword v[0:1], v2, off
.LBB113_7:
	s_or_b32 exec_lo, exec_lo, s2
	v_cmp_ne_u32_e64 s0, 1, v5
	s_and_b32 s0, s0, vcc_lo
	s_and_b32 exec_lo, exec_lo, s0
	s_cbranch_execz .LBB113_9
; %bb.8:
	s_waitcnt lgkmcnt(0)
	v_add_f32_e32 v2, v6, v7
	s_mov_b32 s15, 0
	s_lshl_b64 s[0:1], s[14:15], 2
	v_cmp_gt_f32_e32 vcc_lo, 0x800000, v2
	v_cndmask_b32_e64 v4, 0, 32, vcc_lo
	v_cndmask_b32_e64 v5, 0, 0x41b17218, vcc_lo
	v_ldexp_f32 v2, v2, v4
	v_log_f32_e32 v2, v2
	v_mul_f32_e32 v4, 0x3f317217, v2
	v_cmp_gt_f32_e64 vcc_lo, 0x7f800000, |v2|
	v_fma_f32 v4, 0x3f317217, v2, -v4
	v_fmamk_f32 v4, v2, 0x3377d1cf, v4
	v_fmac_f32_e32 v4, 0x3f317217, v2
	v_cndmask_b32_e32 v2, v2, v4, vcc_lo
	v_add_co_u32 v0, vcc_lo, v0, s0
	v_add_co_ci_u32_e64 v1, null, s1, v1, vcc_lo
	v_sub_f32_e32 v2, v2, v5
	v_sub_f32_e32 v2, v3, v2
	global_store_dword v[0:1], v2, off
.LBB113_9:
	s_endpgm
	.section	.rodata,"a",@progbits
	.p2align	6, 0x0
	.amdhsa_kernel _ZN12_GLOBAL__N_120softmax_warp_forwardIN3c104HalfEffLi4ELb1ELb0ELi64EEEvPT0_PKT_iiiPKbib
		.amdhsa_group_segment_fixed_size 0
		.amdhsa_private_segment_fixed_size 0
		.amdhsa_kernarg_size 304
		.amdhsa_user_sgpr_count 6
		.amdhsa_user_sgpr_private_segment_buffer 1
		.amdhsa_user_sgpr_dispatch_ptr 0
		.amdhsa_user_sgpr_queue_ptr 0
		.amdhsa_user_sgpr_kernarg_segment_ptr 1
		.amdhsa_user_sgpr_dispatch_id 0
		.amdhsa_user_sgpr_flat_scratch_init 0
		.amdhsa_user_sgpr_private_segment_size 0
		.amdhsa_wavefront_size32 1
		.amdhsa_uses_dynamic_stack 0
		.amdhsa_system_sgpr_private_segment_wavefront_offset 0
		.amdhsa_system_sgpr_workgroup_id_x 1
		.amdhsa_system_sgpr_workgroup_id_y 0
		.amdhsa_system_sgpr_workgroup_id_z 0
		.amdhsa_system_sgpr_workgroup_info 0
		.amdhsa_system_vgpr_workitem_id 1
		.amdhsa_next_free_vgpr 15
		.amdhsa_next_free_sgpr 16
		.amdhsa_reserve_vcc 1
		.amdhsa_reserve_flat_scratch 0
		.amdhsa_float_round_mode_32 0
		.amdhsa_float_round_mode_16_64 0
		.amdhsa_float_denorm_mode_32 3
		.amdhsa_float_denorm_mode_16_64 3
		.amdhsa_dx10_clamp 1
		.amdhsa_ieee_mode 1
		.amdhsa_fp16_overflow 0
		.amdhsa_workgroup_processor_mode 1
		.amdhsa_memory_ordered 1
		.amdhsa_forward_progress 1
		.amdhsa_shared_vgpr_count 0
		.amdhsa_exception_fp_ieee_invalid_op 0
		.amdhsa_exception_fp_denorm_src 0
		.amdhsa_exception_fp_ieee_div_zero 0
		.amdhsa_exception_fp_ieee_overflow 0
		.amdhsa_exception_fp_ieee_underflow 0
		.amdhsa_exception_fp_ieee_inexact 0
		.amdhsa_exception_int_div_zero 0
	.end_amdhsa_kernel
	.section	.text._ZN12_GLOBAL__N_120softmax_warp_forwardIN3c104HalfEffLi4ELb1ELb0ELi64EEEvPT0_PKT_iiiPKbib,"axG",@progbits,_ZN12_GLOBAL__N_120softmax_warp_forwardIN3c104HalfEffLi4ELb1ELb0ELi64EEEvPT0_PKT_iiiPKbib,comdat
.Lfunc_end113:
	.size	_ZN12_GLOBAL__N_120softmax_warp_forwardIN3c104HalfEffLi4ELb1ELb0ELi64EEEvPT0_PKT_iiiPKbib, .Lfunc_end113-_ZN12_GLOBAL__N_120softmax_warp_forwardIN3c104HalfEffLi4ELb1ELb0ELi64EEEvPT0_PKT_iiiPKbib
                                        ; -- End function
	.set _ZN12_GLOBAL__N_120softmax_warp_forwardIN3c104HalfEffLi4ELb1ELb0ELi64EEEvPT0_PKT_iiiPKbib.num_vgpr, 15
	.set _ZN12_GLOBAL__N_120softmax_warp_forwardIN3c104HalfEffLi4ELb1ELb0ELi64EEEvPT0_PKT_iiiPKbib.num_agpr, 0
	.set _ZN12_GLOBAL__N_120softmax_warp_forwardIN3c104HalfEffLi4ELb1ELb0ELi64EEEvPT0_PKT_iiiPKbib.numbered_sgpr, 16
	.set _ZN12_GLOBAL__N_120softmax_warp_forwardIN3c104HalfEffLi4ELb1ELb0ELi64EEEvPT0_PKT_iiiPKbib.num_named_barrier, 0
	.set _ZN12_GLOBAL__N_120softmax_warp_forwardIN3c104HalfEffLi4ELb1ELb0ELi64EEEvPT0_PKT_iiiPKbib.private_seg_size, 0
	.set _ZN12_GLOBAL__N_120softmax_warp_forwardIN3c104HalfEffLi4ELb1ELb0ELi64EEEvPT0_PKT_iiiPKbib.uses_vcc, 1
	.set _ZN12_GLOBAL__N_120softmax_warp_forwardIN3c104HalfEffLi4ELb1ELb0ELi64EEEvPT0_PKT_iiiPKbib.uses_flat_scratch, 0
	.set _ZN12_GLOBAL__N_120softmax_warp_forwardIN3c104HalfEffLi4ELb1ELb0ELi64EEEvPT0_PKT_iiiPKbib.has_dyn_sized_stack, 0
	.set _ZN12_GLOBAL__N_120softmax_warp_forwardIN3c104HalfEffLi4ELb1ELb0ELi64EEEvPT0_PKT_iiiPKbib.has_recursion, 0
	.set _ZN12_GLOBAL__N_120softmax_warp_forwardIN3c104HalfEffLi4ELb1ELb0ELi64EEEvPT0_PKT_iiiPKbib.has_indirect_call, 0
	.section	.AMDGPU.csdata,"",@progbits
; Kernel info:
; codeLenInByte = 1200
; TotalNumSgprs: 18
; NumVgprs: 15
; ScratchSize: 0
; MemoryBound: 0
; FloatMode: 240
; IeeeMode: 1
; LDSByteSize: 0 bytes/workgroup (compile time only)
; SGPRBlocks: 0
; VGPRBlocks: 1
; NumSGPRsForWavesPerEU: 18
; NumVGPRsForWavesPerEU: 15
; Occupancy: 16
; WaveLimiterHint : 0
; COMPUTE_PGM_RSRC2:SCRATCH_EN: 0
; COMPUTE_PGM_RSRC2:USER_SGPR: 6
; COMPUTE_PGM_RSRC2:TRAP_HANDLER: 0
; COMPUTE_PGM_RSRC2:TGID_X_EN: 1
; COMPUTE_PGM_RSRC2:TGID_Y_EN: 0
; COMPUTE_PGM_RSRC2:TGID_Z_EN: 0
; COMPUTE_PGM_RSRC2:TIDIG_COMP_CNT: 1
	.section	.text._ZN12_GLOBAL__N_120softmax_warp_forwardIN3c104HalfEffLi4ELb1ELb0ELi32EEEvPT0_PKT_iiiPKbib,"axG",@progbits,_ZN12_GLOBAL__N_120softmax_warp_forwardIN3c104HalfEffLi4ELb1ELb0ELi32EEEvPT0_PKT_iiiPKbib,comdat
	.globl	_ZN12_GLOBAL__N_120softmax_warp_forwardIN3c104HalfEffLi4ELb1ELb0ELi32EEEvPT0_PKT_iiiPKbib ; -- Begin function _ZN12_GLOBAL__N_120softmax_warp_forwardIN3c104HalfEffLi4ELb1ELb0ELi32EEEvPT0_PKT_iiiPKbib
	.p2align	8
	.type	_ZN12_GLOBAL__N_120softmax_warp_forwardIN3c104HalfEffLi4ELb1ELb0ELi32EEEvPT0_PKT_iiiPKbib,@function
_ZN12_GLOBAL__N_120softmax_warp_forwardIN3c104HalfEffLi4ELb1ELb0ELi32EEEvPT0_PKT_iiiPKbib: ; @_ZN12_GLOBAL__N_120softmax_warp_forwardIN3c104HalfEffLi4ELb1ELb0ELi32EEEvPT0_PKT_iiiPKbib
; %bb.0:
	s_clause 0x1
	s_load_dword s0, s[4:5], 0x3c
	s_load_dwordx8 s[8:15], s[4:5], 0x0
	v_mov_b32_e32 v6, 0xff800000
	s_waitcnt lgkmcnt(0)
	s_lshr_b32 s0, s0, 16
	v_cmp_gt_i32_e32 vcc_lo, s14, v0
	s_and_b32 s0, s0, 0xffff
	s_mul_i32 s6, s6, s0
	v_add_lshl_u32 v3, s6, v1, 1
	v_mad_u64_u32 v[1:2], null, v3, s13, v[0:1]
	v_sub_nc_u32_e32 v5, s12, v3
	v_mov_b32_e32 v0, 0xff800000
	v_cmp_lt_i32_e64 s0, 0, v5
	v_ashrrev_i32_e32 v2, 31, v1
	s_and_b32 s2, vcc_lo, s0
	v_lshlrev_b64 v[3:4], 1, v[1:2]
	v_add_co_u32 v3, s1, s10, v3
	v_add_co_ci_u32_e64 v4, null, s11, v4, s1
	s_and_saveexec_b32 s1, s2
	s_cbranch_execz .LBB114_2
; %bb.1:
	global_load_ushort v0, v[3:4], off
	s_waitcnt vmcnt(0)
	v_cvt_f32_f16_e32 v0, v0
.LBB114_2:
	s_or_b32 exec_lo, exec_lo, s1
	v_cmp_lt_i32_e64 s1, 1, v5
	s_and_b32 s1, vcc_lo, s1
	s_and_saveexec_b32 s2, s1
	s_cbranch_execz .LBB114_4
; %bb.3:
	s_mov_b32 s15, 0
	s_lshl_b64 s[4:5], s[14:15], 1
	v_add_co_u32 v3, s1, v3, s4
	v_add_co_ci_u32_e64 v4, null, s5, v4, s1
	global_load_ushort v3, v[3:4], off
	s_waitcnt vmcnt(0)
	v_cvt_f32_f16_e32 v6, v3
.LBB114_4:
	s_or_b32 exec_lo, exec_lo, s2
	v_mbcnt_lo_u32_b32 v3, -1, 0
	v_and_b32_e32 v4, 16, v3
	v_xor_b32_e32 v7, 8, v3
	v_xor_b32_e32 v10, 4, v3
	;; [unrolled: 1-line block ×4, first 2 shown]
	v_add_nc_u32_e32 v4, 16, v4
	v_cmp_lt_i32_e64 s1, v7, v4
	v_cndmask_b32_e64 v7, v3, v7, s1
	v_cmp_lt_i32_e64 s1, v10, v4
	v_lshlrev_b32_e32 v7, 2, v7
	v_cndmask_b32_e64 v10, v3, v10, s1
	ds_bpermute_b32 v8, v7, v0
	ds_bpermute_b32 v9, v7, v6
	v_lshlrev_b32_e32 v10, 2, v10
	s_waitcnt lgkmcnt(1)
	v_cmp_lt_f32_e64 s1, v0, v8
	v_cndmask_b32_e64 v8, v0, v8, s1
	s_waitcnt lgkmcnt(0)
	v_cmp_lt_f32_e64 s1, v6, v9
	ds_bpermute_b32 v11, v10, v8
	v_cndmask_b32_e64 v9, v6, v9, s1
	v_cmp_lt_i32_e64 s1, v13, v4
	ds_bpermute_b32 v12, v10, v9
	v_cndmask_b32_e64 v13, v3, v13, s1
	v_lshlrev_b32_e32 v13, 2, v13
	s_waitcnt lgkmcnt(1)
	v_cmp_lt_f32_e64 s1, v8, v11
	v_cndmask_b32_e64 v8, v8, v11, s1
	s_waitcnt lgkmcnt(0)
	v_cmp_lt_f32_e64 s1, v9, v12
	ds_bpermute_b32 v11, v13, v8
	v_cndmask_b32_e64 v9, v9, v12, s1
	v_cmp_lt_i32_e64 s1, v14, v4
	ds_bpermute_b32 v12, v13, v9
	v_cndmask_b32_e64 v3, v3, v14, s1
	v_lshlrev_b32_e32 v14, 2, v3
	s_waitcnt lgkmcnt(1)
	v_cmp_lt_f32_e64 s1, v8, v11
	v_cndmask_b32_e64 v3, v8, v11, s1
	s_waitcnt lgkmcnt(0)
	v_cmp_lt_f32_e64 s1, v9, v12
	ds_bpermute_b32 v8, v14, v3
	v_cndmask_b32_e64 v4, v9, v12, s1
	ds_bpermute_b32 v9, v14, v4
	s_waitcnt lgkmcnt(1)
	v_cmp_lt_f32_e64 s1, v3, v8
	v_cndmask_b32_e64 v3, v3, v8, s1
	s_waitcnt lgkmcnt(0)
	v_cmp_lt_f32_e64 s1, v4, v9
	v_cndmask_b32_e64 v8, v4, v9, s1
	v_sub_f32_e32 v4, v0, v3
	v_sub_f32_e32 v3, v6, v8
	v_mul_f32_e32 v0, 0x3fb8aa3b, v4
	v_cmp_ngt_f32_e64 s1, 0xc2ce8ed0, v4
	v_mul_f32_e32 v6, 0x3fb8aa3b, v3
	v_fma_f32 v8, 0x3fb8aa3b, v4, -v0
	v_rndne_f32_e32 v9, v0
	v_fma_f32 v11, 0x3fb8aa3b, v3, -v6
	v_rndne_f32_e32 v12, v6
	v_fmac_f32_e32 v8, 0x32a5705f, v4
	v_sub_f32_e32 v0, v0, v9
	v_fmac_f32_e32 v11, 0x32a5705f, v3
	v_sub_f32_e32 v6, v6, v12
	v_add_f32_e32 v0, v0, v8
	v_cvt_i32_f32_e32 v8, v9
	v_cvt_i32_f32_e32 v9, v12
	v_add_f32_e32 v6, v6, v11
	v_exp_f32_e32 v0, v0
	v_exp_f32_e32 v6, v6
	v_ldexp_f32 v0, v0, v8
	v_ldexp_f32 v6, v6, v9
	v_cndmask_b32_e64 v0, 0, v0, s1
	v_cmp_ngt_f32_e64 s1, 0xc2ce8ed0, v3
	v_cndmask_b32_e64 v6, 0, v6, s1
	v_cmp_nlt_f32_e64 s1, 0x42b17218, v4
	v_cndmask_b32_e64 v0, 0x7f800000, v0, s1
	v_cmp_nlt_f32_e64 s1, 0x42b17218, v3
	ds_bpermute_b32 v8, v7, v0
	v_cndmask_b32_e64 v6, 0x7f800000, v6, s1
	ds_bpermute_b32 v7, v7, v6
	s_waitcnt lgkmcnt(1)
	v_add_f32_e32 v0, v0, v8
	s_waitcnt lgkmcnt(0)
	v_add_f32_e32 v6, v6, v7
	ds_bpermute_b32 v7, v10, v0
	ds_bpermute_b32 v8, v10, v6
	s_waitcnt lgkmcnt(1)
	v_add_f32_e32 v0, v0, v7
	s_waitcnt lgkmcnt(0)
	v_add_f32_e32 v6, v6, v8
	ds_bpermute_b32 v7, v13, v0
	;; [unrolled: 6-line block ×3, first 2 shown]
	ds_bpermute_b32 v7, v14, v6
	s_and_saveexec_b32 s1, s0
	s_cbranch_execz .LBB114_9
; %bb.5:
	v_lshlrev_b64 v[0:1], 2, v[1:2]
	v_add_co_u32 v0, s0, s8, v0
	v_add_co_ci_u32_e64 v1, null, s9, v1, s0
	s_and_saveexec_b32 s2, vcc_lo
	s_cbranch_execz .LBB114_7
; %bb.6:
	s_waitcnt lgkmcnt(1)
	v_add_f32_e32 v2, v8, v9
	v_cmp_gt_f32_e64 s0, 0x800000, v2
	v_cndmask_b32_e64 v8, 0, 32, s0
	v_ldexp_f32 v2, v2, v8
	v_log_f32_e32 v2, v2
	v_mul_f32_e32 v8, 0x3f317217, v2
	v_cmp_gt_f32_e64 s1, 0x7f800000, |v2|
	v_fma_f32 v8, 0x3f317217, v2, -v8
	v_fmamk_f32 v8, v2, 0x3377d1cf, v8
	v_fmac_f32_e32 v8, 0x3f317217, v2
	v_cndmask_b32_e64 v2, v2, v8, s1
	v_cndmask_b32_e64 v8, 0, 0x41b17218, s0
	v_sub_f32_e32 v2, v2, v8
	v_sub_f32_e32 v2, v4, v2
	global_store_dword v[0:1], v2, off
.LBB114_7:
	s_or_b32 exec_lo, exec_lo, s2
	v_cmp_ne_u32_e64 s0, 1, v5
	s_and_b32 s0, s0, vcc_lo
	s_and_b32 exec_lo, exec_lo, s0
	s_cbranch_execz .LBB114_9
; %bb.8:
	s_waitcnt lgkmcnt(0)
	v_add_f32_e32 v2, v6, v7
	s_mov_b32 s15, 0
	s_lshl_b64 s[0:1], s[14:15], 2
	v_cmp_gt_f32_e32 vcc_lo, 0x800000, v2
	v_cndmask_b32_e64 v4, 0, 32, vcc_lo
	v_cndmask_b32_e64 v5, 0, 0x41b17218, vcc_lo
	v_ldexp_f32 v2, v2, v4
	v_log_f32_e32 v2, v2
	v_mul_f32_e32 v4, 0x3f317217, v2
	v_cmp_gt_f32_e64 vcc_lo, 0x7f800000, |v2|
	v_fma_f32 v4, 0x3f317217, v2, -v4
	v_fmamk_f32 v4, v2, 0x3377d1cf, v4
	v_fmac_f32_e32 v4, 0x3f317217, v2
	v_cndmask_b32_e32 v2, v2, v4, vcc_lo
	v_add_co_u32 v0, vcc_lo, v0, s0
	v_add_co_ci_u32_e64 v1, null, s1, v1, vcc_lo
	v_sub_f32_e32 v2, v2, v5
	v_sub_f32_e32 v2, v3, v2
	global_store_dword v[0:1], v2, off
.LBB114_9:
	s_endpgm
	.section	.rodata,"a",@progbits
	.p2align	6, 0x0
	.amdhsa_kernel _ZN12_GLOBAL__N_120softmax_warp_forwardIN3c104HalfEffLi4ELb1ELb0ELi32EEEvPT0_PKT_iiiPKbib
		.amdhsa_group_segment_fixed_size 0
		.amdhsa_private_segment_fixed_size 0
		.amdhsa_kernarg_size 304
		.amdhsa_user_sgpr_count 6
		.amdhsa_user_sgpr_private_segment_buffer 1
		.amdhsa_user_sgpr_dispatch_ptr 0
		.amdhsa_user_sgpr_queue_ptr 0
		.amdhsa_user_sgpr_kernarg_segment_ptr 1
		.amdhsa_user_sgpr_dispatch_id 0
		.amdhsa_user_sgpr_flat_scratch_init 0
		.amdhsa_user_sgpr_private_segment_size 0
		.amdhsa_wavefront_size32 1
		.amdhsa_uses_dynamic_stack 0
		.amdhsa_system_sgpr_private_segment_wavefront_offset 0
		.amdhsa_system_sgpr_workgroup_id_x 1
		.amdhsa_system_sgpr_workgroup_id_y 0
		.amdhsa_system_sgpr_workgroup_id_z 0
		.amdhsa_system_sgpr_workgroup_info 0
		.amdhsa_system_vgpr_workitem_id 1
		.amdhsa_next_free_vgpr 15
		.amdhsa_next_free_sgpr 16
		.amdhsa_reserve_vcc 1
		.amdhsa_reserve_flat_scratch 0
		.amdhsa_float_round_mode_32 0
		.amdhsa_float_round_mode_16_64 0
		.amdhsa_float_denorm_mode_32 3
		.amdhsa_float_denorm_mode_16_64 3
		.amdhsa_dx10_clamp 1
		.amdhsa_ieee_mode 1
		.amdhsa_fp16_overflow 0
		.amdhsa_workgroup_processor_mode 1
		.amdhsa_memory_ordered 1
		.amdhsa_forward_progress 1
		.amdhsa_shared_vgpr_count 0
		.amdhsa_exception_fp_ieee_invalid_op 0
		.amdhsa_exception_fp_denorm_src 0
		.amdhsa_exception_fp_ieee_div_zero 0
		.amdhsa_exception_fp_ieee_overflow 0
		.amdhsa_exception_fp_ieee_underflow 0
		.amdhsa_exception_fp_ieee_inexact 0
		.amdhsa_exception_int_div_zero 0
	.end_amdhsa_kernel
	.section	.text._ZN12_GLOBAL__N_120softmax_warp_forwardIN3c104HalfEffLi4ELb1ELb0ELi32EEEvPT0_PKT_iiiPKbib,"axG",@progbits,_ZN12_GLOBAL__N_120softmax_warp_forwardIN3c104HalfEffLi4ELb1ELb0ELi32EEEvPT0_PKT_iiiPKbib,comdat
.Lfunc_end114:
	.size	_ZN12_GLOBAL__N_120softmax_warp_forwardIN3c104HalfEffLi4ELb1ELb0ELi32EEEvPT0_PKT_iiiPKbib, .Lfunc_end114-_ZN12_GLOBAL__N_120softmax_warp_forwardIN3c104HalfEffLi4ELb1ELb0ELi32EEEvPT0_PKT_iiiPKbib
                                        ; -- End function
	.set _ZN12_GLOBAL__N_120softmax_warp_forwardIN3c104HalfEffLi4ELb1ELb0ELi32EEEvPT0_PKT_iiiPKbib.num_vgpr, 15
	.set _ZN12_GLOBAL__N_120softmax_warp_forwardIN3c104HalfEffLi4ELb1ELb0ELi32EEEvPT0_PKT_iiiPKbib.num_agpr, 0
	.set _ZN12_GLOBAL__N_120softmax_warp_forwardIN3c104HalfEffLi4ELb1ELb0ELi32EEEvPT0_PKT_iiiPKbib.numbered_sgpr, 16
	.set _ZN12_GLOBAL__N_120softmax_warp_forwardIN3c104HalfEffLi4ELb1ELb0ELi32EEEvPT0_PKT_iiiPKbib.num_named_barrier, 0
	.set _ZN12_GLOBAL__N_120softmax_warp_forwardIN3c104HalfEffLi4ELb1ELb0ELi32EEEvPT0_PKT_iiiPKbib.private_seg_size, 0
	.set _ZN12_GLOBAL__N_120softmax_warp_forwardIN3c104HalfEffLi4ELb1ELb0ELi32EEEvPT0_PKT_iiiPKbib.uses_vcc, 1
	.set _ZN12_GLOBAL__N_120softmax_warp_forwardIN3c104HalfEffLi4ELb1ELb0ELi32EEEvPT0_PKT_iiiPKbib.uses_flat_scratch, 0
	.set _ZN12_GLOBAL__N_120softmax_warp_forwardIN3c104HalfEffLi4ELb1ELb0ELi32EEEvPT0_PKT_iiiPKbib.has_dyn_sized_stack, 0
	.set _ZN12_GLOBAL__N_120softmax_warp_forwardIN3c104HalfEffLi4ELb1ELb0ELi32EEEvPT0_PKT_iiiPKbib.has_recursion, 0
	.set _ZN12_GLOBAL__N_120softmax_warp_forwardIN3c104HalfEffLi4ELb1ELb0ELi32EEEvPT0_PKT_iiiPKbib.has_indirect_call, 0
	.section	.AMDGPU.csdata,"",@progbits
; Kernel info:
; codeLenInByte = 1200
; TotalNumSgprs: 18
; NumVgprs: 15
; ScratchSize: 0
; MemoryBound: 0
; FloatMode: 240
; IeeeMode: 1
; LDSByteSize: 0 bytes/workgroup (compile time only)
; SGPRBlocks: 0
; VGPRBlocks: 1
; NumSGPRsForWavesPerEU: 18
; NumVGPRsForWavesPerEU: 15
; Occupancy: 16
; WaveLimiterHint : 0
; COMPUTE_PGM_RSRC2:SCRATCH_EN: 0
; COMPUTE_PGM_RSRC2:USER_SGPR: 6
; COMPUTE_PGM_RSRC2:TRAP_HANDLER: 0
; COMPUTE_PGM_RSRC2:TGID_X_EN: 1
; COMPUTE_PGM_RSRC2:TGID_Y_EN: 0
; COMPUTE_PGM_RSRC2:TGID_Z_EN: 0
; COMPUTE_PGM_RSRC2:TIDIG_COMP_CNT: 1
	.section	.text._ZN12_GLOBAL__N_120softmax_warp_forwardIN3c104HalfEffLi5ELb1ELb0ELi64EEEvPT0_PKT_iiiPKbib,"axG",@progbits,_ZN12_GLOBAL__N_120softmax_warp_forwardIN3c104HalfEffLi5ELb1ELb0ELi64EEEvPT0_PKT_iiiPKbib,comdat
	.globl	_ZN12_GLOBAL__N_120softmax_warp_forwardIN3c104HalfEffLi5ELb1ELb0ELi64EEEvPT0_PKT_iiiPKbib ; -- Begin function _ZN12_GLOBAL__N_120softmax_warp_forwardIN3c104HalfEffLi5ELb1ELb0ELi64EEEvPT0_PKT_iiiPKbib
	.p2align	8
	.type	_ZN12_GLOBAL__N_120softmax_warp_forwardIN3c104HalfEffLi5ELb1ELb0ELi64EEEvPT0_PKT_iiiPKbib,@function
_ZN12_GLOBAL__N_120softmax_warp_forwardIN3c104HalfEffLi5ELb1ELb0ELi64EEEvPT0_PKT_iiiPKbib: ; @_ZN12_GLOBAL__N_120softmax_warp_forwardIN3c104HalfEffLi5ELb1ELb0ELi64EEEvPT0_PKT_iiiPKbib
; %bb.0:
	s_clause 0x1
	s_load_dword s0, s[4:5], 0x3c
	s_load_dwordx8 s[8:15], s[4:5], 0x0
	v_mov_b32_e32 v6, 0xff800000
	s_waitcnt lgkmcnt(0)
	s_lshr_b32 s0, s0, 16
	v_cmp_gt_i32_e32 vcc_lo, s14, v0
	s_and_b32 s0, s0, 0xffff
	s_mul_i32 s6, s6, s0
	v_add_lshl_u32 v3, s6, v1, 1
	v_mad_u64_u32 v[1:2], null, v3, s13, v[0:1]
	v_sub_nc_u32_e32 v5, s12, v3
	v_mov_b32_e32 v0, 0xff800000
	v_cmp_lt_i32_e64 s0, 0, v5
	v_ashrrev_i32_e32 v2, 31, v1
	s_and_b32 s2, vcc_lo, s0
	v_lshlrev_b64 v[3:4], 1, v[1:2]
	v_add_co_u32 v3, s1, s10, v3
	v_add_co_ci_u32_e64 v4, null, s11, v4, s1
	s_and_saveexec_b32 s1, s2
	s_cbranch_execz .LBB115_2
; %bb.1:
	global_load_ushort v0, v[3:4], off
	s_waitcnt vmcnt(0)
	v_cvt_f32_f16_e32 v0, v0
.LBB115_2:
	s_or_b32 exec_lo, exec_lo, s1
	v_cmp_lt_i32_e64 s1, 1, v5
	s_and_b32 s1, vcc_lo, s1
	s_and_saveexec_b32 s2, s1
	s_cbranch_execz .LBB115_4
; %bb.3:
	s_mov_b32 s15, 0
	s_lshl_b64 s[4:5], s[14:15], 1
	v_add_co_u32 v3, s1, v3, s4
	v_add_co_ci_u32_e64 v4, null, s5, v4, s1
	global_load_ushort v3, v[3:4], off
	s_waitcnt vmcnt(0)
	v_cvt_f32_f16_e32 v6, v3
.LBB115_4:
	s_or_b32 exec_lo, exec_lo, s2
	v_mbcnt_lo_u32_b32 v3, -1, 0
	v_xor_b32_e32 v4, 16, v3
	v_xor_b32_e32 v9, 8, v3
	;; [unrolled: 1-line block ×5, first 2 shown]
	v_cmp_gt_i32_e64 s1, 32, v4
	v_cndmask_b32_e64 v4, v3, v4, s1
	v_cmp_gt_i32_e64 s1, 32, v9
	v_lshlrev_b32_e32 v7, 2, v4
	v_cndmask_b32_e64 v9, v3, v9, s1
	ds_bpermute_b32 v4, v7, v0
	ds_bpermute_b32 v8, v7, v6
	v_lshlrev_b32_e32 v9, 2, v9
	s_waitcnt lgkmcnt(1)
	v_cmp_lt_f32_e64 s1, v0, v4
	v_cndmask_b32_e64 v4, v0, v4, s1
	s_waitcnt lgkmcnt(0)
	v_cmp_lt_f32_e64 s1, v6, v8
	ds_bpermute_b32 v10, v9, v4
	v_cndmask_b32_e64 v8, v6, v8, s1
	v_cmp_gt_i32_e64 s1, 32, v12
	ds_bpermute_b32 v11, v9, v8
	v_cndmask_b32_e64 v12, v3, v12, s1
	v_lshlrev_b32_e32 v12, 2, v12
	s_waitcnt lgkmcnt(1)
	v_cmp_lt_f32_e64 s1, v4, v10
	v_cndmask_b32_e64 v4, v4, v10, s1
	s_waitcnt lgkmcnt(0)
	v_cmp_lt_f32_e64 s1, v8, v11
	ds_bpermute_b32 v10, v12, v4
	v_cndmask_b32_e64 v8, v8, v11, s1
	v_cmp_gt_i32_e64 s1, 32, v13
	ds_bpermute_b32 v11, v12, v8
	v_cndmask_b32_e64 v13, v3, v13, s1
	;; [unrolled: 11-line block ×3, first 2 shown]
	v_lshlrev_b32_e32 v14, 2, v3
	s_waitcnt lgkmcnt(1)
	v_cmp_lt_f32_e64 s1, v4, v10
	v_cndmask_b32_e64 v3, v4, v10, s1
	s_waitcnt lgkmcnt(0)
	v_cmp_lt_f32_e64 s1, v8, v11
	v_cndmask_b32_e64 v4, v8, v11, s1
	ds_bpermute_b32 v8, v14, v3
	ds_bpermute_b32 v10, v14, v4
	s_waitcnt lgkmcnt(1)
	v_cmp_lt_f32_e64 s1, v3, v8
	v_cndmask_b32_e64 v3, v3, v8, s1
	s_waitcnt lgkmcnt(0)
	v_cmp_lt_f32_e64 s1, v4, v10
	v_cndmask_b32_e64 v8, v4, v10, s1
	v_sub_f32_e32 v4, v0, v3
	v_sub_f32_e32 v3, v6, v8
	v_mul_f32_e32 v0, 0x3fb8aa3b, v4
	v_cmp_ngt_f32_e64 s1, 0xc2ce8ed0, v4
	v_mul_f32_e32 v6, 0x3fb8aa3b, v3
	v_fma_f32 v8, 0x3fb8aa3b, v4, -v0
	v_rndne_f32_e32 v10, v0
	v_fma_f32 v11, 0x3fb8aa3b, v3, -v6
	v_rndne_f32_e32 v15, v6
	v_fmac_f32_e32 v8, 0x32a5705f, v4
	v_sub_f32_e32 v0, v0, v10
	v_fmac_f32_e32 v11, 0x32a5705f, v3
	v_sub_f32_e32 v6, v6, v15
	v_add_f32_e32 v0, v0, v8
	v_cvt_i32_f32_e32 v8, v10
	v_cvt_i32_f32_e32 v10, v15
	v_add_f32_e32 v6, v6, v11
	v_exp_f32_e32 v0, v0
	v_exp_f32_e32 v6, v6
	v_ldexp_f32 v0, v0, v8
	v_ldexp_f32 v6, v6, v10
	v_cndmask_b32_e64 v0, 0, v0, s1
	v_cmp_ngt_f32_e64 s1, 0xc2ce8ed0, v3
	v_cndmask_b32_e64 v6, 0, v6, s1
	v_cmp_nlt_f32_e64 s1, 0x42b17218, v4
	v_cndmask_b32_e64 v0, 0x7f800000, v0, s1
	v_cmp_nlt_f32_e64 s1, 0x42b17218, v3
	ds_bpermute_b32 v8, v7, v0
	v_cndmask_b32_e64 v6, 0x7f800000, v6, s1
	ds_bpermute_b32 v7, v7, v6
	s_waitcnt lgkmcnt(1)
	v_add_f32_e32 v0, v0, v8
	s_waitcnt lgkmcnt(0)
	v_add_f32_e32 v6, v6, v7
	ds_bpermute_b32 v7, v9, v0
	ds_bpermute_b32 v8, v9, v6
	s_waitcnt lgkmcnt(1)
	v_add_f32_e32 v0, v0, v7
	s_waitcnt lgkmcnt(0)
	v_add_f32_e32 v6, v6, v8
	ds_bpermute_b32 v7, v12, v0
	;; [unrolled: 6-line block ×4, first 2 shown]
	ds_bpermute_b32 v7, v14, v6
	s_and_saveexec_b32 s1, s0
	s_cbranch_execz .LBB115_9
; %bb.5:
	v_lshlrev_b64 v[0:1], 2, v[1:2]
	v_add_co_u32 v0, s0, s8, v0
	v_add_co_ci_u32_e64 v1, null, s9, v1, s0
	s_and_saveexec_b32 s2, vcc_lo
	s_cbranch_execz .LBB115_7
; %bb.6:
	s_waitcnt lgkmcnt(1)
	v_add_f32_e32 v2, v8, v9
	v_cmp_gt_f32_e64 s0, 0x800000, v2
	v_cndmask_b32_e64 v8, 0, 32, s0
	v_ldexp_f32 v2, v2, v8
	v_log_f32_e32 v2, v2
	v_mul_f32_e32 v8, 0x3f317217, v2
	v_cmp_gt_f32_e64 s1, 0x7f800000, |v2|
	v_fma_f32 v8, 0x3f317217, v2, -v8
	v_fmamk_f32 v8, v2, 0x3377d1cf, v8
	v_fmac_f32_e32 v8, 0x3f317217, v2
	v_cndmask_b32_e64 v2, v2, v8, s1
	v_cndmask_b32_e64 v8, 0, 0x41b17218, s0
	v_sub_f32_e32 v2, v2, v8
	v_sub_f32_e32 v2, v4, v2
	global_store_dword v[0:1], v2, off
.LBB115_7:
	s_or_b32 exec_lo, exec_lo, s2
	v_cmp_ne_u32_e64 s0, 1, v5
	s_and_b32 s0, s0, vcc_lo
	s_and_b32 exec_lo, exec_lo, s0
	s_cbranch_execz .LBB115_9
; %bb.8:
	s_waitcnt lgkmcnt(0)
	v_add_f32_e32 v2, v6, v7
	s_mov_b32 s15, 0
	s_lshl_b64 s[0:1], s[14:15], 2
	v_cmp_gt_f32_e32 vcc_lo, 0x800000, v2
	v_cndmask_b32_e64 v4, 0, 32, vcc_lo
	v_cndmask_b32_e64 v5, 0, 0x41b17218, vcc_lo
	v_ldexp_f32 v2, v2, v4
	v_log_f32_e32 v2, v2
	v_mul_f32_e32 v4, 0x3f317217, v2
	v_cmp_gt_f32_e64 vcc_lo, 0x7f800000, |v2|
	v_fma_f32 v4, 0x3f317217, v2, -v4
	v_fmamk_f32 v4, v2, 0x3377d1cf, v4
	v_fmac_f32_e32 v4, 0x3f317217, v2
	v_cndmask_b32_e32 v2, v2, v4, vcc_lo
	v_add_co_u32 v0, vcc_lo, v0, s0
	v_add_co_ci_u32_e64 v1, null, s1, v1, vcc_lo
	v_sub_f32_e32 v2, v2, v5
	v_sub_f32_e32 v2, v3, v2
	global_store_dword v[0:1], v2, off
.LBB115_9:
	s_endpgm
	.section	.rodata,"a",@progbits
	.p2align	6, 0x0
	.amdhsa_kernel _ZN12_GLOBAL__N_120softmax_warp_forwardIN3c104HalfEffLi5ELb1ELb0ELi64EEEvPT0_PKT_iiiPKbib
		.amdhsa_group_segment_fixed_size 0
		.amdhsa_private_segment_fixed_size 0
		.amdhsa_kernarg_size 304
		.amdhsa_user_sgpr_count 6
		.amdhsa_user_sgpr_private_segment_buffer 1
		.amdhsa_user_sgpr_dispatch_ptr 0
		.amdhsa_user_sgpr_queue_ptr 0
		.amdhsa_user_sgpr_kernarg_segment_ptr 1
		.amdhsa_user_sgpr_dispatch_id 0
		.amdhsa_user_sgpr_flat_scratch_init 0
		.amdhsa_user_sgpr_private_segment_size 0
		.amdhsa_wavefront_size32 1
		.amdhsa_uses_dynamic_stack 0
		.amdhsa_system_sgpr_private_segment_wavefront_offset 0
		.amdhsa_system_sgpr_workgroup_id_x 1
		.amdhsa_system_sgpr_workgroup_id_y 0
		.amdhsa_system_sgpr_workgroup_id_z 0
		.amdhsa_system_sgpr_workgroup_info 0
		.amdhsa_system_vgpr_workitem_id 1
		.amdhsa_next_free_vgpr 16
		.amdhsa_next_free_sgpr 16
		.amdhsa_reserve_vcc 1
		.amdhsa_reserve_flat_scratch 0
		.amdhsa_float_round_mode_32 0
		.amdhsa_float_round_mode_16_64 0
		.amdhsa_float_denorm_mode_32 3
		.amdhsa_float_denorm_mode_16_64 3
		.amdhsa_dx10_clamp 1
		.amdhsa_ieee_mode 1
		.amdhsa_fp16_overflow 0
		.amdhsa_workgroup_processor_mode 1
		.amdhsa_memory_ordered 1
		.amdhsa_forward_progress 1
		.amdhsa_shared_vgpr_count 0
		.amdhsa_exception_fp_ieee_invalid_op 0
		.amdhsa_exception_fp_denorm_src 0
		.amdhsa_exception_fp_ieee_div_zero 0
		.amdhsa_exception_fp_ieee_overflow 0
		.amdhsa_exception_fp_ieee_underflow 0
		.amdhsa_exception_fp_ieee_inexact 0
		.amdhsa_exception_int_div_zero 0
	.end_amdhsa_kernel
	.section	.text._ZN12_GLOBAL__N_120softmax_warp_forwardIN3c104HalfEffLi5ELb1ELb0ELi64EEEvPT0_PKT_iiiPKbib,"axG",@progbits,_ZN12_GLOBAL__N_120softmax_warp_forwardIN3c104HalfEffLi5ELb1ELb0ELi64EEEvPT0_PKT_iiiPKbib,comdat
.Lfunc_end115:
	.size	_ZN12_GLOBAL__N_120softmax_warp_forwardIN3c104HalfEffLi5ELb1ELb0ELi64EEEvPT0_PKT_iiiPKbib, .Lfunc_end115-_ZN12_GLOBAL__N_120softmax_warp_forwardIN3c104HalfEffLi5ELb1ELb0ELi64EEEvPT0_PKT_iiiPKbib
                                        ; -- End function
	.set _ZN12_GLOBAL__N_120softmax_warp_forwardIN3c104HalfEffLi5ELb1ELb0ELi64EEEvPT0_PKT_iiiPKbib.num_vgpr, 16
	.set _ZN12_GLOBAL__N_120softmax_warp_forwardIN3c104HalfEffLi5ELb1ELb0ELi64EEEvPT0_PKT_iiiPKbib.num_agpr, 0
	.set _ZN12_GLOBAL__N_120softmax_warp_forwardIN3c104HalfEffLi5ELb1ELb0ELi64EEEvPT0_PKT_iiiPKbib.numbered_sgpr, 16
	.set _ZN12_GLOBAL__N_120softmax_warp_forwardIN3c104HalfEffLi5ELb1ELb0ELi64EEEvPT0_PKT_iiiPKbib.num_named_barrier, 0
	.set _ZN12_GLOBAL__N_120softmax_warp_forwardIN3c104HalfEffLi5ELb1ELb0ELi64EEEvPT0_PKT_iiiPKbib.private_seg_size, 0
	.set _ZN12_GLOBAL__N_120softmax_warp_forwardIN3c104HalfEffLi5ELb1ELb0ELi64EEEvPT0_PKT_iiiPKbib.uses_vcc, 1
	.set _ZN12_GLOBAL__N_120softmax_warp_forwardIN3c104HalfEffLi5ELb1ELb0ELi64EEEvPT0_PKT_iiiPKbib.uses_flat_scratch, 0
	.set _ZN12_GLOBAL__N_120softmax_warp_forwardIN3c104HalfEffLi5ELb1ELb0ELi64EEEvPT0_PKT_iiiPKbib.has_dyn_sized_stack, 0
	.set _ZN12_GLOBAL__N_120softmax_warp_forwardIN3c104HalfEffLi5ELb1ELb0ELi64EEEvPT0_PKT_iiiPKbib.has_recursion, 0
	.set _ZN12_GLOBAL__N_120softmax_warp_forwardIN3c104HalfEffLi5ELb1ELb0ELi64EEEvPT0_PKT_iiiPKbib.has_indirect_call, 0
	.section	.AMDGPU.csdata,"",@progbits
; Kernel info:
; codeLenInByte = 1304
; TotalNumSgprs: 18
; NumVgprs: 16
; ScratchSize: 0
; MemoryBound: 0
; FloatMode: 240
; IeeeMode: 1
; LDSByteSize: 0 bytes/workgroup (compile time only)
; SGPRBlocks: 0
; VGPRBlocks: 1
; NumSGPRsForWavesPerEU: 18
; NumVGPRsForWavesPerEU: 16
; Occupancy: 16
; WaveLimiterHint : 0
; COMPUTE_PGM_RSRC2:SCRATCH_EN: 0
; COMPUTE_PGM_RSRC2:USER_SGPR: 6
; COMPUTE_PGM_RSRC2:TRAP_HANDLER: 0
; COMPUTE_PGM_RSRC2:TGID_X_EN: 1
; COMPUTE_PGM_RSRC2:TGID_Y_EN: 0
; COMPUTE_PGM_RSRC2:TGID_Z_EN: 0
; COMPUTE_PGM_RSRC2:TIDIG_COMP_CNT: 1
	.section	.text._ZN12_GLOBAL__N_120softmax_warp_forwardIN3c104HalfEffLi5ELb1ELb0ELi32EEEvPT0_PKT_iiiPKbib,"axG",@progbits,_ZN12_GLOBAL__N_120softmax_warp_forwardIN3c104HalfEffLi5ELb1ELb0ELi32EEEvPT0_PKT_iiiPKbib,comdat
	.globl	_ZN12_GLOBAL__N_120softmax_warp_forwardIN3c104HalfEffLi5ELb1ELb0ELi32EEEvPT0_PKT_iiiPKbib ; -- Begin function _ZN12_GLOBAL__N_120softmax_warp_forwardIN3c104HalfEffLi5ELb1ELb0ELi32EEEvPT0_PKT_iiiPKbib
	.p2align	8
	.type	_ZN12_GLOBAL__N_120softmax_warp_forwardIN3c104HalfEffLi5ELb1ELb0ELi32EEEvPT0_PKT_iiiPKbib,@function
_ZN12_GLOBAL__N_120softmax_warp_forwardIN3c104HalfEffLi5ELb1ELb0ELi32EEEvPT0_PKT_iiiPKbib: ; @_ZN12_GLOBAL__N_120softmax_warp_forwardIN3c104HalfEffLi5ELb1ELb0ELi32EEEvPT0_PKT_iiiPKbib
; %bb.0:
	s_clause 0x1
	s_load_dword s0, s[4:5], 0x3c
	s_load_dwordx8 s[8:15], s[4:5], 0x0
	v_mov_b32_e32 v6, 0xff800000
	s_waitcnt lgkmcnt(0)
	s_lshr_b32 s0, s0, 16
	v_cmp_gt_i32_e32 vcc_lo, s14, v0
	s_and_b32 s0, s0, 0xffff
	s_mul_i32 s6, s6, s0
	v_add_lshl_u32 v3, s6, v1, 1
	v_mad_u64_u32 v[1:2], null, v3, s13, v[0:1]
	v_sub_nc_u32_e32 v5, s12, v3
	v_mov_b32_e32 v0, 0xff800000
	v_cmp_lt_i32_e64 s0, 0, v5
	v_ashrrev_i32_e32 v2, 31, v1
	s_and_b32 s2, vcc_lo, s0
	v_lshlrev_b64 v[3:4], 1, v[1:2]
	v_add_co_u32 v3, s1, s10, v3
	v_add_co_ci_u32_e64 v4, null, s11, v4, s1
	s_and_saveexec_b32 s1, s2
	s_cbranch_execz .LBB116_2
; %bb.1:
	global_load_ushort v0, v[3:4], off
	s_waitcnt vmcnt(0)
	v_cvt_f32_f16_e32 v0, v0
.LBB116_2:
	s_or_b32 exec_lo, exec_lo, s1
	v_cmp_lt_i32_e64 s1, 1, v5
	s_and_b32 s1, vcc_lo, s1
	s_and_saveexec_b32 s2, s1
	s_cbranch_execz .LBB116_4
; %bb.3:
	s_mov_b32 s15, 0
	s_lshl_b64 s[4:5], s[14:15], 1
	v_add_co_u32 v3, s1, v3, s4
	v_add_co_ci_u32_e64 v4, null, s5, v4, s1
	global_load_ushort v3, v[3:4], off
	s_waitcnt vmcnt(0)
	v_cvt_f32_f16_e32 v6, v3
.LBB116_4:
	s_or_b32 exec_lo, exec_lo, s2
	v_mbcnt_lo_u32_b32 v3, -1, 0
	v_xor_b32_e32 v4, 16, v3
	v_xor_b32_e32 v9, 8, v3
	;; [unrolled: 1-line block ×5, first 2 shown]
	v_cmp_gt_i32_e64 s1, 32, v4
	v_cndmask_b32_e64 v4, v3, v4, s1
	v_cmp_gt_i32_e64 s1, 32, v9
	v_lshlrev_b32_e32 v7, 2, v4
	v_cndmask_b32_e64 v9, v3, v9, s1
	ds_bpermute_b32 v4, v7, v0
	ds_bpermute_b32 v8, v7, v6
	v_lshlrev_b32_e32 v9, 2, v9
	s_waitcnt lgkmcnt(1)
	v_cmp_lt_f32_e64 s1, v0, v4
	v_cndmask_b32_e64 v4, v0, v4, s1
	s_waitcnt lgkmcnt(0)
	v_cmp_lt_f32_e64 s1, v6, v8
	ds_bpermute_b32 v10, v9, v4
	v_cndmask_b32_e64 v8, v6, v8, s1
	v_cmp_gt_i32_e64 s1, 32, v12
	ds_bpermute_b32 v11, v9, v8
	v_cndmask_b32_e64 v12, v3, v12, s1
	v_lshlrev_b32_e32 v12, 2, v12
	s_waitcnt lgkmcnt(1)
	v_cmp_lt_f32_e64 s1, v4, v10
	v_cndmask_b32_e64 v4, v4, v10, s1
	s_waitcnt lgkmcnt(0)
	v_cmp_lt_f32_e64 s1, v8, v11
	ds_bpermute_b32 v10, v12, v4
	v_cndmask_b32_e64 v8, v8, v11, s1
	v_cmp_gt_i32_e64 s1, 32, v13
	ds_bpermute_b32 v11, v12, v8
	v_cndmask_b32_e64 v13, v3, v13, s1
	;; [unrolled: 11-line block ×3, first 2 shown]
	v_lshlrev_b32_e32 v14, 2, v3
	s_waitcnt lgkmcnt(1)
	v_cmp_lt_f32_e64 s1, v4, v10
	v_cndmask_b32_e64 v3, v4, v10, s1
	s_waitcnt lgkmcnt(0)
	v_cmp_lt_f32_e64 s1, v8, v11
	v_cndmask_b32_e64 v4, v8, v11, s1
	ds_bpermute_b32 v8, v14, v3
	ds_bpermute_b32 v10, v14, v4
	s_waitcnt lgkmcnt(1)
	v_cmp_lt_f32_e64 s1, v3, v8
	v_cndmask_b32_e64 v3, v3, v8, s1
	s_waitcnt lgkmcnt(0)
	v_cmp_lt_f32_e64 s1, v4, v10
	v_cndmask_b32_e64 v8, v4, v10, s1
	v_sub_f32_e32 v4, v0, v3
	v_sub_f32_e32 v3, v6, v8
	v_mul_f32_e32 v0, 0x3fb8aa3b, v4
	v_cmp_ngt_f32_e64 s1, 0xc2ce8ed0, v4
	v_mul_f32_e32 v6, 0x3fb8aa3b, v3
	v_fma_f32 v8, 0x3fb8aa3b, v4, -v0
	v_rndne_f32_e32 v10, v0
	v_fma_f32 v11, 0x3fb8aa3b, v3, -v6
	v_rndne_f32_e32 v15, v6
	v_fmac_f32_e32 v8, 0x32a5705f, v4
	v_sub_f32_e32 v0, v0, v10
	v_fmac_f32_e32 v11, 0x32a5705f, v3
	v_sub_f32_e32 v6, v6, v15
	v_add_f32_e32 v0, v0, v8
	v_cvt_i32_f32_e32 v8, v10
	v_cvt_i32_f32_e32 v10, v15
	v_add_f32_e32 v6, v6, v11
	v_exp_f32_e32 v0, v0
	v_exp_f32_e32 v6, v6
	v_ldexp_f32 v0, v0, v8
	v_ldexp_f32 v6, v6, v10
	v_cndmask_b32_e64 v0, 0, v0, s1
	v_cmp_ngt_f32_e64 s1, 0xc2ce8ed0, v3
	v_cndmask_b32_e64 v6, 0, v6, s1
	v_cmp_nlt_f32_e64 s1, 0x42b17218, v4
	v_cndmask_b32_e64 v0, 0x7f800000, v0, s1
	v_cmp_nlt_f32_e64 s1, 0x42b17218, v3
	ds_bpermute_b32 v8, v7, v0
	v_cndmask_b32_e64 v6, 0x7f800000, v6, s1
	ds_bpermute_b32 v7, v7, v6
	s_waitcnt lgkmcnt(1)
	v_add_f32_e32 v0, v0, v8
	s_waitcnt lgkmcnt(0)
	v_add_f32_e32 v6, v6, v7
	ds_bpermute_b32 v7, v9, v0
	ds_bpermute_b32 v8, v9, v6
	s_waitcnt lgkmcnt(1)
	v_add_f32_e32 v0, v0, v7
	s_waitcnt lgkmcnt(0)
	v_add_f32_e32 v6, v6, v8
	ds_bpermute_b32 v7, v12, v0
	;; [unrolled: 6-line block ×4, first 2 shown]
	ds_bpermute_b32 v7, v14, v6
	s_and_saveexec_b32 s1, s0
	s_cbranch_execz .LBB116_9
; %bb.5:
	v_lshlrev_b64 v[0:1], 2, v[1:2]
	v_add_co_u32 v0, s0, s8, v0
	v_add_co_ci_u32_e64 v1, null, s9, v1, s0
	s_and_saveexec_b32 s2, vcc_lo
	s_cbranch_execz .LBB116_7
; %bb.6:
	s_waitcnt lgkmcnt(1)
	v_add_f32_e32 v2, v8, v9
	v_cmp_gt_f32_e64 s0, 0x800000, v2
	v_cndmask_b32_e64 v8, 0, 32, s0
	v_ldexp_f32 v2, v2, v8
	v_log_f32_e32 v2, v2
	v_mul_f32_e32 v8, 0x3f317217, v2
	v_cmp_gt_f32_e64 s1, 0x7f800000, |v2|
	v_fma_f32 v8, 0x3f317217, v2, -v8
	v_fmamk_f32 v8, v2, 0x3377d1cf, v8
	v_fmac_f32_e32 v8, 0x3f317217, v2
	v_cndmask_b32_e64 v2, v2, v8, s1
	v_cndmask_b32_e64 v8, 0, 0x41b17218, s0
	v_sub_f32_e32 v2, v2, v8
	v_sub_f32_e32 v2, v4, v2
	global_store_dword v[0:1], v2, off
.LBB116_7:
	s_or_b32 exec_lo, exec_lo, s2
	v_cmp_ne_u32_e64 s0, 1, v5
	s_and_b32 s0, s0, vcc_lo
	s_and_b32 exec_lo, exec_lo, s0
	s_cbranch_execz .LBB116_9
; %bb.8:
	s_waitcnt lgkmcnt(0)
	v_add_f32_e32 v2, v6, v7
	s_mov_b32 s15, 0
	s_lshl_b64 s[0:1], s[14:15], 2
	v_cmp_gt_f32_e32 vcc_lo, 0x800000, v2
	v_cndmask_b32_e64 v4, 0, 32, vcc_lo
	v_cndmask_b32_e64 v5, 0, 0x41b17218, vcc_lo
	v_ldexp_f32 v2, v2, v4
	v_log_f32_e32 v2, v2
	v_mul_f32_e32 v4, 0x3f317217, v2
	v_cmp_gt_f32_e64 vcc_lo, 0x7f800000, |v2|
	v_fma_f32 v4, 0x3f317217, v2, -v4
	v_fmamk_f32 v4, v2, 0x3377d1cf, v4
	v_fmac_f32_e32 v4, 0x3f317217, v2
	v_cndmask_b32_e32 v2, v2, v4, vcc_lo
	v_add_co_u32 v0, vcc_lo, v0, s0
	v_add_co_ci_u32_e64 v1, null, s1, v1, vcc_lo
	v_sub_f32_e32 v2, v2, v5
	v_sub_f32_e32 v2, v3, v2
	global_store_dword v[0:1], v2, off
.LBB116_9:
	s_endpgm
	.section	.rodata,"a",@progbits
	.p2align	6, 0x0
	.amdhsa_kernel _ZN12_GLOBAL__N_120softmax_warp_forwardIN3c104HalfEffLi5ELb1ELb0ELi32EEEvPT0_PKT_iiiPKbib
		.amdhsa_group_segment_fixed_size 0
		.amdhsa_private_segment_fixed_size 0
		.amdhsa_kernarg_size 304
		.amdhsa_user_sgpr_count 6
		.amdhsa_user_sgpr_private_segment_buffer 1
		.amdhsa_user_sgpr_dispatch_ptr 0
		.amdhsa_user_sgpr_queue_ptr 0
		.amdhsa_user_sgpr_kernarg_segment_ptr 1
		.amdhsa_user_sgpr_dispatch_id 0
		.amdhsa_user_sgpr_flat_scratch_init 0
		.amdhsa_user_sgpr_private_segment_size 0
		.amdhsa_wavefront_size32 1
		.amdhsa_uses_dynamic_stack 0
		.amdhsa_system_sgpr_private_segment_wavefront_offset 0
		.amdhsa_system_sgpr_workgroup_id_x 1
		.amdhsa_system_sgpr_workgroup_id_y 0
		.amdhsa_system_sgpr_workgroup_id_z 0
		.amdhsa_system_sgpr_workgroup_info 0
		.amdhsa_system_vgpr_workitem_id 1
		.amdhsa_next_free_vgpr 16
		.amdhsa_next_free_sgpr 16
		.amdhsa_reserve_vcc 1
		.amdhsa_reserve_flat_scratch 0
		.amdhsa_float_round_mode_32 0
		.amdhsa_float_round_mode_16_64 0
		.amdhsa_float_denorm_mode_32 3
		.amdhsa_float_denorm_mode_16_64 3
		.amdhsa_dx10_clamp 1
		.amdhsa_ieee_mode 1
		.amdhsa_fp16_overflow 0
		.amdhsa_workgroup_processor_mode 1
		.amdhsa_memory_ordered 1
		.amdhsa_forward_progress 1
		.amdhsa_shared_vgpr_count 0
		.amdhsa_exception_fp_ieee_invalid_op 0
		.amdhsa_exception_fp_denorm_src 0
		.amdhsa_exception_fp_ieee_div_zero 0
		.amdhsa_exception_fp_ieee_overflow 0
		.amdhsa_exception_fp_ieee_underflow 0
		.amdhsa_exception_fp_ieee_inexact 0
		.amdhsa_exception_int_div_zero 0
	.end_amdhsa_kernel
	.section	.text._ZN12_GLOBAL__N_120softmax_warp_forwardIN3c104HalfEffLi5ELb1ELb0ELi32EEEvPT0_PKT_iiiPKbib,"axG",@progbits,_ZN12_GLOBAL__N_120softmax_warp_forwardIN3c104HalfEffLi5ELb1ELb0ELi32EEEvPT0_PKT_iiiPKbib,comdat
.Lfunc_end116:
	.size	_ZN12_GLOBAL__N_120softmax_warp_forwardIN3c104HalfEffLi5ELb1ELb0ELi32EEEvPT0_PKT_iiiPKbib, .Lfunc_end116-_ZN12_GLOBAL__N_120softmax_warp_forwardIN3c104HalfEffLi5ELb1ELb0ELi32EEEvPT0_PKT_iiiPKbib
                                        ; -- End function
	.set _ZN12_GLOBAL__N_120softmax_warp_forwardIN3c104HalfEffLi5ELb1ELb0ELi32EEEvPT0_PKT_iiiPKbib.num_vgpr, 16
	.set _ZN12_GLOBAL__N_120softmax_warp_forwardIN3c104HalfEffLi5ELb1ELb0ELi32EEEvPT0_PKT_iiiPKbib.num_agpr, 0
	.set _ZN12_GLOBAL__N_120softmax_warp_forwardIN3c104HalfEffLi5ELb1ELb0ELi32EEEvPT0_PKT_iiiPKbib.numbered_sgpr, 16
	.set _ZN12_GLOBAL__N_120softmax_warp_forwardIN3c104HalfEffLi5ELb1ELb0ELi32EEEvPT0_PKT_iiiPKbib.num_named_barrier, 0
	.set _ZN12_GLOBAL__N_120softmax_warp_forwardIN3c104HalfEffLi5ELb1ELb0ELi32EEEvPT0_PKT_iiiPKbib.private_seg_size, 0
	.set _ZN12_GLOBAL__N_120softmax_warp_forwardIN3c104HalfEffLi5ELb1ELb0ELi32EEEvPT0_PKT_iiiPKbib.uses_vcc, 1
	.set _ZN12_GLOBAL__N_120softmax_warp_forwardIN3c104HalfEffLi5ELb1ELb0ELi32EEEvPT0_PKT_iiiPKbib.uses_flat_scratch, 0
	.set _ZN12_GLOBAL__N_120softmax_warp_forwardIN3c104HalfEffLi5ELb1ELb0ELi32EEEvPT0_PKT_iiiPKbib.has_dyn_sized_stack, 0
	.set _ZN12_GLOBAL__N_120softmax_warp_forwardIN3c104HalfEffLi5ELb1ELb0ELi32EEEvPT0_PKT_iiiPKbib.has_recursion, 0
	.set _ZN12_GLOBAL__N_120softmax_warp_forwardIN3c104HalfEffLi5ELb1ELb0ELi32EEEvPT0_PKT_iiiPKbib.has_indirect_call, 0
	.section	.AMDGPU.csdata,"",@progbits
; Kernel info:
; codeLenInByte = 1304
; TotalNumSgprs: 18
; NumVgprs: 16
; ScratchSize: 0
; MemoryBound: 0
; FloatMode: 240
; IeeeMode: 1
; LDSByteSize: 0 bytes/workgroup (compile time only)
; SGPRBlocks: 0
; VGPRBlocks: 1
; NumSGPRsForWavesPerEU: 18
; NumVGPRsForWavesPerEU: 16
; Occupancy: 16
; WaveLimiterHint : 0
; COMPUTE_PGM_RSRC2:SCRATCH_EN: 0
; COMPUTE_PGM_RSRC2:USER_SGPR: 6
; COMPUTE_PGM_RSRC2:TRAP_HANDLER: 0
; COMPUTE_PGM_RSRC2:TGID_X_EN: 1
; COMPUTE_PGM_RSRC2:TGID_Y_EN: 0
; COMPUTE_PGM_RSRC2:TGID_Z_EN: 0
; COMPUTE_PGM_RSRC2:TIDIG_COMP_CNT: 1
	.section	.text._ZN12_GLOBAL__N_120softmax_warp_forwardIN3c104HalfEffLi6ELb1ELb0ELi64EEEvPT0_PKT_iiiPKbib,"axG",@progbits,_ZN12_GLOBAL__N_120softmax_warp_forwardIN3c104HalfEffLi6ELb1ELb0ELi64EEEvPT0_PKT_iiiPKbib,comdat
	.globl	_ZN12_GLOBAL__N_120softmax_warp_forwardIN3c104HalfEffLi6ELb1ELb0ELi64EEEvPT0_PKT_iiiPKbib ; -- Begin function _ZN12_GLOBAL__N_120softmax_warp_forwardIN3c104HalfEffLi6ELb1ELb0ELi64EEEvPT0_PKT_iiiPKbib
	.p2align	8
	.type	_ZN12_GLOBAL__N_120softmax_warp_forwardIN3c104HalfEffLi6ELb1ELb0ELi64EEEvPT0_PKT_iiiPKbib,@function
_ZN12_GLOBAL__N_120softmax_warp_forwardIN3c104HalfEffLi6ELb1ELb0ELi64EEEvPT0_PKT_iiiPKbib: ; @_ZN12_GLOBAL__N_120softmax_warp_forwardIN3c104HalfEffLi6ELb1ELb0ELi64EEEvPT0_PKT_iiiPKbib
; %bb.0:
	s_clause 0x1
	s_load_dword s0, s[4:5], 0x3c
	s_load_dwordx8 s[8:15], s[4:5], 0x0
	v_mov_b32_e32 v6, 0xff800000
	s_waitcnt lgkmcnt(0)
	s_lshr_b32 s0, s0, 16
	v_cmp_gt_i32_e32 vcc_lo, s14, v0
	s_and_b32 s0, s0, 0xffff
	s_mul_i32 s6, s6, s0
	v_add_lshl_u32 v3, s6, v1, 1
	v_mad_u64_u32 v[1:2], null, v3, s13, v[0:1]
	v_sub_nc_u32_e32 v5, s12, v3
	v_mov_b32_e32 v0, 0xff800000
	v_cmp_lt_i32_e64 s0, 0, v5
	v_ashrrev_i32_e32 v2, 31, v1
	s_and_b32 s2, vcc_lo, s0
	v_lshlrev_b64 v[3:4], 1, v[1:2]
	v_add_co_u32 v3, s1, s10, v3
	v_add_co_ci_u32_e64 v4, null, s11, v4, s1
	s_and_saveexec_b32 s1, s2
	s_cbranch_execz .LBB117_2
; %bb.1:
	global_load_ushort v0, v[3:4], off
	s_waitcnt vmcnt(0)
	v_cvt_f32_f16_e32 v0, v0
.LBB117_2:
	s_or_b32 exec_lo, exec_lo, s1
	v_cmp_lt_i32_e64 s1, 1, v5
	s_and_b32 s1, vcc_lo, s1
	s_and_saveexec_b32 s2, s1
	s_cbranch_execz .LBB117_4
; %bb.3:
	s_mov_b32 s15, 0
	s_lshl_b64 s[4:5], s[14:15], 1
	v_add_co_u32 v3, s1, v3, s4
	v_add_co_ci_u32_e64 v4, null, s5, v4, s1
	global_load_ushort v3, v[3:4], off
	s_waitcnt vmcnt(0)
	v_cvt_f32_f16_e32 v6, v3
.LBB117_4:
	s_or_b32 exec_lo, exec_lo, s2
	v_mbcnt_lo_u32_b32 v3, -1, 0
	v_or_b32_e32 v4, 32, v3
	v_xor_b32_e32 v9, 16, v3
	v_xor_b32_e32 v12, 8, v3
	;; [unrolled: 1-line block ×4, first 2 shown]
	v_cmp_gt_i32_e64 s1, 64, v4
	v_xor_b32_e32 v15, 1, v3
	v_cndmask_b32_e64 v4, v3, v4, s1
	v_cmp_gt_i32_e64 s1, 64, v9
	v_lshlrev_b32_e32 v7, 2, v4
	v_cndmask_b32_e64 v9, v3, v9, s1
	ds_bpermute_b32 v4, v7, v0
	ds_bpermute_b32 v8, v7, v6
	v_lshlrev_b32_e32 v9, 2, v9
	s_waitcnt lgkmcnt(1)
	v_cmp_lt_f32_e64 s1, v0, v4
	v_cndmask_b32_e64 v4, v0, v4, s1
	s_waitcnt lgkmcnt(0)
	v_cmp_lt_f32_e64 s1, v6, v8
	ds_bpermute_b32 v10, v9, v4
	v_cndmask_b32_e64 v8, v6, v8, s1
	v_cmp_gt_i32_e64 s1, 64, v12
	ds_bpermute_b32 v11, v9, v8
	v_cndmask_b32_e64 v12, v3, v12, s1
	v_lshlrev_b32_e32 v12, 2, v12
	s_waitcnt lgkmcnt(1)
	v_cmp_lt_f32_e64 s1, v4, v10
	v_cndmask_b32_e64 v4, v4, v10, s1
	s_waitcnt lgkmcnt(0)
	v_cmp_lt_f32_e64 s1, v8, v11
	ds_bpermute_b32 v10, v12, v4
	v_cndmask_b32_e64 v8, v8, v11, s1
	v_cmp_gt_i32_e64 s1, 64, v13
	ds_bpermute_b32 v11, v12, v8
	v_cndmask_b32_e64 v13, v3, v13, s1
	;; [unrolled: 11-line block ×4, first 2 shown]
	v_lshlrev_b32_e32 v15, 2, v3
	s_waitcnt lgkmcnt(1)
	v_cmp_lt_f32_e64 s1, v4, v10
	v_cndmask_b32_e64 v3, v4, v10, s1
	s_waitcnt lgkmcnt(0)
	v_cmp_lt_f32_e64 s1, v8, v11
	v_cndmask_b32_e64 v4, v8, v11, s1
	ds_bpermute_b32 v8, v15, v3
	ds_bpermute_b32 v10, v15, v4
	s_waitcnt lgkmcnt(1)
	v_cmp_lt_f32_e64 s1, v3, v8
	v_cndmask_b32_e64 v3, v3, v8, s1
	s_waitcnt lgkmcnt(0)
	v_cmp_lt_f32_e64 s1, v4, v10
	v_cndmask_b32_e64 v8, v4, v10, s1
	v_sub_f32_e32 v4, v0, v3
	v_sub_f32_e32 v3, v6, v8
	v_mul_f32_e32 v0, 0x3fb8aa3b, v4
	v_cmp_ngt_f32_e64 s1, 0xc2ce8ed0, v4
	v_mul_f32_e32 v6, 0x3fb8aa3b, v3
	v_fma_f32 v8, 0x3fb8aa3b, v4, -v0
	v_rndne_f32_e32 v10, v0
	v_fma_f32 v11, 0x3fb8aa3b, v3, -v6
	v_rndne_f32_e32 v16, v6
	v_fmac_f32_e32 v8, 0x32a5705f, v4
	v_sub_f32_e32 v0, v0, v10
	v_fmac_f32_e32 v11, 0x32a5705f, v3
	v_sub_f32_e32 v6, v6, v16
	v_add_f32_e32 v0, v0, v8
	v_cvt_i32_f32_e32 v8, v10
	v_cvt_i32_f32_e32 v10, v16
	v_add_f32_e32 v6, v6, v11
	v_exp_f32_e32 v0, v0
	v_exp_f32_e32 v6, v6
	v_ldexp_f32 v0, v0, v8
	v_ldexp_f32 v6, v6, v10
	v_cndmask_b32_e64 v0, 0, v0, s1
	v_cmp_ngt_f32_e64 s1, 0xc2ce8ed0, v3
	v_cndmask_b32_e64 v6, 0, v6, s1
	v_cmp_nlt_f32_e64 s1, 0x42b17218, v4
	v_cndmask_b32_e64 v0, 0x7f800000, v0, s1
	v_cmp_nlt_f32_e64 s1, 0x42b17218, v3
	ds_bpermute_b32 v8, v7, v0
	v_cndmask_b32_e64 v6, 0x7f800000, v6, s1
	ds_bpermute_b32 v7, v7, v6
	s_waitcnt lgkmcnt(1)
	v_add_f32_e32 v0, v0, v8
	s_waitcnt lgkmcnt(0)
	v_add_f32_e32 v6, v6, v7
	ds_bpermute_b32 v7, v9, v0
	ds_bpermute_b32 v8, v9, v6
	s_waitcnt lgkmcnt(1)
	v_add_f32_e32 v0, v0, v7
	s_waitcnt lgkmcnt(0)
	v_add_f32_e32 v6, v6, v8
	ds_bpermute_b32 v7, v12, v0
	;; [unrolled: 6-line block ×5, first 2 shown]
	ds_bpermute_b32 v7, v15, v6
	s_and_saveexec_b32 s1, s0
	s_cbranch_execz .LBB117_9
; %bb.5:
	v_lshlrev_b64 v[0:1], 2, v[1:2]
	v_add_co_u32 v0, s0, s8, v0
	v_add_co_ci_u32_e64 v1, null, s9, v1, s0
	s_and_saveexec_b32 s2, vcc_lo
	s_cbranch_execz .LBB117_7
; %bb.6:
	s_waitcnt lgkmcnt(1)
	v_add_f32_e32 v2, v8, v9
	v_cmp_gt_f32_e64 s0, 0x800000, v2
	v_cndmask_b32_e64 v8, 0, 32, s0
	v_ldexp_f32 v2, v2, v8
	v_log_f32_e32 v2, v2
	v_mul_f32_e32 v8, 0x3f317217, v2
	v_cmp_gt_f32_e64 s1, 0x7f800000, |v2|
	v_fma_f32 v8, 0x3f317217, v2, -v8
	v_fmamk_f32 v8, v2, 0x3377d1cf, v8
	v_fmac_f32_e32 v8, 0x3f317217, v2
	v_cndmask_b32_e64 v2, v2, v8, s1
	v_cndmask_b32_e64 v8, 0, 0x41b17218, s0
	v_sub_f32_e32 v2, v2, v8
	v_sub_f32_e32 v2, v4, v2
	global_store_dword v[0:1], v2, off
.LBB117_7:
	s_or_b32 exec_lo, exec_lo, s2
	v_cmp_ne_u32_e64 s0, 1, v5
	s_and_b32 s0, s0, vcc_lo
	s_and_b32 exec_lo, exec_lo, s0
	s_cbranch_execz .LBB117_9
; %bb.8:
	s_waitcnt lgkmcnt(0)
	v_add_f32_e32 v2, v6, v7
	s_mov_b32 s15, 0
	s_lshl_b64 s[0:1], s[14:15], 2
	v_cmp_gt_f32_e32 vcc_lo, 0x800000, v2
	v_cndmask_b32_e64 v4, 0, 32, vcc_lo
	v_cndmask_b32_e64 v5, 0, 0x41b17218, vcc_lo
	v_ldexp_f32 v2, v2, v4
	v_log_f32_e32 v2, v2
	v_mul_f32_e32 v4, 0x3f317217, v2
	v_cmp_gt_f32_e64 vcc_lo, 0x7f800000, |v2|
	v_fma_f32 v4, 0x3f317217, v2, -v4
	v_fmamk_f32 v4, v2, 0x3377d1cf, v4
	v_fmac_f32_e32 v4, 0x3f317217, v2
	v_cndmask_b32_e32 v2, v2, v4, vcc_lo
	v_add_co_u32 v0, vcc_lo, v0, s0
	v_add_co_ci_u32_e64 v1, null, s1, v1, vcc_lo
	v_sub_f32_e32 v2, v2, v5
	v_sub_f32_e32 v2, v3, v2
	global_store_dword v[0:1], v2, off
.LBB117_9:
	s_endpgm
	.section	.rodata,"a",@progbits
	.p2align	6, 0x0
	.amdhsa_kernel _ZN12_GLOBAL__N_120softmax_warp_forwardIN3c104HalfEffLi6ELb1ELb0ELi64EEEvPT0_PKT_iiiPKbib
		.amdhsa_group_segment_fixed_size 0
		.amdhsa_private_segment_fixed_size 0
		.amdhsa_kernarg_size 304
		.amdhsa_user_sgpr_count 6
		.amdhsa_user_sgpr_private_segment_buffer 1
		.amdhsa_user_sgpr_dispatch_ptr 0
		.amdhsa_user_sgpr_queue_ptr 0
		.amdhsa_user_sgpr_kernarg_segment_ptr 1
		.amdhsa_user_sgpr_dispatch_id 0
		.amdhsa_user_sgpr_flat_scratch_init 0
		.amdhsa_user_sgpr_private_segment_size 0
		.amdhsa_wavefront_size32 1
		.amdhsa_uses_dynamic_stack 0
		.amdhsa_system_sgpr_private_segment_wavefront_offset 0
		.amdhsa_system_sgpr_workgroup_id_x 1
		.amdhsa_system_sgpr_workgroup_id_y 0
		.amdhsa_system_sgpr_workgroup_id_z 0
		.amdhsa_system_sgpr_workgroup_info 0
		.amdhsa_system_vgpr_workitem_id 1
		.amdhsa_next_free_vgpr 17
		.amdhsa_next_free_sgpr 16
		.amdhsa_reserve_vcc 1
		.amdhsa_reserve_flat_scratch 0
		.amdhsa_float_round_mode_32 0
		.amdhsa_float_round_mode_16_64 0
		.amdhsa_float_denorm_mode_32 3
		.amdhsa_float_denorm_mode_16_64 3
		.amdhsa_dx10_clamp 1
		.amdhsa_ieee_mode 1
		.amdhsa_fp16_overflow 0
		.amdhsa_workgroup_processor_mode 1
		.amdhsa_memory_ordered 1
		.amdhsa_forward_progress 1
		.amdhsa_shared_vgpr_count 0
		.amdhsa_exception_fp_ieee_invalid_op 0
		.amdhsa_exception_fp_denorm_src 0
		.amdhsa_exception_fp_ieee_div_zero 0
		.amdhsa_exception_fp_ieee_overflow 0
		.amdhsa_exception_fp_ieee_underflow 0
		.amdhsa_exception_fp_ieee_inexact 0
		.amdhsa_exception_int_div_zero 0
	.end_amdhsa_kernel
	.section	.text._ZN12_GLOBAL__N_120softmax_warp_forwardIN3c104HalfEffLi6ELb1ELb0ELi64EEEvPT0_PKT_iiiPKbib,"axG",@progbits,_ZN12_GLOBAL__N_120softmax_warp_forwardIN3c104HalfEffLi6ELb1ELb0ELi64EEEvPT0_PKT_iiiPKbib,comdat
.Lfunc_end117:
	.size	_ZN12_GLOBAL__N_120softmax_warp_forwardIN3c104HalfEffLi6ELb1ELb0ELi64EEEvPT0_PKT_iiiPKbib, .Lfunc_end117-_ZN12_GLOBAL__N_120softmax_warp_forwardIN3c104HalfEffLi6ELb1ELb0ELi64EEEvPT0_PKT_iiiPKbib
                                        ; -- End function
	.set _ZN12_GLOBAL__N_120softmax_warp_forwardIN3c104HalfEffLi6ELb1ELb0ELi64EEEvPT0_PKT_iiiPKbib.num_vgpr, 17
	.set _ZN12_GLOBAL__N_120softmax_warp_forwardIN3c104HalfEffLi6ELb1ELb0ELi64EEEvPT0_PKT_iiiPKbib.num_agpr, 0
	.set _ZN12_GLOBAL__N_120softmax_warp_forwardIN3c104HalfEffLi6ELb1ELb0ELi64EEEvPT0_PKT_iiiPKbib.numbered_sgpr, 16
	.set _ZN12_GLOBAL__N_120softmax_warp_forwardIN3c104HalfEffLi6ELb1ELb0ELi64EEEvPT0_PKT_iiiPKbib.num_named_barrier, 0
	.set _ZN12_GLOBAL__N_120softmax_warp_forwardIN3c104HalfEffLi6ELb1ELb0ELi64EEEvPT0_PKT_iiiPKbib.private_seg_size, 0
	.set _ZN12_GLOBAL__N_120softmax_warp_forwardIN3c104HalfEffLi6ELb1ELb0ELi64EEEvPT0_PKT_iiiPKbib.uses_vcc, 1
	.set _ZN12_GLOBAL__N_120softmax_warp_forwardIN3c104HalfEffLi6ELb1ELb0ELi64EEEvPT0_PKT_iiiPKbib.uses_flat_scratch, 0
	.set _ZN12_GLOBAL__N_120softmax_warp_forwardIN3c104HalfEffLi6ELb1ELb0ELi64EEEvPT0_PKT_iiiPKbib.has_dyn_sized_stack, 0
	.set _ZN12_GLOBAL__N_120softmax_warp_forwardIN3c104HalfEffLi6ELb1ELb0ELi64EEEvPT0_PKT_iiiPKbib.has_recursion, 0
	.set _ZN12_GLOBAL__N_120softmax_warp_forwardIN3c104HalfEffLi6ELb1ELb0ELi64EEEvPT0_PKT_iiiPKbib.has_indirect_call, 0
	.section	.AMDGPU.csdata,"",@progbits
; Kernel info:
; codeLenInByte = 1416
; TotalNumSgprs: 18
; NumVgprs: 17
; ScratchSize: 0
; MemoryBound: 0
; FloatMode: 240
; IeeeMode: 1
; LDSByteSize: 0 bytes/workgroup (compile time only)
; SGPRBlocks: 0
; VGPRBlocks: 2
; NumSGPRsForWavesPerEU: 18
; NumVGPRsForWavesPerEU: 17
; Occupancy: 16
; WaveLimiterHint : 0
; COMPUTE_PGM_RSRC2:SCRATCH_EN: 0
; COMPUTE_PGM_RSRC2:USER_SGPR: 6
; COMPUTE_PGM_RSRC2:TRAP_HANDLER: 0
; COMPUTE_PGM_RSRC2:TGID_X_EN: 1
; COMPUTE_PGM_RSRC2:TGID_Y_EN: 0
; COMPUTE_PGM_RSRC2:TGID_Z_EN: 0
; COMPUTE_PGM_RSRC2:TIDIG_COMP_CNT: 1
	.section	.text._ZN12_GLOBAL__N_120softmax_warp_forwardIN3c104HalfEffLi6ELb1ELb0ELi32EEEvPT0_PKT_iiiPKbib,"axG",@progbits,_ZN12_GLOBAL__N_120softmax_warp_forwardIN3c104HalfEffLi6ELb1ELb0ELi32EEEvPT0_PKT_iiiPKbib,comdat
	.globl	_ZN12_GLOBAL__N_120softmax_warp_forwardIN3c104HalfEffLi6ELb1ELb0ELi32EEEvPT0_PKT_iiiPKbib ; -- Begin function _ZN12_GLOBAL__N_120softmax_warp_forwardIN3c104HalfEffLi6ELb1ELb0ELi32EEEvPT0_PKT_iiiPKbib
	.p2align	8
	.type	_ZN12_GLOBAL__N_120softmax_warp_forwardIN3c104HalfEffLi6ELb1ELb0ELi32EEEvPT0_PKT_iiiPKbib,@function
_ZN12_GLOBAL__N_120softmax_warp_forwardIN3c104HalfEffLi6ELb1ELb0ELi32EEEvPT0_PKT_iiiPKbib: ; @_ZN12_GLOBAL__N_120softmax_warp_forwardIN3c104HalfEffLi6ELb1ELb0ELi32EEEvPT0_PKT_iiiPKbib
; %bb.0:
	s_clause 0x1
	s_load_dword s0, s[4:5], 0x3c
	s_load_dwordx8 s[8:15], s[4:5], 0x0
	v_mov_b32_e32 v6, 0xff800000
	v_mov_b32_e32 v7, 0xff800000
	s_waitcnt lgkmcnt(0)
	s_lshr_b32 s0, s0, 16
	s_and_b32 s0, s0, 0xffff
	s_mul_i32 s6, s6, s0
	v_cmp_gt_i32_e64 s0, s14, v0
	v_add_lshl_u32 v3, s6, v1, 1
	v_mad_u64_u32 v[1:2], null, v3, s13, v[0:1]
	v_sub_nc_u32_e32 v5, s12, v3
	v_cmp_lt_i32_e64 s1, 0, v5
	v_ashrrev_i32_e32 v2, 31, v1
	s_and_b32 s3, s1, s0
	v_lshlrev_b64 v[3:4], 1, v[1:2]
	v_add_co_u32 v3, vcc_lo, s10, v3
	v_add_co_ci_u32_e64 v4, null, s11, v4, vcc_lo
	s_and_saveexec_b32 s2, s3
	s_cbranch_execz .LBB118_2
; %bb.1:
	global_load_ushort v7, v[3:4], off
	s_waitcnt vmcnt(0)
	v_cvt_f32_f16_e32 v7, v7
.LBB118_2:
	s_or_b32 exec_lo, exec_lo, s2
	v_add_nc_u32_e32 v0, 32, v0
	v_cmp_gt_i32_e32 vcc_lo, s14, v0
	s_and_b32 s3, s1, vcc_lo
	s_and_saveexec_b32 s2, s3
	s_cbranch_execz .LBB118_4
; %bb.3:
	global_load_ushort v0, v[3:4], off offset:64
	s_waitcnt vmcnt(0)
	v_cvt_f32_f16_e32 v6, v0
.LBB118_4:
	s_or_b32 exec_lo, exec_lo, s2
	v_cmp_lt_i32_e64 s2, 1, v5
	v_mov_b32_e32 v0, 0xff800000
	v_mov_b32_e32 v8, 0xff800000
	s_and_b32 s3, s2, s0
	s_and_saveexec_b32 s4, s3
	s_cbranch_execz .LBB118_6
; %bb.5:
	s_mov_b32 s15, 0
	s_lshl_b64 s[6:7], s[14:15], 1
	v_add_co_u32 v8, s3, v3, s6
	v_add_co_ci_u32_e64 v9, null, s7, v4, s3
	global_load_ushort v8, v[8:9], off
	s_waitcnt vmcnt(0)
	v_cvt_f32_f16_e32 v8, v8
.LBB118_6:
	s_or_b32 exec_lo, exec_lo, s4
	s_and_b32 s2, s2, vcc_lo
	s_and_saveexec_b32 s3, s2
	s_cbranch_execz .LBB118_8
; %bb.7:
	s_mov_b32 s15, 0
	s_lshl_b64 s[4:5], s[14:15], 1
	v_add_co_u32 v3, s2, v3, s4
	v_add_co_ci_u32_e64 v4, null, s5, v4, s2
	global_load_ushort v0, v[3:4], off offset:64
	s_waitcnt vmcnt(0)
	v_cvt_f32_f16_e32 v0, v0
.LBB118_8:
	s_or_b32 exec_lo, exec_lo, s3
	v_mbcnt_lo_u32_b32 v3, -1, 0
	v_xor_b32_e32 v4, 16, v3
	v_xor_b32_e32 v13, 8, v3
	;; [unrolled: 1-line block ×5, first 2 shown]
	v_cmp_gt_i32_e64 s2, 32, v4
	v_cndmask_b32_e64 v4, v3, v4, s2
	v_cmp_gt_f32_e64 s2, v7, v6
	v_lshlrev_b32_e32 v10, 2, v4
	v_cndmask_b32_e64 v9, v6, v7, s2
	v_cmp_gt_f32_e64 s2, v8, v0
	ds_bpermute_b32 v11, v10, v9
	v_cndmask_b32_e64 v4, v0, v8, s2
	v_cmp_gt_i32_e64 s2, 32, v13
	ds_bpermute_b32 v12, v10, v4
	v_cndmask_b32_e64 v13, v3, v13, s2
	v_lshlrev_b32_e32 v13, 2, v13
	s_waitcnt lgkmcnt(1)
	v_cmp_lt_f32_e64 s2, v9, v11
	v_cndmask_b32_e64 v9, v9, v11, s2
	s_waitcnt lgkmcnt(0)
	v_cmp_lt_f32_e64 s2, v4, v12
	ds_bpermute_b32 v11, v13, v9
	v_cndmask_b32_e64 v4, v4, v12, s2
	v_cmp_gt_i32_e64 s2, 32, v14
	ds_bpermute_b32 v12, v13, v4
	v_cndmask_b32_e64 v14, v3, v14, s2
	v_lshlrev_b32_e32 v14, 2, v14
	s_waitcnt lgkmcnt(1)
	v_cmp_lt_f32_e64 s2, v9, v11
	v_cndmask_b32_e64 v9, v9, v11, s2
	s_waitcnt lgkmcnt(0)
	v_cmp_lt_f32_e64 s2, v4, v12
	;; [unrolled: 11-line block ×4, first 2 shown]
	ds_bpermute_b32 v9, v16, v3
	v_cndmask_b32_e64 v4, v4, v12, s2
	ds_bpermute_b32 v11, v16, v4
	s_waitcnt lgkmcnt(1)
	v_cmp_lt_f32_e64 s2, v3, v9
	v_cndmask_b32_e64 v3, v3, v9, s2
	s_waitcnt lgkmcnt(0)
	v_cmp_lt_f32_e64 s2, v4, v11
	v_sub_f32_e32 v7, v7, v3
	v_cndmask_b32_e64 v4, v4, v11, s2
	v_sub_f32_e32 v6, v6, v3
	v_cmp_ngt_f32_e64 s2, 0xc2ce8ed0, v7
	v_sub_f32_e32 v3, v8, v4
	v_sub_f32_e32 v4, v0, v4
	v_mul_f32_e32 v0, 0x3fb8aa3b, v7
	v_mul_f32_e32 v8, 0x3fb8aa3b, v6
	;; [unrolled: 1-line block ×4, first 2 shown]
	v_fma_f32 v12, 0x3fb8aa3b, v7, -v0
	v_rndne_f32_e32 v17, v0
	v_fma_f32 v18, 0x3fb8aa3b, v6, -v8
	v_rndne_f32_e32 v19, v8
	v_fma_f32 v20, 0x3fb8aa3b, v3, -v9
	v_fmac_f32_e32 v12, 0x32a5705f, v7
	v_sub_f32_e32 v0, v0, v17
	v_rndne_f32_e32 v21, v9
	v_fmac_f32_e32 v18, 0x32a5705f, v6
	v_sub_f32_e32 v8, v8, v19
	v_fma_f32 v22, 0x3fb8aa3b, v4, -v11
	v_add_f32_e32 v0, v0, v12
	v_rndne_f32_e32 v23, v11
	v_fmac_f32_e32 v20, 0x32a5705f, v3
	v_sub_f32_e32 v9, v9, v21
	v_add_f32_e32 v8, v8, v18
	v_exp_f32_e32 v0, v0
	v_fmac_f32_e32 v22, 0x32a5705f, v4
	v_sub_f32_e32 v11, v11, v23
	v_add_f32_e32 v9, v9, v20
	v_exp_f32_e32 v8, v8
	v_cvt_i32_f32_e32 v12, v17
	v_cvt_i32_f32_e32 v17, v19
	v_add_f32_e32 v11, v11, v22
	v_exp_f32_e32 v9, v9
	v_cvt_i32_f32_e32 v18, v21
	v_ldexp_f32 v0, v0, v12
	v_cvt_i32_f32_e32 v19, v23
	v_exp_f32_e32 v11, v11
	v_ldexp_f32 v8, v8, v17
	v_cndmask_b32_e64 v0, 0, v0, s2
	v_cmp_ngt_f32_e64 s2, 0xc2ce8ed0, v6
	v_ldexp_f32 v9, v9, v18
	v_cndmask_b32_e64 v8, 0, v8, s2
	v_cmp_ngt_f32_e64 s2, 0xc2ce8ed0, v3
	;; [unrolled: 3-line block ×3, first 2 shown]
	v_cndmask_b32_e64 v11, 0, v11, s2
	v_cmp_nlt_f32_e64 s2, 0x42b17218, v7
	v_cndmask_b32_e64 v0, 0x7f800000, v0, s2
	v_cmp_nlt_f32_e64 s2, 0x42b17218, v6
	;; [unrolled: 2-line block ×3, first 2 shown]
	v_add_f32_e32 v0, v0, v8
	v_cndmask_b32_e64 v9, 0x7f800000, v9, s2
	v_cmp_nlt_f32_e64 s2, 0x42b17218, v4
	v_cndmask_b32_e64 v11, 0x7f800000, v11, s2
	v_add_f32_e32 v8, v9, v11
	ds_bpermute_b32 v9, v10, v0
	ds_bpermute_b32 v10, v10, v8
	s_waitcnt lgkmcnt(1)
	v_add_f32_e32 v0, v0, v9
	s_waitcnt lgkmcnt(0)
	v_add_f32_e32 v8, v8, v10
	ds_bpermute_b32 v9, v13, v0
	ds_bpermute_b32 v10, v13, v8
	s_waitcnt lgkmcnt(1)
	v_add_f32_e32 v0, v0, v9
	s_waitcnt lgkmcnt(0)
	;; [unrolled: 6-line block ×4, first 2 shown]
	v_add_f32_e32 v8, v8, v11
	ds_bpermute_b32 v11, v16, v10
	ds_bpermute_b32 v9, v16, v8
	s_and_saveexec_b32 s2, s1
	s_cbranch_execz .LBB118_16
; %bb.9:
	v_lshlrev_b64 v[0:1], 2, v[1:2]
	v_add_co_u32 v0, s1, s8, v0
	v_add_co_ci_u32_e64 v1, null, s9, v1, s1
	s_and_saveexec_b32 s3, s0
	s_cbranch_execz .LBB118_12
; %bb.10:
	s_waitcnt lgkmcnt(1)
	v_add_f32_e32 v2, v10, v11
	v_cmp_gt_f32_e64 s1, 0x800000, v2
	v_cndmask_b32_e64 v10, 0, 32, s1
	v_ldexp_f32 v2, v2, v10
	v_log_f32_e32 v2, v2
	v_mul_f32_e32 v10, 0x3f317217, v2
	v_cmp_gt_f32_e64 s2, 0x7f800000, |v2|
	v_fma_f32 v10, 0x3f317217, v2, -v10
	v_fmamk_f32 v10, v2, 0x3377d1cf, v10
	v_fmac_f32_e32 v10, 0x3f317217, v2
	v_cndmask_b32_e64 v2, v2, v10, s2
	v_cndmask_b32_e64 v10, 0, 0x41b17218, s1
	v_sub_f32_e32 v2, v2, v10
	v_sub_f32_e32 v7, v7, v2
	global_store_dword v[0:1], v7, off
	s_and_b32 exec_lo, exec_lo, vcc_lo
	s_cbranch_execz .LBB118_12
; %bb.11:
	v_sub_f32_e32 v2, v6, v2
	global_store_dword v[0:1], v2, off offset:128
.LBB118_12:
	s_or_b32 exec_lo, exec_lo, s3
	v_cmp_ne_u32_e64 s1, 1, v5
	s_and_b32 exec_lo, exec_lo, s1
	s_cbranch_execz .LBB118_16
; %bb.13:
	s_and_b32 exec_lo, exec_lo, s0
	s_cbranch_execz .LBB118_16
; %bb.14:
	s_waitcnt lgkmcnt(0)
	v_add_f32_e32 v2, v8, v9
	s_mov_b32 s15, 0
	v_cmp_gt_f32_e64 s0, 0x800000, v2
	v_cndmask_b32_e64 v5, 0, 32, s0
	v_cndmask_b32_e64 v6, 0, 0x41b17218, s0
	v_ldexp_f32 v2, v2, v5
	v_log_f32_e32 v2, v2
	v_mul_f32_e32 v5, 0x3f317217, v2
	v_cmp_gt_f32_e64 s0, 0x7f800000, |v2|
	v_fma_f32 v5, 0x3f317217, v2, -v5
	v_fmamk_f32 v5, v2, 0x3377d1cf, v5
	v_fmac_f32_e32 v5, 0x3f317217, v2
	v_cndmask_b32_e64 v2, v2, v5, s0
	s_lshl_b64 s[0:1], s[14:15], 2
	v_add_co_u32 v0, s0, v0, s0
	v_sub_f32_e32 v2, v2, v6
	v_add_co_ci_u32_e64 v1, null, s1, v1, s0
	v_sub_f32_e32 v3, v3, v2
	global_store_dword v[0:1], v3, off
	s_and_b32 exec_lo, exec_lo, vcc_lo
	s_cbranch_execz .LBB118_16
; %bb.15:
	v_sub_f32_e32 v2, v4, v2
	global_store_dword v[0:1], v2, off offset:128
.LBB118_16:
	s_endpgm
	.section	.rodata,"a",@progbits
	.p2align	6, 0x0
	.amdhsa_kernel _ZN12_GLOBAL__N_120softmax_warp_forwardIN3c104HalfEffLi6ELb1ELb0ELi32EEEvPT0_PKT_iiiPKbib
		.amdhsa_group_segment_fixed_size 0
		.amdhsa_private_segment_fixed_size 0
		.amdhsa_kernarg_size 304
		.amdhsa_user_sgpr_count 6
		.amdhsa_user_sgpr_private_segment_buffer 1
		.amdhsa_user_sgpr_dispatch_ptr 0
		.amdhsa_user_sgpr_queue_ptr 0
		.amdhsa_user_sgpr_kernarg_segment_ptr 1
		.amdhsa_user_sgpr_dispatch_id 0
		.amdhsa_user_sgpr_flat_scratch_init 0
		.amdhsa_user_sgpr_private_segment_size 0
		.amdhsa_wavefront_size32 1
		.amdhsa_uses_dynamic_stack 0
		.amdhsa_system_sgpr_private_segment_wavefront_offset 0
		.amdhsa_system_sgpr_workgroup_id_x 1
		.amdhsa_system_sgpr_workgroup_id_y 0
		.amdhsa_system_sgpr_workgroup_id_z 0
		.amdhsa_system_sgpr_workgroup_info 0
		.amdhsa_system_vgpr_workitem_id 1
		.amdhsa_next_free_vgpr 24
		.amdhsa_next_free_sgpr 16
		.amdhsa_reserve_vcc 1
		.amdhsa_reserve_flat_scratch 0
		.amdhsa_float_round_mode_32 0
		.amdhsa_float_round_mode_16_64 0
		.amdhsa_float_denorm_mode_32 3
		.amdhsa_float_denorm_mode_16_64 3
		.amdhsa_dx10_clamp 1
		.amdhsa_ieee_mode 1
		.amdhsa_fp16_overflow 0
		.amdhsa_workgroup_processor_mode 1
		.amdhsa_memory_ordered 1
		.amdhsa_forward_progress 1
		.amdhsa_shared_vgpr_count 0
		.amdhsa_exception_fp_ieee_invalid_op 0
		.amdhsa_exception_fp_denorm_src 0
		.amdhsa_exception_fp_ieee_div_zero 0
		.amdhsa_exception_fp_ieee_overflow 0
		.amdhsa_exception_fp_ieee_underflow 0
		.amdhsa_exception_fp_ieee_inexact 0
		.amdhsa_exception_int_div_zero 0
	.end_amdhsa_kernel
	.section	.text._ZN12_GLOBAL__N_120softmax_warp_forwardIN3c104HalfEffLi6ELb1ELb0ELi32EEEvPT0_PKT_iiiPKbib,"axG",@progbits,_ZN12_GLOBAL__N_120softmax_warp_forwardIN3c104HalfEffLi6ELb1ELb0ELi32EEEvPT0_PKT_iiiPKbib,comdat
.Lfunc_end118:
	.size	_ZN12_GLOBAL__N_120softmax_warp_forwardIN3c104HalfEffLi6ELb1ELb0ELi32EEEvPT0_PKT_iiiPKbib, .Lfunc_end118-_ZN12_GLOBAL__N_120softmax_warp_forwardIN3c104HalfEffLi6ELb1ELb0ELi32EEEvPT0_PKT_iiiPKbib
                                        ; -- End function
	.set _ZN12_GLOBAL__N_120softmax_warp_forwardIN3c104HalfEffLi6ELb1ELb0ELi32EEEvPT0_PKT_iiiPKbib.num_vgpr, 24
	.set _ZN12_GLOBAL__N_120softmax_warp_forwardIN3c104HalfEffLi6ELb1ELb0ELi32EEEvPT0_PKT_iiiPKbib.num_agpr, 0
	.set _ZN12_GLOBAL__N_120softmax_warp_forwardIN3c104HalfEffLi6ELb1ELb0ELi32EEEvPT0_PKT_iiiPKbib.numbered_sgpr, 16
	.set _ZN12_GLOBAL__N_120softmax_warp_forwardIN3c104HalfEffLi6ELb1ELb0ELi32EEEvPT0_PKT_iiiPKbib.num_named_barrier, 0
	.set _ZN12_GLOBAL__N_120softmax_warp_forwardIN3c104HalfEffLi6ELb1ELb0ELi32EEEvPT0_PKT_iiiPKbib.private_seg_size, 0
	.set _ZN12_GLOBAL__N_120softmax_warp_forwardIN3c104HalfEffLi6ELb1ELb0ELi32EEEvPT0_PKT_iiiPKbib.uses_vcc, 1
	.set _ZN12_GLOBAL__N_120softmax_warp_forwardIN3c104HalfEffLi6ELb1ELb0ELi32EEEvPT0_PKT_iiiPKbib.uses_flat_scratch, 0
	.set _ZN12_GLOBAL__N_120softmax_warp_forwardIN3c104HalfEffLi6ELb1ELb0ELi32EEEvPT0_PKT_iiiPKbib.has_dyn_sized_stack, 0
	.set _ZN12_GLOBAL__N_120softmax_warp_forwardIN3c104HalfEffLi6ELb1ELb0ELi32EEEvPT0_PKT_iiiPKbib.has_recursion, 0
	.set _ZN12_GLOBAL__N_120softmax_warp_forwardIN3c104HalfEffLi6ELb1ELb0ELi32EEEvPT0_PKT_iiiPKbib.has_indirect_call, 0
	.section	.AMDGPU.csdata,"",@progbits
; Kernel info:
; codeLenInByte = 1720
; TotalNumSgprs: 18
; NumVgprs: 24
; ScratchSize: 0
; MemoryBound: 0
; FloatMode: 240
; IeeeMode: 1
; LDSByteSize: 0 bytes/workgroup (compile time only)
; SGPRBlocks: 0
; VGPRBlocks: 2
; NumSGPRsForWavesPerEU: 18
; NumVGPRsForWavesPerEU: 24
; Occupancy: 16
; WaveLimiterHint : 0
; COMPUTE_PGM_RSRC2:SCRATCH_EN: 0
; COMPUTE_PGM_RSRC2:USER_SGPR: 6
; COMPUTE_PGM_RSRC2:TRAP_HANDLER: 0
; COMPUTE_PGM_RSRC2:TGID_X_EN: 1
; COMPUTE_PGM_RSRC2:TGID_Y_EN: 0
; COMPUTE_PGM_RSRC2:TGID_Z_EN: 0
; COMPUTE_PGM_RSRC2:TIDIG_COMP_CNT: 1
	.section	.text._ZN12_GLOBAL__N_120softmax_warp_forwardIN3c104HalfEffLi7ELb1ELb0ELi64EEEvPT0_PKT_iiiPKbib,"axG",@progbits,_ZN12_GLOBAL__N_120softmax_warp_forwardIN3c104HalfEffLi7ELb1ELb0ELi64EEEvPT0_PKT_iiiPKbib,comdat
	.globl	_ZN12_GLOBAL__N_120softmax_warp_forwardIN3c104HalfEffLi7ELb1ELb0ELi64EEEvPT0_PKT_iiiPKbib ; -- Begin function _ZN12_GLOBAL__N_120softmax_warp_forwardIN3c104HalfEffLi7ELb1ELb0ELi64EEEvPT0_PKT_iiiPKbib
	.p2align	8
	.type	_ZN12_GLOBAL__N_120softmax_warp_forwardIN3c104HalfEffLi7ELb1ELb0ELi64EEEvPT0_PKT_iiiPKbib,@function
_ZN12_GLOBAL__N_120softmax_warp_forwardIN3c104HalfEffLi7ELb1ELb0ELi64EEEvPT0_PKT_iiiPKbib: ; @_ZN12_GLOBAL__N_120softmax_warp_forwardIN3c104HalfEffLi7ELb1ELb0ELi64EEEvPT0_PKT_iiiPKbib
; %bb.0:
	s_clause 0x1
	s_load_dword s0, s[4:5], 0x3c
	s_load_dwordx8 s[8:15], s[4:5], 0x0
	v_mov_b32_e32 v6, 0xff800000
	v_mov_b32_e32 v7, 0xff800000
	s_waitcnt lgkmcnt(0)
	s_lshr_b32 s0, s0, 16
	s_and_b32 s0, s0, 0xffff
	s_mul_i32 s6, s6, s0
	v_cmp_gt_i32_e64 s0, s14, v0
	v_add_lshl_u32 v3, s6, v1, 1
	v_mad_u64_u32 v[1:2], null, v3, s13, v[0:1]
	v_sub_nc_u32_e32 v5, s12, v3
	v_cmp_lt_i32_e64 s1, 0, v5
	v_ashrrev_i32_e32 v2, 31, v1
	s_and_b32 s3, s1, s0
	v_lshlrev_b64 v[3:4], 1, v[1:2]
	v_add_co_u32 v3, vcc_lo, s10, v3
	v_add_co_ci_u32_e64 v4, null, s11, v4, vcc_lo
	s_and_saveexec_b32 s2, s3
	s_cbranch_execz .LBB119_2
; %bb.1:
	global_load_ushort v7, v[3:4], off
	s_waitcnt vmcnt(0)
	v_cvt_f32_f16_e32 v7, v7
.LBB119_2:
	s_or_b32 exec_lo, exec_lo, s2
	v_add_nc_u32_e32 v0, 64, v0
	v_cmp_gt_i32_e32 vcc_lo, s14, v0
	s_and_b32 s3, s1, vcc_lo
	s_and_saveexec_b32 s2, s3
	s_cbranch_execz .LBB119_4
; %bb.3:
	global_load_ushort v0, v[3:4], off offset:128
	s_waitcnt vmcnt(0)
	v_cvt_f32_f16_e32 v6, v0
.LBB119_4:
	s_or_b32 exec_lo, exec_lo, s2
	v_cmp_lt_i32_e64 s2, 1, v5
	v_mov_b32_e32 v0, 0xff800000
	v_mov_b32_e32 v8, 0xff800000
	s_and_b32 s3, s2, s0
	s_and_saveexec_b32 s4, s3
	s_cbranch_execz .LBB119_6
; %bb.5:
	s_mov_b32 s15, 0
	s_lshl_b64 s[6:7], s[14:15], 1
	v_add_co_u32 v8, s3, v3, s6
	v_add_co_ci_u32_e64 v9, null, s7, v4, s3
	global_load_ushort v8, v[8:9], off
	s_waitcnt vmcnt(0)
	v_cvt_f32_f16_e32 v8, v8
.LBB119_6:
	s_or_b32 exec_lo, exec_lo, s4
	s_and_b32 s2, s2, vcc_lo
	s_and_saveexec_b32 s3, s2
	s_cbranch_execz .LBB119_8
; %bb.7:
	s_mov_b32 s15, 0
	s_lshl_b64 s[4:5], s[14:15], 1
	v_add_co_u32 v3, s2, v3, s4
	v_add_co_ci_u32_e64 v4, null, s5, v4, s2
	global_load_ushort v0, v[3:4], off offset:128
	s_waitcnt vmcnt(0)
	v_cvt_f32_f16_e32 v0, v0
.LBB119_8:
	s_or_b32 exec_lo, exec_lo, s3
	v_mbcnt_lo_u32_b32 v3, -1, 0
	v_or_b32_e32 v4, 32, v3
	v_xor_b32_e32 v13, 16, v3
	v_xor_b32_e32 v14, 8, v3
	;; [unrolled: 1-line block ×4, first 2 shown]
	v_cmp_gt_i32_e64 s2, 64, v4
	v_xor_b32_e32 v17, 1, v3
	v_cndmask_b32_e64 v4, v3, v4, s2
	v_cmp_gt_f32_e64 s2, v7, v6
	v_lshlrev_b32_e32 v10, 2, v4
	v_cndmask_b32_e64 v9, v6, v7, s2
	v_cmp_gt_f32_e64 s2, v8, v0
	ds_bpermute_b32 v11, v10, v9
	v_cndmask_b32_e64 v4, v0, v8, s2
	v_cmp_gt_i32_e64 s2, 64, v13
	ds_bpermute_b32 v12, v10, v4
	v_cndmask_b32_e64 v13, v3, v13, s2
	v_lshlrev_b32_e32 v13, 2, v13
	s_waitcnt lgkmcnt(1)
	v_cmp_lt_f32_e64 s2, v9, v11
	v_cndmask_b32_e64 v9, v9, v11, s2
	s_waitcnt lgkmcnt(0)
	v_cmp_lt_f32_e64 s2, v4, v12
	ds_bpermute_b32 v11, v13, v9
	v_cndmask_b32_e64 v4, v4, v12, s2
	v_cmp_gt_i32_e64 s2, 64, v14
	ds_bpermute_b32 v12, v13, v4
	v_cndmask_b32_e64 v14, v3, v14, s2
	v_lshlrev_b32_e32 v14, 2, v14
	s_waitcnt lgkmcnt(1)
	v_cmp_lt_f32_e64 s2, v9, v11
	v_cndmask_b32_e64 v9, v9, v11, s2
	s_waitcnt lgkmcnt(0)
	v_cmp_lt_f32_e64 s2, v4, v12
	;; [unrolled: 11-line block ×5, first 2 shown]
	ds_bpermute_b32 v9, v17, v3
	v_cndmask_b32_e64 v4, v4, v12, s2
	ds_bpermute_b32 v11, v17, v4
	s_waitcnt lgkmcnt(1)
	v_cmp_lt_f32_e64 s2, v3, v9
	v_cndmask_b32_e64 v3, v3, v9, s2
	s_waitcnt lgkmcnt(0)
	v_cmp_lt_f32_e64 s2, v4, v11
	v_sub_f32_e32 v7, v7, v3
	v_cndmask_b32_e64 v4, v4, v11, s2
	v_sub_f32_e32 v6, v6, v3
	v_cmp_ngt_f32_e64 s2, 0xc2ce8ed0, v7
	v_sub_f32_e32 v3, v8, v4
	v_sub_f32_e32 v4, v0, v4
	v_mul_f32_e32 v0, 0x3fb8aa3b, v7
	v_mul_f32_e32 v8, 0x3fb8aa3b, v6
	;; [unrolled: 1-line block ×4, first 2 shown]
	v_fma_f32 v12, 0x3fb8aa3b, v7, -v0
	v_rndne_f32_e32 v18, v0
	v_fma_f32 v19, 0x3fb8aa3b, v6, -v8
	v_rndne_f32_e32 v20, v8
	v_fma_f32 v21, 0x3fb8aa3b, v3, -v9
	v_fmac_f32_e32 v12, 0x32a5705f, v7
	v_sub_f32_e32 v0, v0, v18
	v_rndne_f32_e32 v22, v9
	v_fmac_f32_e32 v19, 0x32a5705f, v6
	v_sub_f32_e32 v8, v8, v20
	v_fma_f32 v23, 0x3fb8aa3b, v4, -v11
	v_add_f32_e32 v0, v0, v12
	v_rndne_f32_e32 v24, v11
	v_fmac_f32_e32 v21, 0x32a5705f, v3
	v_sub_f32_e32 v9, v9, v22
	v_add_f32_e32 v8, v8, v19
	v_exp_f32_e32 v0, v0
	v_fmac_f32_e32 v23, 0x32a5705f, v4
	v_sub_f32_e32 v11, v11, v24
	v_add_f32_e32 v9, v9, v21
	v_exp_f32_e32 v8, v8
	v_cvt_i32_f32_e32 v12, v18
	v_cvt_i32_f32_e32 v18, v20
	v_add_f32_e32 v11, v11, v23
	v_exp_f32_e32 v9, v9
	v_cvt_i32_f32_e32 v19, v22
	v_ldexp_f32 v0, v0, v12
	v_cvt_i32_f32_e32 v20, v24
	v_exp_f32_e32 v11, v11
	v_ldexp_f32 v8, v8, v18
	v_cndmask_b32_e64 v0, 0, v0, s2
	v_cmp_ngt_f32_e64 s2, 0xc2ce8ed0, v6
	v_ldexp_f32 v9, v9, v19
	v_cndmask_b32_e64 v8, 0, v8, s2
	v_cmp_ngt_f32_e64 s2, 0xc2ce8ed0, v3
	;; [unrolled: 3-line block ×3, first 2 shown]
	v_cndmask_b32_e64 v11, 0, v11, s2
	v_cmp_nlt_f32_e64 s2, 0x42b17218, v7
	v_cndmask_b32_e64 v0, 0x7f800000, v0, s2
	v_cmp_nlt_f32_e64 s2, 0x42b17218, v6
	;; [unrolled: 2-line block ×3, first 2 shown]
	v_add_f32_e32 v0, v0, v8
	v_cndmask_b32_e64 v9, 0x7f800000, v9, s2
	v_cmp_nlt_f32_e64 s2, 0x42b17218, v4
	v_cndmask_b32_e64 v11, 0x7f800000, v11, s2
	v_add_f32_e32 v8, v9, v11
	ds_bpermute_b32 v9, v10, v0
	ds_bpermute_b32 v10, v10, v8
	s_waitcnt lgkmcnt(1)
	v_add_f32_e32 v0, v0, v9
	s_waitcnt lgkmcnt(0)
	v_add_f32_e32 v8, v8, v10
	ds_bpermute_b32 v9, v13, v0
	ds_bpermute_b32 v10, v13, v8
	s_waitcnt lgkmcnt(1)
	v_add_f32_e32 v0, v0, v9
	s_waitcnt lgkmcnt(0)
	;; [unrolled: 6-line block ×5, first 2 shown]
	v_add_f32_e32 v8, v8, v11
	ds_bpermute_b32 v11, v17, v10
	ds_bpermute_b32 v9, v17, v8
	s_and_saveexec_b32 s2, s1
	s_cbranch_execz .LBB119_16
; %bb.9:
	v_lshlrev_b64 v[0:1], 2, v[1:2]
	v_add_co_u32 v0, s1, s8, v0
	v_add_co_ci_u32_e64 v1, null, s9, v1, s1
	s_and_saveexec_b32 s3, s0
	s_cbranch_execz .LBB119_12
; %bb.10:
	s_waitcnt lgkmcnt(1)
	v_add_f32_e32 v2, v10, v11
	v_cmp_gt_f32_e64 s1, 0x800000, v2
	v_cndmask_b32_e64 v10, 0, 32, s1
	v_ldexp_f32 v2, v2, v10
	v_log_f32_e32 v2, v2
	v_mul_f32_e32 v10, 0x3f317217, v2
	v_cmp_gt_f32_e64 s2, 0x7f800000, |v2|
	v_fma_f32 v10, 0x3f317217, v2, -v10
	v_fmamk_f32 v10, v2, 0x3377d1cf, v10
	v_fmac_f32_e32 v10, 0x3f317217, v2
	v_cndmask_b32_e64 v2, v2, v10, s2
	v_cndmask_b32_e64 v10, 0, 0x41b17218, s1
	v_sub_f32_e32 v2, v2, v10
	v_sub_f32_e32 v7, v7, v2
	global_store_dword v[0:1], v7, off
	s_and_b32 exec_lo, exec_lo, vcc_lo
	s_cbranch_execz .LBB119_12
; %bb.11:
	v_sub_f32_e32 v2, v6, v2
	global_store_dword v[0:1], v2, off offset:256
.LBB119_12:
	s_or_b32 exec_lo, exec_lo, s3
	v_cmp_ne_u32_e64 s1, 1, v5
	s_and_b32 exec_lo, exec_lo, s1
	s_cbranch_execz .LBB119_16
; %bb.13:
	s_and_b32 exec_lo, exec_lo, s0
	s_cbranch_execz .LBB119_16
; %bb.14:
	s_waitcnt lgkmcnt(0)
	v_add_f32_e32 v2, v8, v9
	s_mov_b32 s15, 0
	v_cmp_gt_f32_e64 s0, 0x800000, v2
	v_cndmask_b32_e64 v5, 0, 32, s0
	v_cndmask_b32_e64 v6, 0, 0x41b17218, s0
	v_ldexp_f32 v2, v2, v5
	v_log_f32_e32 v2, v2
	v_mul_f32_e32 v5, 0x3f317217, v2
	v_cmp_gt_f32_e64 s0, 0x7f800000, |v2|
	v_fma_f32 v5, 0x3f317217, v2, -v5
	v_fmamk_f32 v5, v2, 0x3377d1cf, v5
	v_fmac_f32_e32 v5, 0x3f317217, v2
	v_cndmask_b32_e64 v2, v2, v5, s0
	s_lshl_b64 s[0:1], s[14:15], 2
	v_add_co_u32 v0, s0, v0, s0
	v_sub_f32_e32 v2, v2, v6
	v_add_co_ci_u32_e64 v1, null, s1, v1, s0
	v_sub_f32_e32 v3, v3, v2
	global_store_dword v[0:1], v3, off
	s_and_b32 exec_lo, exec_lo, vcc_lo
	s_cbranch_execz .LBB119_16
; %bb.15:
	v_sub_f32_e32 v2, v4, v2
	global_store_dword v[0:1], v2, off offset:256
.LBB119_16:
	s_endpgm
	.section	.rodata,"a",@progbits
	.p2align	6, 0x0
	.amdhsa_kernel _ZN12_GLOBAL__N_120softmax_warp_forwardIN3c104HalfEffLi7ELb1ELb0ELi64EEEvPT0_PKT_iiiPKbib
		.amdhsa_group_segment_fixed_size 0
		.amdhsa_private_segment_fixed_size 0
		.amdhsa_kernarg_size 304
		.amdhsa_user_sgpr_count 6
		.amdhsa_user_sgpr_private_segment_buffer 1
		.amdhsa_user_sgpr_dispatch_ptr 0
		.amdhsa_user_sgpr_queue_ptr 0
		.amdhsa_user_sgpr_kernarg_segment_ptr 1
		.amdhsa_user_sgpr_dispatch_id 0
		.amdhsa_user_sgpr_flat_scratch_init 0
		.amdhsa_user_sgpr_private_segment_size 0
		.amdhsa_wavefront_size32 1
		.amdhsa_uses_dynamic_stack 0
		.amdhsa_system_sgpr_private_segment_wavefront_offset 0
		.amdhsa_system_sgpr_workgroup_id_x 1
		.amdhsa_system_sgpr_workgroup_id_y 0
		.amdhsa_system_sgpr_workgroup_id_z 0
		.amdhsa_system_sgpr_workgroup_info 0
		.amdhsa_system_vgpr_workitem_id 1
		.amdhsa_next_free_vgpr 25
		.amdhsa_next_free_sgpr 16
		.amdhsa_reserve_vcc 1
		.amdhsa_reserve_flat_scratch 0
		.amdhsa_float_round_mode_32 0
		.amdhsa_float_round_mode_16_64 0
		.amdhsa_float_denorm_mode_32 3
		.amdhsa_float_denorm_mode_16_64 3
		.amdhsa_dx10_clamp 1
		.amdhsa_ieee_mode 1
		.amdhsa_fp16_overflow 0
		.amdhsa_workgroup_processor_mode 1
		.amdhsa_memory_ordered 1
		.amdhsa_forward_progress 1
		.amdhsa_shared_vgpr_count 0
		.amdhsa_exception_fp_ieee_invalid_op 0
		.amdhsa_exception_fp_denorm_src 0
		.amdhsa_exception_fp_ieee_div_zero 0
		.amdhsa_exception_fp_ieee_overflow 0
		.amdhsa_exception_fp_ieee_underflow 0
		.amdhsa_exception_fp_ieee_inexact 0
		.amdhsa_exception_int_div_zero 0
	.end_amdhsa_kernel
	.section	.text._ZN12_GLOBAL__N_120softmax_warp_forwardIN3c104HalfEffLi7ELb1ELb0ELi64EEEvPT0_PKT_iiiPKbib,"axG",@progbits,_ZN12_GLOBAL__N_120softmax_warp_forwardIN3c104HalfEffLi7ELb1ELb0ELi64EEEvPT0_PKT_iiiPKbib,comdat
.Lfunc_end119:
	.size	_ZN12_GLOBAL__N_120softmax_warp_forwardIN3c104HalfEffLi7ELb1ELb0ELi64EEEvPT0_PKT_iiiPKbib, .Lfunc_end119-_ZN12_GLOBAL__N_120softmax_warp_forwardIN3c104HalfEffLi7ELb1ELb0ELi64EEEvPT0_PKT_iiiPKbib
                                        ; -- End function
	.set _ZN12_GLOBAL__N_120softmax_warp_forwardIN3c104HalfEffLi7ELb1ELb0ELi64EEEvPT0_PKT_iiiPKbib.num_vgpr, 25
	.set _ZN12_GLOBAL__N_120softmax_warp_forwardIN3c104HalfEffLi7ELb1ELb0ELi64EEEvPT0_PKT_iiiPKbib.num_agpr, 0
	.set _ZN12_GLOBAL__N_120softmax_warp_forwardIN3c104HalfEffLi7ELb1ELb0ELi64EEEvPT0_PKT_iiiPKbib.numbered_sgpr, 16
	.set _ZN12_GLOBAL__N_120softmax_warp_forwardIN3c104HalfEffLi7ELb1ELb0ELi64EEEvPT0_PKT_iiiPKbib.num_named_barrier, 0
	.set _ZN12_GLOBAL__N_120softmax_warp_forwardIN3c104HalfEffLi7ELb1ELb0ELi64EEEvPT0_PKT_iiiPKbib.private_seg_size, 0
	.set _ZN12_GLOBAL__N_120softmax_warp_forwardIN3c104HalfEffLi7ELb1ELb0ELi64EEEvPT0_PKT_iiiPKbib.uses_vcc, 1
	.set _ZN12_GLOBAL__N_120softmax_warp_forwardIN3c104HalfEffLi7ELb1ELb0ELi64EEEvPT0_PKT_iiiPKbib.uses_flat_scratch, 0
	.set _ZN12_GLOBAL__N_120softmax_warp_forwardIN3c104HalfEffLi7ELb1ELb0ELi64EEEvPT0_PKT_iiiPKbib.has_dyn_sized_stack, 0
	.set _ZN12_GLOBAL__N_120softmax_warp_forwardIN3c104HalfEffLi7ELb1ELb0ELi64EEEvPT0_PKT_iiiPKbib.has_recursion, 0
	.set _ZN12_GLOBAL__N_120softmax_warp_forwardIN3c104HalfEffLi7ELb1ELb0ELi64EEEvPT0_PKT_iiiPKbib.has_indirect_call, 0
	.section	.AMDGPU.csdata,"",@progbits
; Kernel info:
; codeLenInByte = 1832
; TotalNumSgprs: 18
; NumVgprs: 25
; ScratchSize: 0
; MemoryBound: 0
; FloatMode: 240
; IeeeMode: 1
; LDSByteSize: 0 bytes/workgroup (compile time only)
; SGPRBlocks: 0
; VGPRBlocks: 3
; NumSGPRsForWavesPerEU: 18
; NumVGPRsForWavesPerEU: 25
; Occupancy: 16
; WaveLimiterHint : 0
; COMPUTE_PGM_RSRC2:SCRATCH_EN: 0
; COMPUTE_PGM_RSRC2:USER_SGPR: 6
; COMPUTE_PGM_RSRC2:TRAP_HANDLER: 0
; COMPUTE_PGM_RSRC2:TGID_X_EN: 1
; COMPUTE_PGM_RSRC2:TGID_Y_EN: 0
; COMPUTE_PGM_RSRC2:TGID_Z_EN: 0
; COMPUTE_PGM_RSRC2:TIDIG_COMP_CNT: 1
	.section	.text._ZN12_GLOBAL__N_120softmax_warp_forwardIN3c104HalfEffLi7ELb1ELb0ELi32EEEvPT0_PKT_iiiPKbib,"axG",@progbits,_ZN12_GLOBAL__N_120softmax_warp_forwardIN3c104HalfEffLi7ELb1ELb0ELi32EEEvPT0_PKT_iiiPKbib,comdat
	.globl	_ZN12_GLOBAL__N_120softmax_warp_forwardIN3c104HalfEffLi7ELb1ELb0ELi32EEEvPT0_PKT_iiiPKbib ; -- Begin function _ZN12_GLOBAL__N_120softmax_warp_forwardIN3c104HalfEffLi7ELb1ELb0ELi32EEEvPT0_PKT_iiiPKbib
	.p2align	8
	.type	_ZN12_GLOBAL__N_120softmax_warp_forwardIN3c104HalfEffLi7ELb1ELb0ELi32EEEvPT0_PKT_iiiPKbib,@function
_ZN12_GLOBAL__N_120softmax_warp_forwardIN3c104HalfEffLi7ELb1ELb0ELi32EEEvPT0_PKT_iiiPKbib: ; @_ZN12_GLOBAL__N_120softmax_warp_forwardIN3c104HalfEffLi7ELb1ELb0ELi32EEEvPT0_PKT_iiiPKbib
; %bb.0:
	s_clause 0x1
	s_load_dword s0, s[4:5], 0x3c
	s_load_dwordx8 s[8:15], s[4:5], 0x0
	v_mov_b32_e32 v8, 0xff800000
	v_mov_b32_e32 v6, 0xff800000
	s_waitcnt lgkmcnt(0)
	s_lshr_b32 s0, s0, 16
	v_cmp_gt_i32_e64 s1, s14, v0
	s_and_b32 s0, s0, 0xffff
	s_mul_i32 s6, s6, s0
	v_add_lshl_u32 v3, s6, v1, 1
	v_mad_u64_u32 v[1:2], null, v3, s13, v[0:1]
	v_sub_nc_u32_e32 v5, s12, v3
	v_cmp_lt_i32_e64 s3, 0, v5
	v_ashrrev_i32_e32 v2, 31, v1
	s_and_b32 s2, s3, s1
	v_lshlrev_b64 v[3:4], 1, v[1:2]
	v_add_co_u32 v3, vcc_lo, s10, v3
	v_add_co_ci_u32_e64 v4, null, s11, v4, vcc_lo
	s_and_saveexec_b32 s0, s2
	s_cbranch_execz .LBB120_2
; %bb.1:
	global_load_ushort v6, v[3:4], off
	s_waitcnt vmcnt(0)
	v_cvt_f32_f16_e32 v6, v6
.LBB120_2:
	s_or_b32 exec_lo, exec_lo, s0
	v_add_nc_u32_e32 v7, 32, v0
	v_cmp_gt_i32_e32 vcc_lo, s14, v7
	s_and_b32 s2, s3, vcc_lo
	s_and_saveexec_b32 s0, s2
	s_cbranch_execz .LBB120_4
; %bb.3:
	global_load_ushort v7, v[3:4], off offset:64
	s_waitcnt vmcnt(0)
	v_cvt_f32_f16_e32 v8, v7
.LBB120_4:
	s_or_b32 exec_lo, exec_lo, s0
	v_add_nc_u32_e32 v7, 64, v0
	v_mov_b32_e32 v11, 0xff800000
	v_mov_b32_e32 v12, 0xff800000
	v_cmp_gt_i32_e64 s0, s14, v7
	s_and_b32 s4, s3, s0
	s_and_saveexec_b32 s2, s4
	s_cbranch_execz .LBB120_6
; %bb.5:
	global_load_ushort v7, v[3:4], off offset:128
	s_waitcnt vmcnt(0)
	v_cvt_f32_f16_e32 v12, v7
.LBB120_6:
	s_or_b32 exec_lo, exec_lo, s2
	v_add_nc_u32_e32 v0, 0x60, v0
	v_cmp_gt_i32_e64 s2, s14, v0
	s_and_b32 s5, s3, s2
	s_and_saveexec_b32 s4, s5
	s_cbranch_execz .LBB120_8
; %bb.7:
	global_load_ushort v0, v[3:4], off offset:192
	s_waitcnt vmcnt(0)
	v_cvt_f32_f16_e32 v11, v0
.LBB120_8:
	s_or_b32 exec_lo, exec_lo, s4
	v_cmp_lt_i32_e64 s4, 1, v5
	v_mov_b32_e32 v13, 0xff800000
	v_mov_b32_e32 v17, 0xff800000
	s_and_b32 s5, s4, s1
	s_and_saveexec_b32 s6, s5
	s_cbranch_execz .LBB120_10
; %bb.9:
	s_mov_b32 s15, 0
	s_lshl_b64 s[10:11], s[14:15], 1
	v_add_co_u32 v9, s5, v3, s10
	v_add_co_ci_u32_e64 v10, null, s11, v4, s5
	global_load_ushort v0, v[9:10], off
	s_waitcnt vmcnt(0)
	v_cvt_f32_f16_e32 v17, v0
.LBB120_10:
	s_or_b32 exec_lo, exec_lo, s6
	s_and_b32 s5, s4, vcc_lo
	s_and_saveexec_b32 s6, s5
	s_cbranch_execz .LBB120_12
; %bb.11:
	s_mov_b32 s15, 0
	s_lshl_b64 s[10:11], s[14:15], 1
	v_add_co_u32 v9, s5, v3, s10
	v_add_co_ci_u32_e64 v10, null, s11, v4, s5
	global_load_ushort v0, v[9:10], off offset:64
	s_waitcnt vmcnt(0)
	v_cvt_f32_f16_e32 v13, v0
.LBB120_12:
	s_or_b32 exec_lo, exec_lo, s6
	v_mov_b32_e32 v16, 0xff800000
	v_mov_b32_e32 v18, 0xff800000
	s_and_b32 s5, s4, s0
	s_and_saveexec_b32 s6, s5
	s_cbranch_execz .LBB120_14
; %bb.13:
	s_mov_b32 s15, 0
	s_lshl_b64 s[10:11], s[14:15], 1
	v_add_co_u32 v9, s5, v3, s10
	v_add_co_ci_u32_e64 v10, null, s11, v4, s5
	global_load_ushort v0, v[9:10], off offset:128
	s_waitcnt vmcnt(0)
	v_cvt_f32_f16_e32 v18, v0
.LBB120_14:
	s_or_b32 exec_lo, exec_lo, s6
	s_and_b32 s4, s4, s2
	s_and_saveexec_b32 s5, s4
	s_cbranch_execz .LBB120_16
; %bb.15:
	s_mov_b32 s15, 0
	s_lshl_b64 s[6:7], s[14:15], 1
	v_add_co_u32 v3, s4, v3, s6
	v_add_co_ci_u32_e64 v4, null, s7, v4, s4
	global_load_ushort v0, v[3:4], off offset:192
	s_waitcnt vmcnt(0)
	v_cvt_f32_f16_e32 v16, v0
.LBB120_16:
	s_or_b32 exec_lo, exec_lo, s5
	v_cmp_gt_f32_e64 s4, v6, v8
	v_mbcnt_lo_u32_b32 v4, -1, 0
	v_cndmask_b32_e64 v0, v8, v6, s4
	v_cmp_gt_f32_e64 s4, v17, v13
	v_xor_b32_e32 v3, 16, v4
	v_cndmask_b32_e64 v7, v13, v17, s4
	v_cmp_gt_f32_e64 s4, v0, v12
	v_cndmask_b32_e64 v0, v12, v0, s4
	v_cmp_gt_i32_e64 s4, 32, v3
	v_cndmask_b32_e64 v3, v4, v3, s4
	v_cmp_gt_f32_e64 s4, v7, v18
	v_cndmask_b32_e64 v7, v18, v7, s4
	v_cmp_gt_f32_e64 s4, v0, v11
	v_cndmask_b32_e64 v9, v11, v0, s4
	v_lshlrev_b32_e32 v0, 2, v3
	v_cmp_gt_f32_e64 s4, v7, v16
	v_xor_b32_e32 v3, 8, v4
	ds_bpermute_b32 v10, v0, v9
	v_cndmask_b32_e64 v7, v16, v7, s4
	v_cmp_gt_i32_e64 s4, 32, v3
	ds_bpermute_b32 v14, v0, v7
	v_cndmask_b32_e64 v3, v4, v3, s4
	v_lshlrev_b32_e32 v3, 2, v3
	s_waitcnt lgkmcnt(1)
	v_cmp_lt_f32_e64 s4, v9, v10
	v_cndmask_b32_e64 v9, v9, v10, s4
	s_waitcnt lgkmcnt(0)
	v_cmp_lt_f32_e64 s4, v7, v14
	v_cndmask_b32_e64 v10, v7, v14, s4
	ds_bpermute_b32 v14, v3, v9
	v_xor_b32_e32 v7, 4, v4
	ds_bpermute_b32 v15, v3, v10
	v_cmp_gt_i32_e64 s4, 32, v7
	v_cndmask_b32_e64 v7, v4, v7, s4
	v_lshlrev_b32_e32 v7, 2, v7
	s_waitcnt lgkmcnt(1)
	v_cmp_lt_f32_e64 s4, v9, v14
	v_cndmask_b32_e64 v9, v9, v14, s4
	s_waitcnt lgkmcnt(0)
	v_cmp_lt_f32_e64 s4, v10, v15
	v_cndmask_b32_e64 v14, v10, v15, s4
	ds_bpermute_b32 v15, v7, v9
	v_xor_b32_e32 v10, 2, v4
	ds_bpermute_b32 v19, v7, v14
	v_cmp_gt_i32_e64 s4, 32, v10
	;; [unrolled: 12-line block ×3, first 2 shown]
	v_cndmask_b32_e64 v4, v4, v14, s4
	v_lshlrev_b32_e32 v14, 2, v4
	s_waitcnt lgkmcnt(1)
	v_cmp_lt_f32_e64 s4, v9, v19
	v_cndmask_b32_e64 v4, v9, v19, s4
	s_waitcnt lgkmcnt(0)
	v_cmp_lt_f32_e64 s4, v15, v20
	v_cndmask_b32_e64 v9, v15, v20, s4
	ds_bpermute_b32 v15, v14, v4
	ds_bpermute_b32 v19, v14, v9
	s_waitcnt lgkmcnt(1)
	v_cmp_lt_f32_e64 s4, v4, v15
	v_cndmask_b32_e64 v4, v4, v15, s4
	s_waitcnt lgkmcnt(0)
	v_cmp_lt_f32_e64 s4, v9, v19
	v_sub_f32_e32 v6, v6, v4
	v_cndmask_b32_e64 v19, v9, v19, s4
	v_sub_f32_e32 v9, v8, v4
	v_sub_f32_e32 v12, v12, v4
	v_sub_f32_e32 v15, v11, v4
	v_cmp_ngt_f32_e64 s4, 0xc2ce8ed0, v6
	v_sub_f32_e32 v8, v13, v19
	v_sub_f32_e32 v13, v16, v19
	v_mul_f32_e32 v16, 0x3fb8aa3b, v6
	v_sub_f32_e32 v4, v17, v19
	v_mul_f32_e32 v17, 0x3fb8aa3b, v9
	;; [unrolled: 2-line block ×3, first 2 shown]
	v_fma_f32 v24, 0x3fb8aa3b, v6, -v16
	v_rndne_f32_e32 v25, v16
	v_fma_f32 v26, 0x3fb8aa3b, v9, -v17
	v_rndne_f32_e32 v27, v17
	v_mul_f32_e32 v19, 0x3fb8aa3b, v15
	v_fmac_f32_e32 v24, 0x32a5705f, v6
	v_sub_f32_e32 v16, v16, v25
	v_fma_f32 v28, 0x3fb8aa3b, v12, -v18
	v_rndne_f32_e32 v29, v18
	v_fmac_f32_e32 v26, 0x32a5705f, v9
	v_sub_f32_e32 v17, v17, v27
	v_add_f32_e32 v16, v16, v24
	v_mul_f32_e32 v20, 0x3fb8aa3b, v4
	v_fma_f32 v30, 0x3fb8aa3b, v15, -v19
	v_rndne_f32_e32 v31, v19
	v_fmac_f32_e32 v28, 0x32a5705f, v12
	v_sub_f32_e32 v18, v18, v29
	v_add_f32_e32 v17, v17, v26
	v_exp_f32_e32 v16, v16
	v_mul_f32_e32 v21, 0x3fb8aa3b, v8
	v_fma_f32 v32, 0x3fb8aa3b, v4, -v20
	v_rndne_f32_e32 v33, v20
	v_cvt_i32_f32_e32 v25, v25
	v_fmac_f32_e32 v30, 0x32a5705f, v15
	v_sub_f32_e32 v19, v19, v31
	v_add_f32_e32 v18, v18, v28
	v_exp_f32_e32 v17, v17
	v_mul_f32_e32 v22, 0x3fb8aa3b, v11
	v_fma_f32 v34, 0x3fb8aa3b, v8, -v21
	v_rndne_f32_e32 v35, v21
	v_cvt_i32_f32_e32 v27, v27
	v_fmac_f32_e32 v32, 0x32a5705f, v4
	v_sub_f32_e32 v20, v20, v33
	v_add_f32_e32 v19, v19, v30
	v_exp_f32_e32 v18, v18
	v_ldexp_f32 v16, v16, v25
	v_mul_f32_e32 v23, 0x3fb8aa3b, v13
	v_fma_f32 v36, 0x3fb8aa3b, v11, -v22
	v_rndne_f32_e32 v37, v22
	v_cvt_i32_f32_e32 v29, v29
	v_fmac_f32_e32 v34, 0x32a5705f, v8
	v_sub_f32_e32 v21, v21, v35
	v_add_f32_e32 v20, v20, v32
	v_exp_f32_e32 v19, v19
	v_ldexp_f32 v17, v17, v27
	v_cndmask_b32_e64 v16, 0, v16, s4
	v_cmp_ngt_f32_e64 s4, 0xc2ce8ed0, v9
	v_fma_f32 v38, 0x3fb8aa3b, v13, -v23
	v_rndne_f32_e32 v39, v23
	v_cvt_i32_f32_e32 v31, v31
	v_fmac_f32_e32 v36, 0x32a5705f, v11
	v_sub_f32_e32 v22, v22, v37
	v_add_f32_e32 v21, v21, v34
	v_exp_f32_e32 v20, v20
	v_ldexp_f32 v18, v18, v29
	v_cndmask_b32_e64 v17, 0, v17, s4
	v_cmp_ngt_f32_e64 s4, 0xc2ce8ed0, v12
	v_cvt_i32_f32_e32 v33, v33
	v_fmac_f32_e32 v38, 0x32a5705f, v13
	v_sub_f32_e32 v23, v23, v39
	v_add_f32_e32 v22, v22, v36
	v_exp_f32_e32 v21, v21
	v_ldexp_f32 v19, v19, v31
	v_cndmask_b32_e64 v18, 0, v18, s4
	v_cmp_ngt_f32_e64 s4, 0xc2ce8ed0, v15
	v_cvt_i32_f32_e32 v35, v35
	v_add_f32_e32 v23, v23, v38
	v_exp_f32_e32 v22, v22
	v_ldexp_f32 v20, v20, v33
	v_cndmask_b32_e64 v19, 0, v19, s4
	v_cmp_ngt_f32_e64 s4, 0xc2ce8ed0, v4
	v_exp_f32_e32 v23, v23
	v_cvt_i32_f32_e32 v24, v37
	v_ldexp_f32 v21, v21, v35
	v_cvt_i32_f32_e32 v26, v39
	v_cndmask_b32_e64 v20, 0, v20, s4
	v_cmp_ngt_f32_e64 s4, 0xc2ce8ed0, v8
	v_ldexp_f32 v22, v22, v24
	v_cndmask_b32_e64 v21, 0, v21, s4
	v_cmp_ngt_f32_e64 s4, 0xc2ce8ed0, v11
	v_ldexp_f32 v23, v23, v26
	v_cndmask_b32_e64 v22, 0, v22, s4
	v_cmp_ngt_f32_e64 s4, 0xc2ce8ed0, v13
	v_cndmask_b32_e64 v23, 0, v23, s4
	v_cmp_nlt_f32_e64 s4, 0x42b17218, v6
	v_cndmask_b32_e64 v16, 0x7f800000, v16, s4
	v_cmp_nlt_f32_e64 s4, 0x42b17218, v9
	;; [unrolled: 2-line block ×3, first 2 shown]
	v_add_f32_e32 v16, v16, v17
	v_cndmask_b32_e64 v20, 0x7f800000, v20, s4
	v_cmp_nlt_f32_e64 s4, 0x42b17218, v8
	v_cndmask_b32_e64 v21, 0x7f800000, v21, s4
	v_cmp_nlt_f32_e64 s4, 0x42b17218, v12
	v_add_f32_e32 v17, v20, v21
	v_cndmask_b32_e64 v18, 0x7f800000, v18, s4
	v_cmp_nlt_f32_e64 s4, 0x42b17218, v11
	v_add_f32_e32 v16, v16, v18
	;; [unrolled: 3-line block ×4, first 2 shown]
	v_cndmask_b32_e64 v20, 0x7f800000, v23, s4
	ds_bpermute_b32 v18, v0, v16
	v_add_f32_e32 v17, v17, v20
	ds_bpermute_b32 v0, v0, v17
	s_waitcnt lgkmcnt(1)
	v_add_f32_e32 v16, v16, v18
	s_waitcnt lgkmcnt(0)
	v_add_f32_e32 v0, v17, v0
	ds_bpermute_b32 v17, v3, v16
	ds_bpermute_b32 v3, v3, v0
	s_waitcnt lgkmcnt(1)
	v_add_f32_e32 v16, v16, v17
	s_waitcnt lgkmcnt(0)
	v_add_f32_e32 v0, v0, v3
	ds_bpermute_b32 v3, v7, v16
	;; [unrolled: 6-line block ×4, first 2 shown]
	ds_bpermute_b32 v7, v14, v3
	s_and_saveexec_b32 s4, s3
	s_cbranch_execz .LBB120_28
; %bb.17:
	v_lshlrev_b64 v[0:1], 2, v[1:2]
	v_add_co_u32 v0, s3, s8, v0
	v_add_co_ci_u32_e64 v1, null, s9, v1, s3
	s_and_saveexec_b32 s5, s1
	s_cbranch_execz .LBB120_22
; %bb.18:
	s_waitcnt lgkmcnt(1)
	v_add_f32_e32 v2, v10, v16
	v_cmp_gt_f32_e64 s3, 0x800000, v2
	v_cndmask_b32_e64 v10, 0, 32, s3
	v_ldexp_f32 v2, v2, v10
	v_log_f32_e32 v2, v2
	v_mul_f32_e32 v10, 0x3f317217, v2
	v_cmp_gt_f32_e64 s4, 0x7f800000, |v2|
	v_fma_f32 v10, 0x3f317217, v2, -v10
	v_fmamk_f32 v10, v2, 0x3377d1cf, v10
	v_fmac_f32_e32 v10, 0x3f317217, v2
	v_cndmask_b32_e64 v2, v2, v10, s4
	v_cndmask_b32_e64 v10, 0, 0x41b17218, s3
	v_sub_f32_e32 v2, v2, v10
	v_sub_f32_e32 v6, v6, v2
	global_store_dword v[0:1], v6, off
	s_and_b32 exec_lo, exec_lo, vcc_lo
	s_cbranch_execz .LBB120_22
; %bb.19:
	v_sub_f32_e32 v6, v9, v2
	global_store_dword v[0:1], v6, off offset:128
	s_and_b32 exec_lo, exec_lo, s0
	s_cbranch_execz .LBB120_22
; %bb.20:
	v_sub_f32_e32 v6, v12, v2
	global_store_dword v[0:1], v6, off offset:256
	s_and_b32 exec_lo, exec_lo, s2
	s_cbranch_execz .LBB120_22
; %bb.21:
	v_sub_f32_e32 v2, v15, v2
	global_store_dword v[0:1], v2, off offset:384
.LBB120_22:
	s_or_b32 exec_lo, exec_lo, s5
	v_cmp_ne_u32_e64 s3, 1, v5
	s_and_b32 exec_lo, exec_lo, s3
	s_cbranch_execz .LBB120_28
; %bb.23:
	s_and_b32 exec_lo, exec_lo, s1
	s_cbranch_execz .LBB120_28
; %bb.24:
	s_waitcnt lgkmcnt(0)
	v_add_f32_e32 v2, v3, v7
	s_mov_b32 s15, 0
	s_lshl_b64 s[4:5], s[14:15], 2
	v_cmp_gt_f32_e64 s1, 0x800000, v2
	v_cndmask_b32_e64 v3, 0, 32, s1
	v_cndmask_b32_e64 v5, 0, 0x41b17218, s1
	v_ldexp_f32 v2, v2, v3
	v_log_f32_e32 v2, v2
	v_mul_f32_e32 v3, 0x3f317217, v2
	v_cmp_gt_f32_e64 s1, 0x7f800000, |v2|
	v_fma_f32 v3, 0x3f317217, v2, -v3
	v_fmamk_f32 v3, v2, 0x3377d1cf, v3
	v_fmac_f32_e32 v3, 0x3f317217, v2
	v_cndmask_b32_e64 v2, v2, v3, s1
	v_add_co_u32 v0, s1, v0, s4
	v_add_co_ci_u32_e64 v1, null, s5, v1, s1
	v_sub_f32_e32 v2, v2, v5
	v_sub_f32_e32 v3, v4, v2
	global_store_dword v[0:1], v3, off
	s_and_b32 exec_lo, exec_lo, vcc_lo
	s_cbranch_execz .LBB120_28
; %bb.25:
	v_sub_f32_e32 v3, v8, v2
	global_store_dword v[0:1], v3, off offset:128
	s_and_b32 exec_lo, exec_lo, s0
	s_cbranch_execz .LBB120_28
; %bb.26:
	v_sub_f32_e32 v3, v11, v2
	global_store_dword v[0:1], v3, off offset:256
	s_and_b32 exec_lo, exec_lo, s2
	s_cbranch_execz .LBB120_28
; %bb.27:
	v_sub_f32_e32 v2, v13, v2
	global_store_dword v[0:1], v2, off offset:384
.LBB120_28:
	s_endpgm
	.section	.rodata,"a",@progbits
	.p2align	6, 0x0
	.amdhsa_kernel _ZN12_GLOBAL__N_120softmax_warp_forwardIN3c104HalfEffLi7ELb1ELb0ELi32EEEvPT0_PKT_iiiPKbib
		.amdhsa_group_segment_fixed_size 0
		.amdhsa_private_segment_fixed_size 0
		.amdhsa_kernarg_size 304
		.amdhsa_user_sgpr_count 6
		.amdhsa_user_sgpr_private_segment_buffer 1
		.amdhsa_user_sgpr_dispatch_ptr 0
		.amdhsa_user_sgpr_queue_ptr 0
		.amdhsa_user_sgpr_kernarg_segment_ptr 1
		.amdhsa_user_sgpr_dispatch_id 0
		.amdhsa_user_sgpr_flat_scratch_init 0
		.amdhsa_user_sgpr_private_segment_size 0
		.amdhsa_wavefront_size32 1
		.amdhsa_uses_dynamic_stack 0
		.amdhsa_system_sgpr_private_segment_wavefront_offset 0
		.amdhsa_system_sgpr_workgroup_id_x 1
		.amdhsa_system_sgpr_workgroup_id_y 0
		.amdhsa_system_sgpr_workgroup_id_z 0
		.amdhsa_system_sgpr_workgroup_info 0
		.amdhsa_system_vgpr_workitem_id 1
		.amdhsa_next_free_vgpr 40
		.amdhsa_next_free_sgpr 16
		.amdhsa_reserve_vcc 1
		.amdhsa_reserve_flat_scratch 0
		.amdhsa_float_round_mode_32 0
		.amdhsa_float_round_mode_16_64 0
		.amdhsa_float_denorm_mode_32 3
		.amdhsa_float_denorm_mode_16_64 3
		.amdhsa_dx10_clamp 1
		.amdhsa_ieee_mode 1
		.amdhsa_fp16_overflow 0
		.amdhsa_workgroup_processor_mode 1
		.amdhsa_memory_ordered 1
		.amdhsa_forward_progress 1
		.amdhsa_shared_vgpr_count 0
		.amdhsa_exception_fp_ieee_invalid_op 0
		.amdhsa_exception_fp_denorm_src 0
		.amdhsa_exception_fp_ieee_div_zero 0
		.amdhsa_exception_fp_ieee_overflow 0
		.amdhsa_exception_fp_ieee_underflow 0
		.amdhsa_exception_fp_ieee_inexact 0
		.amdhsa_exception_int_div_zero 0
	.end_amdhsa_kernel
	.section	.text._ZN12_GLOBAL__N_120softmax_warp_forwardIN3c104HalfEffLi7ELb1ELb0ELi32EEEvPT0_PKT_iiiPKbib,"axG",@progbits,_ZN12_GLOBAL__N_120softmax_warp_forwardIN3c104HalfEffLi7ELb1ELb0ELi32EEEvPT0_PKT_iiiPKbib,comdat
.Lfunc_end120:
	.size	_ZN12_GLOBAL__N_120softmax_warp_forwardIN3c104HalfEffLi7ELb1ELb0ELi32EEEvPT0_PKT_iiiPKbib, .Lfunc_end120-_ZN12_GLOBAL__N_120softmax_warp_forwardIN3c104HalfEffLi7ELb1ELb0ELi32EEEvPT0_PKT_iiiPKbib
                                        ; -- End function
	.set _ZN12_GLOBAL__N_120softmax_warp_forwardIN3c104HalfEffLi7ELb1ELb0ELi32EEEvPT0_PKT_iiiPKbib.num_vgpr, 40
	.set _ZN12_GLOBAL__N_120softmax_warp_forwardIN3c104HalfEffLi7ELb1ELb0ELi32EEEvPT0_PKT_iiiPKbib.num_agpr, 0
	.set _ZN12_GLOBAL__N_120softmax_warp_forwardIN3c104HalfEffLi7ELb1ELb0ELi32EEEvPT0_PKT_iiiPKbib.numbered_sgpr, 16
	.set _ZN12_GLOBAL__N_120softmax_warp_forwardIN3c104HalfEffLi7ELb1ELb0ELi32EEEvPT0_PKT_iiiPKbib.num_named_barrier, 0
	.set _ZN12_GLOBAL__N_120softmax_warp_forwardIN3c104HalfEffLi7ELb1ELb0ELi32EEEvPT0_PKT_iiiPKbib.private_seg_size, 0
	.set _ZN12_GLOBAL__N_120softmax_warp_forwardIN3c104HalfEffLi7ELb1ELb0ELi32EEEvPT0_PKT_iiiPKbib.uses_vcc, 1
	.set _ZN12_GLOBAL__N_120softmax_warp_forwardIN3c104HalfEffLi7ELb1ELb0ELi32EEEvPT0_PKT_iiiPKbib.uses_flat_scratch, 0
	.set _ZN12_GLOBAL__N_120softmax_warp_forwardIN3c104HalfEffLi7ELb1ELb0ELi32EEEvPT0_PKT_iiiPKbib.has_dyn_sized_stack, 0
	.set _ZN12_GLOBAL__N_120softmax_warp_forwardIN3c104HalfEffLi7ELb1ELb0ELi32EEEvPT0_PKT_iiiPKbib.has_recursion, 0
	.set _ZN12_GLOBAL__N_120softmax_warp_forwardIN3c104HalfEffLi7ELb1ELb0ELi32EEEvPT0_PKT_iiiPKbib.has_indirect_call, 0
	.section	.AMDGPU.csdata,"",@progbits
; Kernel info:
; codeLenInByte = 2532
; TotalNumSgprs: 18
; NumVgprs: 40
; ScratchSize: 0
; MemoryBound: 0
; FloatMode: 240
; IeeeMode: 1
; LDSByteSize: 0 bytes/workgroup (compile time only)
; SGPRBlocks: 0
; VGPRBlocks: 4
; NumSGPRsForWavesPerEU: 18
; NumVGPRsForWavesPerEU: 40
; Occupancy: 16
; WaveLimiterHint : 0
; COMPUTE_PGM_RSRC2:SCRATCH_EN: 0
; COMPUTE_PGM_RSRC2:USER_SGPR: 6
; COMPUTE_PGM_RSRC2:TRAP_HANDLER: 0
; COMPUTE_PGM_RSRC2:TGID_X_EN: 1
; COMPUTE_PGM_RSRC2:TGID_Y_EN: 0
; COMPUTE_PGM_RSRC2:TGID_Z_EN: 0
; COMPUTE_PGM_RSRC2:TIDIG_COMP_CNT: 1
	.section	.text._ZN12_GLOBAL__N_120softmax_warp_forwardIN3c104HalfEffLi8ELb1ELb0ELi64EEEvPT0_PKT_iiiPKbib,"axG",@progbits,_ZN12_GLOBAL__N_120softmax_warp_forwardIN3c104HalfEffLi8ELb1ELb0ELi64EEEvPT0_PKT_iiiPKbib,comdat
	.globl	_ZN12_GLOBAL__N_120softmax_warp_forwardIN3c104HalfEffLi8ELb1ELb0ELi64EEEvPT0_PKT_iiiPKbib ; -- Begin function _ZN12_GLOBAL__N_120softmax_warp_forwardIN3c104HalfEffLi8ELb1ELb0ELi64EEEvPT0_PKT_iiiPKbib
	.p2align	8
	.type	_ZN12_GLOBAL__N_120softmax_warp_forwardIN3c104HalfEffLi8ELb1ELb0ELi64EEEvPT0_PKT_iiiPKbib,@function
_ZN12_GLOBAL__N_120softmax_warp_forwardIN3c104HalfEffLi8ELb1ELb0ELi64EEEvPT0_PKT_iiiPKbib: ; @_ZN12_GLOBAL__N_120softmax_warp_forwardIN3c104HalfEffLi8ELb1ELb0ELi64EEEvPT0_PKT_iiiPKbib
; %bb.0:
	s_clause 0x1
	s_load_dword s0, s[4:5], 0x3c
	s_load_dwordx8 s[8:15], s[4:5], 0x0
	v_mov_b32_e32 v6, 0xff800000
	v_mov_b32_e32 v8, 0xff800000
	s_waitcnt lgkmcnt(0)
	s_lshr_b32 s0, s0, 16
	v_cmp_gt_i32_e64 s1, s14, v0
	v_mad_u64_u32 v[3:4], null, s6, s0, v[1:2]
	v_mad_u64_u32 v[1:2], null, v3, s13, v[0:1]
	v_sub_nc_u32_e32 v5, s12, v3
	v_cmp_lt_i32_e64 s3, 0, v5
	v_ashrrev_i32_e32 v2, 31, v1
	s_and_b32 s2, s3, s1
	v_lshlrev_b64 v[3:4], 1, v[1:2]
	v_add_co_u32 v3, vcc_lo, s10, v3
	v_add_co_ci_u32_e64 v4, null, s11, v4, vcc_lo
	s_and_saveexec_b32 s0, s2
	s_cbranch_execz .LBB121_2
; %bb.1:
	global_load_ushort v7, v[3:4], off
	s_waitcnt vmcnt(0)
	v_cvt_f32_f16_e32 v8, v7
.LBB121_2:
	s_or_b32 exec_lo, exec_lo, s0
	v_add_nc_u32_e32 v7, 64, v0
	v_cmp_gt_i32_e32 vcc_lo, s14, v7
	s_and_b32 s2, s3, vcc_lo
	s_and_saveexec_b32 s0, s2
	s_cbranch_execz .LBB121_4
; %bb.3:
	global_load_ushort v6, v[3:4], off offset:128
	s_waitcnt vmcnt(0)
	v_cvt_f32_f16_e32 v6, v6
.LBB121_4:
	s_or_b32 exec_lo, exec_lo, s0
	v_add_nc_u32_e32 v7, 0x80, v0
	v_mov_b32_e32 v9, 0xff800000
	v_cmp_gt_i32_e64 s0, s14, v7
	v_mov_b32_e32 v7, 0xff800000
	s_and_b32 s4, s3, s0
	s_and_saveexec_b32 s2, s4
	s_cbranch_execz .LBB121_6
; %bb.5:
	global_load_ushort v9, v[3:4], off offset:256
	s_waitcnt vmcnt(0)
	v_cvt_f32_f16_e32 v9, v9
.LBB121_6:
	s_or_b32 exec_lo, exec_lo, s2
	v_add_nc_u32_e32 v0, 0xc0, v0
	v_cmp_gt_i32_e64 s2, s14, v0
	s_and_b32 s4, s3, s2
	s_and_saveexec_b32 s3, s4
	s_cbranch_execz .LBB121_8
; %bb.7:
	global_load_ushort v0, v[3:4], off offset:384
	s_waitcnt vmcnt(0)
	v_cvt_f32_f16_e32 v7, v0
.LBB121_8:
	s_or_b32 exec_lo, exec_lo, s3
	v_cmp_gt_f32_e64 s3, v8, v6
	v_mbcnt_lo_u32_b32 v0, -1, 0
	s_mov_b32 s4, exec_lo
	v_cndmask_b32_e64 v3, v6, v8, s3
	v_or_b32_e32 v4, 32, v0
	v_xor_b32_e32 v11, 16, v0
	v_xor_b32_e32 v12, 8, v0
	;; [unrolled: 1-line block ×3, first 2 shown]
	v_cmp_gt_f32_e64 s3, v3, v9
	v_xor_b32_e32 v14, 2, v0
	v_xor_b32_e32 v15, 1, v0
	v_cndmask_b32_e64 v3, v9, v3, s3
	v_cmp_gt_i32_e64 s3, 64, v4
	v_cndmask_b32_e64 v4, v0, v4, s3
	v_cmp_gt_f32_e64 s3, v3, v7
	v_lshlrev_b32_e32 v10, 2, v4
	v_cndmask_b32_e64 v3, v7, v3, s3
	v_cmp_gt_i32_e64 s3, 64, v11
	ds_bpermute_b32 v4, v10, v3
	v_cndmask_b32_e64 v11, v0, v11, s3
	v_lshlrev_b32_e32 v11, 2, v11
	s_waitcnt lgkmcnt(0)
	v_cmp_lt_f32_e64 s3, v3, v4
	v_cndmask_b32_e64 v3, v3, v4, s3
	v_cmp_gt_i32_e64 s3, 64, v12
	ds_bpermute_b32 v4, v11, v3
	v_cndmask_b32_e64 v12, v0, v12, s3
	v_lshlrev_b32_e32 v12, 2, v12
	s_waitcnt lgkmcnt(0)
	v_cmp_lt_f32_e64 s3, v3, v4
	v_cndmask_b32_e64 v3, v3, v4, s3
	v_cmp_gt_i32_e64 s3, 64, v13
	ds_bpermute_b32 v4, v12, v3
	v_cndmask_b32_e64 v13, v0, v13, s3
	v_lshlrev_b32_e32 v13, 2, v13
	s_waitcnt lgkmcnt(0)
	v_cmp_lt_f32_e64 s3, v3, v4
	v_cndmask_b32_e64 v3, v3, v4, s3
	v_cmp_gt_i32_e64 s3, 64, v14
	ds_bpermute_b32 v4, v13, v3
	v_cndmask_b32_e64 v14, v0, v14, s3
	v_lshlrev_b32_e32 v14, 2, v14
	s_waitcnt lgkmcnt(0)
	v_cmp_lt_f32_e64 s3, v3, v4
	v_cndmask_b32_e64 v3, v3, v4, s3
	v_cmp_gt_i32_e64 s3, 64, v15
	ds_bpermute_b32 v4, v14, v3
	v_cndmask_b32_e64 v0, v0, v15, s3
	v_lshlrev_b32_e32 v15, 2, v0
	s_waitcnt lgkmcnt(0)
	v_cmp_lt_f32_e64 s3, v3, v4
	v_cndmask_b32_e64 v0, v3, v4, s3
	ds_bpermute_b32 v3, v15, v0
	s_waitcnt lgkmcnt(0)
	v_cmp_lt_f32_e64 s3, v0, v3
	v_cndmask_b32_e64 v0, v0, v3, s3
	v_sub_f32_e32 v3, v8, v0
	v_sub_f32_e32 v4, v6, v0
	v_sub_f32_e32 v6, v9, v0
	v_sub_f32_e32 v7, v7, v0
	v_mul_f32_e32 v0, 0x3fb8aa3b, v3
	v_mul_f32_e32 v8, 0x3fb8aa3b, v4
	v_mul_f32_e32 v9, 0x3fb8aa3b, v6
	v_mul_f32_e32 v16, 0x3fb8aa3b, v7
	v_cmp_ngt_f32_e64 s3, 0xc2ce8ed0, v3
	v_fma_f32 v17, 0x3fb8aa3b, v3, -v0
	v_rndne_f32_e32 v18, v0
	v_fma_f32 v19, 0x3fb8aa3b, v4, -v8
	v_rndne_f32_e32 v20, v8
	v_fma_f32 v21, 0x3fb8aa3b, v6, -v9
	v_fmac_f32_e32 v17, 0x32a5705f, v3
	v_sub_f32_e32 v0, v0, v18
	v_rndne_f32_e32 v22, v9
	v_fmac_f32_e32 v19, 0x32a5705f, v4
	v_sub_f32_e32 v8, v8, v20
	v_fmac_f32_e32 v21, 0x32a5705f, v6
	v_add_f32_e32 v0, v0, v17
	v_sub_f32_e32 v9, v9, v22
	v_cvt_i32_f32_e32 v18, v18
	v_add_f32_e32 v8, v8, v19
	v_cvt_i32_f32_e32 v19, v20
	v_exp_f32_e32 v0, v0
	v_add_f32_e32 v9, v9, v21
	v_fma_f32 v23, 0x3fb8aa3b, v7, -v16
	v_exp_f32_e32 v8, v8
	v_rndne_f32_e32 v17, v16
	v_cvt_i32_f32_e32 v20, v22
	v_exp_f32_e32 v9, v9
	v_fmac_f32_e32 v23, 0x32a5705f, v7
	v_sub_f32_e32 v16, v16, v17
	v_ldexp_f32 v0, v0, v18
	v_cvt_i32_f32_e32 v17, v17
	v_ldexp_f32 v8, v8, v19
	v_add_f32_e32 v16, v16, v23
	v_cndmask_b32_e64 v0, 0, v0, s3
	v_cmp_ngt_f32_e64 s3, 0xc2ce8ed0, v4
	v_ldexp_f32 v9, v9, v20
	v_exp_f32_e32 v16, v16
	v_cndmask_b32_e64 v8, 0, v8, s3
	v_cmp_ngt_f32_e64 s3, 0xc2ce8ed0, v6
	v_cndmask_b32_e64 v9, 0, v9, s3
	v_cmp_nlt_f32_e64 s3, 0x42b17218, v3
	v_ldexp_f32 v16, v16, v17
	v_cndmask_b32_e64 v0, 0x7f800000, v0, s3
	v_cmp_nlt_f32_e64 s3, 0x42b17218, v4
	v_cndmask_b32_e64 v8, 0x7f800000, v8, s3
	v_cmp_nlt_f32_e64 s3, 0x42b17218, v6
	v_add_f32_e32 v0, v0, v8
	v_cndmask_b32_e64 v9, 0x7f800000, v9, s3
	v_cmp_ngt_f32_e64 s3, 0xc2ce8ed0, v7
	v_add_f32_e32 v0, v0, v9
	v_cndmask_b32_e64 v8, 0, v16, s3
	v_cmp_nlt_f32_e64 s3, 0x42b17218, v7
	v_cndmask_b32_e64 v8, 0x7f800000, v8, s3
	v_add_f32_e32 v0, v0, v8
	ds_bpermute_b32 v8, v10, v0
	s_waitcnt lgkmcnt(0)
	v_add_f32_e32 v0, v0, v8
	ds_bpermute_b32 v8, v11, v0
	s_waitcnt lgkmcnt(0)
	;; [unrolled: 3-line block ×5, first 2 shown]
	v_add_f32_e32 v0, v0, v8
	ds_bpermute_b32 v8, v15, v0
	v_cmpx_lt_i32_e32 0, v5
	s_cbranch_execz .LBB121_14
; %bb.9:
	s_and_b32 exec_lo, exec_lo, s1
	s_cbranch_execz .LBB121_14
; %bb.10:
	s_waitcnt lgkmcnt(0)
	v_add_f32_e32 v0, v0, v8
	v_cmp_gt_f32_e64 s1, 0x800000, v0
	v_cndmask_b32_e64 v5, 0, 32, s1
	v_cndmask_b32_e64 v8, 0, 0x41b17218, s1
	v_ldexp_f32 v0, v0, v5
	v_log_f32_e32 v0, v0
	v_mul_f32_e32 v5, 0x3f317217, v0
	v_cmp_gt_f32_e64 s3, 0x7f800000, |v0|
	v_fma_f32 v5, 0x3f317217, v0, -v5
	v_fmamk_f32 v5, v0, 0x3377d1cf, v5
	v_fmac_f32_e32 v5, 0x3f317217, v0
	v_cndmask_b32_e64 v5, v0, v5, s3
	v_lshlrev_b64 v[0:1], 2, v[1:2]
	v_sub_f32_e32 v2, v5, v8
	v_add_co_u32 v0, s1, s8, v0
	v_add_co_ci_u32_e64 v1, null, s9, v1, s1
	v_sub_f32_e32 v3, v3, v2
	global_store_dword v[0:1], v3, off
	s_and_b32 exec_lo, exec_lo, vcc_lo
	s_cbranch_execz .LBB121_14
; %bb.11:
	v_sub_f32_e32 v3, v4, v2
	global_store_dword v[0:1], v3, off offset:256
	s_and_b32 exec_lo, exec_lo, s0
	s_cbranch_execz .LBB121_14
; %bb.12:
	v_sub_f32_e32 v3, v6, v2
	global_store_dword v[0:1], v3, off offset:512
	s_and_b32 exec_lo, exec_lo, s2
	s_cbranch_execz .LBB121_14
; %bb.13:
	v_sub_f32_e32 v2, v7, v2
	global_store_dword v[0:1], v2, off offset:768
.LBB121_14:
	s_endpgm
	.section	.rodata,"a",@progbits
	.p2align	6, 0x0
	.amdhsa_kernel _ZN12_GLOBAL__N_120softmax_warp_forwardIN3c104HalfEffLi8ELb1ELb0ELi64EEEvPT0_PKT_iiiPKbib
		.amdhsa_group_segment_fixed_size 0
		.amdhsa_private_segment_fixed_size 0
		.amdhsa_kernarg_size 304
		.amdhsa_user_sgpr_count 6
		.amdhsa_user_sgpr_private_segment_buffer 1
		.amdhsa_user_sgpr_dispatch_ptr 0
		.amdhsa_user_sgpr_queue_ptr 0
		.amdhsa_user_sgpr_kernarg_segment_ptr 1
		.amdhsa_user_sgpr_dispatch_id 0
		.amdhsa_user_sgpr_flat_scratch_init 0
		.amdhsa_user_sgpr_private_segment_size 0
		.amdhsa_wavefront_size32 1
		.amdhsa_uses_dynamic_stack 0
		.amdhsa_system_sgpr_private_segment_wavefront_offset 0
		.amdhsa_system_sgpr_workgroup_id_x 1
		.amdhsa_system_sgpr_workgroup_id_y 0
		.amdhsa_system_sgpr_workgroup_id_z 0
		.amdhsa_system_sgpr_workgroup_info 0
		.amdhsa_system_vgpr_workitem_id 1
		.amdhsa_next_free_vgpr 24
		.amdhsa_next_free_sgpr 16
		.amdhsa_reserve_vcc 1
		.amdhsa_reserve_flat_scratch 0
		.amdhsa_float_round_mode_32 0
		.amdhsa_float_round_mode_16_64 0
		.amdhsa_float_denorm_mode_32 3
		.amdhsa_float_denorm_mode_16_64 3
		.amdhsa_dx10_clamp 1
		.amdhsa_ieee_mode 1
		.amdhsa_fp16_overflow 0
		.amdhsa_workgroup_processor_mode 1
		.amdhsa_memory_ordered 1
		.amdhsa_forward_progress 1
		.amdhsa_shared_vgpr_count 0
		.amdhsa_exception_fp_ieee_invalid_op 0
		.amdhsa_exception_fp_denorm_src 0
		.amdhsa_exception_fp_ieee_div_zero 0
		.amdhsa_exception_fp_ieee_overflow 0
		.amdhsa_exception_fp_ieee_underflow 0
		.amdhsa_exception_fp_ieee_inexact 0
		.amdhsa_exception_int_div_zero 0
	.end_amdhsa_kernel
	.section	.text._ZN12_GLOBAL__N_120softmax_warp_forwardIN3c104HalfEffLi8ELb1ELb0ELi64EEEvPT0_PKT_iiiPKbib,"axG",@progbits,_ZN12_GLOBAL__N_120softmax_warp_forwardIN3c104HalfEffLi8ELb1ELb0ELi64EEEvPT0_PKT_iiiPKbib,comdat
.Lfunc_end121:
	.size	_ZN12_GLOBAL__N_120softmax_warp_forwardIN3c104HalfEffLi8ELb1ELb0ELi64EEEvPT0_PKT_iiiPKbib, .Lfunc_end121-_ZN12_GLOBAL__N_120softmax_warp_forwardIN3c104HalfEffLi8ELb1ELb0ELi64EEEvPT0_PKT_iiiPKbib
                                        ; -- End function
	.set _ZN12_GLOBAL__N_120softmax_warp_forwardIN3c104HalfEffLi8ELb1ELb0ELi64EEEvPT0_PKT_iiiPKbib.num_vgpr, 24
	.set _ZN12_GLOBAL__N_120softmax_warp_forwardIN3c104HalfEffLi8ELb1ELb0ELi64EEEvPT0_PKT_iiiPKbib.num_agpr, 0
	.set _ZN12_GLOBAL__N_120softmax_warp_forwardIN3c104HalfEffLi8ELb1ELb0ELi64EEEvPT0_PKT_iiiPKbib.numbered_sgpr, 16
	.set _ZN12_GLOBAL__N_120softmax_warp_forwardIN3c104HalfEffLi8ELb1ELb0ELi64EEEvPT0_PKT_iiiPKbib.num_named_barrier, 0
	.set _ZN12_GLOBAL__N_120softmax_warp_forwardIN3c104HalfEffLi8ELb1ELb0ELi64EEEvPT0_PKT_iiiPKbib.private_seg_size, 0
	.set _ZN12_GLOBAL__N_120softmax_warp_forwardIN3c104HalfEffLi8ELb1ELb0ELi64EEEvPT0_PKT_iiiPKbib.uses_vcc, 1
	.set _ZN12_GLOBAL__N_120softmax_warp_forwardIN3c104HalfEffLi8ELb1ELb0ELi64EEEvPT0_PKT_iiiPKbib.uses_flat_scratch, 0
	.set _ZN12_GLOBAL__N_120softmax_warp_forwardIN3c104HalfEffLi8ELb1ELb0ELi64EEEvPT0_PKT_iiiPKbib.has_dyn_sized_stack, 0
	.set _ZN12_GLOBAL__N_120softmax_warp_forwardIN3c104HalfEffLi8ELb1ELb0ELi64EEEvPT0_PKT_iiiPKbib.has_recursion, 0
	.set _ZN12_GLOBAL__N_120softmax_warp_forwardIN3c104HalfEffLi8ELb1ELb0ELi64EEEvPT0_PKT_iiiPKbib.has_indirect_call, 0
	.section	.AMDGPU.csdata,"",@progbits
; Kernel info:
; codeLenInByte = 1408
; TotalNumSgprs: 18
; NumVgprs: 24
; ScratchSize: 0
; MemoryBound: 0
; FloatMode: 240
; IeeeMode: 1
; LDSByteSize: 0 bytes/workgroup (compile time only)
; SGPRBlocks: 0
; VGPRBlocks: 2
; NumSGPRsForWavesPerEU: 18
; NumVGPRsForWavesPerEU: 24
; Occupancy: 16
; WaveLimiterHint : 0
; COMPUTE_PGM_RSRC2:SCRATCH_EN: 0
; COMPUTE_PGM_RSRC2:USER_SGPR: 6
; COMPUTE_PGM_RSRC2:TRAP_HANDLER: 0
; COMPUTE_PGM_RSRC2:TGID_X_EN: 1
; COMPUTE_PGM_RSRC2:TGID_Y_EN: 0
; COMPUTE_PGM_RSRC2:TGID_Z_EN: 0
; COMPUTE_PGM_RSRC2:TIDIG_COMP_CNT: 1
	.section	.text._ZN12_GLOBAL__N_120softmax_warp_forwardIN3c104HalfEffLi8ELb1ELb0ELi32EEEvPT0_PKT_iiiPKbib,"axG",@progbits,_ZN12_GLOBAL__N_120softmax_warp_forwardIN3c104HalfEffLi8ELb1ELb0ELi32EEEvPT0_PKT_iiiPKbib,comdat
	.globl	_ZN12_GLOBAL__N_120softmax_warp_forwardIN3c104HalfEffLi8ELb1ELb0ELi32EEEvPT0_PKT_iiiPKbib ; -- Begin function _ZN12_GLOBAL__N_120softmax_warp_forwardIN3c104HalfEffLi8ELb1ELb0ELi32EEEvPT0_PKT_iiiPKbib
	.p2align	8
	.type	_ZN12_GLOBAL__N_120softmax_warp_forwardIN3c104HalfEffLi8ELb1ELb0ELi32EEEvPT0_PKT_iiiPKbib,@function
_ZN12_GLOBAL__N_120softmax_warp_forwardIN3c104HalfEffLi8ELb1ELb0ELi32EEEvPT0_PKT_iiiPKbib: ; @_ZN12_GLOBAL__N_120softmax_warp_forwardIN3c104HalfEffLi8ELb1ELb0ELi32EEEvPT0_PKT_iiiPKbib
; %bb.0:
	s_clause 0x1
	s_load_dword s0, s[4:5], 0x3c
	s_load_dwordx8 s[8:15], s[4:5], 0x0
	v_mov_b32_e32 v7, 0xff800000
	v_mov_b32_e32 v9, 0xff800000
	s_waitcnt lgkmcnt(0)
	s_lshr_b32 s0, s0, 16
	v_cmp_gt_i32_e64 s1, s14, v0
	v_mad_u64_u32 v[3:4], null, s6, s0, v[1:2]
	v_mad_u64_u32 v[1:2], null, v3, s13, v[0:1]
	v_sub_nc_u32_e32 v5, s12, v3
	v_cmp_lt_i32_e64 s7, 0, v5
	v_ashrrev_i32_e32 v2, 31, v1
	s_and_b32 s2, s7, s1
	v_lshlrev_b64 v[3:4], 1, v[1:2]
	v_add_co_u32 v3, vcc_lo, s10, v3
	v_add_co_ci_u32_e64 v4, null, s11, v4, vcc_lo
	s_and_saveexec_b32 s0, s2
	s_cbranch_execz .LBB122_2
; %bb.1:
	global_load_ushort v6, v[3:4], off
	s_waitcnt vmcnt(0)
	v_cvt_f32_f16_e32 v9, v6
.LBB122_2:
	s_or_b32 exec_lo, exec_lo, s0
	v_add_nc_u32_e32 v6, 32, v0
	v_cmp_gt_i32_e32 vcc_lo, s14, v6
	s_and_b32 s2, s7, vcc_lo
	s_and_saveexec_b32 s0, s2
	s_cbranch_execz .LBB122_4
; %bb.3:
	global_load_ushort v6, v[3:4], off offset:64
	s_waitcnt vmcnt(0)
	v_cvt_f32_f16_e32 v7, v6
.LBB122_4:
	s_or_b32 exec_lo, exec_lo, s0
	v_add_nc_u32_e32 v6, 64, v0
	v_mov_b32_e32 v8, 0xff800000
	v_mov_b32_e32 v11, 0xff800000
	v_cmp_gt_i32_e64 s0, s14, v6
	s_and_b32 s3, s7, s0
	s_and_saveexec_b32 s2, s3
	s_cbranch_execz .LBB122_6
; %bb.5:
	global_load_ushort v6, v[3:4], off offset:128
	s_waitcnt vmcnt(0)
	v_cvt_f32_f16_e32 v11, v6
.LBB122_6:
	s_or_b32 exec_lo, exec_lo, s2
	v_add_nc_u32_e32 v6, 0x60, v0
	v_cmp_gt_i32_e64 s2, s14, v6
	s_and_b32 s4, s7, s2
	s_and_saveexec_b32 s3, s4
	s_cbranch_execz .LBB122_8
; %bb.7:
	global_load_ushort v6, v[3:4], off offset:192
	s_waitcnt vmcnt(0)
	v_cvt_f32_f16_e32 v8, v6
.LBB122_8:
	s_or_b32 exec_lo, exec_lo, s3
	v_add_nc_u32_e32 v6, 0x80, v0
	v_mov_b32_e32 v10, 0xff800000
	v_mov_b32_e32 v13, 0xff800000
	v_cmp_gt_i32_e64 s3, s14, v6
	s_and_b32 s5, s7, s3
	s_and_saveexec_b32 s4, s5
	s_cbranch_execz .LBB122_10
; %bb.9:
	global_load_ushort v6, v[3:4], off offset:256
	s_waitcnt vmcnt(0)
	v_cvt_f32_f16_e32 v13, v6
.LBB122_10:
	s_or_b32 exec_lo, exec_lo, s4
	v_add_nc_u32_e32 v6, 0xa0, v0
	v_cmp_gt_i32_e64 s4, s14, v6
	s_and_b32 s6, s7, s4
	;; [unrolled: 24-line block ×3, first 2 shown]
	s_and_saveexec_b32 s7, s10
	s_cbranch_execz .LBB122_16
; %bb.15:
	global_load_ushort v0, v[3:4], off offset:448
	s_waitcnt vmcnt(0)
	v_cvt_f32_f16_e32 v12, v0
.LBB122_16:
	s_or_b32 exec_lo, exec_lo, s7
	v_cmp_gt_f32_e64 s7, v9, v7
	v_mbcnt_lo_u32_b32 v3, -1, 0
	s_mov_b32 s10, exec_lo
	v_cndmask_b32_e64 v0, v7, v9, s7
	v_xor_b32_e32 v4, 16, v3
	v_xor_b32_e32 v16, 4, v3
	;; [unrolled: 1-line block ×4, first 2 shown]
	v_cmp_gt_f32_e64 s7, v0, v11
	v_cndmask_b32_e64 v0, v11, v0, s7
	v_cmp_gt_f32_e64 s7, v0, v8
	v_cndmask_b32_e64 v0, v8, v0, s7
	;; [unrolled: 2-line block ×4, first 2 shown]
	v_cmp_gt_i32_e64 s7, 32, v4
	v_cndmask_b32_e64 v4, v3, v4, s7
	v_cmp_gt_f32_e64 s7, v0, v14
	v_cndmask_b32_e64 v6, v14, v0, s7
	v_lshlrev_b32_e32 v0, 2, v4
	v_cmp_gt_f32_e64 s7, v6, v12
	v_cndmask_b32_e64 v4, v12, v6, s7
	v_xor_b32_e32 v6, 8, v3
	ds_bpermute_b32 v15, v0, v4
	v_cmp_gt_i32_e64 s7, 32, v6
	v_cndmask_b32_e64 v6, v3, v6, s7
	v_lshlrev_b32_e32 v6, 2, v6
	s_waitcnt lgkmcnt(0)
	v_cmp_lt_f32_e64 s7, v4, v15
	v_cndmask_b32_e64 v4, v4, v15, s7
	v_cmp_gt_i32_e64 s7, 32, v16
	ds_bpermute_b32 v15, v6, v4
	v_cndmask_b32_e64 v16, v3, v16, s7
	v_lshlrev_b32_e32 v16, 2, v16
	s_waitcnt lgkmcnt(0)
	v_cmp_lt_f32_e64 s7, v4, v15
	v_cndmask_b32_e64 v4, v4, v15, s7
	v_cmp_gt_i32_e64 s7, 32, v17
	ds_bpermute_b32 v15, v16, v4
	;; [unrolled: 7-line block ×3, first 2 shown]
	v_cndmask_b32_e64 v3, v3, v18, s7
	v_lshlrev_b32_e32 v18, 2, v3
	s_waitcnt lgkmcnt(0)
	v_cmp_lt_f32_e64 s7, v4, v15
	v_cndmask_b32_e64 v3, v4, v15, s7
	ds_bpermute_b32 v4, v18, v3
	s_waitcnt lgkmcnt(0)
	v_cmp_lt_f32_e64 s7, v3, v4
	v_cndmask_b32_e64 v15, v3, v4, s7
	v_sub_f32_e32 v3, v9, v15
	v_sub_f32_e32 v4, v7, v15
	;; [unrolled: 1-line block ×5, first 2 shown]
	v_mul_f32_e32 v13, 0x3fb8aa3b, v3
	v_mul_f32_e32 v14, 0x3fb8aa3b, v4
	v_sub_f32_e32 v8, v8, v15
	v_sub_f32_e32 v10, v10, v15
	;; [unrolled: 1-line block ×3, first 2 shown]
	v_fma_f32 v24, 0x3fb8aa3b, v3, -v13
	v_rndne_f32_e32 v25, v13
	v_mul_f32_e32 v15, 0x3fb8aa3b, v7
	v_fma_f32 v26, 0x3fb8aa3b, v4, -v14
	v_rndne_f32_e32 v27, v14
	v_fmac_f32_e32 v24, 0x32a5705f, v3
	v_sub_f32_e32 v13, v13, v25
	v_fma_f32 v28, 0x3fb8aa3b, v7, -v15
	v_rndne_f32_e32 v29, v15
	v_fmac_f32_e32 v26, 0x32a5705f, v4
	v_sub_f32_e32 v14, v14, v27
	v_add_f32_e32 v13, v13, v24
	v_fmac_f32_e32 v28, 0x32a5705f, v7
	v_sub_f32_e32 v15, v15, v29
	v_mul_f32_e32 v19, 0x3fb8aa3b, v8
	v_add_f32_e32 v14, v14, v26
	v_exp_f32_e32 v13, v13
	v_cvt_i32_f32_e32 v25, v25
	v_add_f32_e32 v15, v15, v28
	v_fma_f32 v30, 0x3fb8aa3b, v8, -v19
	v_exp_f32_e32 v14, v14
	v_rndne_f32_e32 v31, v19
	v_cvt_i32_f32_e32 v27, v27
	v_exp_f32_e32 v15, v15
	v_cmp_ngt_f32_e64 s7, 0xc2ce8ed0, v3
	v_mul_f32_e32 v20, 0x3fb8aa3b, v9
	v_ldexp_f32 v13, v13, v25
	v_cvt_i32_f32_e32 v29, v29
	v_fmac_f32_e32 v30, 0x32a5705f, v8
	v_sub_f32_e32 v19, v19, v31
	v_ldexp_f32 v14, v14, v27
	v_cndmask_b32_e64 v13, 0, v13, s7
	v_cmp_ngt_f32_e64 s7, 0xc2ce8ed0, v4
	v_fma_f32 v32, 0x3fb8aa3b, v9, -v20
	v_rndne_f32_e32 v33, v20
	v_add_f32_e32 v19, v19, v30
	v_ldexp_f32 v15, v15, v29
	v_cndmask_b32_e64 v14, 0, v14, s7
	v_cmp_ngt_f32_e64 s7, 0xc2ce8ed0, v7
	v_mul_f32_e32 v21, 0x3fb8aa3b, v10
	v_fmac_f32_e32 v32, 0x32a5705f, v9
	v_sub_f32_e32 v20, v20, v33
	v_exp_f32_e32 v19, v19
	v_cndmask_b32_e64 v15, 0, v15, s7
	v_cmp_nlt_f32_e64 s7, 0x42b17218, v3
	v_fma_f32 v34, 0x3fb8aa3b, v10, -v21
	v_rndne_f32_e32 v35, v21
	v_cvt_i32_f32_e32 v31, v31
	v_add_f32_e32 v20, v20, v32
	v_cndmask_b32_e64 v13, 0x7f800000, v13, s7
	v_cmp_nlt_f32_e64 s7, 0x42b17218, v4
	v_mul_f32_e32 v22, 0x3fb8aa3b, v11
	v_fmac_f32_e32 v34, 0x32a5705f, v10
	v_sub_f32_e32 v21, v21, v35
	v_exp_f32_e32 v20, v20
	v_ldexp_f32 v19, v19, v31
	v_cndmask_b32_e64 v14, 0x7f800000, v14, s7
	v_cmp_ngt_f32_e64 s7, 0xc2ce8ed0, v8
	v_fma_f32 v36, 0x3fb8aa3b, v11, -v22
	v_rndne_f32_e32 v37, v22
	v_cvt_i32_f32_e32 v33, v33
	v_add_f32_e32 v21, v21, v34
	v_cndmask_b32_e64 v19, 0, v19, s7
	v_cmp_nlt_f32_e64 s7, 0x42b17218, v7
	v_fmac_f32_e32 v36, 0x32a5705f, v11
	v_sub_f32_e32 v22, v22, v37
	v_exp_f32_e32 v21, v21
	v_ldexp_f32 v20, v20, v33
	v_cndmask_b32_e64 v15, 0x7f800000, v15, s7
	v_cmp_ngt_f32_e64 s7, 0xc2ce8ed0, v9
	v_mul_f32_e32 v23, 0x3fb8aa3b, v12
	v_cvt_i32_f32_e32 v35, v35
	v_add_f32_e32 v22, v22, v36
	v_add_f32_e32 v13, v13, v14
	v_cndmask_b32_e64 v14, 0, v20, s7
	v_cmp_nlt_f32_e64 s7, 0x42b17218, v8
	v_fma_f32 v38, 0x3fb8aa3b, v12, -v23
	v_rndne_f32_e32 v39, v23
	v_exp_f32_e32 v22, v22
	v_ldexp_f32 v21, v21, v35
	v_cndmask_b32_e64 v19, 0x7f800000, v19, s7
	v_cmp_ngt_f32_e64 s7, 0xc2ce8ed0, v10
	v_fmac_f32_e32 v38, 0x32a5705f, v12
	v_sub_f32_e32 v23, v23, v39
	v_cvt_i32_f32_e32 v24, v37
	v_add_f32_e32 v13, v13, v15
	v_cndmask_b32_e64 v15, 0, v21, s7
	v_cmp_nlt_f32_e64 s7, 0x42b17218, v9
	v_add_f32_e32 v23, v23, v38
	v_ldexp_f32 v22, v22, v24
	v_add_f32_e32 v13, v13, v19
	v_cvt_i32_f32_e32 v26, v39
	v_cndmask_b32_e64 v14, 0x7f800000, v14, s7
	v_cmp_ngt_f32_e64 s7, 0xc2ce8ed0, v11
	v_exp_f32_e32 v23, v23
	v_add_f32_e32 v13, v13, v14
	v_cndmask_b32_e64 v19, 0, v22, s7
	v_cmp_nlt_f32_e64 s7, 0x42b17218, v10
	v_cndmask_b32_e64 v15, 0x7f800000, v15, s7
	v_cmp_nlt_f32_e64 s7, 0x42b17218, v11
	v_ldexp_f32 v14, v23, v26
	v_add_f32_e32 v13, v13, v15
	v_cndmask_b32_e64 v19, 0x7f800000, v19, s7
	v_cmp_ngt_f32_e64 s7, 0xc2ce8ed0, v12
	v_add_f32_e32 v13, v13, v19
	v_cndmask_b32_e64 v14, 0, v14, s7
	v_cmp_nlt_f32_e64 s7, 0x42b17218, v12
	v_cndmask_b32_e64 v14, 0x7f800000, v14, s7
	v_add_f32_e32 v13, v13, v14
	ds_bpermute_b32 v0, v0, v13
	s_waitcnt lgkmcnt(0)
	v_add_f32_e32 v0, v13, v0
	ds_bpermute_b32 v6, v6, v0
	s_waitcnt lgkmcnt(0)
	;; [unrolled: 3-line block ×4, first 2 shown]
	v_add_f32_e32 v0, v0, v6
	ds_bpermute_b32 v6, v18, v0
	v_cmpx_lt_i32_e32 0, v5
	s_cbranch_execz .LBB122_26
; %bb.17:
	s_and_b32 exec_lo, exec_lo, s1
	s_cbranch_execz .LBB122_26
; %bb.18:
	s_waitcnt lgkmcnt(0)
	v_add_f32_e32 v0, v0, v6
	v_cmp_gt_f32_e64 s1, 0x800000, v0
	v_cndmask_b32_e64 v5, 0, 32, s1
	v_cndmask_b32_e64 v6, 0, 0x41b17218, s1
	v_ldexp_f32 v0, v0, v5
	v_log_f32_e32 v0, v0
	v_mul_f32_e32 v5, 0x3f317217, v0
	v_cmp_gt_f32_e64 s7, 0x7f800000, |v0|
	v_fma_f32 v5, 0x3f317217, v0, -v5
	v_fmamk_f32 v5, v0, 0x3377d1cf, v5
	v_fmac_f32_e32 v5, 0x3f317217, v0
	v_cndmask_b32_e64 v5, v0, v5, s7
	v_lshlrev_b64 v[0:1], 2, v[1:2]
	v_sub_f32_e32 v2, v5, v6
	v_add_co_u32 v0, s1, s8, v0
	v_add_co_ci_u32_e64 v1, null, s9, v1, s1
	v_sub_f32_e32 v3, v3, v2
	global_store_dword v[0:1], v3, off
	s_and_b32 exec_lo, exec_lo, vcc_lo
	s_cbranch_execz .LBB122_26
; %bb.19:
	v_sub_f32_e32 v3, v4, v2
	global_store_dword v[0:1], v3, off offset:128
	s_and_b32 exec_lo, exec_lo, s0
	s_cbranch_execz .LBB122_26
; %bb.20:
	v_sub_f32_e32 v3, v7, v2
	global_store_dword v[0:1], v3, off offset:256
	s_and_b32 exec_lo, exec_lo, s2
	;; [unrolled: 5-line block ×6, first 2 shown]
	s_cbranch_execz .LBB122_26
; %bb.25:
	v_sub_f32_e32 v2, v12, v2
	global_store_dword v[0:1], v2, off offset:896
.LBB122_26:
	s_endpgm
	.section	.rodata,"a",@progbits
	.p2align	6, 0x0
	.amdhsa_kernel _ZN12_GLOBAL__N_120softmax_warp_forwardIN3c104HalfEffLi8ELb1ELb0ELi32EEEvPT0_PKT_iiiPKbib
		.amdhsa_group_segment_fixed_size 0
		.amdhsa_private_segment_fixed_size 0
		.amdhsa_kernarg_size 304
		.amdhsa_user_sgpr_count 6
		.amdhsa_user_sgpr_private_segment_buffer 1
		.amdhsa_user_sgpr_dispatch_ptr 0
		.amdhsa_user_sgpr_queue_ptr 0
		.amdhsa_user_sgpr_kernarg_segment_ptr 1
		.amdhsa_user_sgpr_dispatch_id 0
		.amdhsa_user_sgpr_flat_scratch_init 0
		.amdhsa_user_sgpr_private_segment_size 0
		.amdhsa_wavefront_size32 1
		.amdhsa_uses_dynamic_stack 0
		.amdhsa_system_sgpr_private_segment_wavefront_offset 0
		.amdhsa_system_sgpr_workgroup_id_x 1
		.amdhsa_system_sgpr_workgroup_id_y 0
		.amdhsa_system_sgpr_workgroup_id_z 0
		.amdhsa_system_sgpr_workgroup_info 0
		.amdhsa_system_vgpr_workitem_id 1
		.amdhsa_next_free_vgpr 40
		.amdhsa_next_free_sgpr 16
		.amdhsa_reserve_vcc 1
		.amdhsa_reserve_flat_scratch 0
		.amdhsa_float_round_mode_32 0
		.amdhsa_float_round_mode_16_64 0
		.amdhsa_float_denorm_mode_32 3
		.amdhsa_float_denorm_mode_16_64 3
		.amdhsa_dx10_clamp 1
		.amdhsa_ieee_mode 1
		.amdhsa_fp16_overflow 0
		.amdhsa_workgroup_processor_mode 1
		.amdhsa_memory_ordered 1
		.amdhsa_forward_progress 1
		.amdhsa_shared_vgpr_count 0
		.amdhsa_exception_fp_ieee_invalid_op 0
		.amdhsa_exception_fp_denorm_src 0
		.amdhsa_exception_fp_ieee_div_zero 0
		.amdhsa_exception_fp_ieee_overflow 0
		.amdhsa_exception_fp_ieee_underflow 0
		.amdhsa_exception_fp_ieee_inexact 0
		.amdhsa_exception_int_div_zero 0
	.end_amdhsa_kernel
	.section	.text._ZN12_GLOBAL__N_120softmax_warp_forwardIN3c104HalfEffLi8ELb1ELb0ELi32EEEvPT0_PKT_iiiPKbib,"axG",@progbits,_ZN12_GLOBAL__N_120softmax_warp_forwardIN3c104HalfEffLi8ELb1ELb0ELi32EEEvPT0_PKT_iiiPKbib,comdat
.Lfunc_end122:
	.size	_ZN12_GLOBAL__N_120softmax_warp_forwardIN3c104HalfEffLi8ELb1ELb0ELi32EEEvPT0_PKT_iiiPKbib, .Lfunc_end122-_ZN12_GLOBAL__N_120softmax_warp_forwardIN3c104HalfEffLi8ELb1ELb0ELi32EEEvPT0_PKT_iiiPKbib
                                        ; -- End function
	.set _ZN12_GLOBAL__N_120softmax_warp_forwardIN3c104HalfEffLi8ELb1ELb0ELi32EEEvPT0_PKT_iiiPKbib.num_vgpr, 40
	.set _ZN12_GLOBAL__N_120softmax_warp_forwardIN3c104HalfEffLi8ELb1ELb0ELi32EEEvPT0_PKT_iiiPKbib.num_agpr, 0
	.set _ZN12_GLOBAL__N_120softmax_warp_forwardIN3c104HalfEffLi8ELb1ELb0ELi32EEEvPT0_PKT_iiiPKbib.numbered_sgpr, 16
	.set _ZN12_GLOBAL__N_120softmax_warp_forwardIN3c104HalfEffLi8ELb1ELb0ELi32EEEvPT0_PKT_iiiPKbib.num_named_barrier, 0
	.set _ZN12_GLOBAL__N_120softmax_warp_forwardIN3c104HalfEffLi8ELb1ELb0ELi32EEEvPT0_PKT_iiiPKbib.private_seg_size, 0
	.set _ZN12_GLOBAL__N_120softmax_warp_forwardIN3c104HalfEffLi8ELb1ELb0ELi32EEEvPT0_PKT_iiiPKbib.uses_vcc, 1
	.set _ZN12_GLOBAL__N_120softmax_warp_forwardIN3c104HalfEffLi8ELb1ELb0ELi32EEEvPT0_PKT_iiiPKbib.uses_flat_scratch, 0
	.set _ZN12_GLOBAL__N_120softmax_warp_forwardIN3c104HalfEffLi8ELb1ELb0ELi32EEEvPT0_PKT_iiiPKbib.has_dyn_sized_stack, 0
	.set _ZN12_GLOBAL__N_120softmax_warp_forwardIN3c104HalfEffLi8ELb1ELb0ELi32EEEvPT0_PKT_iiiPKbib.has_recursion, 0
	.set _ZN12_GLOBAL__N_120softmax_warp_forwardIN3c104HalfEffLi8ELb1ELb0ELi32EEEvPT0_PKT_iiiPKbib.has_indirect_call, 0
	.section	.AMDGPU.csdata,"",@progbits
; Kernel info:
; codeLenInByte = 2136
; TotalNumSgprs: 18
; NumVgprs: 40
; ScratchSize: 0
; MemoryBound: 0
; FloatMode: 240
; IeeeMode: 1
; LDSByteSize: 0 bytes/workgroup (compile time only)
; SGPRBlocks: 0
; VGPRBlocks: 4
; NumSGPRsForWavesPerEU: 18
; NumVGPRsForWavesPerEU: 40
; Occupancy: 16
; WaveLimiterHint : 0
; COMPUTE_PGM_RSRC2:SCRATCH_EN: 0
; COMPUTE_PGM_RSRC2:USER_SGPR: 6
; COMPUTE_PGM_RSRC2:TRAP_HANDLER: 0
; COMPUTE_PGM_RSRC2:TGID_X_EN: 1
; COMPUTE_PGM_RSRC2:TGID_Y_EN: 0
; COMPUTE_PGM_RSRC2:TGID_Z_EN: 0
; COMPUTE_PGM_RSRC2:TIDIG_COMP_CNT: 1
	.section	.text._ZN12_GLOBAL__N_120softmax_warp_forwardIN3c104HalfEffLi9ELb1ELb0ELi64EEEvPT0_PKT_iiiPKbib,"axG",@progbits,_ZN12_GLOBAL__N_120softmax_warp_forwardIN3c104HalfEffLi9ELb1ELb0ELi64EEEvPT0_PKT_iiiPKbib,comdat
	.globl	_ZN12_GLOBAL__N_120softmax_warp_forwardIN3c104HalfEffLi9ELb1ELb0ELi64EEEvPT0_PKT_iiiPKbib ; -- Begin function _ZN12_GLOBAL__N_120softmax_warp_forwardIN3c104HalfEffLi9ELb1ELb0ELi64EEEvPT0_PKT_iiiPKbib
	.p2align	8
	.type	_ZN12_GLOBAL__N_120softmax_warp_forwardIN3c104HalfEffLi9ELb1ELb0ELi64EEEvPT0_PKT_iiiPKbib,@function
_ZN12_GLOBAL__N_120softmax_warp_forwardIN3c104HalfEffLi9ELb1ELb0ELi64EEEvPT0_PKT_iiiPKbib: ; @_ZN12_GLOBAL__N_120softmax_warp_forwardIN3c104HalfEffLi9ELb1ELb0ELi64EEEvPT0_PKT_iiiPKbib
; %bb.0:
	s_clause 0x1
	s_load_dword s0, s[4:5], 0x3c
	s_load_dwordx8 s[8:15], s[4:5], 0x0
	v_mov_b32_e32 v6, 0xff800000
	v_mov_b32_e32 v8, 0xff800000
	s_waitcnt lgkmcnt(0)
	s_lshr_b32 s0, s0, 16
	v_cmp_gt_i32_e64 s1, s14, v0
	v_mad_u64_u32 v[3:4], null, s6, s0, v[1:2]
	v_mad_u64_u32 v[1:2], null, v3, s13, v[0:1]
	v_sub_nc_u32_e32 v5, s12, v3
	v_cmp_lt_i32_e64 s7, 0, v5
	v_ashrrev_i32_e32 v2, 31, v1
	s_and_b32 s2, s7, s1
	v_lshlrev_b64 v[3:4], 1, v[1:2]
	v_add_co_u32 v3, vcc_lo, s10, v3
	v_add_co_ci_u32_e64 v4, null, s11, v4, vcc_lo
	s_and_saveexec_b32 s0, s2
	s_cbranch_execz .LBB123_2
; %bb.1:
	global_load_ushort v7, v[3:4], off
	s_waitcnt vmcnt(0)
	v_cvt_f32_f16_e32 v8, v7
.LBB123_2:
	s_or_b32 exec_lo, exec_lo, s0
	v_add_nc_u32_e32 v7, 64, v0
	v_cmp_gt_i32_e32 vcc_lo, s14, v7
	s_and_b32 s2, s7, vcc_lo
	s_and_saveexec_b32 s0, s2
	s_cbranch_execz .LBB123_4
; %bb.3:
	global_load_ushort v6, v[3:4], off offset:128
	s_waitcnt vmcnt(0)
	v_cvt_f32_f16_e32 v6, v6
.LBB123_4:
	s_or_b32 exec_lo, exec_lo, s0
	v_add_nc_u32_e32 v7, 0x80, v0
	v_mov_b32_e32 v9, 0xff800000
	v_mov_b32_e32 v10, 0xff800000
	v_cmp_gt_i32_e64 s0, s14, v7
	s_and_b32 s3, s7, s0
	s_and_saveexec_b32 s2, s3
	s_cbranch_execz .LBB123_6
; %bb.5:
	global_load_ushort v7, v[3:4], off offset:256
	s_waitcnt vmcnt(0)
	v_cvt_f32_f16_e32 v10, v7
.LBB123_6:
	s_or_b32 exec_lo, exec_lo, s2
	v_add_nc_u32_e32 v7, 0xc0, v0
	v_cmp_gt_i32_e64 s2, s14, v7
	s_and_b32 s4, s7, s2
	s_and_saveexec_b32 s3, s4
	s_cbranch_execz .LBB123_8
; %bb.7:
	global_load_ushort v7, v[3:4], off offset:384
	s_waitcnt vmcnt(0)
	v_cvt_f32_f16_e32 v9, v7
.LBB123_8:
	s_or_b32 exec_lo, exec_lo, s3
	v_add_nc_u32_e32 v7, 0x100, v0
	v_mov_b32_e32 v11, 0xff800000
	v_mov_b32_e32 v12, 0xff800000
	v_cmp_gt_i32_e64 s3, s14, v7
	s_and_b32 s5, s7, s3
	s_and_saveexec_b32 s4, s5
	s_cbranch_execz .LBB123_10
; %bb.9:
	global_load_ushort v7, v[3:4], off offset:512
	s_waitcnt vmcnt(0)
	v_cvt_f32_f16_e32 v12, v7
.LBB123_10:
	s_or_b32 exec_lo, exec_lo, s4
	v_add_nc_u32_e32 v7, 0x140, v0
	v_cmp_gt_i32_e64 s4, s14, v7
	s_and_b32 s6, s7, s4
	;; [unrolled: 24-line block ×3, first 2 shown]
	s_and_saveexec_b32 s7, s10
	s_cbranch_execz .LBB123_16
; %bb.15:
	global_load_ushort v0, v[3:4], off offset:896
	s_waitcnt vmcnt(0)
	v_cvt_f32_f16_e32 v13, v0
.LBB123_16:
	s_or_b32 exec_lo, exec_lo, s7
	v_cmp_gt_f32_e64 s7, v8, v6
	v_mbcnt_lo_u32_b32 v3, -1, 0
	s_mov_b32 s10, exec_lo
	v_cndmask_b32_e64 v0, v6, v8, s7
	v_or_b32_e32 v4, 32, v3
	v_xor_b32_e32 v17, 4, v3
	v_xor_b32_e32 v18, 2, v3
	;; [unrolled: 1-line block ×3, first 2 shown]
	v_cmp_gt_f32_e64 s7, v0, v10
	v_cndmask_b32_e64 v0, v10, v0, s7
	v_cmp_gt_f32_e64 s7, v0, v9
	v_cndmask_b32_e64 v0, v9, v0, s7
	;; [unrolled: 2-line block ×4, first 2 shown]
	v_cmp_gt_i32_e64 s7, 64, v4
	v_cndmask_b32_e64 v4, v3, v4, s7
	v_cmp_gt_f32_e64 s7, v0, v14
	v_cndmask_b32_e64 v7, v14, v0, s7
	v_lshlrev_b32_e32 v0, 2, v4
	v_xor_b32_e32 v4, 16, v3
	v_cmp_gt_f32_e64 s7, v7, v13
	v_cndmask_b32_e64 v7, v13, v7, s7
	v_cmp_gt_i32_e64 s7, 64, v4
	ds_bpermute_b32 v15, v0, v7
	v_cndmask_b32_e64 v4, v3, v4, s7
	v_lshlrev_b32_e32 v4, 2, v4
	s_waitcnt lgkmcnt(0)
	v_cmp_lt_f32_e64 s7, v7, v15
	v_cndmask_b32_e64 v15, v7, v15, s7
	v_xor_b32_e32 v7, 8, v3
	ds_bpermute_b32 v16, v4, v15
	v_cmp_gt_i32_e64 s7, 64, v7
	v_cndmask_b32_e64 v7, v3, v7, s7
	v_lshlrev_b32_e32 v7, 2, v7
	s_waitcnt lgkmcnt(0)
	v_cmp_lt_f32_e64 s7, v15, v16
	v_cndmask_b32_e64 v15, v15, v16, s7
	v_cmp_gt_i32_e64 s7, 64, v17
	ds_bpermute_b32 v16, v7, v15
	v_cndmask_b32_e64 v17, v3, v17, s7
	v_lshlrev_b32_e32 v17, 2, v17
	s_waitcnt lgkmcnt(0)
	v_cmp_lt_f32_e64 s7, v15, v16
	v_cndmask_b32_e64 v15, v15, v16, s7
	v_cmp_gt_i32_e64 s7, 64, v18
	ds_bpermute_b32 v16, v17, v15
	;; [unrolled: 7-line block ×3, first 2 shown]
	v_cndmask_b32_e64 v3, v3, v19, s7
	v_lshlrev_b32_e32 v19, 2, v3
	s_waitcnt lgkmcnt(0)
	v_cmp_lt_f32_e64 s7, v15, v16
	v_cndmask_b32_e64 v3, v15, v16, s7
	ds_bpermute_b32 v15, v19, v3
	s_waitcnt lgkmcnt(0)
	v_cmp_lt_f32_e64 s7, v3, v15
	v_cndmask_b32_e64 v15, v3, v15, s7
	v_sub_f32_e32 v3, v8, v15
	v_sub_f32_e32 v6, v6, v15
	;; [unrolled: 1-line block ×5, first 2 shown]
	v_mul_f32_e32 v14, 0x3fb8aa3b, v3
	v_sub_f32_e32 v9, v9, v15
	v_sub_f32_e32 v11, v11, v15
	v_sub_f32_e32 v13, v13, v15
	v_mul_f32_e32 v15, 0x3fb8aa3b, v6
	v_fma_f32 v25, 0x3fb8aa3b, v3, -v14
	v_rndne_f32_e32 v26, v14
	v_mul_f32_e32 v16, 0x3fb8aa3b, v8
	v_mul_f32_e32 v20, 0x3fb8aa3b, v9
	v_fma_f32 v27, 0x3fb8aa3b, v6, -v15
	v_rndne_f32_e32 v28, v15
	v_fmac_f32_e32 v25, 0x32a5705f, v3
	v_sub_f32_e32 v14, v14, v26
	v_fma_f32 v29, 0x3fb8aa3b, v8, -v16
	v_rndne_f32_e32 v30, v16
	v_fmac_f32_e32 v27, 0x32a5705f, v6
	v_sub_f32_e32 v15, v15, v28
	v_add_f32_e32 v14, v14, v25
	v_fmac_f32_e32 v29, 0x32a5705f, v8
	v_sub_f32_e32 v16, v16, v30
	v_cvt_i32_f32_e32 v26, v26
	v_add_f32_e32 v15, v15, v27
	v_exp_f32_e32 v14, v14
	v_fma_f32 v31, 0x3fb8aa3b, v9, -v20
	v_add_f32_e32 v16, v16, v29
	v_rndne_f32_e32 v32, v20
	v_exp_f32_e32 v15, v15
	v_cvt_i32_f32_e32 v28, v28
	v_cmp_ngt_f32_e64 s7, 0xc2ce8ed0, v3
	v_exp_f32_e32 v16, v16
	v_mul_f32_e32 v21, 0x3fb8aa3b, v10
	v_cvt_i32_f32_e32 v30, v30
	v_ldexp_f32 v14, v14, v26
	v_fmac_f32_e32 v31, 0x32a5705f, v9
	v_sub_f32_e32 v20, v20, v32
	v_fma_f32 v33, 0x3fb8aa3b, v10, -v21
	v_ldexp_f32 v15, v15, v28
	v_cndmask_b32_e64 v14, 0, v14, s7
	v_cmp_ngt_f32_e64 s7, 0xc2ce8ed0, v6
	v_rndne_f32_e32 v34, v21
	v_add_f32_e32 v20, v20, v31
	v_ldexp_f32 v16, v16, v30
	v_mul_f32_e32 v22, 0x3fb8aa3b, v11
	v_cndmask_b32_e64 v15, 0, v15, s7
	v_cmp_ngt_f32_e64 s7, 0xc2ce8ed0, v8
	v_fmac_f32_e32 v33, 0x32a5705f, v10
	v_sub_f32_e32 v21, v21, v34
	v_exp_f32_e32 v20, v20
	v_fma_f32 v35, 0x3fb8aa3b, v11, -v22
	v_cndmask_b32_e64 v16, 0, v16, s7
	v_cmp_nlt_f32_e64 s7, 0x42b17218, v3
	v_rndne_f32_e32 v36, v22
	v_cvt_i32_f32_e32 v32, v32
	v_add_f32_e32 v21, v21, v33
	v_mul_f32_e32 v23, 0x3fb8aa3b, v12
	v_cndmask_b32_e64 v14, 0x7f800000, v14, s7
	v_cmp_nlt_f32_e64 s7, 0x42b17218, v6
	v_fmac_f32_e32 v35, 0x32a5705f, v11
	v_sub_f32_e32 v22, v22, v36
	v_exp_f32_e32 v21, v21
	v_ldexp_f32 v20, v20, v32
	v_cndmask_b32_e64 v15, 0x7f800000, v15, s7
	v_cmp_ngt_f32_e64 s7, 0xc2ce8ed0, v9
	v_fma_f32 v37, 0x3fb8aa3b, v12, -v23
	v_rndne_f32_e32 v38, v23
	v_cvt_i32_f32_e32 v34, v34
	v_add_f32_e32 v22, v22, v35
	v_cndmask_b32_e64 v20, 0, v20, s7
	v_cmp_nlt_f32_e64 s7, 0x42b17218, v8
	v_fmac_f32_e32 v37, 0x32a5705f, v12
	v_sub_f32_e32 v23, v23, v38
	v_exp_f32_e32 v22, v22
	v_ldexp_f32 v21, v21, v34
	v_cndmask_b32_e64 v16, 0x7f800000, v16, s7
	v_cmp_ngt_f32_e64 s7, 0xc2ce8ed0, v10
	v_mul_f32_e32 v24, 0x3fb8aa3b, v13
	v_cvt_i32_f32_e32 v36, v36
	v_add_f32_e32 v23, v23, v37
	v_add_f32_e32 v14, v14, v15
	v_cndmask_b32_e64 v15, 0, v21, s7
	v_cmp_nlt_f32_e64 s7, 0x42b17218, v9
	v_fma_f32 v39, 0x3fb8aa3b, v13, -v24
	v_rndne_f32_e32 v40, v24
	v_exp_f32_e32 v23, v23
	v_ldexp_f32 v22, v22, v36
	v_cndmask_b32_e64 v20, 0x7f800000, v20, s7
	v_cmp_ngt_f32_e64 s7, 0xc2ce8ed0, v11
	v_fmac_f32_e32 v39, 0x32a5705f, v13
	v_sub_f32_e32 v24, v24, v40
	v_cvt_i32_f32_e32 v25, v38
	v_add_f32_e32 v14, v14, v16
	v_cndmask_b32_e64 v16, 0, v22, s7
	v_cmp_nlt_f32_e64 s7, 0x42b17218, v10
	v_add_f32_e32 v24, v24, v39
	v_ldexp_f32 v23, v23, v25
	v_add_f32_e32 v14, v14, v20
	v_cvt_i32_f32_e32 v27, v40
	v_cndmask_b32_e64 v15, 0x7f800000, v15, s7
	v_cmp_ngt_f32_e64 s7, 0xc2ce8ed0, v12
	v_exp_f32_e32 v24, v24
	v_add_f32_e32 v14, v14, v15
	v_cndmask_b32_e64 v20, 0, v23, s7
	v_cmp_nlt_f32_e64 s7, 0x42b17218, v11
	v_cndmask_b32_e64 v16, 0x7f800000, v16, s7
	v_cmp_nlt_f32_e64 s7, 0x42b17218, v12
	v_ldexp_f32 v15, v24, v27
	v_add_f32_e32 v14, v14, v16
	v_cndmask_b32_e64 v20, 0x7f800000, v20, s7
	v_cmp_ngt_f32_e64 s7, 0xc2ce8ed0, v13
	v_add_f32_e32 v14, v14, v20
	v_cndmask_b32_e64 v15, 0, v15, s7
	v_cmp_nlt_f32_e64 s7, 0x42b17218, v13
	v_cndmask_b32_e64 v15, 0x7f800000, v15, s7
	v_add_f32_e32 v14, v14, v15
	ds_bpermute_b32 v0, v0, v14
	s_waitcnt lgkmcnt(0)
	v_add_f32_e32 v0, v14, v0
	ds_bpermute_b32 v4, v4, v0
	s_waitcnt lgkmcnt(0)
	;; [unrolled: 3-line block ×5, first 2 shown]
	v_add_f32_e32 v0, v0, v4
	ds_bpermute_b32 v4, v19, v0
	v_cmpx_lt_i32_e32 0, v5
	s_cbranch_execz .LBB123_26
; %bb.17:
	s_and_b32 exec_lo, exec_lo, s1
	s_cbranch_execz .LBB123_26
; %bb.18:
	s_waitcnt lgkmcnt(0)
	v_add_f32_e32 v0, v0, v4
	v_cmp_gt_f32_e64 s1, 0x800000, v0
	v_cndmask_b32_e64 v4, 0, 32, s1
	v_cndmask_b32_e64 v5, 0, 0x41b17218, s1
	v_ldexp_f32 v0, v0, v4
	v_log_f32_e32 v0, v0
	v_mul_f32_e32 v4, 0x3f317217, v0
	v_cmp_gt_f32_e64 s7, 0x7f800000, |v0|
	v_fma_f32 v4, 0x3f317217, v0, -v4
	v_fmamk_f32 v4, v0, 0x3377d1cf, v4
	v_fmac_f32_e32 v4, 0x3f317217, v0
	v_cndmask_b32_e64 v4, v0, v4, s7
	v_lshlrev_b64 v[0:1], 2, v[1:2]
	v_sub_f32_e32 v2, v4, v5
	v_add_co_u32 v0, s1, s8, v0
	v_add_co_ci_u32_e64 v1, null, s9, v1, s1
	v_sub_f32_e32 v3, v3, v2
	global_store_dword v[0:1], v3, off
	s_and_b32 exec_lo, exec_lo, vcc_lo
	s_cbranch_execz .LBB123_26
; %bb.19:
	v_sub_f32_e32 v3, v6, v2
	global_store_dword v[0:1], v3, off offset:256
	s_and_b32 exec_lo, exec_lo, s0
	s_cbranch_execz .LBB123_26
; %bb.20:
	v_sub_f32_e32 v3, v8, v2
	global_store_dword v[0:1], v3, off offset:512
	s_and_b32 exec_lo, exec_lo, s2
	;; [unrolled: 5-line block ×6, first 2 shown]
	s_cbranch_execz .LBB123_26
; %bb.25:
	v_sub_f32_e32 v2, v13, v2
	global_store_dword v[0:1], v2, off offset:1792
.LBB123_26:
	s_endpgm
	.section	.rodata,"a",@progbits
	.p2align	6, 0x0
	.amdhsa_kernel _ZN12_GLOBAL__N_120softmax_warp_forwardIN3c104HalfEffLi9ELb1ELb0ELi64EEEvPT0_PKT_iiiPKbib
		.amdhsa_group_segment_fixed_size 0
		.amdhsa_private_segment_fixed_size 0
		.amdhsa_kernarg_size 304
		.amdhsa_user_sgpr_count 6
		.amdhsa_user_sgpr_private_segment_buffer 1
		.amdhsa_user_sgpr_dispatch_ptr 0
		.amdhsa_user_sgpr_queue_ptr 0
		.amdhsa_user_sgpr_kernarg_segment_ptr 1
		.amdhsa_user_sgpr_dispatch_id 0
		.amdhsa_user_sgpr_flat_scratch_init 0
		.amdhsa_user_sgpr_private_segment_size 0
		.amdhsa_wavefront_size32 1
		.amdhsa_uses_dynamic_stack 0
		.amdhsa_system_sgpr_private_segment_wavefront_offset 0
		.amdhsa_system_sgpr_workgroup_id_x 1
		.amdhsa_system_sgpr_workgroup_id_y 0
		.amdhsa_system_sgpr_workgroup_id_z 0
		.amdhsa_system_sgpr_workgroup_info 0
		.amdhsa_system_vgpr_workitem_id 1
		.amdhsa_next_free_vgpr 41
		.amdhsa_next_free_sgpr 16
		.amdhsa_reserve_vcc 1
		.amdhsa_reserve_flat_scratch 0
		.amdhsa_float_round_mode_32 0
		.amdhsa_float_round_mode_16_64 0
		.amdhsa_float_denorm_mode_32 3
		.amdhsa_float_denorm_mode_16_64 3
		.amdhsa_dx10_clamp 1
		.amdhsa_ieee_mode 1
		.amdhsa_fp16_overflow 0
		.amdhsa_workgroup_processor_mode 1
		.amdhsa_memory_ordered 1
		.amdhsa_forward_progress 1
		.amdhsa_shared_vgpr_count 0
		.amdhsa_exception_fp_ieee_invalid_op 0
		.amdhsa_exception_fp_denorm_src 0
		.amdhsa_exception_fp_ieee_div_zero 0
		.amdhsa_exception_fp_ieee_overflow 0
		.amdhsa_exception_fp_ieee_underflow 0
		.amdhsa_exception_fp_ieee_inexact 0
		.amdhsa_exception_int_div_zero 0
	.end_amdhsa_kernel
	.section	.text._ZN12_GLOBAL__N_120softmax_warp_forwardIN3c104HalfEffLi9ELb1ELb0ELi64EEEvPT0_PKT_iiiPKbib,"axG",@progbits,_ZN12_GLOBAL__N_120softmax_warp_forwardIN3c104HalfEffLi9ELb1ELb0ELi64EEEvPT0_PKT_iiiPKbib,comdat
.Lfunc_end123:
	.size	_ZN12_GLOBAL__N_120softmax_warp_forwardIN3c104HalfEffLi9ELb1ELb0ELi64EEEvPT0_PKT_iiiPKbib, .Lfunc_end123-_ZN12_GLOBAL__N_120softmax_warp_forwardIN3c104HalfEffLi9ELb1ELb0ELi64EEEvPT0_PKT_iiiPKbib
                                        ; -- End function
	.set _ZN12_GLOBAL__N_120softmax_warp_forwardIN3c104HalfEffLi9ELb1ELb0ELi64EEEvPT0_PKT_iiiPKbib.num_vgpr, 41
	.set _ZN12_GLOBAL__N_120softmax_warp_forwardIN3c104HalfEffLi9ELb1ELb0ELi64EEEvPT0_PKT_iiiPKbib.num_agpr, 0
	.set _ZN12_GLOBAL__N_120softmax_warp_forwardIN3c104HalfEffLi9ELb1ELb0ELi64EEEvPT0_PKT_iiiPKbib.numbered_sgpr, 16
	.set _ZN12_GLOBAL__N_120softmax_warp_forwardIN3c104HalfEffLi9ELb1ELb0ELi64EEEvPT0_PKT_iiiPKbib.num_named_barrier, 0
	.set _ZN12_GLOBAL__N_120softmax_warp_forwardIN3c104HalfEffLi9ELb1ELb0ELi64EEEvPT0_PKT_iiiPKbib.private_seg_size, 0
	.set _ZN12_GLOBAL__N_120softmax_warp_forwardIN3c104HalfEffLi9ELb1ELb0ELi64EEEvPT0_PKT_iiiPKbib.uses_vcc, 1
	.set _ZN12_GLOBAL__N_120softmax_warp_forwardIN3c104HalfEffLi9ELb1ELb0ELi64EEEvPT0_PKT_iiiPKbib.uses_flat_scratch, 0
	.set _ZN12_GLOBAL__N_120softmax_warp_forwardIN3c104HalfEffLi9ELb1ELb0ELi64EEEvPT0_PKT_iiiPKbib.has_dyn_sized_stack, 0
	.set _ZN12_GLOBAL__N_120softmax_warp_forwardIN3c104HalfEffLi9ELb1ELb0ELi64EEEvPT0_PKT_iiiPKbib.has_recursion, 0
	.set _ZN12_GLOBAL__N_120softmax_warp_forwardIN3c104HalfEffLi9ELb1ELb0ELi64EEEvPT0_PKT_iiiPKbib.has_indirect_call, 0
	.section	.AMDGPU.csdata,"",@progbits
; Kernel info:
; codeLenInByte = 2208
; TotalNumSgprs: 18
; NumVgprs: 41
; ScratchSize: 0
; MemoryBound: 0
; FloatMode: 240
; IeeeMode: 1
; LDSByteSize: 0 bytes/workgroup (compile time only)
; SGPRBlocks: 0
; VGPRBlocks: 5
; NumSGPRsForWavesPerEU: 18
; NumVGPRsForWavesPerEU: 41
; Occupancy: 16
; WaveLimiterHint : 0
; COMPUTE_PGM_RSRC2:SCRATCH_EN: 0
; COMPUTE_PGM_RSRC2:USER_SGPR: 6
; COMPUTE_PGM_RSRC2:TRAP_HANDLER: 0
; COMPUTE_PGM_RSRC2:TGID_X_EN: 1
; COMPUTE_PGM_RSRC2:TGID_Y_EN: 0
; COMPUTE_PGM_RSRC2:TGID_Z_EN: 0
; COMPUTE_PGM_RSRC2:TIDIG_COMP_CNT: 1
	.section	.text._ZN12_GLOBAL__N_120softmax_warp_forwardIN3c104HalfEffLi9ELb1ELb0ELi32EEEvPT0_PKT_iiiPKbib,"axG",@progbits,_ZN12_GLOBAL__N_120softmax_warp_forwardIN3c104HalfEffLi9ELb1ELb0ELi32EEEvPT0_PKT_iiiPKbib,comdat
	.globl	_ZN12_GLOBAL__N_120softmax_warp_forwardIN3c104HalfEffLi9ELb1ELb0ELi32EEEvPT0_PKT_iiiPKbib ; -- Begin function _ZN12_GLOBAL__N_120softmax_warp_forwardIN3c104HalfEffLi9ELb1ELb0ELi32EEEvPT0_PKT_iiiPKbib
	.p2align	8
	.type	_ZN12_GLOBAL__N_120softmax_warp_forwardIN3c104HalfEffLi9ELb1ELb0ELi32EEEvPT0_PKT_iiiPKbib,@function
_ZN12_GLOBAL__N_120softmax_warp_forwardIN3c104HalfEffLi9ELb1ELb0ELi32EEEvPT0_PKT_iiiPKbib: ; @_ZN12_GLOBAL__N_120softmax_warp_forwardIN3c104HalfEffLi9ELb1ELb0ELi32EEEvPT0_PKT_iiiPKbib
; %bb.0:
	s_clause 0x1
	s_load_dword s0, s[4:5], 0x3c
	s_load_dwordx8 s[16:23], s[4:5], 0x0
	v_mov_b32_e32 v8, 0xff800000
	v_mov_b32_e32 v12, 0xff800000
	s_waitcnt lgkmcnt(0)
	s_lshr_b32 s0, s0, 16
	v_cmp_gt_i32_e64 s1, s22, v0
	v_mad_u64_u32 v[3:4], null, s6, s0, v[1:2]
	v_mad_u64_u32 v[1:2], null, v3, s21, v[0:1]
	v_sub_nc_u32_e32 v5, s20, v3
	v_cmp_lt_i32_e64 s15, 0, v5
	v_ashrrev_i32_e32 v2, 31, v1
	s_and_b32 s2, s15, s1
	v_lshlrev_b64 v[3:4], 1, v[1:2]
	v_add_co_u32 v3, vcc_lo, s18, v3
	v_add_co_ci_u32_e64 v4, null, s19, v4, vcc_lo
	s_and_saveexec_b32 s0, s2
	s_cbranch_execz .LBB124_2
; %bb.1:
	global_load_ushort v6, v[3:4], off
	s_waitcnt vmcnt(0)
	v_cvt_f32_f16_e32 v12, v6
.LBB124_2:
	s_or_b32 exec_lo, exec_lo, s0
	v_add_nc_u32_e32 v6, 32, v0
	v_cmp_gt_i32_e32 vcc_lo, s22, v6
	s_and_b32 s2, s15, vcc_lo
	s_and_saveexec_b32 s0, s2
	s_cbranch_execz .LBB124_4
; %bb.3:
	global_load_ushort v6, v[3:4], off offset:64
	s_waitcnt vmcnt(0)
	v_cvt_f32_f16_e32 v8, v6
.LBB124_4:
	s_or_b32 exec_lo, exec_lo, s0
	v_add_nc_u32_e32 v6, 64, v0
	v_mov_b32_e32 v10, 0xff800000
	v_mov_b32_e32 v14, 0xff800000
	v_cmp_gt_i32_e64 s0, s22, v6
	s_and_b32 s3, s15, s0
	s_and_saveexec_b32 s2, s3
	s_cbranch_execz .LBB124_6
; %bb.5:
	global_load_ushort v6, v[3:4], off offset:128
	s_waitcnt vmcnt(0)
	v_cvt_f32_f16_e32 v14, v6
.LBB124_6:
	s_or_b32 exec_lo, exec_lo, s2
	v_add_nc_u32_e32 v6, 0x60, v0
	v_cmp_gt_i32_e64 s2, s22, v6
	s_and_b32 s4, s15, s2
	s_and_saveexec_b32 s3, s4
	s_cbranch_execz .LBB124_8
; %bb.7:
	global_load_ushort v6, v[3:4], off offset:192
	s_waitcnt vmcnt(0)
	v_cvt_f32_f16_e32 v10, v6
.LBB124_8:
	s_or_b32 exec_lo, exec_lo, s3
	v_add_nc_u32_e32 v6, 0x80, v0
	v_mov_b32_e32 v13, 0xff800000
	v_mov_b32_e32 v16, 0xff800000
	v_cmp_gt_i32_e64 s3, s22, v6
	s_and_b32 s5, s15, s3
	s_and_saveexec_b32 s4, s5
	s_cbranch_execz .LBB124_10
; %bb.9:
	global_load_ushort v6, v[3:4], off offset:256
	s_waitcnt vmcnt(0)
	v_cvt_f32_f16_e32 v16, v6
.LBB124_10:
	s_or_b32 exec_lo, exec_lo, s4
	v_add_nc_u32_e32 v6, 0xa0, v0
	v_cmp_gt_i32_e64 s4, s22, v6
	s_and_b32 s6, s15, s4
	;; [unrolled: 24-line block ×7, first 2 shown]
	s_and_saveexec_b32 s15, s18
	s_cbranch_execz .LBB124_32
; %bb.31:
	global_load_ushort v0, v[3:4], off offset:960
	s_waitcnt vmcnt(0)
	v_cvt_f32_f16_e32 v23, v0
.LBB124_32:
	s_or_b32 exec_lo, exec_lo, s15
	v_cmp_gt_f32_e64 s15, v12, v8
	v_mbcnt_lo_u32_b32 v3, -1, 0
	s_mov_b32 s18, exec_lo
	v_cndmask_b32_e64 v0, v8, v12, s15
	v_xor_b32_e32 v4, 16, v3
	v_cmp_gt_f32_e64 s15, v0, v14
	v_cndmask_b32_e64 v0, v14, v0, s15
	v_cmp_gt_f32_e64 s15, v0, v10
	v_cndmask_b32_e64 v0, v10, v0, s15
	;; [unrolled: 2-line block ×12, first 2 shown]
	v_cmp_gt_i32_e64 s15, 32, v4
	v_cndmask_b32_e64 v4, v3, v4, s15
	v_cmp_gt_f32_e64 s15, v0, v25
	v_cndmask_b32_e64 v6, v25, v0, s15
	v_lshlrev_b32_e32 v0, 2, v4
	v_cmp_gt_f32_e64 s15, v6, v23
	v_cndmask_b32_e64 v4, v23, v6, s15
	v_xor_b32_e32 v6, 8, v3
	ds_bpermute_b32 v7, v0, v4
	v_cmp_gt_i32_e64 s15, 32, v6
	v_cndmask_b32_e64 v6, v3, v6, s15
	v_lshlrev_b32_e32 v6, 2, v6
	s_waitcnt lgkmcnt(0)
	v_cmp_lt_f32_e64 s15, v4, v7
	v_cndmask_b32_e64 v4, v4, v7, s15
	v_xor_b32_e32 v7, 4, v3
	ds_bpermute_b32 v9, v6, v4
	v_cmp_gt_i32_e64 s15, 32, v7
	v_cndmask_b32_e64 v7, v3, v7, s15
	v_lshlrev_b32_e32 v7, 2, v7
	s_waitcnt lgkmcnt(0)
	v_cmp_lt_f32_e64 s15, v4, v9
	v_cndmask_b32_e64 v4, v4, v9, s15
	v_xor_b32_e32 v9, 2, v3
	ds_bpermute_b32 v11, v7, v4
	v_cmp_gt_i32_e64 s15, 32, v9
	v_cndmask_b32_e64 v9, v3, v9, s15
	v_lshlrev_b32_e32 v9, 2, v9
	s_waitcnt lgkmcnt(0)
	v_cmp_lt_f32_e64 s15, v4, v11
	v_cndmask_b32_e64 v4, v4, v11, s15
	v_xor_b32_e32 v11, 1, v3
	ds_bpermute_b32 v26, v9, v4
	v_cmp_gt_i32_e64 s15, 32, v11
	v_cndmask_b32_e64 v3, v3, v11, s15
	v_lshlrev_b32_e32 v11, 2, v3
	s_waitcnt lgkmcnt(0)
	v_cmp_lt_f32_e64 s15, v4, v26
	v_cndmask_b32_e64 v3, v4, v26, s15
	ds_bpermute_b32 v4, v11, v3
	s_waitcnt lgkmcnt(0)
	v_cmp_lt_f32_e64 s15, v3, v4
	v_cndmask_b32_e64 v26, v3, v4, s15
	v_sub_f32_e32 v3, v12, v26
	v_sub_f32_e32 v4, v8, v26
	;; [unrolled: 1-line block ×5, first 2 shown]
	v_mul_f32_e32 v24, 0x3fb8aa3b, v3
	v_sub_f32_e32 v8, v14, v26
	v_sub_f32_e32 v14, v18, v26
	;; [unrolled: 1-line block ×4, first 2 shown]
	v_mul_f32_e32 v25, 0x3fb8aa3b, v4
	v_fma_f32 v40, 0x3fb8aa3b, v3, -v24
	v_rndne_f32_e32 v41, v24
	v_sub_f32_e32 v10, v10, v26
	v_sub_f32_e32 v13, v13, v26
	;; [unrolled: 1-line block ×7, first 2 shown]
	v_mul_f32_e32 v26, 0x3fb8aa3b, v8
	v_fma_f32 v42, 0x3fb8aa3b, v4, -v25
	v_rndne_f32_e32 v43, v25
	v_fmac_f32_e32 v40, 0x32a5705f, v3
	v_sub_f32_e32 v24, v24, v41
	v_fma_f32 v44, 0x3fb8aa3b, v8, -v26
	v_rndne_f32_e32 v45, v26
	v_fmac_f32_e32 v42, 0x32a5705f, v4
	v_sub_f32_e32 v25, v25, v43
	v_add_f32_e32 v24, v24, v40
	v_fmac_f32_e32 v44, 0x32a5705f, v8
	v_sub_f32_e32 v26, v26, v45
	v_mul_f32_e32 v27, 0x3fb8aa3b, v10
	v_add_f32_e32 v25, v25, v42
	v_exp_f32_e32 v24, v24
	v_cvt_i32_f32_e32 v41, v41
	v_add_f32_e32 v26, v26, v44
	v_fma_f32 v46, 0x3fb8aa3b, v10, -v27
	v_exp_f32_e32 v25, v25
	v_rndne_f32_e32 v47, v27
	v_cvt_i32_f32_e32 v43, v43
	v_exp_f32_e32 v26, v26
	v_cmp_ngt_f32_e64 s15, 0xc2ce8ed0, v3
	v_mul_f32_e32 v28, 0x3fb8aa3b, v12
	v_ldexp_f32 v24, v24, v41
	v_fmac_f32_e32 v46, 0x32a5705f, v10
	v_sub_f32_e32 v27, v27, v47
	v_cvt_i32_f32_e32 v45, v45
	v_ldexp_f32 v25, v25, v43
	v_cndmask_b32_e64 v24, 0, v24, s15
	v_cmp_ngt_f32_e64 s15, 0xc2ce8ed0, v4
	v_fma_f32 v48, 0x3fb8aa3b, v12, -v28
	v_rndne_f32_e32 v49, v28
	v_add_f32_e32 v27, v27, v46
	v_ldexp_f32 v26, v26, v45
	v_cndmask_b32_e64 v25, 0, v25, s15
	v_cmp_ngt_f32_e64 s15, 0xc2ce8ed0, v8
	v_mul_f32_e32 v29, 0x3fb8aa3b, v13
	v_fmac_f32_e32 v48, 0x32a5705f, v12
	v_sub_f32_e32 v28, v28, v49
	v_exp_f32_e32 v27, v27
	v_cndmask_b32_e64 v26, 0, v26, s15
	v_cmp_nlt_f32_e64 s15, 0x42b17218, v3
	v_fma_f32 v50, 0x3fb8aa3b, v13, -v29
	v_rndne_f32_e32 v51, v29
	v_add_f32_e32 v28, v28, v48
	v_cvt_i32_f32_e32 v47, v47
	v_cndmask_b32_e64 v24, 0x7f800000, v24, s15
	v_cmp_nlt_f32_e64 s15, 0x42b17218, v4
	v_mul_f32_e32 v30, 0x3fb8aa3b, v14
	v_fmac_f32_e32 v50, 0x32a5705f, v13
	v_sub_f32_e32 v29, v29, v51
	v_exp_f32_e32 v28, v28
	v_ldexp_f32 v27, v27, v47
	v_cndmask_b32_e64 v25, 0x7f800000, v25, s15
	v_cmp_ngt_f32_e64 s15, 0xc2ce8ed0, v10
	v_fma_f32 v52, 0x3fb8aa3b, v14, -v30
	v_rndne_f32_e32 v53, v30
	v_add_f32_e32 v29, v29, v50
	v_cvt_i32_f32_e32 v49, v49
	v_cndmask_b32_e64 v27, 0, v27, s15
	v_cmp_nlt_f32_e64 s15, 0x42b17218, v8
	v_mul_f32_e32 v31, 0x3fb8aa3b, v15
	v_fmac_f32_e32 v52, 0x32a5705f, v14
	v_sub_f32_e32 v30, v30, v53
	v_exp_f32_e32 v29, v29
	v_ldexp_f32 v28, v28, v49
	v_cndmask_b32_e64 v26, 0x7f800000, v26, s15
	v_cmp_ngt_f32_e64 s15, 0xc2ce8ed0, v12
	v_fma_f32 v54, 0x3fb8aa3b, v15, -v31
	v_rndne_f32_e32 v55, v31
	v_add_f32_e32 v30, v30, v52
	v_cvt_i32_f32_e32 v51, v51
	v_add_f32_e32 v24, v24, v25
	v_cndmask_b32_e64 v25, 0, v28, s15
	v_cmp_nlt_f32_e64 s15, 0x42b17218, v10
	v_mul_f32_e32 v32, 0x3fb8aa3b, v16
	v_fmac_f32_e32 v54, 0x32a5705f, v15
	v_sub_f32_e32 v31, v31, v55
	v_exp_f32_e32 v30, v30
	v_ldexp_f32 v29, v29, v51
	v_cndmask_b32_e64 v27, 0x7f800000, v27, s15
	v_cmp_ngt_f32_e64 s15, 0xc2ce8ed0, v13
	v_fma_f32 v56, 0x3fb8aa3b, v16, -v32
	v_rndne_f32_e32 v57, v32
	v_add_f32_e32 v31, v31, v54
	v_cvt_i32_f32_e32 v53, v53
	v_add_f32_e32 v24, v24, v26
	v_cndmask_b32_e64 v26, 0, v29, s15
	v_cmp_nlt_f32_e64 s15, 0x42b17218, v12
	v_mul_f32_e32 v33, 0x3fb8aa3b, v17
	v_fmac_f32_e32 v56, 0x32a5705f, v16
	v_sub_f32_e32 v32, v32, v57
	v_exp_f32_e32 v31, v31
	v_ldexp_f32 v30, v30, v53
	v_cndmask_b32_e64 v25, 0x7f800000, v25, s15
	v_cmp_ngt_f32_e64 s15, 0xc2ce8ed0, v14
	v_fma_f32 v58, 0x3fb8aa3b, v17, -v33
	v_rndne_f32_e32 v59, v33
	v_add_f32_e32 v32, v32, v56
	v_cvt_i32_f32_e32 v55, v55
	v_add_f32_e32 v24, v24, v27
	v_cndmask_b32_e64 v27, 0, v30, s15
	v_cmp_nlt_f32_e64 s15, 0x42b17218, v13
	v_mul_f32_e32 v34, 0x3fb8aa3b, v18
	v_fmac_f32_e32 v58, 0x32a5705f, v17
	v_sub_f32_e32 v33, v33, v59
	v_exp_f32_e32 v32, v32
	v_ldexp_f32 v31, v31, v55
	v_cndmask_b32_e64 v26, 0x7f800000, v26, s15
	v_cmp_ngt_f32_e64 s15, 0xc2ce8ed0, v15
	v_fma_f32 v60, 0x3fb8aa3b, v18, -v34
	v_rndne_f32_e32 v61, v34
	v_add_f32_e32 v33, v33, v58
	v_cvt_i32_f32_e32 v57, v57
	v_add_f32_e32 v24, v24, v25
	v_cndmask_b32_e64 v25, 0, v31, s15
	v_cmp_nlt_f32_e64 s15, 0x42b17218, v14
	v_mul_f32_e32 v35, 0x3fb8aa3b, v19
	v_fmac_f32_e32 v60, 0x32a5705f, v18
	v_sub_f32_e32 v34, v34, v61
	v_exp_f32_e32 v33, v33
	v_ldexp_f32 v32, v32, v57
	v_cndmask_b32_e64 v27, 0x7f800000, v27, s15
	v_cmp_ngt_f32_e64 s15, 0xc2ce8ed0, v16
	v_fma_f32 v40, 0x3fb8aa3b, v19, -v35
	v_rndne_f32_e32 v42, v35
	v_cvt_i32_f32_e32 v59, v59
	v_add_f32_e32 v34, v34, v60
	v_add_f32_e32 v24, v24, v26
	v_cndmask_b32_e64 v26, 0, v32, s15
	v_cmp_nlt_f32_e64 s15, 0x42b17218, v15
	v_mul_f32_e32 v36, 0x3fb8aa3b, v20
	v_fmac_f32_e32 v40, 0x32a5705f, v19
	v_sub_f32_e32 v35, v35, v42
	v_exp_f32_e32 v34, v34
	v_ldexp_f32 v33, v33, v59
	v_cndmask_b32_e64 v25, 0x7f800000, v25, s15
	v_cmp_ngt_f32_e64 s15, 0xc2ce8ed0, v17
	v_fma_f32 v44, 0x3fb8aa3b, v20, -v36
	v_rndne_f32_e32 v46, v36
	v_cvt_i32_f32_e32 v61, v61
	v_add_f32_e32 v35, v35, v40
	v_add_f32_e32 v24, v24, v27
	;; [unrolled: 14-line block ×4, first 2 shown]
	v_cndmask_b32_e64 v26, 0, v35, s15
	v_cmp_nlt_f32_e64 s15, 0x42b17218, v18
	v_fmac_f32_e32 v52, 0x32a5705f, v22
	v_sub_f32_e32 v38, v38, v54
	v_exp_f32_e32 v37, v37
	v_ldexp_f32 v36, v36, v46
	v_cndmask_b32_e64 v25, 0x7f800000, v25, s15
	v_cmp_ngt_f32_e64 s15, 0xc2ce8ed0, v20
	v_mul_f32_e32 v39, 0x3fb8aa3b, v23
	v_cvt_i32_f32_e32 v50, v50
	v_add_f32_e32 v38, v38, v52
	v_add_f32_e32 v24, v24, v27
	v_cndmask_b32_e64 v27, 0, v36, s15
	v_cmp_nlt_f32_e64 s15, 0x42b17218, v19
	v_fma_f32 v56, 0x3fb8aa3b, v23, -v39
	v_rndne_f32_e32 v58, v39
	v_exp_f32_e32 v38, v38
	v_ldexp_f32 v37, v37, v50
	v_cndmask_b32_e64 v26, 0x7f800000, v26, s15
	v_cmp_ngt_f32_e64 s15, 0xc2ce8ed0, v21
	v_cvt_i32_f32_e32 v54, v54
	v_fmac_f32_e32 v56, 0x32a5705f, v23
	v_sub_f32_e32 v39, v39, v58
	v_add_f32_e32 v24, v24, v25
	v_cndmask_b32_e64 v25, 0, v37, s15
	v_cmp_nlt_f32_e64 s15, 0x42b17218, v20
	v_ldexp_f32 v38, v38, v54
	v_add_f32_e32 v39, v39, v56
	v_add_f32_e32 v24, v24, v26
	v_cvt_i32_f32_e32 v58, v58
	v_cndmask_b32_e64 v27, 0x7f800000, v27, s15
	v_cmp_ngt_f32_e64 s15, 0xc2ce8ed0, v22
	v_exp_f32_e32 v39, v39
	v_add_f32_e32 v24, v24, v27
	v_cndmask_b32_e64 v26, 0, v38, s15
	v_cmp_nlt_f32_e64 s15, 0x42b17218, v21
	v_cndmask_b32_e64 v25, 0x7f800000, v25, s15
	v_cmp_nlt_f32_e64 s15, 0x42b17218, v22
	v_ldexp_f32 v27, v39, v58
	v_add_f32_e32 v24, v24, v25
	v_cndmask_b32_e64 v26, 0x7f800000, v26, s15
	v_cmp_ngt_f32_e64 s15, 0xc2ce8ed0, v23
	v_add_f32_e32 v24, v24, v26
	v_cndmask_b32_e64 v25, 0, v27, s15
	v_cmp_nlt_f32_e64 s15, 0x42b17218, v23
	v_cndmask_b32_e64 v25, 0x7f800000, v25, s15
	v_add_f32_e32 v24, v24, v25
	ds_bpermute_b32 v0, v0, v24
	s_waitcnt lgkmcnt(0)
	v_add_f32_e32 v0, v24, v0
	ds_bpermute_b32 v6, v6, v0
	s_waitcnt lgkmcnt(0)
	;; [unrolled: 3-line block ×4, first 2 shown]
	v_add_f32_e32 v0, v0, v6
	ds_bpermute_b32 v6, v11, v0
	v_cmpx_lt_i32_e32 0, v5
	s_cbranch_execz .LBB124_50
; %bb.33:
	s_and_b32 exec_lo, exec_lo, s1
	s_cbranch_execz .LBB124_50
; %bb.34:
	s_waitcnt lgkmcnt(0)
	v_add_f32_e32 v0, v0, v6
	v_cmp_gt_f32_e64 s1, 0x800000, v0
	v_cndmask_b32_e64 v5, 0, 32, s1
	v_cndmask_b32_e64 v6, 0, 0x41b17218, s1
	v_ldexp_f32 v0, v0, v5
	v_log_f32_e32 v0, v0
	v_mul_f32_e32 v5, 0x3f317217, v0
	v_cmp_gt_f32_e64 s15, 0x7f800000, |v0|
	v_fma_f32 v5, 0x3f317217, v0, -v5
	v_fmamk_f32 v5, v0, 0x3377d1cf, v5
	v_fmac_f32_e32 v5, 0x3f317217, v0
	v_cndmask_b32_e64 v5, v0, v5, s15
	v_lshlrev_b64 v[0:1], 2, v[1:2]
	v_sub_f32_e32 v2, v5, v6
	v_add_co_u32 v0, s1, s16, v0
	v_add_co_ci_u32_e64 v1, null, s17, v1, s1
	v_sub_f32_e32 v3, v3, v2
	global_store_dword v[0:1], v3, off
	s_and_b32 exec_lo, exec_lo, vcc_lo
	s_cbranch_execz .LBB124_50
; %bb.35:
	v_sub_f32_e32 v3, v4, v2
	global_store_dword v[0:1], v3, off offset:128
	s_and_b32 exec_lo, exec_lo, s0
	s_cbranch_execz .LBB124_50
; %bb.36:
	v_sub_f32_e32 v3, v8, v2
	global_store_dword v[0:1], v3, off offset:256
	s_and_b32 exec_lo, exec_lo, s2
	;; [unrolled: 5-line block ×14, first 2 shown]
	s_cbranch_execz .LBB124_50
; %bb.49:
	v_sub_f32_e32 v2, v23, v2
	global_store_dword v[0:1], v2, off offset:1920
.LBB124_50:
	s_endpgm
	.section	.rodata,"a",@progbits
	.p2align	6, 0x0
	.amdhsa_kernel _ZN12_GLOBAL__N_120softmax_warp_forwardIN3c104HalfEffLi9ELb1ELb0ELi32EEEvPT0_PKT_iiiPKbib
		.amdhsa_group_segment_fixed_size 0
		.amdhsa_private_segment_fixed_size 0
		.amdhsa_kernarg_size 304
		.amdhsa_user_sgpr_count 6
		.amdhsa_user_sgpr_private_segment_buffer 1
		.amdhsa_user_sgpr_dispatch_ptr 0
		.amdhsa_user_sgpr_queue_ptr 0
		.amdhsa_user_sgpr_kernarg_segment_ptr 1
		.amdhsa_user_sgpr_dispatch_id 0
		.amdhsa_user_sgpr_flat_scratch_init 0
		.amdhsa_user_sgpr_private_segment_size 0
		.amdhsa_wavefront_size32 1
		.amdhsa_uses_dynamic_stack 0
		.amdhsa_system_sgpr_private_segment_wavefront_offset 0
		.amdhsa_system_sgpr_workgroup_id_x 1
		.amdhsa_system_sgpr_workgroup_id_y 0
		.amdhsa_system_sgpr_workgroup_id_z 0
		.amdhsa_system_sgpr_workgroup_info 0
		.amdhsa_system_vgpr_workitem_id 1
		.amdhsa_next_free_vgpr 62
		.amdhsa_next_free_sgpr 24
		.amdhsa_reserve_vcc 1
		.amdhsa_reserve_flat_scratch 0
		.amdhsa_float_round_mode_32 0
		.amdhsa_float_round_mode_16_64 0
		.amdhsa_float_denorm_mode_32 3
		.amdhsa_float_denorm_mode_16_64 3
		.amdhsa_dx10_clamp 1
		.amdhsa_ieee_mode 1
		.amdhsa_fp16_overflow 0
		.amdhsa_workgroup_processor_mode 1
		.amdhsa_memory_ordered 1
		.amdhsa_forward_progress 1
		.amdhsa_shared_vgpr_count 0
		.amdhsa_exception_fp_ieee_invalid_op 0
		.amdhsa_exception_fp_denorm_src 0
		.amdhsa_exception_fp_ieee_div_zero 0
		.amdhsa_exception_fp_ieee_overflow 0
		.amdhsa_exception_fp_ieee_underflow 0
		.amdhsa_exception_fp_ieee_inexact 0
		.amdhsa_exception_int_div_zero 0
	.end_amdhsa_kernel
	.section	.text._ZN12_GLOBAL__N_120softmax_warp_forwardIN3c104HalfEffLi9ELb1ELb0ELi32EEEvPT0_PKT_iiiPKbib,"axG",@progbits,_ZN12_GLOBAL__N_120softmax_warp_forwardIN3c104HalfEffLi9ELb1ELb0ELi32EEEvPT0_PKT_iiiPKbib,comdat
.Lfunc_end124:
	.size	_ZN12_GLOBAL__N_120softmax_warp_forwardIN3c104HalfEffLi9ELb1ELb0ELi32EEEvPT0_PKT_iiiPKbib, .Lfunc_end124-_ZN12_GLOBAL__N_120softmax_warp_forwardIN3c104HalfEffLi9ELb1ELb0ELi32EEEvPT0_PKT_iiiPKbib
                                        ; -- End function
	.set _ZN12_GLOBAL__N_120softmax_warp_forwardIN3c104HalfEffLi9ELb1ELb0ELi32EEEvPT0_PKT_iiiPKbib.num_vgpr, 62
	.set _ZN12_GLOBAL__N_120softmax_warp_forwardIN3c104HalfEffLi9ELb1ELb0ELi32EEEvPT0_PKT_iiiPKbib.num_agpr, 0
	.set _ZN12_GLOBAL__N_120softmax_warp_forwardIN3c104HalfEffLi9ELb1ELb0ELi32EEEvPT0_PKT_iiiPKbib.numbered_sgpr, 24
	.set _ZN12_GLOBAL__N_120softmax_warp_forwardIN3c104HalfEffLi9ELb1ELb0ELi32EEEvPT0_PKT_iiiPKbib.num_named_barrier, 0
	.set _ZN12_GLOBAL__N_120softmax_warp_forwardIN3c104HalfEffLi9ELb1ELb0ELi32EEEvPT0_PKT_iiiPKbib.private_seg_size, 0
	.set _ZN12_GLOBAL__N_120softmax_warp_forwardIN3c104HalfEffLi9ELb1ELb0ELi32EEEvPT0_PKT_iiiPKbib.uses_vcc, 1
	.set _ZN12_GLOBAL__N_120softmax_warp_forwardIN3c104HalfEffLi9ELb1ELb0ELi32EEEvPT0_PKT_iiiPKbib.uses_flat_scratch, 0
	.set _ZN12_GLOBAL__N_120softmax_warp_forwardIN3c104HalfEffLi9ELb1ELb0ELi32EEEvPT0_PKT_iiiPKbib.has_dyn_sized_stack, 0
	.set _ZN12_GLOBAL__N_120softmax_warp_forwardIN3c104HalfEffLi9ELb1ELb0ELi32EEEvPT0_PKT_iiiPKbib.has_recursion, 0
	.set _ZN12_GLOBAL__N_120softmax_warp_forwardIN3c104HalfEffLi9ELb1ELb0ELi32EEEvPT0_PKT_iiiPKbib.has_indirect_call, 0
	.section	.AMDGPU.csdata,"",@progbits
; Kernel info:
; codeLenInByte = 3736
; TotalNumSgprs: 26
; NumVgprs: 62
; ScratchSize: 0
; MemoryBound: 0
; FloatMode: 240
; IeeeMode: 1
; LDSByteSize: 0 bytes/workgroup (compile time only)
; SGPRBlocks: 0
; VGPRBlocks: 7
; NumSGPRsForWavesPerEU: 26
; NumVGPRsForWavesPerEU: 62
; Occupancy: 16
; WaveLimiterHint : 0
; COMPUTE_PGM_RSRC2:SCRATCH_EN: 0
; COMPUTE_PGM_RSRC2:USER_SGPR: 6
; COMPUTE_PGM_RSRC2:TRAP_HANDLER: 0
; COMPUTE_PGM_RSRC2:TGID_X_EN: 1
; COMPUTE_PGM_RSRC2:TGID_Y_EN: 0
; COMPUTE_PGM_RSRC2:TGID_Z_EN: 0
; COMPUTE_PGM_RSRC2:TIDIG_COMP_CNT: 1
	.section	.text._ZN12_GLOBAL__N_120softmax_warp_forwardIN3c104HalfEffLi10ELb1ELb0ELi64EEEvPT0_PKT_iiiPKbib,"axG",@progbits,_ZN12_GLOBAL__N_120softmax_warp_forwardIN3c104HalfEffLi10ELb1ELb0ELi64EEEvPT0_PKT_iiiPKbib,comdat
	.globl	_ZN12_GLOBAL__N_120softmax_warp_forwardIN3c104HalfEffLi10ELb1ELb0ELi64EEEvPT0_PKT_iiiPKbib ; -- Begin function _ZN12_GLOBAL__N_120softmax_warp_forwardIN3c104HalfEffLi10ELb1ELb0ELi64EEEvPT0_PKT_iiiPKbib
	.p2align	8
	.type	_ZN12_GLOBAL__N_120softmax_warp_forwardIN3c104HalfEffLi10ELb1ELb0ELi64EEEvPT0_PKT_iiiPKbib,@function
_ZN12_GLOBAL__N_120softmax_warp_forwardIN3c104HalfEffLi10ELb1ELb0ELi64EEEvPT0_PKT_iiiPKbib: ; @_ZN12_GLOBAL__N_120softmax_warp_forwardIN3c104HalfEffLi10ELb1ELb0ELi64EEEvPT0_PKT_iiiPKbib
; %bb.0:
	s_clause 0x1
	s_load_dword s0, s[4:5], 0x3c
	s_load_dwordx8 s[16:23], s[4:5], 0x0
	v_mov_b32_e32 v6, 0xff800000
	v_mov_b32_e32 v9, 0xff800000
	s_waitcnt lgkmcnt(0)
	s_lshr_b32 s0, s0, 16
	v_cmp_gt_i32_e64 s1, s22, v0
	v_mad_u64_u32 v[3:4], null, s6, s0, v[1:2]
	v_mad_u64_u32 v[1:2], null, v3, s21, v[0:1]
	v_sub_nc_u32_e32 v5, s20, v3
	v_cmp_lt_i32_e64 s15, 0, v5
	v_ashrrev_i32_e32 v2, 31, v1
	s_and_b32 s2, s15, s1
	v_lshlrev_b64 v[3:4], 1, v[1:2]
	v_add_co_u32 v3, vcc_lo, s18, v3
	v_add_co_ci_u32_e64 v4, null, s19, v4, vcc_lo
	s_and_saveexec_b32 s0, s2
	s_cbranch_execz .LBB125_2
; %bb.1:
	global_load_ushort v7, v[3:4], off
	s_waitcnt vmcnt(0)
	v_cvt_f32_f16_e32 v9, v7
.LBB125_2:
	s_or_b32 exec_lo, exec_lo, s0
	v_add_nc_u32_e32 v7, 64, v0
	v_cmp_gt_i32_e32 vcc_lo, s22, v7
	s_and_b32 s2, s15, vcc_lo
	s_and_saveexec_b32 s0, s2
	s_cbranch_execz .LBB125_4
; %bb.3:
	global_load_ushort v6, v[3:4], off offset:128
	s_waitcnt vmcnt(0)
	v_cvt_f32_f16_e32 v6, v6
.LBB125_4:
	s_or_b32 exec_lo, exec_lo, s0
	v_add_nc_u32_e32 v7, 0x80, v0
	v_mov_b32_e32 v11, 0xff800000
	v_mov_b32_e32 v13, 0xff800000
	v_cmp_gt_i32_e64 s0, s22, v7
	s_and_b32 s3, s15, s0
	s_and_saveexec_b32 s2, s3
	s_cbranch_execz .LBB125_6
; %bb.5:
	global_load_ushort v7, v[3:4], off offset:256
	s_waitcnt vmcnt(0)
	v_cvt_f32_f16_e32 v13, v7
.LBB125_6:
	s_or_b32 exec_lo, exec_lo, s2
	v_add_nc_u32_e32 v7, 0xc0, v0
	v_cmp_gt_i32_e64 s2, s22, v7
	s_and_b32 s4, s15, s2
	s_and_saveexec_b32 s3, s4
	s_cbranch_execz .LBB125_8
; %bb.7:
	global_load_ushort v7, v[3:4], off offset:384
	s_waitcnt vmcnt(0)
	v_cvt_f32_f16_e32 v11, v7
.LBB125_8:
	s_or_b32 exec_lo, exec_lo, s3
	v_add_nc_u32_e32 v7, 0x100, v0
	v_mov_b32_e32 v14, 0xff800000
	v_mov_b32_e32 v15, 0xff800000
	v_cmp_gt_i32_e64 s3, s22, v7
	s_and_b32 s5, s15, s3
	s_and_saveexec_b32 s4, s5
	s_cbranch_execz .LBB125_10
; %bb.9:
	global_load_ushort v7, v[3:4], off offset:512
	s_waitcnt vmcnt(0)
	v_cvt_f32_f16_e32 v15, v7
.LBB125_10:
	s_or_b32 exec_lo, exec_lo, s4
	v_add_nc_u32_e32 v7, 0x140, v0
	v_cmp_gt_i32_e64 s4, s22, v7
	s_and_b32 s6, s15, s4
	;; [unrolled: 24-line block ×7, first 2 shown]
	s_and_saveexec_b32 s15, s18
	s_cbranch_execz .LBB125_32
; %bb.31:
	global_load_ushort v0, v[3:4], off offset:1920
	s_waitcnt vmcnt(0)
	v_cvt_f32_f16_e32 v24, v0
.LBB125_32:
	s_or_b32 exec_lo, exec_lo, s15
	v_cmp_gt_f32_e64 s15, v9, v6
	v_mbcnt_lo_u32_b32 v3, -1, 0
	s_mov_b32 s18, exec_lo
	v_cndmask_b32_e64 v0, v6, v9, s15
	v_or_b32_e32 v4, 32, v3
	v_cmp_gt_f32_e64 s15, v0, v13
	v_cndmask_b32_e64 v0, v13, v0, s15
	v_cmp_gt_f32_e64 s15, v0, v11
	v_cndmask_b32_e64 v0, v11, v0, s15
	;; [unrolled: 2-line block ×12, first 2 shown]
	v_cmp_gt_i32_e64 s15, 64, v4
	v_cndmask_b32_e64 v4, v3, v4, s15
	v_cmp_gt_f32_e64 s15, v0, v25
	v_cndmask_b32_e64 v7, v25, v0, s15
	v_lshlrev_b32_e32 v0, 2, v4
	v_xor_b32_e32 v4, 16, v3
	v_cmp_gt_f32_e64 s15, v7, v24
	v_cndmask_b32_e64 v7, v24, v7, s15
	v_cmp_gt_i32_e64 s15, 64, v4
	ds_bpermute_b32 v8, v0, v7
	v_cndmask_b32_e64 v4, v3, v4, s15
	v_lshlrev_b32_e32 v4, 2, v4
	s_waitcnt lgkmcnt(0)
	v_cmp_lt_f32_e64 s15, v7, v8
	v_cndmask_b32_e64 v8, v7, v8, s15
	v_xor_b32_e32 v7, 8, v3
	ds_bpermute_b32 v10, v4, v8
	v_cmp_gt_i32_e64 s15, 64, v7
	v_cndmask_b32_e64 v7, v3, v7, s15
	v_lshlrev_b32_e32 v7, 2, v7
	s_waitcnt lgkmcnt(0)
	v_cmp_lt_f32_e64 s15, v8, v10
	v_cndmask_b32_e64 v10, v8, v10, s15
	v_xor_b32_e32 v8, 4, v3
	ds_bpermute_b32 v12, v7, v10
	v_cmp_gt_i32_e64 s15, 64, v8
	;; [unrolled: 8-line block ×4, first 2 shown]
	v_cndmask_b32_e64 v3, v3, v12, s15
	v_lshlrev_b32_e32 v12, 2, v3
	s_waitcnt lgkmcnt(0)
	v_cmp_lt_f32_e64 s15, v26, v27
	v_cndmask_b32_e64 v3, v26, v27, s15
	ds_bpermute_b32 v26, v12, v3
	s_waitcnt lgkmcnt(0)
	v_cmp_lt_f32_e64 s15, v3, v26
	v_cndmask_b32_e64 v26, v3, v26, s15
	v_sub_f32_e32 v3, v9, v26
	v_sub_f32_e32 v6, v6, v26
	;; [unrolled: 1-line block ×9, first 2 shown]
	v_mul_f32_e32 v25, 0x3fb8aa3b, v3
	v_sub_f32_e32 v11, v11, v26
	v_sub_f32_e32 v14, v14, v26
	;; [unrolled: 1-line block ×7, first 2 shown]
	v_mul_f32_e32 v26, 0x3fb8aa3b, v6
	v_fma_f32 v41, 0x3fb8aa3b, v3, -v25
	v_rndne_f32_e32 v42, v25
	v_mul_f32_e32 v27, 0x3fb8aa3b, v9
	v_mul_f32_e32 v28, 0x3fb8aa3b, v11
	v_fma_f32 v43, 0x3fb8aa3b, v6, -v26
	v_rndne_f32_e32 v44, v26
	v_fmac_f32_e32 v41, 0x32a5705f, v3
	v_sub_f32_e32 v25, v25, v42
	v_fma_f32 v45, 0x3fb8aa3b, v9, -v27
	v_rndne_f32_e32 v46, v27
	v_fmac_f32_e32 v43, 0x32a5705f, v6
	v_sub_f32_e32 v26, v26, v44
	v_add_f32_e32 v25, v25, v41
	v_fmac_f32_e32 v45, 0x32a5705f, v9
	v_sub_f32_e32 v27, v27, v46
	v_cvt_i32_f32_e32 v42, v42
	v_add_f32_e32 v26, v26, v43
	v_exp_f32_e32 v25, v25
	v_fma_f32 v47, 0x3fb8aa3b, v11, -v28
	v_add_f32_e32 v27, v27, v45
	v_rndne_f32_e32 v48, v28
	v_exp_f32_e32 v26, v26
	v_cvt_i32_f32_e32 v44, v44
	v_cmp_ngt_f32_e64 s15, 0xc2ce8ed0, v3
	v_exp_f32_e32 v27, v27
	v_mul_f32_e32 v29, 0x3fb8aa3b, v13
	v_fmac_f32_e32 v47, 0x32a5705f, v11
	v_ldexp_f32 v25, v25, v42
	v_sub_f32_e32 v28, v28, v48
	v_cvt_i32_f32_e32 v46, v46
	v_fma_f32 v49, 0x3fb8aa3b, v13, -v29
	v_ldexp_f32 v26, v26, v44
	v_cndmask_b32_e64 v25, 0, v25, s15
	v_cmp_ngt_f32_e64 s15, 0xc2ce8ed0, v6
	v_rndne_f32_e32 v50, v29
	v_add_f32_e32 v28, v28, v47
	v_ldexp_f32 v27, v27, v46
	v_mul_f32_e32 v30, 0x3fb8aa3b, v14
	v_cndmask_b32_e64 v26, 0, v26, s15
	v_cmp_ngt_f32_e64 s15, 0xc2ce8ed0, v9
	v_fmac_f32_e32 v49, 0x32a5705f, v13
	v_sub_f32_e32 v29, v29, v50
	v_exp_f32_e32 v28, v28
	v_fma_f32 v51, 0x3fb8aa3b, v14, -v30
	v_cndmask_b32_e64 v27, 0, v27, s15
	v_cmp_nlt_f32_e64 s15, 0x42b17218, v3
	v_rndne_f32_e32 v52, v30
	v_add_f32_e32 v29, v29, v49
	v_cvt_i32_f32_e32 v48, v48
	v_mul_f32_e32 v31, 0x3fb8aa3b, v15
	v_cndmask_b32_e64 v25, 0x7f800000, v25, s15
	v_cmp_nlt_f32_e64 s15, 0x42b17218, v6
	v_fmac_f32_e32 v51, 0x32a5705f, v14
	v_sub_f32_e32 v30, v30, v52
	v_exp_f32_e32 v29, v29
	v_ldexp_f32 v28, v28, v48
	v_cndmask_b32_e64 v26, 0x7f800000, v26, s15
	v_cmp_ngt_f32_e64 s15, 0xc2ce8ed0, v11
	v_fma_f32 v53, 0x3fb8aa3b, v15, -v31
	v_rndne_f32_e32 v54, v31
	v_add_f32_e32 v30, v30, v51
	v_cvt_i32_f32_e32 v50, v50
	v_cndmask_b32_e64 v28, 0, v28, s15
	v_cmp_nlt_f32_e64 s15, 0x42b17218, v9
	v_mul_f32_e32 v32, 0x3fb8aa3b, v16
	v_fmac_f32_e32 v53, 0x32a5705f, v15
	v_sub_f32_e32 v31, v31, v54
	v_exp_f32_e32 v30, v30
	v_ldexp_f32 v29, v29, v50
	v_cndmask_b32_e64 v27, 0x7f800000, v27, s15
	v_cmp_ngt_f32_e64 s15, 0xc2ce8ed0, v13
	v_fma_f32 v55, 0x3fb8aa3b, v16, -v32
	v_rndne_f32_e32 v56, v32
	v_add_f32_e32 v31, v31, v53
	v_cvt_i32_f32_e32 v52, v52
	v_add_f32_e32 v25, v25, v26
	v_cndmask_b32_e64 v26, 0, v29, s15
	v_cmp_nlt_f32_e64 s15, 0x42b17218, v11
	v_mul_f32_e32 v33, 0x3fb8aa3b, v17
	v_fmac_f32_e32 v55, 0x32a5705f, v16
	v_sub_f32_e32 v32, v32, v56
	v_exp_f32_e32 v31, v31
	v_ldexp_f32 v30, v30, v52
	v_cndmask_b32_e64 v28, 0x7f800000, v28, s15
	v_cmp_ngt_f32_e64 s15, 0xc2ce8ed0, v14
	v_fma_f32 v57, 0x3fb8aa3b, v17, -v33
	v_rndne_f32_e32 v58, v33
	v_add_f32_e32 v32, v32, v55
	v_cvt_i32_f32_e32 v54, v54
	v_add_f32_e32 v25, v25, v27
	;; [unrolled: 14-line block ×5, first 2 shown]
	v_cndmask_b32_e64 v27, 0, v33, s15
	v_cmp_nlt_f32_e64 s15, 0x42b17218, v16
	v_mul_f32_e32 v37, 0x3fb8aa3b, v21
	v_fmac_f32_e32 v43, 0x32a5705f, v20
	v_sub_f32_e32 v36, v36, v45
	v_exp_f32_e32 v35, v35
	v_ldexp_f32 v34, v34, v60
	v_cndmask_b32_e64 v26, 0x7f800000, v26, s15
	v_cmp_ngt_f32_e64 s15, 0xc2ce8ed0, v18
	v_fma_f32 v47, 0x3fb8aa3b, v21, -v37
	v_rndne_f32_e32 v49, v37
	v_cvt_i32_f32_e32 v41, v41
	v_add_f32_e32 v36, v36, v43
	v_add_f32_e32 v25, v25, v28
	v_cndmask_b32_e64 v28, 0, v34, s15
	v_cmp_nlt_f32_e64 s15, 0x42b17218, v17
	v_mul_f32_e32 v38, 0x3fb8aa3b, v22
	v_fmac_f32_e32 v47, 0x32a5705f, v21
	v_sub_f32_e32 v37, v37, v49
	v_exp_f32_e32 v36, v36
	v_ldexp_f32 v35, v35, v41
	v_cndmask_b32_e64 v27, 0x7f800000, v27, s15
	v_cmp_ngt_f32_e64 s15, 0xc2ce8ed0, v19
	v_fma_f32 v51, 0x3fb8aa3b, v22, -v38
	v_rndne_f32_e32 v53, v38
	v_cvt_i32_f32_e32 v45, v45
	v_add_f32_e32 v37, v37, v47
	v_add_f32_e32 v25, v25, v26
	;; [unrolled: 14-line block ×3, first 2 shown]
	v_cndmask_b32_e64 v27, 0, v36, s15
	v_cmp_nlt_f32_e64 s15, 0x42b17218, v19
	v_fmac_f32_e32 v55, 0x32a5705f, v23
	v_sub_f32_e32 v39, v39, v57
	v_exp_f32_e32 v38, v38
	v_ldexp_f32 v37, v37, v49
	v_cndmask_b32_e64 v26, 0x7f800000, v26, s15
	v_cmp_ngt_f32_e64 s15, 0xc2ce8ed0, v21
	v_mul_f32_e32 v40, 0x3fb8aa3b, v24
	v_cvt_i32_f32_e32 v53, v53
	v_add_f32_e32 v39, v39, v55
	v_add_f32_e32 v25, v25, v28
	v_cndmask_b32_e64 v28, 0, v37, s15
	v_cmp_nlt_f32_e64 s15, 0x42b17218, v20
	v_fma_f32 v59, 0x3fb8aa3b, v24, -v40
	v_rndne_f32_e32 v61, v40
	v_exp_f32_e32 v39, v39
	v_ldexp_f32 v38, v38, v53
	v_cndmask_b32_e64 v27, 0x7f800000, v27, s15
	v_cmp_ngt_f32_e64 s15, 0xc2ce8ed0, v22
	v_cvt_i32_f32_e32 v57, v57
	v_fmac_f32_e32 v59, 0x32a5705f, v24
	v_sub_f32_e32 v40, v40, v61
	v_add_f32_e32 v25, v25, v26
	v_cndmask_b32_e64 v26, 0, v38, s15
	v_cmp_nlt_f32_e64 s15, 0x42b17218, v21
	v_ldexp_f32 v39, v39, v57
	v_add_f32_e32 v40, v40, v59
	v_add_f32_e32 v25, v25, v27
	v_cvt_i32_f32_e32 v61, v61
	v_cndmask_b32_e64 v28, 0x7f800000, v28, s15
	v_cmp_ngt_f32_e64 s15, 0xc2ce8ed0, v23
	v_exp_f32_e32 v40, v40
	v_add_f32_e32 v25, v25, v28
	v_cndmask_b32_e64 v27, 0, v39, s15
	v_cmp_nlt_f32_e64 s15, 0x42b17218, v22
	v_cndmask_b32_e64 v26, 0x7f800000, v26, s15
	v_cmp_nlt_f32_e64 s15, 0x42b17218, v23
	v_ldexp_f32 v28, v40, v61
	v_add_f32_e32 v25, v25, v26
	v_cndmask_b32_e64 v27, 0x7f800000, v27, s15
	v_cmp_ngt_f32_e64 s15, 0xc2ce8ed0, v24
	v_add_f32_e32 v25, v25, v27
	v_cndmask_b32_e64 v26, 0, v28, s15
	v_cmp_nlt_f32_e64 s15, 0x42b17218, v24
	v_cndmask_b32_e64 v26, 0x7f800000, v26, s15
	v_add_f32_e32 v25, v25, v26
	ds_bpermute_b32 v0, v0, v25
	s_waitcnt lgkmcnt(0)
	v_add_f32_e32 v0, v25, v0
	ds_bpermute_b32 v4, v4, v0
	s_waitcnt lgkmcnt(0)
	;; [unrolled: 3-line block ×5, first 2 shown]
	v_add_f32_e32 v0, v0, v4
	ds_bpermute_b32 v4, v12, v0
	v_cmpx_lt_i32_e32 0, v5
	s_cbranch_execz .LBB125_50
; %bb.33:
	s_and_b32 exec_lo, exec_lo, s1
	s_cbranch_execz .LBB125_50
; %bb.34:
	s_waitcnt lgkmcnt(0)
	v_add_f32_e32 v0, v0, v4
	v_cmp_gt_f32_e64 s1, 0x800000, v0
	v_cndmask_b32_e64 v4, 0, 32, s1
	v_cndmask_b32_e64 v5, 0, 0x41b17218, s1
	v_ldexp_f32 v0, v0, v4
	v_log_f32_e32 v0, v0
	v_mul_f32_e32 v4, 0x3f317217, v0
	v_cmp_gt_f32_e64 s15, 0x7f800000, |v0|
	v_fma_f32 v4, 0x3f317217, v0, -v4
	v_fmamk_f32 v4, v0, 0x3377d1cf, v4
	v_fmac_f32_e32 v4, 0x3f317217, v0
	v_cndmask_b32_e64 v4, v0, v4, s15
	v_lshlrev_b64 v[0:1], 2, v[1:2]
	v_sub_f32_e32 v2, v4, v5
	v_add_co_u32 v0, s1, s16, v0
	v_add_co_ci_u32_e64 v1, null, s17, v1, s1
	v_sub_f32_e32 v3, v3, v2
	global_store_dword v[0:1], v3, off
	s_and_b32 exec_lo, exec_lo, vcc_lo
	s_cbranch_execz .LBB125_50
; %bb.35:
	v_sub_f32_e32 v3, v6, v2
	global_store_dword v[0:1], v3, off offset:256
	s_and_b32 exec_lo, exec_lo, s0
	s_cbranch_execz .LBB125_50
; %bb.36:
	v_sub_f32_e32 v3, v9, v2
	global_store_dword v[0:1], v3, off offset:512
	s_and_b32 exec_lo, exec_lo, s2
	;; [unrolled: 5-line block ×7, first 2 shown]
	s_cbranch_execz .LBB125_50
; %bb.42:
	v_add_co_u32 v0, vcc_lo, 0x800, v0
	v_sub_f32_e32 v3, v17, v2
	v_add_co_ci_u32_e64 v1, null, 0, v1, vcc_lo
	global_store_dword v[0:1], v3, off
	s_and_b32 exec_lo, exec_lo, s8
	s_cbranch_execz .LBB125_50
; %bb.43:
	v_sub_f32_e32 v3, v18, v2
	global_store_dword v[0:1], v3, off offset:256
	s_and_b32 exec_lo, exec_lo, s9
	s_cbranch_execz .LBB125_50
; %bb.44:
	v_sub_f32_e32 v3, v19, v2
	global_store_dword v[0:1], v3, off offset:512
	s_and_b32 exec_lo, exec_lo, s10
	s_cbranch_execz .LBB125_50
; %bb.45:
	v_sub_f32_e32 v3, v20, v2
	global_store_dword v[0:1], v3, off offset:768
	s_and_b32 exec_lo, exec_lo, s11
	s_cbranch_execz .LBB125_50
; %bb.46:
	v_sub_f32_e32 v3, v21, v2
	global_store_dword v[0:1], v3, off offset:1024
	s_and_b32 exec_lo, exec_lo, s12
	s_cbranch_execz .LBB125_50
; %bb.47:
	v_sub_f32_e32 v3, v22, v2
	global_store_dword v[0:1], v3, off offset:1280
	s_and_b32 exec_lo, exec_lo, s13
	s_cbranch_execz .LBB125_50
; %bb.48:
	v_sub_f32_e32 v3, v23, v2
	global_store_dword v[0:1], v3, off offset:1536
	s_and_b32 exec_lo, exec_lo, s14
	s_cbranch_execz .LBB125_50
; %bb.49:
	v_sub_f32_e32 v2, v24, v2
	global_store_dword v[0:1], v2, off offset:1792
.LBB125_50:
	s_endpgm
	.section	.rodata,"a",@progbits
	.p2align	6, 0x0
	.amdhsa_kernel _ZN12_GLOBAL__N_120softmax_warp_forwardIN3c104HalfEffLi10ELb1ELb0ELi64EEEvPT0_PKT_iiiPKbib
		.amdhsa_group_segment_fixed_size 0
		.amdhsa_private_segment_fixed_size 0
		.amdhsa_kernarg_size 304
		.amdhsa_user_sgpr_count 6
		.amdhsa_user_sgpr_private_segment_buffer 1
		.amdhsa_user_sgpr_dispatch_ptr 0
		.amdhsa_user_sgpr_queue_ptr 0
		.amdhsa_user_sgpr_kernarg_segment_ptr 1
		.amdhsa_user_sgpr_dispatch_id 0
		.amdhsa_user_sgpr_flat_scratch_init 0
		.amdhsa_user_sgpr_private_segment_size 0
		.amdhsa_wavefront_size32 1
		.amdhsa_uses_dynamic_stack 0
		.amdhsa_system_sgpr_private_segment_wavefront_offset 0
		.amdhsa_system_sgpr_workgroup_id_x 1
		.amdhsa_system_sgpr_workgroup_id_y 0
		.amdhsa_system_sgpr_workgroup_id_z 0
		.amdhsa_system_sgpr_workgroup_info 0
		.amdhsa_system_vgpr_workitem_id 1
		.amdhsa_next_free_vgpr 62
		.amdhsa_next_free_sgpr 24
		.amdhsa_reserve_vcc 1
		.amdhsa_reserve_flat_scratch 0
		.amdhsa_float_round_mode_32 0
		.amdhsa_float_round_mode_16_64 0
		.amdhsa_float_denorm_mode_32 3
		.amdhsa_float_denorm_mode_16_64 3
		.amdhsa_dx10_clamp 1
		.amdhsa_ieee_mode 1
		.amdhsa_fp16_overflow 0
		.amdhsa_workgroup_processor_mode 1
		.amdhsa_memory_ordered 1
		.amdhsa_forward_progress 1
		.amdhsa_shared_vgpr_count 0
		.amdhsa_exception_fp_ieee_invalid_op 0
		.amdhsa_exception_fp_denorm_src 0
		.amdhsa_exception_fp_ieee_div_zero 0
		.amdhsa_exception_fp_ieee_overflow 0
		.amdhsa_exception_fp_ieee_underflow 0
		.amdhsa_exception_fp_ieee_inexact 0
		.amdhsa_exception_int_div_zero 0
	.end_amdhsa_kernel
	.section	.text._ZN12_GLOBAL__N_120softmax_warp_forwardIN3c104HalfEffLi10ELb1ELb0ELi64EEEvPT0_PKT_iiiPKbib,"axG",@progbits,_ZN12_GLOBAL__N_120softmax_warp_forwardIN3c104HalfEffLi10ELb1ELb0ELi64EEEvPT0_PKT_iiiPKbib,comdat
.Lfunc_end125:
	.size	_ZN12_GLOBAL__N_120softmax_warp_forwardIN3c104HalfEffLi10ELb1ELb0ELi64EEEvPT0_PKT_iiiPKbib, .Lfunc_end125-_ZN12_GLOBAL__N_120softmax_warp_forwardIN3c104HalfEffLi10ELb1ELb0ELi64EEEvPT0_PKT_iiiPKbib
                                        ; -- End function
	.set _ZN12_GLOBAL__N_120softmax_warp_forwardIN3c104HalfEffLi10ELb1ELb0ELi64EEEvPT0_PKT_iiiPKbib.num_vgpr, 62
	.set _ZN12_GLOBAL__N_120softmax_warp_forwardIN3c104HalfEffLi10ELb1ELb0ELi64EEEvPT0_PKT_iiiPKbib.num_agpr, 0
	.set _ZN12_GLOBAL__N_120softmax_warp_forwardIN3c104HalfEffLi10ELb1ELb0ELi64EEEvPT0_PKT_iiiPKbib.numbered_sgpr, 24
	.set _ZN12_GLOBAL__N_120softmax_warp_forwardIN3c104HalfEffLi10ELb1ELb0ELi64EEEvPT0_PKT_iiiPKbib.num_named_barrier, 0
	.set _ZN12_GLOBAL__N_120softmax_warp_forwardIN3c104HalfEffLi10ELb1ELb0ELi64EEEvPT0_PKT_iiiPKbib.private_seg_size, 0
	.set _ZN12_GLOBAL__N_120softmax_warp_forwardIN3c104HalfEffLi10ELb1ELb0ELi64EEEvPT0_PKT_iiiPKbib.uses_vcc, 1
	.set _ZN12_GLOBAL__N_120softmax_warp_forwardIN3c104HalfEffLi10ELb1ELb0ELi64EEEvPT0_PKT_iiiPKbib.uses_flat_scratch, 0
	.set _ZN12_GLOBAL__N_120softmax_warp_forwardIN3c104HalfEffLi10ELb1ELb0ELi64EEEvPT0_PKT_iiiPKbib.has_dyn_sized_stack, 0
	.set _ZN12_GLOBAL__N_120softmax_warp_forwardIN3c104HalfEffLi10ELb1ELb0ELi64EEEvPT0_PKT_iiiPKbib.has_recursion, 0
	.set _ZN12_GLOBAL__N_120softmax_warp_forwardIN3c104HalfEffLi10ELb1ELb0ELi64EEEvPT0_PKT_iiiPKbib.has_indirect_call, 0
	.section	.AMDGPU.csdata,"",@progbits
; Kernel info:
; codeLenInByte = 3828
; TotalNumSgprs: 26
; NumVgprs: 62
; ScratchSize: 0
; MemoryBound: 0
; FloatMode: 240
; IeeeMode: 1
; LDSByteSize: 0 bytes/workgroup (compile time only)
; SGPRBlocks: 0
; VGPRBlocks: 7
; NumSGPRsForWavesPerEU: 26
; NumVGPRsForWavesPerEU: 62
; Occupancy: 16
; WaveLimiterHint : 0
; COMPUTE_PGM_RSRC2:SCRATCH_EN: 0
; COMPUTE_PGM_RSRC2:USER_SGPR: 6
; COMPUTE_PGM_RSRC2:TRAP_HANDLER: 0
; COMPUTE_PGM_RSRC2:TGID_X_EN: 1
; COMPUTE_PGM_RSRC2:TGID_Y_EN: 0
; COMPUTE_PGM_RSRC2:TGID_Z_EN: 0
; COMPUTE_PGM_RSRC2:TIDIG_COMP_CNT: 1
	.section	.text._ZN12_GLOBAL__N_120softmax_warp_forwardIN3c104HalfEffLi10ELb1ELb0ELi32EEEvPT0_PKT_iiiPKbib,"axG",@progbits,_ZN12_GLOBAL__N_120softmax_warp_forwardIN3c104HalfEffLi10ELb1ELb0ELi32EEEvPT0_PKT_iiiPKbib,comdat
	.globl	_ZN12_GLOBAL__N_120softmax_warp_forwardIN3c104HalfEffLi10ELb1ELb0ELi32EEEvPT0_PKT_iiiPKbib ; -- Begin function _ZN12_GLOBAL__N_120softmax_warp_forwardIN3c104HalfEffLi10ELb1ELb0ELi32EEEvPT0_PKT_iiiPKbib
	.p2align	8
	.type	_ZN12_GLOBAL__N_120softmax_warp_forwardIN3c104HalfEffLi10ELb1ELb0ELi32EEEvPT0_PKT_iiiPKbib,@function
_ZN12_GLOBAL__N_120softmax_warp_forwardIN3c104HalfEffLi10ELb1ELb0ELi32EEEvPT0_PKT_iiiPKbib: ; @_ZN12_GLOBAL__N_120softmax_warp_forwardIN3c104HalfEffLi10ELb1ELb0ELi32EEEvPT0_PKT_iiiPKbib
; %bb.0:
	s_clause 0x1
	s_load_dword s0, s[4:5], 0x3c
	s_load_dwordx8 s[36:43], s[4:5], 0x0
	v_mov_b32_e32 v13, 0xff800000
	v_mov_b32_e32 v41, 0xff800000
	s_waitcnt lgkmcnt(0)
	s_lshr_b32 s0, s0, 16
	v_cmp_gt_i32_e64 s1, s42, v0
	v_mad_u64_u32 v[3:4], null, s6, s0, v[1:2]
	v_mad_u64_u32 v[1:2], null, v3, s41, v[0:1]
	v_sub_nc_u32_e32 v5, s40, v3
	v_cmp_lt_i32_e64 s31, 0, v5
	v_ashrrev_i32_e32 v2, 31, v1
	s_and_b32 s2, s31, s1
	v_lshlrev_b64 v[3:4], 1, v[1:2]
	v_add_co_u32 v3, vcc_lo, s38, v3
	v_add_co_ci_u32_e64 v4, null, s39, v4, vcc_lo
	s_and_saveexec_b32 s0, s2
	s_cbranch_execz .LBB126_2
; %bb.1:
	global_load_ushort v6, v[3:4], off
	s_waitcnt vmcnt(0)
	v_cvt_f32_f16_e32 v41, v6
.LBB126_2:
	s_or_b32 exec_lo, exec_lo, s0
	v_add_nc_u32_e32 v6, 32, v0
	v_cmp_gt_i32_e32 vcc_lo, s42, v6
	s_and_b32 s2, s31, vcc_lo
	s_and_saveexec_b32 s0, s2
	s_cbranch_execz .LBB126_4
; %bb.3:
	global_load_ushort v6, v[3:4], off offset:64
	s_waitcnt vmcnt(0)
	v_cvt_f32_f16_e32 v13, v6
.LBB126_4:
	s_or_b32 exec_lo, exec_lo, s0
	v_add_nc_u32_e32 v6, 64, v0
	v_mov_b32_e32 v18, 0xff800000
	v_mov_b32_e32 v15, 0xff800000
	v_cmp_gt_i32_e64 s0, s42, v6
	s_and_b32 s3, s31, s0
	s_and_saveexec_b32 s2, s3
	s_cbranch_execz .LBB126_6
; %bb.5:
	global_load_ushort v6, v[3:4], off offset:128
	s_waitcnt vmcnt(0)
	v_cvt_f32_f16_e32 v15, v6
.LBB126_6:
	s_or_b32 exec_lo, exec_lo, s2
	v_add_nc_u32_e32 v6, 0x60, v0
	v_cmp_gt_i32_e64 s2, s42, v6
	s_and_b32 s4, s31, s2
	s_and_saveexec_b32 s3, s4
	s_cbranch_execz .LBB126_8
; %bb.7:
	global_load_ushort v6, v[3:4], off offset:192
	s_waitcnt vmcnt(0)
	v_cvt_f32_f16_e32 v18, v6
.LBB126_8:
	s_or_b32 exec_lo, exec_lo, s3
	v_add_nc_u32_e32 v6, 0x80, v0
	v_mov_b32_e32 v23, 0xff800000
	v_mov_b32_e32 v19, 0xff800000
	v_cmp_gt_i32_e64 s3, s42, v6
	s_and_b32 s5, s31, s3
	s_and_saveexec_b32 s4, s5
	s_cbranch_execz .LBB126_10
; %bb.9:
	global_load_ushort v6, v[3:4], off offset:256
	s_waitcnt vmcnt(0)
	v_cvt_f32_f16_e32 v19, v6
.LBB126_10:
	s_or_b32 exec_lo, exec_lo, s4
	v_add_nc_u32_e32 v6, 0xa0, v0
	v_cmp_gt_i32_e64 s4, s42, v6
	s_and_b32 s6, s31, s4
	;; [unrolled: 24-line block ×14, first 2 shown]
	s_and_saveexec_b32 s29, s30
	s_cbranch_execz .LBB126_60
; %bb.59:
	global_load_ushort v6, v[3:4], off offset:1856
	s_waitcnt vmcnt(0)
	v_cvt_f32_f16_e32 v7, v6
.LBB126_60:
	s_or_b32 exec_lo, exec_lo, s29
	v_add_nc_u32_e32 v6, 0x3c0, v0
	v_mov_b32_e32 v8, 0xff800000
	v_cmp_gt_i32_e64 s29, s42, v6
	v_mov_b32_e32 v6, 0xff800000
	s_and_b32 s33, s31, s29
	s_and_saveexec_b32 s30, s33
	s_cbranch_execz .LBB126_62
; %bb.61:
	global_load_ushort v8, v[3:4], off offset:1920
	s_waitcnt vmcnt(0)
	v_cvt_f32_f16_e32 v8, v8
.LBB126_62:
	s_or_b32 exec_lo, exec_lo, s30
	v_add_nc_u32_e32 v0, 0x3e0, v0
	v_cmp_gt_i32_e64 s30, s42, v0
	s_and_b32 s33, s31, s30
	s_and_saveexec_b32 s31, s33
	s_cbranch_execz .LBB126_64
; %bb.63:
	global_load_ushort v0, v[3:4], off offset:1984
	s_waitcnt vmcnt(0)
	v_cvt_f32_f16_e32 v6, v0
.LBB126_64:
	s_or_b32 exec_lo, exec_lo, s31
	v_cmp_gt_f32_e64 s31, v41, v13
	v_mbcnt_lo_u32_b32 v14, -1, 0
	s_mov_b32 s33, exec_lo
	v_cndmask_b32_e64 v0, v13, v41, s31
	v_cmp_gt_f32_e64 s31, v0, v15
	v_cndmask_b32_e64 v0, v15, v0, s31
	v_cmp_gt_f32_e64 s31, v0, v18
	;; [unrolled: 2-line block ×30, first 2 shown]
	v_cndmask_b32_e64 v3, v6, v0, s31
	v_xor_b32_e32 v0, 16, v14
	v_cmp_gt_i32_e64 s31, 32, v0
	v_cndmask_b32_e64 v0, v14, v0, s31
	v_lshlrev_b32_e32 v0, 2, v0
	ds_bpermute_b32 v4, v0, v3
	s_waitcnt lgkmcnt(0)
	v_cmp_lt_f32_e64 s31, v3, v4
	v_cndmask_b32_e64 v3, v3, v4, s31
	v_xor_b32_e32 v4, 8, v14
	v_cmp_gt_i32_e64 s31, 32, v4
	v_cndmask_b32_e64 v4, v14, v4, s31
	v_lshlrev_b32_e32 v4, 2, v4
	ds_bpermute_b32 v10, v4, v3
	s_waitcnt lgkmcnt(0)
	v_cmp_lt_f32_e64 s31, v3, v10
	;; [unrolled: 8-line block ×5, first 2 shown]
	v_cndmask_b32_e64 v21, v3, v21, s31
	v_sub_f32_e32 v3, v41, v21
	v_sub_f32_e32 v13, v13, v21
	;; [unrolled: 1-line block ×5, first 2 shown]
	v_mul_f32_e32 v41, 0x3fb8aa3b, v3
	v_cmp_ngt_f32_e64 s31, 0xc2ce8ed0, v3
	v_sub_f32_e32 v23, v23, v21
	v_sub_f32_e32 v24, v24, v21
	;; [unrolled: 1-line block ×3, first 2 shown]
	v_fma_f32 v42, 0x3fb8aa3b, v3, -v41
	v_rndne_f32_e32 v43, v41
	v_sub_f32_e32 v26, v26, v21
	v_sub_f32_e32 v27, v27, v21
	;; [unrolled: 1-line block ×3, first 2 shown]
	v_fmac_f32_e32 v42, 0x32a5705f, v3
	v_sub_f32_e32 v41, v41, v43
	v_sub_f32_e32 v31, v31, v21
	;; [unrolled: 1-line block ×5, first 2 shown]
	v_add_f32_e32 v41, v41, v42
	v_cvt_i32_f32_e32 v42, v43
	v_sub_f32_e32 v38, v38, v21
	v_sub_f32_e32 v40, v40, v21
	;; [unrolled: 1-line block ×3, first 2 shown]
	v_exp_f32_e32 v41, v41
	v_sub_f32_e32 v37, v37, v21
	v_sub_f32_e32 v32, v32, v21
	;; [unrolled: 1-line block ×9, first 2 shown]
	v_ldexp_f32 v41, v41, v42
	v_mul_f32_e32 v42, 0x3fb8aa3b, v13
	v_sub_f32_e32 v11, v11, v21
	v_sub_f32_e32 v9, v9, v21
	;; [unrolled: 1-line block ×3, first 2 shown]
	v_cndmask_b32_e64 v41, 0, v41, s31
	v_fma_f32 v43, 0x3fb8aa3b, v13, -v42
	v_rndne_f32_e32 v44, v42
	v_cmp_nlt_f32_e64 s31, 0x42b17218, v3
	v_sub_f32_e32 v8, v8, v21
	v_sub_f32_e32 v6, v6, v21
	v_fmac_f32_e32 v43, 0x32a5705f, v13
	v_sub_f32_e32 v42, v42, v44
	v_cndmask_b32_e64 v41, 0x7f800000, v41, s31
	v_cmp_ngt_f32_e64 s31, 0xc2ce8ed0, v13
	v_mul_f32_e32 v21, 0x3fb8aa3b, v6
	v_add_f32_e32 v42, v42, v43
	v_cvt_i32_f32_e32 v43, v44
	v_exp_f32_e32 v42, v42
	v_ldexp_f32 v42, v42, v43
	v_cndmask_b32_e64 v42, 0, v42, s31
	v_cmp_nlt_f32_e64 s31, 0x42b17218, v13
	v_cndmask_b32_e64 v42, 0x7f800000, v42, s31
	v_cmp_ngt_f32_e64 s31, 0xc2ce8ed0, v15
	v_add_f32_e32 v41, v41, v42
	v_mul_f32_e32 v42, 0x3fb8aa3b, v15
	v_fma_f32 v43, 0x3fb8aa3b, v15, -v42
	v_rndne_f32_e32 v44, v42
	v_fmac_f32_e32 v43, 0x32a5705f, v15
	v_sub_f32_e32 v42, v42, v44
	v_add_f32_e32 v42, v42, v43
	v_cvt_i32_f32_e32 v43, v44
	v_exp_f32_e32 v42, v42
	v_ldexp_f32 v42, v42, v43
	v_cndmask_b32_e64 v42, 0, v42, s31
	v_cmp_nlt_f32_e64 s31, 0x42b17218, v15
	v_cndmask_b32_e64 v42, 0x7f800000, v42, s31
	v_cmp_ngt_f32_e64 s31, 0xc2ce8ed0, v18
	v_add_f32_e32 v41, v41, v42
	v_mul_f32_e32 v42, 0x3fb8aa3b, v18
	v_fma_f32 v43, 0x3fb8aa3b, v18, -v42
	v_rndne_f32_e32 v44, v42
	v_fmac_f32_e32 v43, 0x32a5705f, v18
	v_sub_f32_e32 v42, v42, v44
	;; [unrolled: 14-line block ×29, first 2 shown]
	v_add_f32_e32 v42, v42, v43
	v_cvt_i32_f32_e32 v43, v44
	v_exp_f32_e32 v42, v42
	v_ldexp_f32 v42, v42, v43
	v_rndne_f32_e32 v43, v21
	v_cndmask_b32_e64 v42, 0, v42, s31
	v_cmp_nlt_f32_e64 s31, 0x42b17218, v8
	v_cndmask_b32_e64 v42, 0x7f800000, v42, s31
	v_cmp_ngt_f32_e64 s31, 0xc2ce8ed0, v6
	v_add_f32_e32 v41, v41, v42
	v_fma_f32 v42, 0x3fb8aa3b, v6, -v21
	v_sub_f32_e32 v21, v21, v43
	v_fmac_f32_e32 v42, 0x32a5705f, v6
	v_add_f32_e32 v21, v21, v42
	v_cvt_i32_f32_e32 v42, v43
	v_exp_f32_e32 v21, v21
	v_ldexp_f32 v21, v21, v42
	v_cndmask_b32_e64 v21, 0, v21, s31
	v_cmp_nlt_f32_e64 s31, 0x42b17218, v6
	v_cndmask_b32_e64 v21, 0x7f800000, v21, s31
	v_add_f32_e32 v21, v41, v21
	ds_bpermute_b32 v0, v0, v21
	s_waitcnt lgkmcnt(0)
	v_add_f32_e32 v0, v21, v0
	ds_bpermute_b32 v4, v4, v0
	s_waitcnt lgkmcnt(0)
	;; [unrolled: 3-line block ×4, first 2 shown]
	v_add_f32_e32 v0, v0, v4
	ds_bpermute_b32 v4, v14, v0
	v_cmpx_lt_i32_e32 0, v5
	s_cbranch_execz .LBB126_98
; %bb.65:
	s_and_b32 exec_lo, exec_lo, s1
	s_cbranch_execz .LBB126_98
; %bb.66:
	s_waitcnt lgkmcnt(0)
	v_add_f32_e32 v0, v0, v4
	v_cmp_gt_f32_e64 s1, 0x800000, v0
	v_cndmask_b32_e64 v4, 0, 32, s1
	v_cndmask_b32_e64 v5, 0, 0x41b17218, s1
	v_ldexp_f32 v0, v0, v4
	v_log_f32_e32 v0, v0
	v_mul_f32_e32 v4, 0x3f317217, v0
	v_cmp_gt_f32_e64 s31, 0x7f800000, |v0|
	v_fma_f32 v4, 0x3f317217, v0, -v4
	v_fmamk_f32 v4, v0, 0x3377d1cf, v4
	v_fmac_f32_e32 v4, 0x3f317217, v0
	v_cndmask_b32_e64 v4, v0, v4, s31
	v_lshlrev_b64 v[0:1], 2, v[1:2]
	v_sub_f32_e32 v2, v4, v5
	v_add_co_u32 v0, s1, s36, v0
	v_add_co_ci_u32_e64 v1, null, s37, v1, s1
	v_sub_f32_e32 v3, v3, v2
	global_store_dword v[0:1], v3, off
	s_and_b32 exec_lo, exec_lo, vcc_lo
	s_cbranch_execz .LBB126_98
; %bb.67:
	v_sub_f32_e32 v3, v13, v2
	global_store_dword v[0:1], v3, off offset:128
	s_and_b32 exec_lo, exec_lo, s0
	s_cbranch_execz .LBB126_98
; %bb.68:
	v_sub_f32_e32 v3, v15, v2
	global_store_dword v[0:1], v3, off offset:256
	s_and_b32 exec_lo, exec_lo, s2
	;; [unrolled: 5-line block ×15, first 2 shown]
	s_cbranch_execz .LBB126_98
; %bb.82:
	v_add_co_u32 v0, vcc_lo, 0x800, v0
	v_sub_f32_e32 v3, v40, v2
	v_add_co_ci_u32_e64 v1, null, 0, v1, vcc_lo
	global_store_dword v[0:1], v3, off
	s_and_b32 exec_lo, exec_lo, s16
	s_cbranch_execz .LBB126_98
; %bb.83:
	v_sub_f32_e32 v3, v35, v2
	global_store_dword v[0:1], v3, off offset:128
	s_and_b32 exec_lo, exec_lo, s17
	s_cbranch_execz .LBB126_98
; %bb.84:
	v_sub_f32_e32 v3, v37, v2
	global_store_dword v[0:1], v3, off offset:256
	;; [unrolled: 5-line block ×15, first 2 shown]
.LBB126_98:
	s_endpgm
	.section	.rodata,"a",@progbits
	.p2align	6, 0x0
	.amdhsa_kernel _ZN12_GLOBAL__N_120softmax_warp_forwardIN3c104HalfEffLi10ELb1ELb0ELi32EEEvPT0_PKT_iiiPKbib
		.amdhsa_group_segment_fixed_size 0
		.amdhsa_private_segment_fixed_size 0
		.amdhsa_kernarg_size 304
		.amdhsa_user_sgpr_count 6
		.amdhsa_user_sgpr_private_segment_buffer 1
		.amdhsa_user_sgpr_dispatch_ptr 0
		.amdhsa_user_sgpr_queue_ptr 0
		.amdhsa_user_sgpr_kernarg_segment_ptr 1
		.amdhsa_user_sgpr_dispatch_id 0
		.amdhsa_user_sgpr_flat_scratch_init 0
		.amdhsa_user_sgpr_private_segment_size 0
		.amdhsa_wavefront_size32 1
		.amdhsa_uses_dynamic_stack 0
		.amdhsa_system_sgpr_private_segment_wavefront_offset 0
		.amdhsa_system_sgpr_workgroup_id_x 1
		.amdhsa_system_sgpr_workgroup_id_y 0
		.amdhsa_system_sgpr_workgroup_id_z 0
		.amdhsa_system_sgpr_workgroup_info 0
		.amdhsa_system_vgpr_workitem_id 1
		.amdhsa_next_free_vgpr 45
		.amdhsa_next_free_sgpr 44
		.amdhsa_reserve_vcc 1
		.amdhsa_reserve_flat_scratch 0
		.amdhsa_float_round_mode_32 0
		.amdhsa_float_round_mode_16_64 0
		.amdhsa_float_denorm_mode_32 3
		.amdhsa_float_denorm_mode_16_64 3
		.amdhsa_dx10_clamp 1
		.amdhsa_ieee_mode 1
		.amdhsa_fp16_overflow 0
		.amdhsa_workgroup_processor_mode 1
		.amdhsa_memory_ordered 1
		.amdhsa_forward_progress 1
		.amdhsa_shared_vgpr_count 0
		.amdhsa_exception_fp_ieee_invalid_op 0
		.amdhsa_exception_fp_denorm_src 0
		.amdhsa_exception_fp_ieee_div_zero 0
		.amdhsa_exception_fp_ieee_overflow 0
		.amdhsa_exception_fp_ieee_underflow 0
		.amdhsa_exception_fp_ieee_inexact 0
		.amdhsa_exception_int_div_zero 0
	.end_amdhsa_kernel
	.section	.text._ZN12_GLOBAL__N_120softmax_warp_forwardIN3c104HalfEffLi10ELb1ELb0ELi32EEEvPT0_PKT_iiiPKbib,"axG",@progbits,_ZN12_GLOBAL__N_120softmax_warp_forwardIN3c104HalfEffLi10ELb1ELb0ELi32EEEvPT0_PKT_iiiPKbib,comdat
.Lfunc_end126:
	.size	_ZN12_GLOBAL__N_120softmax_warp_forwardIN3c104HalfEffLi10ELb1ELb0ELi32EEEvPT0_PKT_iiiPKbib, .Lfunc_end126-_ZN12_GLOBAL__N_120softmax_warp_forwardIN3c104HalfEffLi10ELb1ELb0ELi32EEEvPT0_PKT_iiiPKbib
                                        ; -- End function
	.set _ZN12_GLOBAL__N_120softmax_warp_forwardIN3c104HalfEffLi10ELb1ELb0ELi32EEEvPT0_PKT_iiiPKbib.num_vgpr, 45
	.set _ZN12_GLOBAL__N_120softmax_warp_forwardIN3c104HalfEffLi10ELb1ELb0ELi32EEEvPT0_PKT_iiiPKbib.num_agpr, 0
	.set _ZN12_GLOBAL__N_120softmax_warp_forwardIN3c104HalfEffLi10ELb1ELb0ELi32EEEvPT0_PKT_iiiPKbib.numbered_sgpr, 44
	.set _ZN12_GLOBAL__N_120softmax_warp_forwardIN3c104HalfEffLi10ELb1ELb0ELi32EEEvPT0_PKT_iiiPKbib.num_named_barrier, 0
	.set _ZN12_GLOBAL__N_120softmax_warp_forwardIN3c104HalfEffLi10ELb1ELb0ELi32EEEvPT0_PKT_iiiPKbib.private_seg_size, 0
	.set _ZN12_GLOBAL__N_120softmax_warp_forwardIN3c104HalfEffLi10ELb1ELb0ELi32EEEvPT0_PKT_iiiPKbib.uses_vcc, 1
	.set _ZN12_GLOBAL__N_120softmax_warp_forwardIN3c104HalfEffLi10ELb1ELb0ELi32EEEvPT0_PKT_iiiPKbib.uses_flat_scratch, 0
	.set _ZN12_GLOBAL__N_120softmax_warp_forwardIN3c104HalfEffLi10ELb1ELb0ELi32EEEvPT0_PKT_iiiPKbib.has_dyn_sized_stack, 0
	.set _ZN12_GLOBAL__N_120softmax_warp_forwardIN3c104HalfEffLi10ELb1ELb0ELi32EEEvPT0_PKT_iiiPKbib.has_recursion, 0
	.set _ZN12_GLOBAL__N_120softmax_warp_forwardIN3c104HalfEffLi10ELb1ELb0ELi32EEEvPT0_PKT_iiiPKbib.has_indirect_call, 0
	.section	.AMDGPU.csdata,"",@progbits
; Kernel info:
; codeLenInByte = 6956
; TotalNumSgprs: 46
; NumVgprs: 45
; ScratchSize: 0
; MemoryBound: 0
; FloatMode: 240
; IeeeMode: 1
; LDSByteSize: 0 bytes/workgroup (compile time only)
; SGPRBlocks: 0
; VGPRBlocks: 5
; NumSGPRsForWavesPerEU: 46
; NumVGPRsForWavesPerEU: 45
; Occupancy: 16
; WaveLimiterHint : 0
; COMPUTE_PGM_RSRC2:SCRATCH_EN: 0
; COMPUTE_PGM_RSRC2:USER_SGPR: 6
; COMPUTE_PGM_RSRC2:TRAP_HANDLER: 0
; COMPUTE_PGM_RSRC2:TGID_X_EN: 1
; COMPUTE_PGM_RSRC2:TGID_Y_EN: 0
; COMPUTE_PGM_RSRC2:TGID_Z_EN: 0
; COMPUTE_PGM_RSRC2:TIDIG_COMP_CNT: 1
	.section	.text._ZN12_GLOBAL__N_120softmax_warp_forwardIN3c104HalfEffLi11ELb1ELb0ELi64EEEvPT0_PKT_iiiPKbib,"axG",@progbits,_ZN12_GLOBAL__N_120softmax_warp_forwardIN3c104HalfEffLi11ELb1ELb0ELi64EEEvPT0_PKT_iiiPKbib,comdat
	.globl	_ZN12_GLOBAL__N_120softmax_warp_forwardIN3c104HalfEffLi11ELb1ELb0ELi64EEEvPT0_PKT_iiiPKbib ; -- Begin function _ZN12_GLOBAL__N_120softmax_warp_forwardIN3c104HalfEffLi11ELb1ELb0ELi64EEEvPT0_PKT_iiiPKbib
	.p2align	8
	.type	_ZN12_GLOBAL__N_120softmax_warp_forwardIN3c104HalfEffLi11ELb1ELb0ELi64EEEvPT0_PKT_iiiPKbib,@function
_ZN12_GLOBAL__N_120softmax_warp_forwardIN3c104HalfEffLi11ELb1ELb0ELi64EEEvPT0_PKT_iiiPKbib: ; @_ZN12_GLOBAL__N_120softmax_warp_forwardIN3c104HalfEffLi11ELb1ELb0ELi64EEEvPT0_PKT_iiiPKbib
; %bb.0:
	s_clause 0x1
	s_load_dword s0, s[4:5], 0x3c
	s_load_dwordx8 s[36:43], s[4:5], 0x0
	v_mov_b32_e32 v15, 0xff800000
	v_mov_b32_e32 v42, 0xff800000
	s_waitcnt lgkmcnt(0)
	s_lshr_b32 s0, s0, 16
	v_cmp_gt_i32_e64 s1, s42, v0
	v_mad_u64_u32 v[3:4], null, s6, s0, v[1:2]
	v_mad_u64_u32 v[1:2], null, v3, s41, v[0:1]
	v_sub_nc_u32_e32 v5, s40, v3
	v_cmp_lt_i32_e64 s31, 0, v5
	v_ashrrev_i32_e32 v2, 31, v1
	s_and_b32 s2, s31, s1
	v_lshlrev_b64 v[3:4], 1, v[1:2]
	v_add_co_u32 v3, vcc_lo, s38, v3
	v_add_co_ci_u32_e64 v4, null, s39, v4, vcc_lo
	s_and_saveexec_b32 s0, s2
	s_cbranch_execz .LBB127_2
; %bb.1:
	global_load_ushort v6, v[3:4], off
	s_waitcnt vmcnt(0)
	v_cvt_f32_f16_e32 v42, v6
.LBB127_2:
	s_or_b32 exec_lo, exec_lo, s0
	v_add_nc_u32_e32 v6, 64, v0
	v_cmp_gt_i32_e32 vcc_lo, s42, v6
	s_and_b32 s2, s31, vcc_lo
	s_and_saveexec_b32 s0, s2
	s_cbranch_execz .LBB127_4
; %bb.3:
	global_load_ushort v6, v[3:4], off offset:128
	s_waitcnt vmcnt(0)
	v_cvt_f32_f16_e32 v15, v6
.LBB127_4:
	s_or_b32 exec_lo, exec_lo, s0
	v_add_nc_u32_e32 v6, 0x80, v0
	v_mov_b32_e32 v19, 0xff800000
	v_mov_b32_e32 v18, 0xff800000
	v_cmp_gt_i32_e64 s0, s42, v6
	s_and_b32 s3, s31, s0
	s_and_saveexec_b32 s2, s3
	s_cbranch_execz .LBB127_6
; %bb.5:
	global_load_ushort v6, v[3:4], off offset:256
	s_waitcnt vmcnt(0)
	v_cvt_f32_f16_e32 v18, v6
.LBB127_6:
	s_or_b32 exec_lo, exec_lo, s2
	v_add_nc_u32_e32 v6, 0xc0, v0
	v_cmp_gt_i32_e64 s2, s42, v6
	s_and_b32 s4, s31, s2
	s_and_saveexec_b32 s3, s4
	s_cbranch_execz .LBB127_8
; %bb.7:
	global_load_ushort v6, v[3:4], off offset:384
	s_waitcnt vmcnt(0)
	v_cvt_f32_f16_e32 v19, v6
.LBB127_8:
	s_or_b32 exec_lo, exec_lo, s3
	v_add_nc_u32_e32 v6, 0x100, v0
	v_mov_b32_e32 v22, 0xff800000
	v_mov_b32_e32 v20, 0xff800000
	v_cmp_gt_i32_e64 s3, s42, v6
	s_and_b32 s5, s31, s3
	s_and_saveexec_b32 s4, s5
	s_cbranch_execz .LBB127_10
; %bb.9:
	global_load_ushort v6, v[3:4], off offset:512
	s_waitcnt vmcnt(0)
	v_cvt_f32_f16_e32 v20, v6
.LBB127_10:
	s_or_b32 exec_lo, exec_lo, s4
	v_add_nc_u32_e32 v6, 0x140, v0
	v_cmp_gt_i32_e64 s4, s42, v6
	s_and_b32 s6, s31, s4
	;; [unrolled: 24-line block ×7, first 2 shown]
	s_and_saveexec_b32 s15, s16
	s_cbranch_execz .LBB127_32
; %bb.31:
	global_load_ushort v6, v[3:4], off offset:1920
	s_waitcnt vmcnt(0)
	v_cvt_f32_f16_e32 v33, v6
.LBB127_32:
	s_or_b32 exec_lo, exec_lo, s15
	v_or_b32_e32 v6, 0x400, v0
	v_mov_b32_e32 v30, 0xff800000
	v_mov_b32_e32 v38, 0xff800000
	v_cmp_gt_i32_e64 s15, s42, v6
	s_and_b32 s16, s31, s15
	s_and_saveexec_b32 s17, s16
	s_cbranch_execz .LBB127_34
; %bb.33:
	v_add_co_u32 v6, s16, 0x800, v3
	v_add_co_ci_u32_e64 v7, null, 0, v4, s16
	global_load_ushort v6, v[6:7], off
	s_waitcnt vmcnt(0)
	v_cvt_f32_f16_e32 v38, v6
.LBB127_34:
	s_or_b32 exec_lo, exec_lo, s17
	v_add_nc_u32_e32 v6, 0x440, v0
	v_cmp_gt_i32_e64 s16, s42, v6
	s_and_b32 s17, s31, s16
	s_and_saveexec_b32 s18, s17
	s_cbranch_execz .LBB127_36
; %bb.35:
	v_add_co_u32 v6, s17, 0x800, v3
	v_add_co_ci_u32_e64 v7, null, 0, v4, s17
	global_load_ushort v6, v[6:7], off offset:128
	s_waitcnt vmcnt(0)
	v_cvt_f32_f16_e32 v30, v6
.LBB127_36:
	s_or_b32 exec_lo, exec_lo, s18
	v_add_nc_u32_e32 v6, 0x480, v0
	v_mov_b32_e32 v29, 0xff800000
	v_mov_b32_e32 v35, 0xff800000
	v_cmp_gt_i32_e64 s17, s42, v6
	s_and_b32 s18, s31, s17
	s_and_saveexec_b32 s19, s18
	s_cbranch_execz .LBB127_38
; %bb.37:
	v_add_co_u32 v6, s18, 0x800, v3
	v_add_co_ci_u32_e64 v7, null, 0, v4, s18
	global_load_ushort v6, v[6:7], off offset:256
	s_waitcnt vmcnt(0)
	v_cvt_f32_f16_e32 v35, v6
.LBB127_38:
	s_or_b32 exec_lo, exec_lo, s19
	v_add_nc_u32_e32 v6, 0x4c0, v0
	v_cmp_gt_i32_e64 s18, s42, v6
	s_and_b32 s19, s31, s18
	s_and_saveexec_b32 s20, s19
	s_cbranch_execz .LBB127_40
; %bb.39:
	v_add_co_u32 v6, s19, 0x800, v3
	v_add_co_ci_u32_e64 v7, null, 0, v4, s19
	global_load_ushort v6, v[6:7], off offset:384
	s_waitcnt vmcnt(0)
	v_cvt_f32_f16_e32 v29, v6
.LBB127_40:
	s_or_b32 exec_lo, exec_lo, s20
	v_add_nc_u32_e32 v6, 0x500, v0
	v_mov_b32_e32 v28, 0xff800000
	v_mov_b32_e32 v34, 0xff800000
	v_cmp_gt_i32_e64 s19, s42, v6
	s_and_b32 s20, s31, s19
	s_and_saveexec_b32 s21, s20
	s_cbranch_execz .LBB127_42
; %bb.41:
	v_add_co_u32 v6, s20, 0x800, v3
	v_add_co_ci_u32_e64 v7, null, 0, v4, s20
	global_load_ushort v6, v[6:7], off offset:512
	s_waitcnt vmcnt(0)
	v_cvt_f32_f16_e32 v34, v6
.LBB127_42:
	;; [unrolled: 28-line block ×6, first 2 shown]
	s_or_b32 exec_lo, exec_lo, s29
	v_add_nc_u32_e32 v6, 0x740, v0
	v_cmp_gt_i32_e64 s28, s42, v6
	s_and_b32 s29, s31, s28
	s_and_saveexec_b32 s30, s29
	s_cbranch_execz .LBB127_60
; %bb.59:
	v_add_co_u32 v6, s29, 0x800, v3
	v_add_co_ci_u32_e64 v7, null, 0, v4, s29
	global_load_ushort v6, v[6:7], off offset:1664
	s_waitcnt vmcnt(0)
	v_cvt_f32_f16_e32 v7, v6
.LBB127_60:
	s_or_b32 exec_lo, exec_lo, s30
	v_add_nc_u32_e32 v6, 0x780, v0
	v_mov_b32_e32 v8, 0xff800000
	v_cmp_gt_i32_e64 s29, s42, v6
	v_mov_b32_e32 v6, 0xff800000
	s_and_b32 s30, s31, s29
	s_and_saveexec_b32 s33, s30
	s_cbranch_execz .LBB127_62
; %bb.61:
	v_add_co_u32 v11, s30, 0x800, v3
	v_add_co_ci_u32_e64 v12, null, 0, v4, s30
	global_load_ushort v8, v[11:12], off offset:1792
	s_waitcnt vmcnt(0)
	v_cvt_f32_f16_e32 v8, v8
.LBB127_62:
	s_or_b32 exec_lo, exec_lo, s33
	v_add_nc_u32_e32 v0, 0x7c0, v0
	v_cmp_gt_i32_e64 s30, s42, v0
	s_and_b32 s31, s31, s30
	s_and_saveexec_b32 s33, s31
	s_cbranch_execz .LBB127_64
; %bb.63:
	v_add_co_u32 v3, s31, 0x800, v3
	v_add_co_ci_u32_e64 v4, null, 0, v4, s31
	global_load_ushort v0, v[3:4], off offset:1920
	s_waitcnt vmcnt(0)
	v_cvt_f32_f16_e32 v6, v0
.LBB127_64:
	s_or_b32 exec_lo, exec_lo, s33
	v_cmp_gt_f32_e64 s31, v42, v15
	v_mbcnt_lo_u32_b32 v4, -1, 0
	s_mov_b32 s33, exec_lo
	v_cndmask_b32_e64 v0, v15, v42, s31
	v_cmp_gt_f32_e64 s31, v0, v18
	v_cndmask_b32_e64 v0, v18, v0, s31
	v_cmp_gt_f32_e64 s31, v0, v19
	;; [unrolled: 2-line block ×30, first 2 shown]
	v_cndmask_b32_e64 v3, v6, v0, s31
	v_or_b32_e32 v0, 32, v4
	v_cmp_gt_i32_e64 s31, 64, v0
	v_cndmask_b32_e64 v0, v4, v0, s31
	v_lshlrev_b32_e32 v0, 2, v0
	ds_bpermute_b32 v11, v0, v3
	s_waitcnt lgkmcnt(0)
	v_cmp_lt_f32_e64 s31, v3, v11
	v_cndmask_b32_e64 v11, v3, v11, s31
	v_xor_b32_e32 v3, 16, v4
	v_cmp_gt_i32_e64 s31, 64, v3
	v_cndmask_b32_e64 v3, v4, v3, s31
	v_lshlrev_b32_e32 v3, 2, v3
	ds_bpermute_b32 v12, v3, v11
	s_waitcnt lgkmcnt(0)
	v_cmp_lt_f32_e64 s31, v11, v12
	v_cndmask_b32_e64 v12, v11, v12, s31
	v_xor_b32_e32 v11, 8, v4
	;; [unrolled: 8-line block ×5, first 2 shown]
	v_cmp_gt_i32_e64 s31, 64, v17
	v_cndmask_b32_e64 v4, v4, v17, s31
	v_lshlrev_b32_e32 v17, 2, v4
	ds_bpermute_b32 v4, v17, v21
	s_waitcnt lgkmcnt(0)
	v_cmp_lt_f32_e64 s31, v21, v4
	v_cndmask_b32_e64 v21, v21, v4, s31
	v_sub_f32_e32 v4, v42, v21
	v_sub_f32_e32 v15, v15, v21
	;; [unrolled: 1-line block ×5, first 2 shown]
	v_mul_f32_e32 v42, 0x3fb8aa3b, v4
	v_cmp_ngt_f32_e64 s31, 0xc2ce8ed0, v4
	v_sub_f32_e32 v22, v22, v21
	v_sub_f32_e32 v25, v25, v21
	;; [unrolled: 1-line block ×3, first 2 shown]
	v_fma_f32 v43, 0x3fb8aa3b, v4, -v42
	v_rndne_f32_e32 v44, v42
	v_sub_f32_e32 v27, v27, v21
	v_sub_f32_e32 v31, v31, v21
	;; [unrolled: 1-line block ×3, first 2 shown]
	v_fmac_f32_e32 v43, 0x32a5705f, v4
	v_sub_f32_e32 v42, v42, v44
	v_sub_f32_e32 v40, v40, v21
	;; [unrolled: 1-line block ×5, first 2 shown]
	v_add_f32_e32 v42, v42, v43
	v_cvt_i32_f32_e32 v43, v44
	v_sub_f32_e32 v33, v33, v21
	v_sub_f32_e32 v38, v38, v21
	;; [unrolled: 1-line block ×3, first 2 shown]
	v_exp_f32_e32 v42, v42
	v_sub_f32_e32 v35, v35, v21
	v_sub_f32_e32 v29, v29, v21
	;; [unrolled: 1-line block ×9, first 2 shown]
	v_ldexp_f32 v42, v42, v43
	v_mul_f32_e32 v43, 0x3fb8aa3b, v15
	v_sub_f32_e32 v10, v10, v21
	v_sub_f32_e32 v9, v9, v21
	v_sub_f32_e32 v7, v7, v21
	v_cndmask_b32_e64 v42, 0, v42, s31
	v_fma_f32 v44, 0x3fb8aa3b, v15, -v43
	v_rndne_f32_e32 v45, v43
	v_cmp_nlt_f32_e64 s31, 0x42b17218, v4
	v_sub_f32_e32 v8, v8, v21
	v_sub_f32_e32 v6, v6, v21
	v_fmac_f32_e32 v44, 0x32a5705f, v15
	v_sub_f32_e32 v43, v43, v45
	v_cndmask_b32_e64 v42, 0x7f800000, v42, s31
	v_cmp_ngt_f32_e64 s31, 0xc2ce8ed0, v15
	v_mul_f32_e32 v21, 0x3fb8aa3b, v6
	v_add_f32_e32 v43, v43, v44
	v_cvt_i32_f32_e32 v44, v45
	v_exp_f32_e32 v43, v43
	v_ldexp_f32 v43, v43, v44
	v_cndmask_b32_e64 v43, 0, v43, s31
	v_cmp_nlt_f32_e64 s31, 0x42b17218, v15
	v_cndmask_b32_e64 v43, 0x7f800000, v43, s31
	v_cmp_ngt_f32_e64 s31, 0xc2ce8ed0, v18
	v_add_f32_e32 v42, v42, v43
	v_mul_f32_e32 v43, 0x3fb8aa3b, v18
	v_fma_f32 v44, 0x3fb8aa3b, v18, -v43
	v_rndne_f32_e32 v45, v43
	v_fmac_f32_e32 v44, 0x32a5705f, v18
	v_sub_f32_e32 v43, v43, v45
	v_add_f32_e32 v43, v43, v44
	v_cvt_i32_f32_e32 v44, v45
	v_exp_f32_e32 v43, v43
	v_ldexp_f32 v43, v43, v44
	v_cndmask_b32_e64 v43, 0, v43, s31
	v_cmp_nlt_f32_e64 s31, 0x42b17218, v18
	v_cndmask_b32_e64 v43, 0x7f800000, v43, s31
	v_cmp_ngt_f32_e64 s31, 0xc2ce8ed0, v19
	v_add_f32_e32 v42, v42, v43
	v_mul_f32_e32 v43, 0x3fb8aa3b, v19
	v_fma_f32 v44, 0x3fb8aa3b, v19, -v43
	v_rndne_f32_e32 v45, v43
	v_fmac_f32_e32 v44, 0x32a5705f, v19
	v_sub_f32_e32 v43, v43, v45
	;; [unrolled: 14-line block ×29, first 2 shown]
	v_add_f32_e32 v43, v43, v44
	v_cvt_i32_f32_e32 v44, v45
	v_exp_f32_e32 v43, v43
	v_ldexp_f32 v43, v43, v44
	v_rndne_f32_e32 v44, v21
	v_cndmask_b32_e64 v43, 0, v43, s31
	v_cmp_nlt_f32_e64 s31, 0x42b17218, v8
	v_cndmask_b32_e64 v43, 0x7f800000, v43, s31
	v_cmp_ngt_f32_e64 s31, 0xc2ce8ed0, v6
	v_add_f32_e32 v42, v42, v43
	v_fma_f32 v43, 0x3fb8aa3b, v6, -v21
	v_sub_f32_e32 v21, v21, v44
	v_fmac_f32_e32 v43, 0x32a5705f, v6
	v_add_f32_e32 v21, v21, v43
	v_cvt_i32_f32_e32 v43, v44
	v_exp_f32_e32 v21, v21
	v_ldexp_f32 v21, v21, v43
	v_cndmask_b32_e64 v21, 0, v21, s31
	v_cmp_nlt_f32_e64 s31, 0x42b17218, v6
	v_cndmask_b32_e64 v21, 0x7f800000, v21, s31
	v_add_f32_e32 v21, v42, v21
	ds_bpermute_b32 v0, v0, v21
	s_waitcnt lgkmcnt(0)
	v_add_f32_e32 v0, v21, v0
	ds_bpermute_b32 v3, v3, v0
	s_waitcnt lgkmcnt(0)
	;; [unrolled: 3-line block ×5, first 2 shown]
	v_add_f32_e32 v0, v0, v3
	ds_bpermute_b32 v3, v17, v0
	v_cmpx_lt_i32_e32 0, v5
	s_cbranch_execz .LBB127_98
; %bb.65:
	s_and_b32 exec_lo, exec_lo, s1
	s_cbranch_execz .LBB127_98
; %bb.66:
	s_waitcnt lgkmcnt(0)
	v_add_f32_e32 v0, v0, v3
	v_cmp_gt_f32_e64 s1, 0x800000, v0
	v_cndmask_b32_e64 v3, 0, 32, s1
	v_cndmask_b32_e64 v5, 0, 0x41b17218, s1
	v_ldexp_f32 v0, v0, v3
	v_log_f32_e32 v0, v0
	v_mul_f32_e32 v3, 0x3f317217, v0
	v_cmp_gt_f32_e64 s31, 0x7f800000, |v0|
	v_fma_f32 v3, 0x3f317217, v0, -v3
	v_fmamk_f32 v3, v0, 0x3377d1cf, v3
	v_fmac_f32_e32 v3, 0x3f317217, v0
	v_cndmask_b32_e64 v3, v0, v3, s31
	v_lshlrev_b64 v[0:1], 2, v[1:2]
	v_sub_f32_e32 v5, v3, v5
	v_add_co_u32 v0, s1, s36, v0
	v_add_co_ci_u32_e64 v1, null, s37, v1, s1
	v_sub_f32_e32 v2, v4, v5
	global_store_dword v[0:1], v2, off
	s_and_b32 exec_lo, exec_lo, vcc_lo
	s_cbranch_execz .LBB127_98
; %bb.67:
	v_sub_f32_e32 v2, v15, v5
	global_store_dword v[0:1], v2, off offset:256
	s_and_b32 exec_lo, exec_lo, s0
	s_cbranch_execz .LBB127_98
; %bb.68:
	v_sub_f32_e32 v2, v18, v5
	global_store_dword v[0:1], v2, off offset:512
	s_and_b32 exec_lo, exec_lo, s2
	s_cbranch_execz .LBB127_98
; %bb.69:
	v_sub_f32_e32 v2, v19, v5
	global_store_dword v[0:1], v2, off offset:768
	s_and_b32 exec_lo, exec_lo, s3
	s_cbranch_execz .LBB127_98
; %bb.70:
	v_sub_f32_e32 v2, v20, v5
	global_store_dword v[0:1], v2, off offset:1024
	s_and_b32 exec_lo, exec_lo, s4
	s_cbranch_execz .LBB127_98
; %bb.71:
	v_sub_f32_e32 v2, v22, v5
	global_store_dword v[0:1], v2, off offset:1280
	s_and_b32 exec_lo, exec_lo, s5
	s_cbranch_execz .LBB127_98
; %bb.72:
	v_sub_f32_e32 v2, v25, v5
	global_store_dword v[0:1], v2, off offset:1536
	s_and_b32 exec_lo, exec_lo, s6
	s_cbranch_execz .LBB127_98
; %bb.73:
	v_sub_f32_e32 v2, v26, v5
	global_store_dword v[0:1], v2, off offset:1792
	s_and_b32 exec_lo, exec_lo, s7
	s_cbranch_execz .LBB127_98
; %bb.74:
	v_add_co_u32 v2, vcc_lo, 0x800, v0
	v_sub_f32_e32 v4, v27, v5
	v_add_co_ci_u32_e64 v3, null, 0, v1, vcc_lo
	global_store_dword v[2:3], v4, off
	s_and_b32 exec_lo, exec_lo, s8
	s_cbranch_execz .LBB127_98
; %bb.75:
	v_sub_f32_e32 v4, v31, v5
	global_store_dword v[2:3], v4, off offset:256
	s_and_b32 exec_lo, exec_lo, s9
	s_cbranch_execz .LBB127_98
; %bb.76:
	v_sub_f32_e32 v4, v37, v5
	global_store_dword v[2:3], v4, off offset:512
	s_and_b32 exec_lo, exec_lo, s10
	s_cbranch_execz .LBB127_98
; %bb.77:
	v_sub_f32_e32 v4, v40, v5
	global_store_dword v[2:3], v4, off offset:768
	s_and_b32 exec_lo, exec_lo, s11
	s_cbranch_execz .LBB127_98
; %bb.78:
	v_sub_f32_e32 v4, v41, v5
	global_store_dword v[2:3], v4, off offset:1024
	s_and_b32 exec_lo, exec_lo, s12
	s_cbranch_execz .LBB127_98
; %bb.79:
	v_sub_f32_e32 v4, v36, v5
	global_store_dword v[2:3], v4, off offset:1280
	s_and_b32 exec_lo, exec_lo, s13
	s_cbranch_execz .LBB127_98
; %bb.80:
	v_sub_f32_e32 v4, v39, v5
	global_store_dword v[2:3], v4, off offset:1536
	s_and_b32 exec_lo, exec_lo, s14
	s_cbranch_execz .LBB127_98
; %bb.81:
	v_sub_f32_e32 v4, v33, v5
	global_store_dword v[2:3], v4, off offset:1792
	s_and_b32 exec_lo, exec_lo, s15
	s_cbranch_execz .LBB127_98
; %bb.82:
	v_add_co_u32 v2, vcc_lo, 0x1000, v0
	v_sub_f32_e32 v4, v38, v5
	v_add_co_ci_u32_e64 v3, null, 0, v1, vcc_lo
	global_store_dword v[2:3], v4, off
	s_and_b32 exec_lo, exec_lo, s16
	s_cbranch_execz .LBB127_98
; %bb.83:
	v_sub_f32_e32 v4, v30, v5
	global_store_dword v[2:3], v4, off offset:256
	s_and_b32 exec_lo, exec_lo, s17
	s_cbranch_execz .LBB127_98
; %bb.84:
	v_sub_f32_e32 v4, v35, v5
	global_store_dword v[2:3], v4, off offset:512
	s_and_b32 exec_lo, exec_lo, s18
	s_cbranch_execz .LBB127_98
; %bb.85:
	v_sub_f32_e32 v4, v29, v5
	global_store_dword v[2:3], v4, off offset:768
	s_and_b32 exec_lo, exec_lo, s19
	s_cbranch_execz .LBB127_98
; %bb.86:
	v_sub_f32_e32 v4, v34, v5
	global_store_dword v[2:3], v4, off offset:1024
	s_and_b32 exec_lo, exec_lo, s20
	s_cbranch_execz .LBB127_98
; %bb.87:
	v_sub_f32_e32 v4, v28, v5
	global_store_dword v[2:3], v4, off offset:1280
	s_and_b32 exec_lo, exec_lo, s21
	s_cbranch_execz .LBB127_98
; %bb.88:
	v_sub_f32_e32 v4, v32, v5
	global_store_dword v[2:3], v4, off offset:1536
	s_and_b32 exec_lo, exec_lo, s22
	s_cbranch_execz .LBB127_98
; %bb.89:
	v_sub_f32_e32 v4, v23, v5
	global_store_dword v[2:3], v4, off offset:1792
	s_and_b32 exec_lo, exec_lo, s23
	s_cbranch_execz .LBB127_98
; %bb.90:
	v_add_co_u32 v0, vcc_lo, 0x1800, v0
	v_sub_f32_e32 v2, v24, v5
	v_add_co_ci_u32_e64 v1, null, 0, v1, vcc_lo
	global_store_dword v[0:1], v2, off
	s_and_b32 exec_lo, exec_lo, s24
	s_cbranch_execz .LBB127_98
; %bb.91:
	v_sub_f32_e32 v2, v13, v5
	global_store_dword v[0:1], v2, off offset:256
	s_and_b32 exec_lo, exec_lo, s25
	s_cbranch_execz .LBB127_98
; %bb.92:
	v_sub_f32_e32 v2, v16, v5
	global_store_dword v[0:1], v2, off offset:512
	s_and_b32 exec_lo, exec_lo, s26
	;; [unrolled: 5-line block ×6, first 2 shown]
	s_cbranch_execz .LBB127_98
; %bb.97:
	v_sub_f32_e32 v2, v6, v5
	global_store_dword v[0:1], v2, off offset:1792
.LBB127_98:
	s_endpgm
	.section	.rodata,"a",@progbits
	.p2align	6, 0x0
	.amdhsa_kernel _ZN12_GLOBAL__N_120softmax_warp_forwardIN3c104HalfEffLi11ELb1ELb0ELi64EEEvPT0_PKT_iiiPKbib
		.amdhsa_group_segment_fixed_size 0
		.amdhsa_private_segment_fixed_size 0
		.amdhsa_kernarg_size 304
		.amdhsa_user_sgpr_count 6
		.amdhsa_user_sgpr_private_segment_buffer 1
		.amdhsa_user_sgpr_dispatch_ptr 0
		.amdhsa_user_sgpr_queue_ptr 0
		.amdhsa_user_sgpr_kernarg_segment_ptr 1
		.amdhsa_user_sgpr_dispatch_id 0
		.amdhsa_user_sgpr_flat_scratch_init 0
		.amdhsa_user_sgpr_private_segment_size 0
		.amdhsa_wavefront_size32 1
		.amdhsa_uses_dynamic_stack 0
		.amdhsa_system_sgpr_private_segment_wavefront_offset 0
		.amdhsa_system_sgpr_workgroup_id_x 1
		.amdhsa_system_sgpr_workgroup_id_y 0
		.amdhsa_system_sgpr_workgroup_id_z 0
		.amdhsa_system_sgpr_workgroup_info 0
		.amdhsa_system_vgpr_workitem_id 1
		.amdhsa_next_free_vgpr 46
		.amdhsa_next_free_sgpr 44
		.amdhsa_reserve_vcc 1
		.amdhsa_reserve_flat_scratch 0
		.amdhsa_float_round_mode_32 0
		.amdhsa_float_round_mode_16_64 0
		.amdhsa_float_denorm_mode_32 3
		.amdhsa_float_denorm_mode_16_64 3
		.amdhsa_dx10_clamp 1
		.amdhsa_ieee_mode 1
		.amdhsa_fp16_overflow 0
		.amdhsa_workgroup_processor_mode 1
		.amdhsa_memory_ordered 1
		.amdhsa_forward_progress 1
		.amdhsa_shared_vgpr_count 0
		.amdhsa_exception_fp_ieee_invalid_op 0
		.amdhsa_exception_fp_denorm_src 0
		.amdhsa_exception_fp_ieee_div_zero 0
		.amdhsa_exception_fp_ieee_overflow 0
		.amdhsa_exception_fp_ieee_underflow 0
		.amdhsa_exception_fp_ieee_inexact 0
		.amdhsa_exception_int_div_zero 0
	.end_amdhsa_kernel
	.section	.text._ZN12_GLOBAL__N_120softmax_warp_forwardIN3c104HalfEffLi11ELb1ELb0ELi64EEEvPT0_PKT_iiiPKbib,"axG",@progbits,_ZN12_GLOBAL__N_120softmax_warp_forwardIN3c104HalfEffLi11ELb1ELb0ELi64EEEvPT0_PKT_iiiPKbib,comdat
.Lfunc_end127:
	.size	_ZN12_GLOBAL__N_120softmax_warp_forwardIN3c104HalfEffLi11ELb1ELb0ELi64EEEvPT0_PKT_iiiPKbib, .Lfunc_end127-_ZN12_GLOBAL__N_120softmax_warp_forwardIN3c104HalfEffLi11ELb1ELb0ELi64EEEvPT0_PKT_iiiPKbib
                                        ; -- End function
	.set _ZN12_GLOBAL__N_120softmax_warp_forwardIN3c104HalfEffLi11ELb1ELb0ELi64EEEvPT0_PKT_iiiPKbib.num_vgpr, 46
	.set _ZN12_GLOBAL__N_120softmax_warp_forwardIN3c104HalfEffLi11ELb1ELb0ELi64EEEvPT0_PKT_iiiPKbib.num_agpr, 0
	.set _ZN12_GLOBAL__N_120softmax_warp_forwardIN3c104HalfEffLi11ELb1ELb0ELi64EEEvPT0_PKT_iiiPKbib.numbered_sgpr, 44
	.set _ZN12_GLOBAL__N_120softmax_warp_forwardIN3c104HalfEffLi11ELb1ELb0ELi64EEEvPT0_PKT_iiiPKbib.num_named_barrier, 0
	.set _ZN12_GLOBAL__N_120softmax_warp_forwardIN3c104HalfEffLi11ELb1ELb0ELi64EEEvPT0_PKT_iiiPKbib.private_seg_size, 0
	.set _ZN12_GLOBAL__N_120softmax_warp_forwardIN3c104HalfEffLi11ELb1ELb0ELi64EEEvPT0_PKT_iiiPKbib.uses_vcc, 1
	.set _ZN12_GLOBAL__N_120softmax_warp_forwardIN3c104HalfEffLi11ELb1ELb0ELi64EEEvPT0_PKT_iiiPKbib.uses_flat_scratch, 0
	.set _ZN12_GLOBAL__N_120softmax_warp_forwardIN3c104HalfEffLi11ELb1ELb0ELi64EEEvPT0_PKT_iiiPKbib.has_dyn_sized_stack, 0
	.set _ZN12_GLOBAL__N_120softmax_warp_forwardIN3c104HalfEffLi11ELb1ELb0ELi64EEEvPT0_PKT_iiiPKbib.has_recursion, 0
	.set _ZN12_GLOBAL__N_120softmax_warp_forwardIN3c104HalfEffLi11ELb1ELb0ELi64EEEvPT0_PKT_iiiPKbib.has_indirect_call, 0
	.section	.AMDGPU.csdata,"",@progbits
; Kernel info:
; codeLenInByte = 7388
; TotalNumSgprs: 46
; NumVgprs: 46
; ScratchSize: 0
; MemoryBound: 0
; FloatMode: 240
; IeeeMode: 1
; LDSByteSize: 0 bytes/workgroup (compile time only)
; SGPRBlocks: 0
; VGPRBlocks: 5
; NumSGPRsForWavesPerEU: 46
; NumVGPRsForWavesPerEU: 46
; Occupancy: 16
; WaveLimiterHint : 0
; COMPUTE_PGM_RSRC2:SCRATCH_EN: 0
; COMPUTE_PGM_RSRC2:USER_SGPR: 6
; COMPUTE_PGM_RSRC2:TRAP_HANDLER: 0
; COMPUTE_PGM_RSRC2:TGID_X_EN: 1
; COMPUTE_PGM_RSRC2:TGID_Y_EN: 0
; COMPUTE_PGM_RSRC2:TGID_Z_EN: 0
; COMPUTE_PGM_RSRC2:TIDIG_COMP_CNT: 1
	.section	.text._ZN12_GLOBAL__N_120softmax_warp_forwardIN3c104HalfEffLi11ELb1ELb0ELi32EEEvPT0_PKT_iiiPKbib,"axG",@progbits,_ZN12_GLOBAL__N_120softmax_warp_forwardIN3c104HalfEffLi11ELb1ELb0ELi32EEEvPT0_PKT_iiiPKbib,comdat
	.globl	_ZN12_GLOBAL__N_120softmax_warp_forwardIN3c104HalfEffLi11ELb1ELb0ELi32EEEvPT0_PKT_iiiPKbib ; -- Begin function _ZN12_GLOBAL__N_120softmax_warp_forwardIN3c104HalfEffLi11ELb1ELb0ELi32EEEvPT0_PKT_iiiPKbib
	.p2align	8
	.type	_ZN12_GLOBAL__N_120softmax_warp_forwardIN3c104HalfEffLi11ELb1ELb0ELi32EEEvPT0_PKT_iiiPKbib,@function
_ZN12_GLOBAL__N_120softmax_warp_forwardIN3c104HalfEffLi11ELb1ELb0ELi32EEEvPT0_PKT_iiiPKbib: ; @_ZN12_GLOBAL__N_120softmax_warp_forwardIN3c104HalfEffLi11ELb1ELb0ELi32EEEvPT0_PKT_iiiPKbib
; %bb.0:
	s_clause 0x1
	s_load_dword s0, s[4:5], 0x3c
	s_load_dwordx8 s[68:75], s[4:5], 0x0
	v_mov_b32_e32 v9, 0xff800000
	v_mov_b32_e32 v7, 0xff800000
	s_waitcnt lgkmcnt(0)
	s_lshr_b32 s0, s0, 16
	v_cmp_gt_i32_e64 s1, s74, v0
	v_mad_u64_u32 v[3:4], null, s6, s0, v[1:2]
	v_mad_u64_u32 v[1:2], null, v3, s73, v[0:1]
	v_sub_nc_u32_e32 v5, s72, v3
	v_cmp_lt_i32_e64 s64, 0, v5
	v_ashrrev_i32_e32 v2, 31, v1
	s_and_b32 s2, s64, s1
	v_lshlrev_b64 v[3:4], 1, v[1:2]
	v_add_co_u32 v3, vcc_lo, s70, v3
	v_add_co_ci_u32_e64 v4, null, s71, v4, vcc_lo
	s_and_saveexec_b32 s0, s2
	s_cbranch_execz .LBB128_2
; %bb.1:
	global_load_ushort v6, v[3:4], off
	s_waitcnt vmcnt(0)
	v_cvt_f32_f16_e32 v7, v6
.LBB128_2:
	s_or_b32 exec_lo, exec_lo, s0
	v_add_nc_u32_e32 v6, 32, v0
	v_cmp_gt_i32_e32 vcc_lo, s74, v6
	s_and_b32 s2, s64, vcc_lo
	s_and_saveexec_b32 s0, s2
	s_cbranch_execz .LBB128_4
; %bb.3:
	global_load_ushort v6, v[3:4], off offset:64
	s_waitcnt vmcnt(0)
	v_cvt_f32_f16_e32 v9, v6
.LBB128_4:
	s_or_b32 exec_lo, exec_lo, s0
	v_add_nc_u32_e32 v6, 64, v0
	v_mov_b32_e32 v11, 0xff800000
	v_mov_b32_e32 v10, 0xff800000
	v_cmp_gt_i32_e64 s0, s74, v6
	s_and_b32 s3, s64, s0
	s_and_saveexec_b32 s2, s3
	s_cbranch_execz .LBB128_6
; %bb.5:
	global_load_ushort v6, v[3:4], off offset:128
	s_waitcnt vmcnt(0)
	v_cvt_f32_f16_e32 v10, v6
.LBB128_6:
	s_or_b32 exec_lo, exec_lo, s2
	v_add_nc_u32_e32 v6, 0x60, v0
	v_cmp_gt_i32_e64 s2, s74, v6
	s_and_b32 s4, s64, s2
	s_and_saveexec_b32 s3, s4
	s_cbranch_execz .LBB128_8
; %bb.7:
	global_load_ushort v6, v[3:4], off offset:192
	s_waitcnt vmcnt(0)
	v_cvt_f32_f16_e32 v11, v6
.LBB128_8:
	s_or_b32 exec_lo, exec_lo, s3
	v_add_nc_u32_e32 v6, 0x80, v0
	v_mov_b32_e32 v14, 0xff800000
	v_mov_b32_e32 v12, 0xff800000
	v_cmp_gt_i32_e64 s3, s74, v6
	s_and_b32 s5, s64, s3
	s_and_saveexec_b32 s4, s5
	s_cbranch_execz .LBB128_10
; %bb.9:
	global_load_ushort v6, v[3:4], off offset:256
	s_waitcnt vmcnt(0)
	v_cvt_f32_f16_e32 v12, v6
.LBB128_10:
	s_or_b32 exec_lo, exec_lo, s4
	v_add_nc_u32_e32 v6, 0xa0, v0
	v_cmp_gt_i32_e64 s4, s74, v6
	s_and_b32 s6, s64, s4
	;; [unrolled: 24-line block ×15, first 2 shown]
	s_and_saveexec_b32 s31, s33
	s_cbranch_execz .LBB128_64
; %bb.63:
	global_load_ushort v6, v[3:4], off offset:1984
	s_waitcnt vmcnt(0)
	v_cvt_f32_f16_e32 v70, v6
.LBB128_64:
	s_or_b32 exec_lo, exec_lo, s31
	v_or_b32_e32 v6, 0x400, v0
	v_mov_b32_e32 v71, 0xff800000
	v_mov_b32_e32 v72, 0xff800000
	v_cmp_gt_i32_e64 s31, s74, v6
	s_and_b32 s33, s64, s31
	s_and_saveexec_b32 s34, s33
	s_cbranch_execz .LBB128_66
; %bb.65:
	v_add_co_u32 v23, s33, 0x800, v3
	v_add_co_ci_u32_e64 v24, null, 0, v4, s33
	global_load_ushort v6, v[23:24], off
	s_waitcnt vmcnt(0)
	v_cvt_f32_f16_e32 v72, v6
.LBB128_66:
	s_or_b32 exec_lo, exec_lo, s34
	v_add_nc_u32_e32 v6, 0x420, v0
	v_cmp_gt_i32_e64 s33, s74, v6
	s_and_b32 s34, s64, s33
	s_and_saveexec_b32 s35, s34
	s_cbranch_execz .LBB128_68
; %bb.67:
	v_add_co_u32 v23, s34, 0x800, v3
	v_add_co_ci_u32_e64 v24, null, 0, v4, s34
	global_load_ushort v6, v[23:24], off offset:64
	s_waitcnt vmcnt(0)
	v_cvt_f32_f16_e32 v71, v6
.LBB128_68:
	s_or_b32 exec_lo, exec_lo, s35
	v_add_nc_u32_e32 v6, 0x440, v0
	v_mov_b32_e32 v67, 0xff800000
	v_mov_b32_e32 v69, 0xff800000
	v_cmp_gt_i32_e64 s34, s74, v6
	s_and_b32 s35, s64, s34
	s_and_saveexec_b32 s36, s35
	s_cbranch_execz .LBB128_70
; %bb.69:
	v_add_co_u32 v23, s35, 0x800, v3
	v_add_co_ci_u32_e64 v24, null, 0, v4, s35
	global_load_ushort v6, v[23:24], off offset:128
	s_waitcnt vmcnt(0)
	v_cvt_f32_f16_e32 v69, v6
.LBB128_70:
	s_or_b32 exec_lo, exec_lo, s36
	v_add_nc_u32_e32 v6, 0x460, v0
	v_cmp_gt_i32_e64 s35, s74, v6
	s_and_b32 s36, s64, s35
	s_and_saveexec_b32 s37, s36
	s_cbranch_execz .LBB128_72
; %bb.71:
	v_add_co_u32 v23, s36, 0x800, v3
	v_add_co_ci_u32_e64 v24, null, 0, v4, s36
	global_load_ushort v6, v[23:24], off offset:192
	s_waitcnt vmcnt(0)
	v_cvt_f32_f16_e32 v67, v6
.LBB128_72:
	s_or_b32 exec_lo, exec_lo, s37
	v_add_nc_u32_e32 v6, 0x480, v0
	v_mov_b32_e32 v63, 0xff800000
	v_mov_b32_e32 v66, 0xff800000
	v_cmp_gt_i32_e64 s36, s74, v6
	s_and_b32 s37, s64, s36
	s_and_saveexec_b32 s38, s37
	s_cbranch_execz .LBB128_74
; %bb.73:
	v_add_co_u32 v23, s37, 0x800, v3
	v_add_co_ci_u32_e64 v24, null, 0, v4, s37
	global_load_ushort v6, v[23:24], off offset:256
	s_waitcnt vmcnt(0)
	v_cvt_f32_f16_e32 v66, v6
.LBB128_74:
	;; [unrolled: 28-line block ×15, first 2 shown]
	s_or_b32 exec_lo, exec_lo, s65
	v_add_nc_u32_e32 v0, 0x7e0, v0
	v_cmp_gt_i32_e64 s63, s74, v0
	s_and_b32 s64, s64, s63
	s_and_saveexec_b32 s65, s64
	s_cbranch_execz .LBB128_128
; %bb.127:
	v_add_co_u32 v3, s64, 0x800, v3
	v_add_co_ci_u32_e64 v4, null, 0, v4, s64
	global_load_ushort v0, v[3:4], off offset:1984
	s_waitcnt vmcnt(0)
	v_cvt_f32_f16_e32 v13, v0
.LBB128_128:
	s_or_b32 exec_lo, exec_lo, s65
	v_cmp_gt_f32_e64 s64, v7, v9
	v_mbcnt_lo_u32_b32 v8, -1, 0
	s_mov_b32 s65, exec_lo
	v_cndmask_b32_e64 v0, v9, v7, s64
	v_cmp_gt_f32_e64 s64, v0, v10
	v_cndmask_b32_e64 v0, v10, v0, s64
	v_cmp_gt_f32_e64 s64, v0, v11
	v_cndmask_b32_e64 v0, v11, v0, s64
	v_cmp_gt_f32_e64 s64, v0, v12
	v_cndmask_b32_e64 v0, v12, v0, s64
	v_cmp_gt_f32_e64 s64, v0, v14
	v_cndmask_b32_e64 v0, v14, v0, s64
	v_cmp_gt_f32_e64 s64, v0, v16
	v_cndmask_b32_e64 v0, v16, v0, s64
	v_cmp_gt_f32_e64 s64, v0, v18
	v_cndmask_b32_e64 v0, v18, v0, s64
	v_cmp_gt_f32_e64 s64, v0, v20
	v_cndmask_b32_e64 v0, v20, v0, s64
	v_cmp_gt_f32_e64 s64, v0, v22
	v_cndmask_b32_e64 v0, v22, v0, s64
	v_cmp_gt_f32_e64 s64, v0, v25
	v_cndmask_b32_e64 v0, v25, v0, s64
	v_cmp_gt_f32_e64 s64, v0, v26
	v_cndmask_b32_e64 v0, v26, v0, s64
	v_cmp_gt_f32_e64 s64, v0, v29
	v_cndmask_b32_e64 v0, v29, v0, s64
	v_cmp_gt_f32_e64 s64, v0, v31
	v_cndmask_b32_e64 v0, v31, v0, s64
	v_cmp_gt_f32_e64 s64, v0, v33
	v_cndmask_b32_e64 v0, v33, v0, s64
	v_cmp_gt_f32_e64 s64, v0, v36
	v_cndmask_b32_e64 v0, v36, v0, s64
	v_cmp_gt_f32_e64 s64, v0, v37
	v_cndmask_b32_e64 v0, v37, v0, s64
	v_cmp_gt_f32_e64 s64, v0, v40
	v_cndmask_b32_e64 v0, v40, v0, s64
	v_cmp_gt_f32_e64 s64, v0, v41
	v_cndmask_b32_e64 v0, v41, v0, s64
	v_cmp_gt_f32_e64 s64, v0, v44
	v_cndmask_b32_e64 v0, v44, v0, s64
	v_cmp_gt_f32_e64 s64, v0, v45
	v_cndmask_b32_e64 v0, v45, v0, s64
	v_cmp_gt_f32_e64 s64, v0, v48
	v_cndmask_b32_e64 v0, v48, v0, s64
	v_cmp_gt_f32_e64 s64, v0, v50
	v_cndmask_b32_e64 v0, v50, v0, s64
	v_cmp_gt_f32_e64 s64, v0, v52
	v_cndmask_b32_e64 v0, v52, v0, s64
	v_cmp_gt_f32_e64 s64, v0, v55
	v_cndmask_b32_e64 v0, v55, v0, s64
	v_cmp_gt_f32_e64 s64, v0, v56
	v_cndmask_b32_e64 v0, v56, v0, s64
	v_cmp_gt_f32_e64 s64, v0, v60
	v_cndmask_b32_e64 v0, v60, v0, s64
	v_cmp_gt_f32_e64 s64, v0, v61
	v_cndmask_b32_e64 v0, v61, v0, s64
	v_cmp_gt_f32_e64 s64, v0, v64
	v_cndmask_b32_e64 v0, v64, v0, s64
	v_cmp_gt_f32_e64 s64, v0, v65
	v_cndmask_b32_e64 v0, v65, v0, s64
	v_cmp_gt_f32_e64 s64, v0, v68
	v_cndmask_b32_e64 v0, v68, v0, s64
	v_cmp_gt_f32_e64 s64, v0, v70
	v_cndmask_b32_e64 v0, v70, v0, s64
	v_cmp_gt_f32_e64 s64, v0, v72
	v_cndmask_b32_e64 v0, v72, v0, s64
	v_cmp_gt_f32_e64 s64, v0, v71
	v_cndmask_b32_e64 v0, v71, v0, s64
	v_cmp_gt_f32_e64 s64, v0, v69
	v_cndmask_b32_e64 v0, v69, v0, s64
	v_cmp_gt_f32_e64 s64, v0, v67
	v_cndmask_b32_e64 v0, v67, v0, s64
	v_cmp_gt_f32_e64 s64, v0, v66
	v_cndmask_b32_e64 v0, v66, v0, s64
	v_cmp_gt_f32_e64 s64, v0, v63
	v_cndmask_b32_e64 v0, v63, v0, s64
	v_cmp_gt_f32_e64 s64, v0, v62
	v_cndmask_b32_e64 v0, v62, v0, s64
	v_cmp_gt_f32_e64 s64, v0, v58
	v_cndmask_b32_e64 v0, v58, v0, s64
	v_cmp_gt_f32_e64 s64, v0, v57
	v_cndmask_b32_e64 v0, v57, v0, s64
	v_cmp_gt_f32_e64 s64, v0, v54
	v_cndmask_b32_e64 v0, v54, v0, s64
	v_cmp_gt_f32_e64 s64, v0, v53
	v_cndmask_b32_e64 v0, v53, v0, s64
	v_cmp_gt_f32_e64 s64, v0, v51
	v_cndmask_b32_e64 v0, v51, v0, s64
	v_cmp_gt_f32_e64 s64, v0, v49
	v_cndmask_b32_e64 v0, v49, v0, s64
	v_cmp_gt_f32_e64 s64, v0, v47
	v_cndmask_b32_e64 v0, v47, v0, s64
	v_cmp_gt_f32_e64 s64, v0, v46
	v_cndmask_b32_e64 v0, v46, v0, s64
	v_cmp_gt_f32_e64 s64, v0, v43
	v_cndmask_b32_e64 v0, v43, v0, s64
	v_cmp_gt_f32_e64 s64, v0, v42
	v_cndmask_b32_e64 v0, v42, v0, s64
	v_cmp_gt_f32_e64 s64, v0, v39
	v_cndmask_b32_e64 v0, v39, v0, s64
	v_cmp_gt_f32_e64 s64, v0, v38
	v_cndmask_b32_e64 v0, v38, v0, s64
	v_cmp_gt_f32_e64 s64, v0, v35
	v_cndmask_b32_e64 v0, v35, v0, s64
	v_cmp_gt_f32_e64 s64, v0, v34
	v_cndmask_b32_e64 v0, v34, v0, s64
	v_cmp_gt_f32_e64 s64, v0, v32
	v_cndmask_b32_e64 v0, v32, v0, s64
	v_cmp_gt_f32_e64 s64, v0, v30
	v_cndmask_b32_e64 v0, v30, v0, s64
	v_cmp_gt_f32_e64 s64, v0, v28
	v_cndmask_b32_e64 v0, v28, v0, s64
	v_cmp_gt_f32_e64 s64, v0, v27
	v_cndmask_b32_e64 v0, v27, v0, s64
	v_cmp_gt_f32_e64 s64, v0, v24
	v_cndmask_b32_e64 v0, v24, v0, s64
	v_cmp_gt_f32_e64 s64, v0, v23
	v_cndmask_b32_e64 v0, v23, v0, s64
	v_cmp_gt_f32_e64 s64, v0, v21
	v_cndmask_b32_e64 v0, v21, v0, s64
	v_cmp_gt_f32_e64 s64, v0, v19
	v_cndmask_b32_e64 v0, v19, v0, s64
	v_cmp_gt_f32_e64 s64, v0, v17
	v_cndmask_b32_e64 v0, v17, v0, s64
	v_cmp_gt_f32_e64 s64, v0, v15
	v_cndmask_b32_e64 v0, v15, v0, s64
	v_cmp_gt_f32_e64 s64, v0, v13
	v_cndmask_b32_e64 v3, v13, v0, s64
	v_xor_b32_e32 v0, 16, v8
	v_cmp_gt_i32_e64 s64, 32, v0
	v_cndmask_b32_e64 v0, v8, v0, s64
	v_lshlrev_b32_e32 v0, 2, v0
	ds_bpermute_b32 v4, v0, v3
	s_waitcnt lgkmcnt(0)
	v_cmp_lt_f32_e64 s64, v3, v4
	v_cndmask_b32_e64 v4, v3, v4, s64
	v_xor_b32_e32 v3, 8, v8
	v_cmp_gt_i32_e64 s64, 32, v3
	v_cndmask_b32_e64 v3, v8, v3, s64
	v_lshlrev_b32_e32 v3, 2, v3
	ds_bpermute_b32 v6, v3, v4
	s_waitcnt lgkmcnt(0)
	v_cmp_lt_f32_e64 s64, v4, v6
	;; [unrolled: 8-line block ×5, first 2 shown]
	v_cndmask_b32_e64 v59, v59, v73, s64
	v_sub_f32_e32 v7, v7, v59
	v_sub_f32_e32 v9, v9, v59
	;; [unrolled: 1-line block ×5, first 2 shown]
	v_mul_f32_e32 v73, 0x3fb8aa3b, v7
	v_cmp_ngt_f32_e64 s64, 0xc2ce8ed0, v7
	v_sub_f32_e32 v14, v14, v59
	v_sub_f32_e32 v16, v16, v59
	;; [unrolled: 1-line block ×3, first 2 shown]
	v_fma_f32 v74, 0x3fb8aa3b, v7, -v73
	v_rndne_f32_e32 v75, v73
	v_sub_f32_e32 v20, v20, v59
	v_sub_f32_e32 v22, v22, v59
	;; [unrolled: 1-line block ×3, first 2 shown]
	v_fmac_f32_e32 v74, 0x32a5705f, v7
	v_sub_f32_e32 v73, v73, v75
	v_sub_f32_e32 v26, v26, v59
	;; [unrolled: 1-line block ×5, first 2 shown]
	v_add_f32_e32 v73, v73, v74
	v_cvt_i32_f32_e32 v74, v75
	v_sub_f32_e32 v36, v36, v59
	v_sub_f32_e32 v37, v37, v59
	;; [unrolled: 1-line block ×3, first 2 shown]
	v_exp_f32_e32 v73, v73
	v_sub_f32_e32 v41, v41, v59
	v_sub_f32_e32 v44, v44, v59
	;; [unrolled: 1-line block ×9, first 2 shown]
	v_ldexp_f32 v73, v73, v74
	v_mul_f32_e32 v74, 0x3fb8aa3b, v9
	v_sub_f32_e32 v61, v61, v59
	v_sub_f32_e32 v64, v64, v59
	;; [unrolled: 1-line block ×3, first 2 shown]
	v_cndmask_b32_e64 v73, 0, v73, s64
	v_fma_f32 v75, 0x3fb8aa3b, v9, -v74
	v_rndne_f32_e32 v76, v74
	v_cmp_nlt_f32_e64 s64, 0x42b17218, v7
	v_sub_f32_e32 v68, v68, v59
	v_sub_f32_e32 v70, v70, v59
	v_fmac_f32_e32 v75, 0x32a5705f, v9
	v_sub_f32_e32 v74, v74, v76
	v_cndmask_b32_e64 v73, 0x7f800000, v73, s64
	v_cmp_ngt_f32_e64 s64, 0xc2ce8ed0, v9
	v_sub_f32_e32 v72, v72, v59
	v_sub_f32_e32 v71, v71, v59
	v_add_f32_e32 v74, v74, v75
	v_cvt_i32_f32_e32 v75, v76
	v_sub_f32_e32 v69, v69, v59
	v_sub_f32_e32 v67, v67, v59
	;; [unrolled: 1-line block ×3, first 2 shown]
	v_exp_f32_e32 v74, v74
	v_sub_f32_e32 v63, v63, v59
	v_sub_f32_e32 v62, v62, v59
	;; [unrolled: 1-line block ×9, first 2 shown]
	v_ldexp_f32 v74, v74, v75
	v_sub_f32_e32 v46, v46, v59
	v_sub_f32_e32 v43, v43, v59
	;; [unrolled: 1-line block ×4, first 2 shown]
	v_cndmask_b32_e64 v74, 0, v74, s64
	v_cmp_nlt_f32_e64 s64, 0x42b17218, v9
	v_sub_f32_e32 v38, v38, v59
	v_sub_f32_e32 v35, v35, v59
	;; [unrolled: 1-line block ×4, first 2 shown]
	v_cndmask_b32_e64 v74, 0x7f800000, v74, s64
	v_cmp_ngt_f32_e64 s64, 0xc2ce8ed0, v10
	v_sub_f32_e32 v30, v30, v59
	v_sub_f32_e32 v28, v28, v59
	;; [unrolled: 1-line block ×3, first 2 shown]
	v_add_f32_e32 v73, v73, v74
	v_mul_f32_e32 v74, 0x3fb8aa3b, v10
	v_sub_f32_e32 v24, v24, v59
	v_sub_f32_e32 v23, v23, v59
	;; [unrolled: 1-line block ×4, first 2 shown]
	v_fma_f32 v75, 0x3fb8aa3b, v10, -v74
	v_rndne_f32_e32 v76, v74
	v_sub_f32_e32 v17, v17, v59
	v_sub_f32_e32 v15, v15, v59
	;; [unrolled: 1-line block ×3, first 2 shown]
	v_fmac_f32_e32 v75, 0x32a5705f, v10
	v_sub_f32_e32 v74, v74, v76
	v_mul_f32_e32 v59, 0x3fb8aa3b, v13
	v_add_f32_e32 v74, v74, v75
	v_cvt_i32_f32_e32 v75, v76
	v_exp_f32_e32 v74, v74
	v_ldexp_f32 v74, v74, v75
	v_cndmask_b32_e64 v74, 0, v74, s64
	v_cmp_nlt_f32_e64 s64, 0x42b17218, v10
	v_cndmask_b32_e64 v74, 0x7f800000, v74, s64
	v_cmp_ngt_f32_e64 s64, 0xc2ce8ed0, v11
	v_add_f32_e32 v73, v73, v74
	v_mul_f32_e32 v74, 0x3fb8aa3b, v11
	v_fma_f32 v75, 0x3fb8aa3b, v11, -v74
	v_rndne_f32_e32 v76, v74
	v_fmac_f32_e32 v75, 0x32a5705f, v11
	v_sub_f32_e32 v74, v74, v76
	v_add_f32_e32 v74, v74, v75
	v_cvt_i32_f32_e32 v75, v76
	v_exp_f32_e32 v74, v74
	v_ldexp_f32 v74, v74, v75
	v_cndmask_b32_e64 v74, 0, v74, s64
	v_cmp_nlt_f32_e64 s64, 0x42b17218, v11
	v_cndmask_b32_e64 v74, 0x7f800000, v74, s64
	v_cmp_ngt_f32_e64 s64, 0xc2ce8ed0, v12
	v_add_f32_e32 v73, v73, v74
	v_mul_f32_e32 v74, 0x3fb8aa3b, v12
	v_fma_f32 v75, 0x3fb8aa3b, v12, -v74
	v_rndne_f32_e32 v76, v74
	v_fmac_f32_e32 v75, 0x32a5705f, v12
	v_sub_f32_e32 v74, v74, v76
	;; [unrolled: 14-line block ×60, first 2 shown]
	v_add_f32_e32 v74, v74, v75
	v_cvt_i32_f32_e32 v75, v76
	v_exp_f32_e32 v74, v74
	v_ldexp_f32 v74, v74, v75
	v_rndne_f32_e32 v75, v59
	v_cndmask_b32_e64 v74, 0, v74, s64
	v_cmp_nlt_f32_e64 s64, 0x42b17218, v15
	v_cndmask_b32_e64 v74, 0x7f800000, v74, s64
	v_cmp_ngt_f32_e64 s64, 0xc2ce8ed0, v13
	v_add_f32_e32 v73, v73, v74
	v_fma_f32 v74, 0x3fb8aa3b, v13, -v59
	v_sub_f32_e32 v59, v59, v75
	v_fmac_f32_e32 v74, 0x32a5705f, v13
	v_add_f32_e32 v59, v59, v74
	v_cvt_i32_f32_e32 v74, v75
	v_exp_f32_e32 v59, v59
	v_ldexp_f32 v59, v59, v74
	v_cndmask_b32_e64 v59, 0, v59, s64
	v_cmp_nlt_f32_e64 s64, 0x42b17218, v13
	v_cndmask_b32_e64 v59, 0x7f800000, v59, s64
	v_add_f32_e32 v59, v73, v59
	ds_bpermute_b32 v0, v0, v59
	s_waitcnt lgkmcnt(0)
	v_add_f32_e32 v0, v59, v0
	ds_bpermute_b32 v3, v3, v0
	s_waitcnt lgkmcnt(0)
	;; [unrolled: 3-line block ×4, first 2 shown]
	v_add_f32_e32 v0, v0, v3
	ds_bpermute_b32 v3, v8, v0
	v_cmpx_lt_i32_e32 0, v5
	s_cbranch_execz .LBB128_194
; %bb.129:
	s_and_b32 exec_lo, exec_lo, s1
	s_cbranch_execz .LBB128_194
; %bb.130:
	s_waitcnt lgkmcnt(0)
	v_add_f32_e32 v0, v0, v3
	v_cmp_gt_f32_e64 s1, 0x800000, v0
	v_cndmask_b32_e64 v3, 0, 32, s1
	v_cndmask_b32_e64 v4, 0, 0x41b17218, s1
	v_ldexp_f32 v0, v0, v3
	v_log_f32_e32 v0, v0
	v_mul_f32_e32 v3, 0x3f317217, v0
	v_cmp_gt_f32_e64 s64, 0x7f800000, |v0|
	v_fma_f32 v3, 0x3f317217, v0, -v3
	v_fmamk_f32 v3, v0, 0x3377d1cf, v3
	v_fmac_f32_e32 v3, 0x3f317217, v0
	v_cndmask_b32_e64 v3, v0, v3, s64
	v_lshlrev_b64 v[0:1], 2, v[1:2]
	v_sub_f32_e32 v4, v3, v4
	v_add_co_u32 v0, s1, s68, v0
	v_add_co_ci_u32_e64 v1, null, s69, v1, s1
	v_sub_f32_e32 v2, v7, v4
	global_store_dword v[0:1], v2, off
	s_and_b32 exec_lo, exec_lo, vcc_lo
	s_cbranch_execz .LBB128_194
; %bb.131:
	v_sub_f32_e32 v2, v9, v4
	global_store_dword v[0:1], v2, off offset:128
	s_and_b32 exec_lo, exec_lo, s0
	s_cbranch_execz .LBB128_194
; %bb.132:
	v_sub_f32_e32 v2, v10, v4
	global_store_dword v[0:1], v2, off offset:256
	s_and_b32 exec_lo, exec_lo, s2
	;; [unrolled: 5-line block ×15, first 2 shown]
	s_cbranch_execz .LBB128_194
; %bb.146:
	v_add_co_u32 v2, vcc_lo, 0x800, v0
	v_sub_f32_e32 v5, v37, v4
	v_add_co_ci_u32_e64 v3, null, 0, v1, vcc_lo
	global_store_dword v[2:3], v5, off
	s_and_b32 exec_lo, exec_lo, s16
	s_cbranch_execz .LBB128_194
; %bb.147:
	v_sub_f32_e32 v5, v40, v4
	global_store_dword v[2:3], v5, off offset:128
	s_and_b32 exec_lo, exec_lo, s17
	s_cbranch_execz .LBB128_194
; %bb.148:
	v_sub_f32_e32 v5, v41, v4
	global_store_dword v[2:3], v5, off offset:256
	;; [unrolled: 5-line block ×15, first 2 shown]
	s_and_b32 exec_lo, exec_lo, s31
	s_cbranch_execz .LBB128_194
; %bb.162:
	v_add_co_u32 v2, vcc_lo, 0x1000, v0
	v_sub_f32_e32 v5, v72, v4
	v_add_co_ci_u32_e64 v3, null, 0, v1, vcc_lo
	global_store_dword v[2:3], v5, off
	s_and_b32 exec_lo, exec_lo, s33
	s_cbranch_execz .LBB128_194
; %bb.163:
	v_sub_f32_e32 v5, v71, v4
	global_store_dword v[2:3], v5, off offset:128
	s_and_b32 exec_lo, exec_lo, s34
	s_cbranch_execz .LBB128_194
; %bb.164:
	v_sub_f32_e32 v5, v69, v4
	global_store_dword v[2:3], v5, off offset:256
	;; [unrolled: 5-line block ×15, first 2 shown]
	s_and_b32 exec_lo, exec_lo, s48
	s_cbranch_execz .LBB128_194
; %bb.178:
	v_add_co_u32 v0, vcc_lo, 0x1800, v0
	v_sub_f32_e32 v2, v42, v4
	v_add_co_ci_u32_e64 v1, null, 0, v1, vcc_lo
	global_store_dword v[0:1], v2, off
	s_and_b32 exec_lo, exec_lo, s49
	s_cbranch_execz .LBB128_194
; %bb.179:
	v_sub_f32_e32 v2, v39, v4
	global_store_dword v[0:1], v2, off offset:128
	s_and_b32 exec_lo, exec_lo, s50
	s_cbranch_execz .LBB128_194
; %bb.180:
	v_sub_f32_e32 v2, v38, v4
	global_store_dword v[0:1], v2, off offset:256
	;; [unrolled: 5-line block ×15, first 2 shown]
.LBB128_194:
	s_endpgm
	.section	.rodata,"a",@progbits
	.p2align	6, 0x0
	.amdhsa_kernel _ZN12_GLOBAL__N_120softmax_warp_forwardIN3c104HalfEffLi11ELb1ELb0ELi32EEEvPT0_PKT_iiiPKbib
		.amdhsa_group_segment_fixed_size 0
		.amdhsa_private_segment_fixed_size 0
		.amdhsa_kernarg_size 304
		.amdhsa_user_sgpr_count 6
		.amdhsa_user_sgpr_private_segment_buffer 1
		.amdhsa_user_sgpr_dispatch_ptr 0
		.amdhsa_user_sgpr_queue_ptr 0
		.amdhsa_user_sgpr_kernarg_segment_ptr 1
		.amdhsa_user_sgpr_dispatch_id 0
		.amdhsa_user_sgpr_flat_scratch_init 0
		.amdhsa_user_sgpr_private_segment_size 0
		.amdhsa_wavefront_size32 1
		.amdhsa_uses_dynamic_stack 0
		.amdhsa_system_sgpr_private_segment_wavefront_offset 0
		.amdhsa_system_sgpr_workgroup_id_x 1
		.amdhsa_system_sgpr_workgroup_id_y 0
		.amdhsa_system_sgpr_workgroup_id_z 0
		.amdhsa_system_sgpr_workgroup_info 0
		.amdhsa_system_vgpr_workitem_id 1
		.amdhsa_next_free_vgpr 77
		.amdhsa_next_free_sgpr 76
		.amdhsa_reserve_vcc 1
		.amdhsa_reserve_flat_scratch 0
		.amdhsa_float_round_mode_32 0
		.amdhsa_float_round_mode_16_64 0
		.amdhsa_float_denorm_mode_32 3
		.amdhsa_float_denorm_mode_16_64 3
		.amdhsa_dx10_clamp 1
		.amdhsa_ieee_mode 1
		.amdhsa_fp16_overflow 0
		.amdhsa_workgroup_processor_mode 1
		.amdhsa_memory_ordered 1
		.amdhsa_forward_progress 1
		.amdhsa_shared_vgpr_count 0
		.amdhsa_exception_fp_ieee_invalid_op 0
		.amdhsa_exception_fp_denorm_src 0
		.amdhsa_exception_fp_ieee_div_zero 0
		.amdhsa_exception_fp_ieee_overflow 0
		.amdhsa_exception_fp_ieee_underflow 0
		.amdhsa_exception_fp_ieee_inexact 0
		.amdhsa_exception_int_div_zero 0
	.end_amdhsa_kernel
	.section	.text._ZN12_GLOBAL__N_120softmax_warp_forwardIN3c104HalfEffLi11ELb1ELb0ELi32EEEvPT0_PKT_iiiPKbib,"axG",@progbits,_ZN12_GLOBAL__N_120softmax_warp_forwardIN3c104HalfEffLi11ELb1ELb0ELi32EEEvPT0_PKT_iiiPKbib,comdat
.Lfunc_end128:
	.size	_ZN12_GLOBAL__N_120softmax_warp_forwardIN3c104HalfEffLi11ELb1ELb0ELi32EEEvPT0_PKT_iiiPKbib, .Lfunc_end128-_ZN12_GLOBAL__N_120softmax_warp_forwardIN3c104HalfEffLi11ELb1ELb0ELi32EEEvPT0_PKT_iiiPKbib
                                        ; -- End function
	.set _ZN12_GLOBAL__N_120softmax_warp_forwardIN3c104HalfEffLi11ELb1ELb0ELi32EEEvPT0_PKT_iiiPKbib.num_vgpr, 77
	.set _ZN12_GLOBAL__N_120softmax_warp_forwardIN3c104HalfEffLi11ELb1ELb0ELi32EEEvPT0_PKT_iiiPKbib.num_agpr, 0
	.set _ZN12_GLOBAL__N_120softmax_warp_forwardIN3c104HalfEffLi11ELb1ELb0ELi32EEEvPT0_PKT_iiiPKbib.numbered_sgpr, 76
	.set _ZN12_GLOBAL__N_120softmax_warp_forwardIN3c104HalfEffLi11ELb1ELb0ELi32EEEvPT0_PKT_iiiPKbib.num_named_barrier, 0
	.set _ZN12_GLOBAL__N_120softmax_warp_forwardIN3c104HalfEffLi11ELb1ELb0ELi32EEEvPT0_PKT_iiiPKbib.private_seg_size, 0
	.set _ZN12_GLOBAL__N_120softmax_warp_forwardIN3c104HalfEffLi11ELb1ELb0ELi32EEEvPT0_PKT_iiiPKbib.uses_vcc, 1
	.set _ZN12_GLOBAL__N_120softmax_warp_forwardIN3c104HalfEffLi11ELb1ELb0ELi32EEEvPT0_PKT_iiiPKbib.uses_flat_scratch, 0
	.set _ZN12_GLOBAL__N_120softmax_warp_forwardIN3c104HalfEffLi11ELb1ELb0ELi32EEEvPT0_PKT_iiiPKbib.has_dyn_sized_stack, 0
	.set _ZN12_GLOBAL__N_120softmax_warp_forwardIN3c104HalfEffLi11ELb1ELb0ELi32EEEvPT0_PKT_iiiPKbib.has_recursion, 0
	.set _ZN12_GLOBAL__N_120softmax_warp_forwardIN3c104HalfEffLi11ELb1ELb0ELi32EEEvPT0_PKT_iiiPKbib.has_indirect_call, 0
	.section	.AMDGPU.csdata,"",@progbits
; Kernel info:
; codeLenInByte = 14036
; TotalNumSgprs: 78
; NumVgprs: 77
; ScratchSize: 0
; MemoryBound: 0
; FloatMode: 240
; IeeeMode: 1
; LDSByteSize: 0 bytes/workgroup (compile time only)
; SGPRBlocks: 0
; VGPRBlocks: 9
; NumSGPRsForWavesPerEU: 78
; NumVGPRsForWavesPerEU: 77
; Occupancy: 12
; WaveLimiterHint : 0
; COMPUTE_PGM_RSRC2:SCRATCH_EN: 0
; COMPUTE_PGM_RSRC2:USER_SGPR: 6
; COMPUTE_PGM_RSRC2:TRAP_HANDLER: 0
; COMPUTE_PGM_RSRC2:TGID_X_EN: 1
; COMPUTE_PGM_RSRC2:TGID_Y_EN: 0
; COMPUTE_PGM_RSRC2:TGID_Z_EN: 0
; COMPUTE_PGM_RSRC2:TIDIG_COMP_CNT: 1
	.section	.text._ZN2at6native12_GLOBAL__N_123cunn_SoftMaxForwardSmemILi8EN3c104HalfEffNS1_25LogSoftMaxForwardEpilogueElEEvPT2_PKT0_T4_,"axG",@progbits,_ZN2at6native12_GLOBAL__N_123cunn_SoftMaxForwardSmemILi8EN3c104HalfEffNS1_25LogSoftMaxForwardEpilogueElEEvPT2_PKT0_T4_,comdat
	.globl	_ZN2at6native12_GLOBAL__N_123cunn_SoftMaxForwardSmemILi8EN3c104HalfEffNS1_25LogSoftMaxForwardEpilogueElEEvPT2_PKT0_T4_ ; -- Begin function _ZN2at6native12_GLOBAL__N_123cunn_SoftMaxForwardSmemILi8EN3c104HalfEffNS1_25LogSoftMaxForwardEpilogueElEEvPT2_PKT0_T4_
	.p2align	8
	.type	_ZN2at6native12_GLOBAL__N_123cunn_SoftMaxForwardSmemILi8EN3c104HalfEffNS1_25LogSoftMaxForwardEpilogueElEEvPT2_PKT0_T4_,@function
_ZN2at6native12_GLOBAL__N_123cunn_SoftMaxForwardSmemILi8EN3c104HalfEffNS1_25LogSoftMaxForwardEpilogueElEEvPT2_PKT0_T4_: ; @_ZN2at6native12_GLOBAL__N_123cunn_SoftMaxForwardSmemILi8EN3c104HalfEffNS1_25LogSoftMaxForwardEpilogueElEEvPT2_PKT0_T4_
; %bb.0:
	s_clause 0x1
	s_load_dwordx2 s[12:13], s[4:5], 0x10
	s_load_dwordx4 s[8:11], s[4:5], 0x0
	v_mov_b32_e32 v1, 0
	v_lshlrev_b32_e32 v2, 3, v0
	v_mov_b32_e32 v8, 0xff7fffff
	s_mov_b32 s2, 0
	v_mov_b32_e32 v3, v1
	s_waitcnt lgkmcnt(0)
	v_cmp_gt_i64_e32 vcc_lo, s[12:13], v[2:3]
	s_mul_i32 s14, s13, s6
	s_mul_hi_u32 s15, s12, s6
	s_mul_i32 s6, s12, s6
	s_and_saveexec_b32 s3, vcc_lo
	s_cbranch_execz .LBB129_4
; %bb.1:
	s_load_dword s0, s[4:5], 0x24
	s_add_i32 s7, s15, s14
	v_lshlrev_b32_e32 v2, 4, v0
	v_mov_b32_e32 v8, 0xff7fffff
	v_add_nc_u32_e32 v6, 0, v2
	s_waitcnt lgkmcnt(0)
	s_and_b32 s16, s0, 0xffff
	s_lshl_b64 s[0:1], s[6:7], 1
	s_lshl_b32 s7, s16, 4
	s_add_u32 s0, s10, s0
	s_addc_u32 s1, s11, s1
	v_add_co_u32 v3, s0, s0, v2
	v_add_co_ci_u32_e64 v4, null, s1, 0, s0
	v_add_co_u32 v2, s0, v3, 8
	v_add_co_ci_u32_e64 v3, null, 0, v4, s0
	v_mov_b32_e32 v5, v1
	v_mov_b32_e32 v4, v0
	s_inst_prefetch 0x1
	.p2align	6
.LBB129_2:                              ; =>This Inner Loop Header: Depth=1
	global_load_dwordx4 v[9:12], v[2:3], off offset:-8
	v_add_co_u32 v4, s0, v4, s16
	v_add_co_ci_u32_e64 v5, null, 0, v5, s0
	v_add_co_u32 v2, s0, v2, s7
	v_add_co_ci_u32_e64 v3, null, 0, v3, s0
	s_waitcnt vmcnt(0)
	v_cvt_f32_f16_e32 v7, v9
	v_cvt_f32_f16_sdwa v13, v9 dst_sel:DWORD dst_unused:UNUSED_PAD src0_sel:WORD_1
	v_cvt_f32_f16_e32 v14, v10
	v_cvt_f32_f16_sdwa v15, v10 dst_sel:DWORD dst_unused:UNUSED_PAD src0_sel:WORD_1
	v_cvt_f32_f16_e32 v16, v11
	v_cvt_f32_f16_sdwa v17, v11 dst_sel:DWORD dst_unused:UNUSED_PAD src0_sel:WORD_1
	v_max3_f32 v13, v8, v7, v13
	v_lshlrev_b64 v[7:8], 3, v[4:5]
	ds_write_b128 v6, v[9:12]
	v_add_nc_u32_e32 v6, s7, v6
	v_max3_f32 v13, v13, v14, v15
	v_cmp_le_i64_e64 s1, s[12:13], v[7:8]
	v_cvt_f32_f16_e32 v7, v12
	v_cvt_f32_f16_sdwa v8, v12 dst_sel:DWORD dst_unused:UNUSED_PAD src0_sel:WORD_1
	v_max3_f32 v13, v13, v16, v17
	s_or_b32 s2, s1, s2
	v_max3_f32 v8, v13, v7, v8
	s_andn2_b32 exec_lo, exec_lo, s2
	s_cbranch_execnz .LBB129_2
; %bb.3:
	s_inst_prefetch 0x2
	s_or_b32 exec_lo, exec_lo, s2
.LBB129_4:
	s_or_b32 exec_lo, exec_lo, s3
	v_mbcnt_lo_u32_b32 v2, -1, 0
	v_lshrrev_b32_e32 v11, 3, v0
	s_lshl_b32 s1, s12, 1
	s_waitcnt lgkmcnt(0)
	s_add_i32 s7, s1, 0
	v_lshl_or_b32 v6, v2, 2, 64
	v_cmp_gt_u32_e64 s0, 24, v2
	s_barrier
	buffer_gl0_inv
	ds_bpermute_b32 v3, v6, v8
	v_cndmask_b32_e64 v4, 0, 8, s0
	v_add_lshl_u32 v7, v4, v2, 2
	s_waitcnt lgkmcnt(0)
	v_cmp_lt_f32_e64 s0, v8, v3
	v_cndmask_b32_e64 v3, v8, v3, s0
	v_cmp_gt_u32_e64 s0, 28, v2
	ds_bpermute_b32 v4, v7, v3
	v_cndmask_b32_e64 v5, 0, 4, s0
	v_add_lshl_u32 v8, v5, v2, 2
	s_waitcnt lgkmcnt(0)
	v_cmp_lt_f32_e64 s0, v3, v4
	v_cndmask_b32_e64 v3, v3, v4, s0
	v_cmp_gt_u32_e64 s0, 30, v2
	ds_bpermute_b32 v4, v8, v3
	v_cndmask_b32_e64 v5, 0, 2, s0
	v_add_lshl_u32 v9, v5, v2, 2
	s_waitcnt lgkmcnt(0)
	v_cmp_lt_f32_e64 s0, v3, v4
	v_cndmask_b32_e64 v3, v3, v4, s0
	v_cmp_ne_u32_e64 s0, 31, v2
	ds_bpermute_b32 v4, v9, v3
	v_add_co_ci_u32_e64 v5, null, 0, v2, s0
	v_lshlrev_b32_e32 v10, 2, v5
	s_waitcnt lgkmcnt(0)
	v_cmp_lt_f32_e64 s0, v3, v4
	v_cndmask_b32_e64 v2, v3, v4, s0
	v_and_b32_e32 v3, 31, v0
	ds_bpermute_b32 v4, v10, v2
	v_cmp_eq_u32_e64 s0, 0, v3
	s_and_saveexec_b32 s2, s0
	s_cbranch_execz .LBB129_6
; %bb.5:
	s_waitcnt lgkmcnt(0)
	v_cmp_lt_f32_e64 s1, v2, v4
	v_add_nc_u32_e32 v5, s7, v11
	v_cndmask_b32_e64 v2, v2, v4, s1
	ds_write_b32 v5, v2
.LBB129_6:
	s_or_b32 exec_lo, exec_lo, s2
	s_waitcnt lgkmcnt(0)
	s_barrier
	buffer_gl0_inv
	s_load_dword s4, s[4:5], 0x24
	v_mov_b32_e32 v2, 0xff7fffff
	v_lshl_add_u32 v12, v3, 2, s7
	s_waitcnt lgkmcnt(0)
	s_bfe_u32 s1, s4, 0xb0005
	v_cmp_gt_u32_e64 s1, s1, v0
	s_and_saveexec_b32 s2, s1
	s_cbranch_execnz .LBB129_24
; %bb.7:
	s_or_b32 exec_lo, exec_lo, s2
	v_cmp_gt_u32_e64 s2, 32, v0
	s_and_saveexec_b32 s5, s2
	s_cbranch_execnz .LBB129_25
.LBB129_8:
	s_or_b32 exec_lo, exec_lo, s5
	v_cmp_eq_u32_e64 s3, 0, v0
	s_and_saveexec_b32 s5, s3
	s_cbranch_execz .LBB129_10
.LBB129_9:
	v_mov_b32_e32 v3, s7
	s_waitcnt lgkmcnt(0)
	ds_write_b32 v3, v2
.LBB129_10:
	s_or_b32 exec_lo, exec_lo, s5
	s_waitcnt lgkmcnt(0)
	v_mov_b32_e32 v2, s7
	s_barrier
	buffer_gl0_inv
	v_mov_b32_e32 v14, 0
	ds_read_b32 v4, v2
	v_lshl_add_u32 v5, v0, 4, 0
	s_and_b32 s5, 0xffff, s4
	s_and_saveexec_b32 s10, vcc_lo
	s_cbranch_execz .LBB129_14
; %bb.11:
	v_mov_b32_e32 v3, v1
	v_lshl_add_u32 v13, v0, 4, 0
	v_mov_b32_e32 v14, 0
	v_mov_b32_e32 v2, v0
	s_mov_b32 s11, 0
	s_lshl_b32 s16, s5, 4
.LBB129_12:                             ; =>This Inner Loop Header: Depth=1
	ds_read_b128 v[15:18], v13
	v_add_co_u32 v2, s4, v2, s5
	v_add_co_ci_u32_e64 v3, null, 0, v3, s4
	v_add_nc_u32_e32 v13, s16, v13
	v_lshlrev_b64 v[19:20], 3, v[2:3]
	s_waitcnt lgkmcnt(0)
	v_cvt_f32_f16_e32 v21, v15
	v_cvt_f32_f16_sdwa v15, v15 dst_sel:DWORD dst_unused:UNUSED_PAD src0_sel:WORD_1
	v_cvt_f32_f16_e32 v22, v16
	v_cvt_f32_f16_sdwa v16, v16 dst_sel:DWORD dst_unused:UNUSED_PAD src0_sel:WORD_1
	v_cvt_f32_f16_e32 v23, v17
	v_sub_f32_e32 v21, v21, v4
	v_sub_f32_e32 v15, v15, v4
	;; [unrolled: 1-line block ×5, first 2 shown]
	v_mul_f32_e32 v25, 0x3fb8aa3b, v21
	v_mul_f32_e32 v26, 0x3fb8aa3b, v15
	v_mul_f32_e32 v27, 0x3fb8aa3b, v22
	v_mul_f32_e32 v28, 0x3fb8aa3b, v16
	v_cmp_ngt_f32_e64 s4, 0xc2ce8ed0, v21
	v_fma_f32 v33, 0x3fb8aa3b, v21, -v25
	v_rndne_f32_e32 v34, v25
	v_fma_f32 v35, 0x3fb8aa3b, v15, -v26
	v_rndne_f32_e32 v36, v26
	v_fma_f32 v37, 0x3fb8aa3b, v22, -v27
	v_fmac_f32_e32 v33, 0x32a5705f, v21
	v_sub_f32_e32 v25, v25, v34
	v_fmac_f32_e32 v35, 0x32a5705f, v15
	v_sub_f32_e32 v26, v26, v36
	v_rndne_f32_e32 v38, v27
	v_cvt_i32_f32_e32 v34, v34
	v_add_f32_e32 v25, v25, v33
	v_fmac_f32_e32 v37, 0x32a5705f, v22
	v_add_f32_e32 v26, v26, v35
	v_sub_f32_e32 v27, v27, v38
	v_fma_f32 v39, 0x3fb8aa3b, v16, -v28
	v_exp_f32_e32 v25, v25
	v_rndne_f32_e32 v40, v28
	v_exp_f32_e32 v26, v26
	v_cvt_i32_f32_e32 v36, v36
	v_add_f32_e32 v27, v27, v37
	v_cvt_f32_f16_sdwa v17, v17 dst_sel:DWORD dst_unused:UNUSED_PAD src0_sel:WORD_1
	v_mul_f32_e32 v29, 0x3fb8aa3b, v23
	v_fmac_f32_e32 v39, 0x32a5705f, v16
	v_sub_f32_e32 v28, v28, v40
	v_exp_f32_e32 v27, v27
	v_ldexp_f32 v25, v25, v34
	v_sub_f32_e32 v17, v17, v4
	v_ldexp_f32 v26, v26, v36
	v_fma_f32 v41, 0x3fb8aa3b, v23, -v29
	v_rndne_f32_e32 v42, v29
	v_cndmask_b32_e64 v25, 0, v25, s4
	v_cmp_ngt_f32_e64 s4, 0xc2ce8ed0, v15
	v_cvt_i32_f32_e32 v38, v38
	v_add_f32_e32 v28, v28, v39
	v_cvt_f32_f16_e32 v24, v18
	v_mul_f32_e32 v30, 0x3fb8aa3b, v17
	v_cndmask_b32_e64 v26, 0, v26, s4
	v_cmp_nlt_f32_e64 s4, 0x42b17218, v21
	v_fmac_f32_e32 v41, 0x32a5705f, v23
	v_sub_f32_e32 v29, v29, v42
	v_exp_f32_e32 v28, v28
	v_ldexp_f32 v27, v27, v38
	v_cndmask_b32_e64 v21, 0x7f800000, v25, s4
	v_cmp_ngt_f32_e64 s4, 0xc2ce8ed0, v22
	v_sub_f32_e32 v24, v24, v4
	v_fma_f32 v43, 0x3fb8aa3b, v17, -v30
	v_rndne_f32_e32 v44, v30
	v_cvt_i32_f32_e32 v40, v40
	v_add_f32_e32 v29, v29, v41
	v_cndmask_b32_e64 v25, 0, v27, s4
	v_cmp_nlt_f32_e64 s4, 0x42b17218, v15
	v_cvt_f32_f16_sdwa v18, v18 dst_sel:DWORD dst_unused:UNUSED_PAD src0_sel:WORD_1
	v_mul_f32_e32 v31, 0x3fb8aa3b, v24
	v_fmac_f32_e32 v43, 0x32a5705f, v17
	v_sub_f32_e32 v30, v30, v44
	v_exp_f32_e32 v29, v29
	v_ldexp_f32 v28, v28, v40
	v_cndmask_b32_e64 v15, 0x7f800000, v26, s4
	v_cmp_ngt_f32_e64 s4, 0xc2ce8ed0, v16
	v_sub_f32_e32 v18, v18, v4
	v_fma_f32 v45, 0x3fb8aa3b, v24, -v31
	v_rndne_f32_e32 v46, v31
	v_cvt_i32_f32_e32 v42, v42
	v_add_f32_e32 v30, v30, v43
	v_add_f32_e32 v14, v14, v21
	v_cndmask_b32_e64 v21, 0, v28, s4
	v_cmp_nlt_f32_e64 s4, 0x42b17218, v22
	v_mul_f32_e32 v32, 0x3fb8aa3b, v18
	v_fmac_f32_e32 v45, 0x32a5705f, v24
	v_sub_f32_e32 v31, v31, v46
	v_exp_f32_e32 v30, v30
	v_ldexp_f32 v29, v29, v42
	v_cndmask_b32_e64 v22, 0x7f800000, v25, s4
	v_cmp_ngt_f32_e64 s4, 0xc2ce8ed0, v23
	v_fma_f32 v47, 0x3fb8aa3b, v18, -v32
	v_rndne_f32_e32 v48, v32
	v_cvt_i32_f32_e32 v44, v44
	v_add_f32_e32 v31, v31, v45
	v_add_f32_e32 v14, v14, v15
	v_cndmask_b32_e64 v15, 0, v29, s4
	v_cmp_nlt_f32_e64 s4, 0x42b17218, v16
	v_fmac_f32_e32 v47, 0x32a5705f, v18
	v_sub_f32_e32 v32, v32, v48
	v_exp_f32_e32 v31, v31
	v_ldexp_f32 v30, v30, v44
	v_cndmask_b32_e64 v16, 0x7f800000, v21, s4
	v_cmp_ngt_f32_e64 s4, 0xc2ce8ed0, v17
	v_cvt_i32_f32_e32 v46, v46
	v_add_f32_e32 v32, v32, v47
	v_add_f32_e32 v14, v14, v22
	v_cvt_i32_f32_e32 v48, v48
	v_cndmask_b32_e64 v21, 0, v30, s4
	v_cmp_nlt_f32_e64 s4, 0x42b17218, v23
	v_exp_f32_e32 v32, v32
	v_ldexp_f32 v31, v31, v46
	v_add_f32_e32 v14, v14, v16
	v_cndmask_b32_e64 v15, 0x7f800000, v15, s4
	v_cmp_ngt_f32_e64 s4, 0xc2ce8ed0, v24
	v_add_f32_e32 v14, v14, v15
	v_cndmask_b32_e64 v16, 0, v31, s4
	v_cmp_nlt_f32_e64 s4, 0x42b17218, v17
	v_ldexp_f32 v32, v32, v48
	v_cndmask_b32_e64 v17, 0x7f800000, v21, s4
	v_cmp_ngt_f32_e64 s4, 0xc2ce8ed0, v18
	v_add_f32_e32 v14, v14, v17
	v_cndmask_b32_e64 v15, 0, v32, s4
	v_cmp_nlt_f32_e64 s4, 0x42b17218, v24
	v_cndmask_b32_e64 v16, 0x7f800000, v16, s4
	v_cmp_nlt_f32_e64 s4, 0x42b17218, v18
	v_add_f32_e32 v14, v14, v16
	v_cndmask_b32_e64 v15, 0x7f800000, v15, s4
	v_cmp_le_i64_e64 s4, s[12:13], v[19:20]
	v_add_f32_e32 v14, v14, v15
	s_or_b32 s11, s4, s11
	s_andn2_b32 exec_lo, exec_lo, s11
	s_cbranch_execnz .LBB129_12
; %bb.13:
	s_or_b32 exec_lo, exec_lo, s11
.LBB129_14:
	s_or_b32 exec_lo, exec_lo, s10
	ds_bpermute_b32 v2, v6, v14
	s_waitcnt lgkmcnt(0)
	s_barrier
	buffer_gl0_inv
	v_add_f32_e32 v2, v14, v2
	ds_bpermute_b32 v3, v7, v2
	s_waitcnt lgkmcnt(0)
	v_add_f32_e32 v2, v2, v3
	ds_bpermute_b32 v3, v8, v2
	s_waitcnt lgkmcnt(0)
	;; [unrolled: 3-line block ×3, first 2 shown]
	v_add_f32_e32 v2, v2, v3
	ds_bpermute_b32 v3, v10, v2
	s_and_saveexec_b32 s4, s0
	s_cbranch_execz .LBB129_16
; %bb.15:
	v_add_nc_u32_e32 v11, s7, v11
	s_waitcnt lgkmcnt(0)
	v_add_f32_e32 v2, v2, v3
	ds_write_b32 v11, v2
.LBB129_16:
	s_or_b32 exec_lo, exec_lo, s4
	v_mov_b32_e32 v2, 0
	s_waitcnt lgkmcnt(0)
	s_barrier
	buffer_gl0_inv
	s_and_saveexec_b32 s0, s1
	s_cbranch_execnz .LBB129_26
; %bb.17:
	s_or_b32 exec_lo, exec_lo, s0
	s_and_saveexec_b32 s0, s2
	s_cbranch_execnz .LBB129_27
.LBB129_18:
	s_or_b32 exec_lo, exec_lo, s0
	s_and_saveexec_b32 s0, s3
	s_cbranch_execz .LBB129_20
.LBB129_19:
	v_mov_b32_e32 v3, s7
	s_waitcnt lgkmcnt(0)
	ds_write_b32 v3, v2
.LBB129_20:
	s_or_b32 exec_lo, exec_lo, s0
	s_waitcnt lgkmcnt(0)
	s_barrier
	buffer_gl0_inv
	s_and_saveexec_b32 s0, vcc_lo
	s_cbranch_execz .LBB129_23
; %bb.21:
	v_mov_b32_e32 v2, s7
	v_lshlrev_b32_e32 v7, 5, v0
	ds_read_b32 v2, v2
	s_waitcnt lgkmcnt(0)
	v_cmp_gt_f32_e32 vcc_lo, 0x800000, v2
	s_and_b32 s0, vcc_lo, exec_lo
	s_cselect_b32 s0, 32, 0
	s_add_i32 s7, s15, s14
	v_ldexp_f32 v2, v2, s0
	v_cndmask_b32_e64 v3, 0, 0x41b17218, vcc_lo
	s_lshl_b64 s[2:3], s[6:7], 2
	s_lshl_b32 s1, s5, 4
	s_add_u32 s0, s8, s2
	v_log_f32_e32 v2, v2
	s_addc_u32 s2, s9, s3
	v_add_co_u32 v7, s0, s0, v7
	v_add_co_ci_u32_e64 v8, null, s2, 0, s0
	s_mov_b32 s2, 0
	s_lshl_b32 s3, s5, 5
	v_mul_f32_e32 v6, 0x3f317217, v2
	v_cmp_gt_f32_e64 vcc_lo, 0x7f800000, |v2|
	v_fma_f32 v6, 0x3f317217, v2, -v6
	v_fmamk_f32 v6, v2, 0x3377d1cf, v6
	v_fmac_f32_e32 v6, 0x3f317217, v2
	v_cndmask_b32_e32 v2, v2, v6, vcc_lo
	v_sub_f32_e32 v6, v2, v3
	v_add_co_u32 v2, vcc_lo, v7, 28
	v_add_co_ci_u32_e64 v3, null, 0, v8, vcc_lo
.LBB129_22:                             ; =>This Inner Loop Header: Depth=1
	ds_read_b128 v[7:10], v5
	v_add_co_u32 v0, vcc_lo, v0, s5
	v_add_co_ci_u32_e64 v1, null, 0, v1, vcc_lo
	v_add_nc_u32_e32 v5, s1, v5
	v_lshlrev_b64 v[11:12], 3, v[0:1]
	v_cmp_le_i64_e32 vcc_lo, s[12:13], v[11:12]
	s_or_b32 s2, vcc_lo, s2
	s_waitcnt lgkmcnt(0)
	v_cvt_f32_f16_e32 v11, v7
	v_cvt_f32_f16_sdwa v7, v7 dst_sel:DWORD dst_unused:UNUSED_PAD src0_sel:WORD_1
	v_cvt_f32_f16_e32 v12, v8
	v_cvt_f32_f16_sdwa v8, v8 dst_sel:DWORD dst_unused:UNUSED_PAD src0_sel:WORD_1
	v_cvt_f32_f16_e32 v13, v9
	v_cvt_f32_f16_sdwa v9, v9 dst_sel:DWORD dst_unused:UNUSED_PAD src0_sel:WORD_1
	v_cvt_f32_f16_e32 v14, v10
	v_cvt_f32_f16_sdwa v10, v10 dst_sel:DWORD dst_unused:UNUSED_PAD src0_sel:WORD_1
	v_sub_f32_e32 v11, v11, v4
	v_sub_f32_e32 v15, v7, v4
	;; [unrolled: 1-line block ×16, first 2 shown]
	global_store_dwordx4 v[2:3], v[7:10], off offset:-28
	global_store_dwordx4 v[2:3], v[11:14], off offset:-12
	v_add_co_u32 v2, s0, v2, s3
	v_add_co_ci_u32_e64 v3, null, 0, v3, s0
	s_andn2_b32 exec_lo, exec_lo, s2
	s_cbranch_execnz .LBB129_22
.LBB129_23:
	s_endpgm
.LBB129_24:
	ds_read_b32 v2, v12
	s_or_b32 exec_lo, exec_lo, s2
	v_cmp_gt_u32_e64 s2, 32, v0
	s_and_saveexec_b32 s5, s2
	s_cbranch_execz .LBB129_8
.LBB129_25:
	s_waitcnt lgkmcnt(0)
	ds_bpermute_b32 v3, v6, v2
	s_waitcnt lgkmcnt(0)
	v_cmp_lt_f32_e64 s3, v2, v3
	v_cndmask_b32_e64 v2, v2, v3, s3
	ds_bpermute_b32 v3, v7, v2
	s_waitcnt lgkmcnt(0)
	v_cmp_lt_f32_e64 s3, v2, v3
	v_cndmask_b32_e64 v2, v2, v3, s3
	;; [unrolled: 4-line block ×5, first 2 shown]
	s_or_b32 exec_lo, exec_lo, s5
	v_cmp_eq_u32_e64 s3, 0, v0
	s_and_saveexec_b32 s5, s3
	s_cbranch_execnz .LBB129_9
	s_branch .LBB129_10
.LBB129_26:
	ds_read_b32 v2, v12
	s_or_b32 exec_lo, exec_lo, s0
	s_and_saveexec_b32 s0, s2
	s_cbranch_execz .LBB129_18
.LBB129_27:
	s_waitcnt lgkmcnt(0)
	ds_bpermute_b32 v3, v6, v2
	s_waitcnt lgkmcnt(0)
	v_add_f32_e32 v2, v2, v3
	ds_bpermute_b32 v3, v7, v2
	s_waitcnt lgkmcnt(0)
	v_add_f32_e32 v2, v2, v3
	;; [unrolled: 3-line block ×5, first 2 shown]
	s_or_b32 exec_lo, exec_lo, s0
	s_and_saveexec_b32 s0, s3
	s_cbranch_execnz .LBB129_19
	s_branch .LBB129_20
	.section	.rodata,"a",@progbits
	.p2align	6, 0x0
	.amdhsa_kernel _ZN2at6native12_GLOBAL__N_123cunn_SoftMaxForwardSmemILi8EN3c104HalfEffNS1_25LogSoftMaxForwardEpilogueElEEvPT2_PKT0_T4_
		.amdhsa_group_segment_fixed_size 0
		.amdhsa_private_segment_fixed_size 0
		.amdhsa_kernarg_size 280
		.amdhsa_user_sgpr_count 6
		.amdhsa_user_sgpr_private_segment_buffer 1
		.amdhsa_user_sgpr_dispatch_ptr 0
		.amdhsa_user_sgpr_queue_ptr 0
		.amdhsa_user_sgpr_kernarg_segment_ptr 1
		.amdhsa_user_sgpr_dispatch_id 0
		.amdhsa_user_sgpr_flat_scratch_init 0
		.amdhsa_user_sgpr_private_segment_size 0
		.amdhsa_wavefront_size32 1
		.amdhsa_uses_dynamic_stack 0
		.amdhsa_system_sgpr_private_segment_wavefront_offset 0
		.amdhsa_system_sgpr_workgroup_id_x 1
		.amdhsa_system_sgpr_workgroup_id_y 0
		.amdhsa_system_sgpr_workgroup_id_z 0
		.amdhsa_system_sgpr_workgroup_info 0
		.amdhsa_system_vgpr_workitem_id 0
		.amdhsa_next_free_vgpr 49
		.amdhsa_next_free_sgpr 17
		.amdhsa_reserve_vcc 1
		.amdhsa_reserve_flat_scratch 0
		.amdhsa_float_round_mode_32 0
		.amdhsa_float_round_mode_16_64 0
		.amdhsa_float_denorm_mode_32 3
		.amdhsa_float_denorm_mode_16_64 3
		.amdhsa_dx10_clamp 1
		.amdhsa_ieee_mode 1
		.amdhsa_fp16_overflow 0
		.amdhsa_workgroup_processor_mode 1
		.amdhsa_memory_ordered 1
		.amdhsa_forward_progress 1
		.amdhsa_shared_vgpr_count 0
		.amdhsa_exception_fp_ieee_invalid_op 0
		.amdhsa_exception_fp_denorm_src 0
		.amdhsa_exception_fp_ieee_div_zero 0
		.amdhsa_exception_fp_ieee_overflow 0
		.amdhsa_exception_fp_ieee_underflow 0
		.amdhsa_exception_fp_ieee_inexact 0
		.amdhsa_exception_int_div_zero 0
	.end_amdhsa_kernel
	.section	.text._ZN2at6native12_GLOBAL__N_123cunn_SoftMaxForwardSmemILi8EN3c104HalfEffNS1_25LogSoftMaxForwardEpilogueElEEvPT2_PKT0_T4_,"axG",@progbits,_ZN2at6native12_GLOBAL__N_123cunn_SoftMaxForwardSmemILi8EN3c104HalfEffNS1_25LogSoftMaxForwardEpilogueElEEvPT2_PKT0_T4_,comdat
.Lfunc_end129:
	.size	_ZN2at6native12_GLOBAL__N_123cunn_SoftMaxForwardSmemILi8EN3c104HalfEffNS1_25LogSoftMaxForwardEpilogueElEEvPT2_PKT0_T4_, .Lfunc_end129-_ZN2at6native12_GLOBAL__N_123cunn_SoftMaxForwardSmemILi8EN3c104HalfEffNS1_25LogSoftMaxForwardEpilogueElEEvPT2_PKT0_T4_
                                        ; -- End function
	.set _ZN2at6native12_GLOBAL__N_123cunn_SoftMaxForwardSmemILi8EN3c104HalfEffNS1_25LogSoftMaxForwardEpilogueElEEvPT2_PKT0_T4_.num_vgpr, 49
	.set _ZN2at6native12_GLOBAL__N_123cunn_SoftMaxForwardSmemILi8EN3c104HalfEffNS1_25LogSoftMaxForwardEpilogueElEEvPT2_PKT0_T4_.num_agpr, 0
	.set _ZN2at6native12_GLOBAL__N_123cunn_SoftMaxForwardSmemILi8EN3c104HalfEffNS1_25LogSoftMaxForwardEpilogueElEEvPT2_PKT0_T4_.numbered_sgpr, 17
	.set _ZN2at6native12_GLOBAL__N_123cunn_SoftMaxForwardSmemILi8EN3c104HalfEffNS1_25LogSoftMaxForwardEpilogueElEEvPT2_PKT0_T4_.num_named_barrier, 0
	.set _ZN2at6native12_GLOBAL__N_123cunn_SoftMaxForwardSmemILi8EN3c104HalfEffNS1_25LogSoftMaxForwardEpilogueElEEvPT2_PKT0_T4_.private_seg_size, 0
	.set _ZN2at6native12_GLOBAL__N_123cunn_SoftMaxForwardSmemILi8EN3c104HalfEffNS1_25LogSoftMaxForwardEpilogueElEEvPT2_PKT0_T4_.uses_vcc, 1
	.set _ZN2at6native12_GLOBAL__N_123cunn_SoftMaxForwardSmemILi8EN3c104HalfEffNS1_25LogSoftMaxForwardEpilogueElEEvPT2_PKT0_T4_.uses_flat_scratch, 0
	.set _ZN2at6native12_GLOBAL__N_123cunn_SoftMaxForwardSmemILi8EN3c104HalfEffNS1_25LogSoftMaxForwardEpilogueElEEvPT2_PKT0_T4_.has_dyn_sized_stack, 0
	.set _ZN2at6native12_GLOBAL__N_123cunn_SoftMaxForwardSmemILi8EN3c104HalfEffNS1_25LogSoftMaxForwardEpilogueElEEvPT2_PKT0_T4_.has_recursion, 0
	.set _ZN2at6native12_GLOBAL__N_123cunn_SoftMaxForwardSmemILi8EN3c104HalfEffNS1_25LogSoftMaxForwardEpilogueElEEvPT2_PKT0_T4_.has_indirect_call, 0
	.section	.AMDGPU.csdata,"",@progbits
; Kernel info:
; codeLenInByte = 2780
; TotalNumSgprs: 19
; NumVgprs: 49
; ScratchSize: 0
; MemoryBound: 0
; FloatMode: 240
; IeeeMode: 1
; LDSByteSize: 0 bytes/workgroup (compile time only)
; SGPRBlocks: 0
; VGPRBlocks: 6
; NumSGPRsForWavesPerEU: 19
; NumVGPRsForWavesPerEU: 49
; Occupancy: 16
; WaveLimiterHint : 0
; COMPUTE_PGM_RSRC2:SCRATCH_EN: 0
; COMPUTE_PGM_RSRC2:USER_SGPR: 6
; COMPUTE_PGM_RSRC2:TRAP_HANDLER: 0
; COMPUTE_PGM_RSRC2:TGID_X_EN: 1
; COMPUTE_PGM_RSRC2:TGID_Y_EN: 0
; COMPUTE_PGM_RSRC2:TGID_Z_EN: 0
; COMPUTE_PGM_RSRC2:TIDIG_COMP_CNT: 0
	.section	.text._ZN2at6native12_GLOBAL__N_119cunn_SoftMaxForwardILi8EN3c104HalfEffNS1_25LogSoftMaxForwardEpilogueEEEvPT2_PKT0_i,"axG",@progbits,_ZN2at6native12_GLOBAL__N_119cunn_SoftMaxForwardILi8EN3c104HalfEffNS1_25LogSoftMaxForwardEpilogueEEEvPT2_PKT0_i,comdat
	.globl	_ZN2at6native12_GLOBAL__N_119cunn_SoftMaxForwardILi8EN3c104HalfEffNS1_25LogSoftMaxForwardEpilogueEEEvPT2_PKT0_i ; -- Begin function _ZN2at6native12_GLOBAL__N_119cunn_SoftMaxForwardILi8EN3c104HalfEffNS1_25LogSoftMaxForwardEpilogueEEEvPT2_PKT0_i
	.p2align	8
	.type	_ZN2at6native12_GLOBAL__N_119cunn_SoftMaxForwardILi8EN3c104HalfEffNS1_25LogSoftMaxForwardEpilogueEEEvPT2_PKT0_i,@function
_ZN2at6native12_GLOBAL__N_119cunn_SoftMaxForwardILi8EN3c104HalfEffNS1_25LogSoftMaxForwardEpilogueEEEvPT2_PKT0_i: ; @_ZN2at6native12_GLOBAL__N_119cunn_SoftMaxForwardILi8EN3c104HalfEffNS1_25LogSoftMaxForwardEpilogueEEEvPT2_PKT0_i
; %bb.0:
	s_clause 0x1
	s_load_dword s7, s[4:5], 0x10
	s_load_dwordx4 s[8:11], s[4:5], 0x0
	s_mov_b32 s13, 0
	s_waitcnt lgkmcnt(0)
	s_ashr_i32 s0, s7, 31
	s_mul_hi_u32 s1, s7, s6
	s_mul_i32 s0, s0, s6
	s_mul_i32 s14, s7, s6
	s_add_i32 s15, s1, s0
	s_lshl_b64 s[0:1], s[14:15], 1
	s_add_u32 s10, s10, s0
	s_addc_u32 s11, s11, s1
	s_bfe_u32 s12, s10, 0x30001
	s_cmp_lg_u32 s12, 0
	s_cselect_b32 s18, -1, 0
	s_add_u32 s2, s4, 24
	s_addc_u32 s3, s5, 0
	s_and_b32 vcc_lo, exec_lo, s18
	s_cbranch_vccz .LBB130_25
; %bb.1:
	s_lshl_b64 s[0:1], s[12:13], 1
	v_cmp_le_u32_e32 vcc_lo, s12, v0
	s_sub_u32 s16, s10, s0
	s_subb_u32 s17, s11, s1
	s_add_i32 s1, s12, s7
	v_mov_b32_e32 v4, 0xff7fffff
	v_cmp_gt_i32_e64 s0, s1, v0
	s_and_b32 s2, vcc_lo, s0
	s_and_saveexec_b32 s0, s2
	s_cbranch_execz .LBB130_3
; %bb.2:
	v_lshlrev_b32_e32 v1, 1, v0
	global_load_ushort v1, v1, s[16:17]
	s_waitcnt vmcnt(0)
	v_cvt_f32_f16_e32 v1, v1
	v_max_f32_e32 v4, 0xff7fffff, v1
.LBB130_3:
	s_or_b32 exec_lo, exec_lo, s0
	s_load_dword s0, s[4:5], 0x24
	s_add_u32 s2, s4, 24
	s_addc_u32 s3, s5, 0
	s_waitcnt lgkmcnt(0)
	s_and_b32 s0, s0, 0xffff
	v_sub_nc_u32_e64 v1, s1, s0 clamp
	s_lshl_b32 s0, s0, 1
	s_add_u32 s0, s16, s0
	s_addc_u32 s1, s17, 0
	v_readfirstlane_b32 s13, v1
	s_branch .LBB130_5
.LBB130_4:
	v_mov_b32_e32 v4, 0xff7fffff
	s_mov_b32 s13, s7
	s_mov_b64 s[0:1], s[10:11]
.LBB130_5:
	s_load_dword s16, s[2:3], 0x0
	v_mov_b32_e32 v1, 0
	v_lshlrev_b32_e32 v3, 3, v0
	s_waitcnt lgkmcnt(0)
	s_cmp_lt_u32 s6, s16
	s_cselect_b32 s16, 12, 18
	s_add_u32 s2, s2, s16
	s_addc_u32 s3, s3, 0
	global_load_ushort v5, v1, s[2:3]
	s_waitcnt vmcnt(0)
	v_readfirstlane_b32 s2, v5
	s_lshl_b32 s2, s2, 3
	v_cvt_f32_u32_e32 v1, s2
	s_sub_i32 s16, 0, s2
	v_rcp_iflag_f32_e32 v1, v1
	v_mul_f32_e32 v1, 0x4f7ffffe, v1
	v_cvt_u32_f32_e32 v1, v1
	v_readfirstlane_b32 s3, v1
	s_mul_i32 s16, s16, s3
	s_mul_hi_u32 s16, s3, s16
	s_add_i32 s3, s3, s16
	s_mul_hi_u32 s3, s13, s3
	s_mul_i32 s3, s3, s2
	s_sub_i32 s3, s13, s3
	s_sub_i32 s16, s3, s2
	s_cmp_ge_u32 s3, s2
	s_cselect_b32 s3, s16, s3
	s_sub_i32 s16, s3, s2
	s_cmp_ge_u32 s3, s2
	s_cselect_b32 s2, s16, s3
	s_mov_b32 s16, 0
	s_sub_i32 s2, s13, s2
	s_mov_b32 s3, exec_lo
	v_cmpx_gt_i32_e64 s2, v3
	s_cbranch_execz .LBB130_9
; %bb.6:
	v_mov_b32_e32 v1, v0
	s_inst_prefetch 0x1
	.p2align	6
.LBB130_7:                              ; =>This Inner Loop Header: Depth=1
	v_ashrrev_i32_e32 v2, 31, v1
	v_lshlrev_b64 v[6:7], 4, v[1:2]
	v_add_nc_u32_e32 v1, v1, v5
	v_add_co_u32 v6, vcc_lo, s0, v6
	v_add_co_ci_u32_e64 v7, null, s1, v7, vcc_lo
	global_load_dwordx4 v[6:9], v[6:7], off
	s_waitcnt vmcnt(0)
	v_cvt_f32_f16_e32 v2, v6
	v_cvt_f32_f16_sdwa v6, v6 dst_sel:DWORD dst_unused:UNUSED_PAD src0_sel:WORD_1
	v_cvt_f32_f16_e32 v10, v7
	v_cvt_f32_f16_sdwa v7, v7 dst_sel:DWORD dst_unused:UNUSED_PAD src0_sel:WORD_1
	v_max3_f32 v2, v4, v2, v6
	v_cvt_f32_f16_e32 v4, v8
	v_cvt_f32_f16_sdwa v6, v8 dst_sel:DWORD dst_unused:UNUSED_PAD src0_sel:WORD_1
	v_cvt_f32_f16_e32 v8, v9
	v_cvt_f32_f16_sdwa v9, v9 dst_sel:DWORD dst_unused:UNUSED_PAD src0_sel:WORD_1
	v_max3_f32 v2, v2, v10, v7
	v_lshlrev_b32_e32 v7, 3, v1
	v_max3_f32 v2, v2, v4, v6
	v_cmp_le_i32_e32 vcc_lo, s2, v7
	v_max3_f32 v4, v2, v8, v9
	s_or_b32 s16, vcc_lo, s16
	s_andn2_b32 exec_lo, exec_lo, s16
	s_cbranch_execnz .LBB130_7
; %bb.8:
	s_inst_prefetch 0x2
	s_or_b32 exec_lo, exec_lo, s16
.LBB130_9:
	s_or_b32 exec_lo, exec_lo, s3
	v_add_nc_u32_e32 v1, s2, v0
	s_mov_b32 s2, exec_lo
	v_cmpx_gt_i32_e64 s13, v1
	s_cbranch_execz .LBB130_13
; %bb.10:
	s_mov_b32 s3, 0
	.p2align	6
.LBB130_11:                             ; =>This Inner Loop Header: Depth=1
	v_ashrrev_i32_e32 v2, 31, v1
	v_max_f32_e32 v4, v4, v4
	v_lshlrev_b64 v[6:7], 1, v[1:2]
	v_add_nc_u32_e32 v1, v1, v5
	v_add_co_u32 v6, vcc_lo, s0, v6
	v_add_co_ci_u32_e64 v7, null, s1, v7, vcc_lo
	v_cmp_le_i32_e32 vcc_lo, s13, v1
	global_load_ushort v2, v[6:7], off
	s_or_b32 s3, vcc_lo, s3
	s_waitcnt vmcnt(0)
	v_cvt_f32_f16_e32 v2, v2
	v_max_f32_e32 v4, v4, v2
	s_andn2_b32 exec_lo, exec_lo, s3
	s_cbranch_execnz .LBB130_11
; %bb.12:
	s_or_b32 exec_lo, exec_lo, s3
.LBB130_13:
	s_or_b32 exec_lo, exec_lo, s2
	v_mbcnt_lo_u32_b32 v1, -1, 0
	v_lshrrev_b32_e32 v12, 3, v0
	s_barrier
	buffer_gl0_inv
	v_lshl_or_b32 v7, v1, 2, 64
	v_cmp_gt_u32_e32 vcc_lo, 24, v1
	ds_bpermute_b32 v2, v7, v4
	v_cndmask_b32_e64 v5, 0, 8, vcc_lo
	v_add_lshl_u32 v8, v5, v1, 2
	s_waitcnt lgkmcnt(0)
	v_cmp_lt_f32_e32 vcc_lo, v4, v2
	v_cndmask_b32_e32 v2, v4, v2, vcc_lo
	v_cmp_gt_u32_e32 vcc_lo, 28, v1
	ds_bpermute_b32 v4, v8, v2
	v_cndmask_b32_e64 v5, 0, 4, vcc_lo
	v_add_lshl_u32 v9, v5, v1, 2
	s_waitcnt lgkmcnt(0)
	v_cmp_lt_f32_e32 vcc_lo, v2, v4
	v_cndmask_b32_e32 v2, v2, v4, vcc_lo
	;; [unrolled: 7-line block ×3, first 2 shown]
	v_cmp_ne_u32_e32 vcc_lo, 31, v1
	ds_bpermute_b32 v4, v10, v2
	v_add_co_ci_u32_e64 v5, null, 0, v1, vcc_lo
	v_lshlrev_b32_e32 v11, 2, v5
	s_waitcnt lgkmcnt(0)
	v_cmp_lt_f32_e32 vcc_lo, v2, v4
	v_cndmask_b32_e32 v1, v2, v4, vcc_lo
	v_and_b32_e32 v2, 31, v0
	ds_bpermute_b32 v4, v11, v1
	v_cmp_eq_u32_e64 s0, 0, v2
	s_and_saveexec_b32 s1, s0
	s_cbranch_execz .LBB130_15
; %bb.14:
	s_waitcnt lgkmcnt(0)
	v_cmp_lt_f32_e32 vcc_lo, v1, v4
	v_add_nc_u32_e32 v5, 0, v12
	v_cndmask_b32_e32 v1, v1, v4, vcc_lo
	ds_write_b32 v5, v1
.LBB130_15:
	s_or_b32 exec_lo, exec_lo, s1
	s_waitcnt lgkmcnt(0)
	s_barrier
	buffer_gl0_inv
	s_load_dword s20, s[4:5], 0x24
	s_add_u32 s16, s4, 24
	s_addc_u32 s17, s5, 0
	v_mov_b32_e32 v1, 0xff7fffff
	v_lshl_add_u32 v13, v2, 2, 0
	s_waitcnt lgkmcnt(0)
	s_bfe_u32 s1, s20, 0xb0005
	v_cmp_gt_u32_e64 s1, s1, v0
	s_and_saveexec_b32 s2, s1
	s_cbranch_execnz .LBB130_23
; %bb.16:
	s_or_b32 exec_lo, exec_lo, s2
	v_cmp_gt_u32_e64 s2, 32, v0
	s_and_saveexec_b32 s3, s2
	s_cbranch_execnz .LBB130_24
.LBB130_17:
	s_or_b32 exec_lo, exec_lo, s3
	v_cmp_eq_u32_e64 s3, 0, v0
	s_and_saveexec_b32 s4, s3
	s_cbranch_execz .LBB130_19
.LBB130_18:
	v_mov_b32_e32 v2, 0
	s_waitcnt lgkmcnt(0)
	ds_write_b32 v2, v1
.LBB130_19:
	s_or_b32 exec_lo, exec_lo, s4
	v_mov_b32_e32 v14, 0
	s_waitcnt lgkmcnt(0)
	s_barrier
	buffer_gl0_inv
	v_cndmask_b32_e64 v6, 0, 1, s18
	ds_read_b32 v4, v14
	s_andn2_b32 vcc_lo, exec_lo, s18
	s_mov_b32 s13, 0
	s_cbranch_vccnz .LBB130_26
; %bb.20:
	s_lshl_b64 s[4:5], s[12:13], 1
	v_cmp_le_u32_e32 vcc_lo, s12, v0
	s_sub_u32 s18, s10, s4
	s_subb_u32 s19, s11, s5
	s_add_i32 s5, s12, s7
	v_mov_b32_e32 v14, 0
	v_cmp_gt_i32_e64 s4, s5, v0
	s_and_b32 s13, vcc_lo, s4
	s_and_saveexec_b32 s4, s13
	s_cbranch_execz .LBB130_22
; %bb.21:
	v_lshlrev_b32_e32 v1, 1, v0
	global_load_ushort v1, v1, s[18:19]
	s_waitcnt vmcnt(0)
	v_cvt_f32_f16_e32 v1, v1
	s_waitcnt lgkmcnt(0)
	v_sub_f32_e32 v1, v1, v4
	v_mul_f32_e32 v2, 0x3fb8aa3b, v1
	v_cmp_ngt_f32_e32 vcc_lo, 0xc2ce8ed0, v1
	v_fma_f32 v5, 0x3fb8aa3b, v1, -v2
	v_rndne_f32_e32 v14, v2
	v_fmamk_f32 v5, v1, 0x32a5705f, v5
	v_sub_f32_e32 v2, v2, v14
	v_add_f32_e32 v2, v2, v5
	v_cvt_i32_f32_e32 v5, v14
	v_exp_f32_e32 v2, v2
	v_ldexp_f32 v2, v2, v5
	v_cndmask_b32_e32 v2, 0, v2, vcc_lo
	v_cmp_nlt_f32_e32 vcc_lo, 0x42b17218, v1
	v_cndmask_b32_e32 v14, 0x7f800000, v2, vcc_lo
.LBB130_22:
	s_or_b32 exec_lo, exec_lo, s4
	s_and_b32 s4, 0xffff, s20
	v_sub_nc_u32_e64 v1, s5, s4 clamp
	s_lshl_b32 s4, s4, 1
	s_add_u32 s4, s18, s4
	s_addc_u32 s5, s19, 0
	v_readfirstlane_b32 s13, v1
	s_branch .LBB130_27
.LBB130_23:
	ds_read_b32 v1, v13
	s_or_b32 exec_lo, exec_lo, s2
	v_cmp_gt_u32_e64 s2, 32, v0
	s_and_saveexec_b32 s3, s2
	s_cbranch_execz .LBB130_17
.LBB130_24:
	s_waitcnt lgkmcnt(0)
	ds_bpermute_b32 v2, v7, v1
	s_waitcnt lgkmcnt(0)
	v_cmp_lt_f32_e32 vcc_lo, v1, v2
	v_cndmask_b32_e32 v1, v1, v2, vcc_lo
	ds_bpermute_b32 v2, v8, v1
	s_waitcnt lgkmcnt(0)
	v_cmp_lt_f32_e32 vcc_lo, v1, v2
	v_cndmask_b32_e32 v1, v1, v2, vcc_lo
	;; [unrolled: 4-line block ×5, first 2 shown]
	s_or_b32 exec_lo, exec_lo, s3
	v_cmp_eq_u32_e64 s3, 0, v0
	s_and_saveexec_b32 s4, s3
	s_cbranch_execnz .LBB130_18
	s_branch .LBB130_19
.LBB130_25:
                                        ; implicit-def: $sgpr0_sgpr1
                                        ; implicit-def: $sgpr13
                                        ; implicit-def: $vgpr4
	s_cbranch_execnz .LBB130_4
	s_branch .LBB130_5
.LBB130_26:
	s_mov_b64 s[4:5], s[10:11]
	s_mov_b32 s13, s7
.LBB130_27:
	s_load_dword s18, s[16:17], 0x0
	v_mov_b32_e32 v1, 0
	s_mov_b32 s19, 0
	s_waitcnt lgkmcnt(0)
	s_cmp_lt_u32 s6, s18
	s_cselect_b32 s6, 12, 18
	s_add_u32 s16, s16, s6
	s_addc_u32 s17, s17, 0
	global_load_ushort v5, v1, s[16:17]
	s_waitcnt vmcnt(0)
	v_readfirstlane_b32 s6, v5
	s_lshl_b32 s6, s6, 3
	v_cvt_f32_u32_e32 v1, s6
	s_sub_i32 s17, 0, s6
	v_rcp_iflag_f32_e32 v1, v1
	v_mul_f32_e32 v1, 0x4f7ffffe, v1
	v_cvt_u32_f32_e32 v1, v1
	v_readfirstlane_b32 s16, v1
	s_mul_i32 s17, s17, s16
	s_mul_hi_u32 s17, s16, s17
	s_add_i32 s16, s16, s17
	s_mul_hi_u32 s17, s13, s16
	s_mul_i32 s17, s17, s6
	s_sub_i32 s17, s13, s17
	s_sub_i32 s18, s17, s6
	s_cmp_ge_u32 s17, s6
	s_cselect_b32 s17, s18, s17
	s_sub_i32 s18, s17, s6
	s_cmp_ge_u32 s17, s6
	s_cselect_b32 s17, s18, s17
	s_mov_b32 s18, exec_lo
	s_sub_i32 s17, s13, s17
	v_cmpx_gt_i32_e64 s17, v3
	s_cbranch_execz .LBB130_31
; %bb.28:
	v_mov_b32_e32 v1, v0
.LBB130_29:                             ; =>This Inner Loop Header: Depth=1
	v_ashrrev_i32_e32 v2, 31, v1
	v_lshlrev_b64 v[15:16], 4, v[1:2]
	v_add_nc_u32_e32 v1, v1, v5
	v_add_co_u32 v15, vcc_lo, s4, v15
	v_add_co_ci_u32_e64 v16, null, s5, v16, vcc_lo
	global_load_dwordx4 v[15:18], v[15:16], off
	s_waitcnt vmcnt(0)
	v_cvt_f32_f16_e32 v2, v15
	v_cvt_f32_f16_sdwa v15, v15 dst_sel:DWORD dst_unused:UNUSED_PAD src0_sel:WORD_1
	v_cvt_f32_f16_e32 v19, v16
	v_cvt_f32_f16_sdwa v16, v16 dst_sel:DWORD dst_unused:UNUSED_PAD src0_sel:WORD_1
	v_cvt_f32_f16_e32 v20, v17
	v_sub_f32_e32 v2, v2, v4
	v_sub_f32_e32 v15, v15, v4
	;; [unrolled: 1-line block ×5, first 2 shown]
	v_mul_f32_e32 v22, 0x3fb8aa3b, v2
	v_mul_f32_e32 v23, 0x3fb8aa3b, v15
	;; [unrolled: 1-line block ×4, first 2 shown]
	v_cmp_ngt_f32_e32 vcc_lo, 0xc2ce8ed0, v2
	v_fma_f32 v30, 0x3fb8aa3b, v2, -v22
	v_rndne_f32_e32 v31, v22
	v_fma_f32 v32, 0x3fb8aa3b, v15, -v23
	v_rndne_f32_e32 v33, v23
	v_fma_f32 v34, 0x3fb8aa3b, v19, -v24
	v_fmac_f32_e32 v30, 0x32a5705f, v2
	v_sub_f32_e32 v22, v22, v31
	v_fmac_f32_e32 v32, 0x32a5705f, v15
	v_sub_f32_e32 v23, v23, v33
	v_rndne_f32_e32 v35, v24
	v_cvt_i32_f32_e32 v31, v31
	v_add_f32_e32 v22, v22, v30
	v_fmac_f32_e32 v34, 0x32a5705f, v19
	v_add_f32_e32 v23, v23, v32
	v_sub_f32_e32 v24, v24, v35
	v_fma_f32 v36, 0x3fb8aa3b, v16, -v25
	v_exp_f32_e32 v22, v22
	v_rndne_f32_e32 v37, v25
	v_exp_f32_e32 v23, v23
	v_cvt_i32_f32_e32 v33, v33
	v_add_f32_e32 v24, v24, v34
	v_cvt_f32_f16_sdwa v17, v17 dst_sel:DWORD dst_unused:UNUSED_PAD src0_sel:WORD_1
	v_mul_f32_e32 v26, 0x3fb8aa3b, v20
	v_fmac_f32_e32 v36, 0x32a5705f, v16
	v_sub_f32_e32 v25, v25, v37
	v_exp_f32_e32 v24, v24
	v_ldexp_f32 v22, v22, v31
	v_sub_f32_e32 v17, v17, v4
	v_ldexp_f32 v23, v23, v33
	v_fma_f32 v38, 0x3fb8aa3b, v20, -v26
	v_rndne_f32_e32 v39, v26
	v_cndmask_b32_e32 v22, 0, v22, vcc_lo
	v_cmp_ngt_f32_e32 vcc_lo, 0xc2ce8ed0, v15
	v_cvt_i32_f32_e32 v35, v35
	v_add_f32_e32 v25, v25, v36
	v_cvt_f32_f16_e32 v21, v18
	v_mul_f32_e32 v27, 0x3fb8aa3b, v17
	v_cndmask_b32_e32 v23, 0, v23, vcc_lo
	v_cmp_nlt_f32_e32 vcc_lo, 0x42b17218, v2
	v_fmac_f32_e32 v38, 0x32a5705f, v20
	v_sub_f32_e32 v26, v26, v39
	v_exp_f32_e32 v25, v25
	v_ldexp_f32 v24, v24, v35
	v_cndmask_b32_e32 v2, 0x7f800000, v22, vcc_lo
	v_cmp_ngt_f32_e32 vcc_lo, 0xc2ce8ed0, v19
	v_sub_f32_e32 v21, v21, v4
	v_fma_f32 v40, 0x3fb8aa3b, v17, -v27
	v_rndne_f32_e32 v41, v27
	v_cvt_i32_f32_e32 v37, v37
	v_add_f32_e32 v26, v26, v38
	v_cndmask_b32_e32 v22, 0, v24, vcc_lo
	v_cmp_nlt_f32_e32 vcc_lo, 0x42b17218, v15
	v_cvt_f32_f16_sdwa v18, v18 dst_sel:DWORD dst_unused:UNUSED_PAD src0_sel:WORD_1
	v_mul_f32_e32 v28, 0x3fb8aa3b, v21
	v_fmac_f32_e32 v40, 0x32a5705f, v17
	v_sub_f32_e32 v27, v27, v41
	v_exp_f32_e32 v26, v26
	v_ldexp_f32 v25, v25, v37
	v_cndmask_b32_e32 v15, 0x7f800000, v23, vcc_lo
	v_cmp_ngt_f32_e32 vcc_lo, 0xc2ce8ed0, v16
	v_sub_f32_e32 v18, v18, v4
	v_fma_f32 v42, 0x3fb8aa3b, v21, -v28
	v_rndne_f32_e32 v43, v28
	v_cvt_i32_f32_e32 v39, v39
	v_add_f32_e32 v27, v27, v40
	v_add_f32_e32 v2, v14, v2
	v_cndmask_b32_e32 v14, 0, v25, vcc_lo
	v_cmp_nlt_f32_e32 vcc_lo, 0x42b17218, v19
	v_mul_f32_e32 v29, 0x3fb8aa3b, v18
	v_fmac_f32_e32 v42, 0x32a5705f, v21
	v_sub_f32_e32 v28, v28, v43
	v_exp_f32_e32 v27, v27
	v_ldexp_f32 v26, v26, v39
	v_cndmask_b32_e32 v19, 0x7f800000, v22, vcc_lo
	v_cmp_ngt_f32_e32 vcc_lo, 0xc2ce8ed0, v20
	v_fma_f32 v44, 0x3fb8aa3b, v18, -v29
	v_rndne_f32_e32 v45, v29
	v_cvt_i32_f32_e32 v41, v41
	v_add_f32_e32 v28, v28, v42
	v_add_f32_e32 v2, v2, v15
	v_cndmask_b32_e32 v15, 0, v26, vcc_lo
	v_cmp_nlt_f32_e32 vcc_lo, 0x42b17218, v16
	v_fmac_f32_e32 v44, 0x32a5705f, v18
	v_sub_f32_e32 v29, v29, v45
	v_exp_f32_e32 v28, v28
	v_ldexp_f32 v27, v27, v41
	v_cndmask_b32_e32 v14, 0x7f800000, v14, vcc_lo
	v_cmp_ngt_f32_e32 vcc_lo, 0xc2ce8ed0, v17
	v_cvt_i32_f32_e32 v43, v43
	v_add_f32_e32 v29, v29, v44
	v_add_f32_e32 v2, v2, v19
	v_cvt_i32_f32_e32 v45, v45
	v_cndmask_b32_e32 v16, 0, v27, vcc_lo
	v_cmp_nlt_f32_e32 vcc_lo, 0x42b17218, v20
	v_exp_f32_e32 v29, v29
	v_ldexp_f32 v28, v28, v43
	v_add_f32_e32 v2, v2, v14
	v_cndmask_b32_e32 v15, 0x7f800000, v15, vcc_lo
	v_cmp_ngt_f32_e32 vcc_lo, 0xc2ce8ed0, v21
	v_add_f32_e32 v2, v2, v15
	v_cndmask_b32_e32 v14, 0, v28, vcc_lo
	v_cmp_nlt_f32_e32 vcc_lo, 0x42b17218, v17
	v_ldexp_f32 v29, v29, v45
	v_cndmask_b32_e32 v16, 0x7f800000, v16, vcc_lo
	v_cmp_ngt_f32_e32 vcc_lo, 0xc2ce8ed0, v18
	v_add_f32_e32 v2, v2, v16
	v_cndmask_b32_e32 v15, 0, v29, vcc_lo
	v_cmp_nlt_f32_e32 vcc_lo, 0x42b17218, v21
	v_lshlrev_b32_e32 v16, 3, v1
	v_cndmask_b32_e32 v14, 0x7f800000, v14, vcc_lo
	v_cmp_nlt_f32_e32 vcc_lo, 0x42b17218, v18
	v_add_f32_e32 v2, v2, v14
	v_cndmask_b32_e32 v15, 0x7f800000, v15, vcc_lo
	v_cmp_le_i32_e32 vcc_lo, s17, v16
	v_add_f32_e32 v14, v2, v15
	s_or_b32 s19, vcc_lo, s19
	s_andn2_b32 exec_lo, exec_lo, s19
	s_cbranch_execnz .LBB130_29
; %bb.30:
	s_or_b32 exec_lo, exec_lo, s19
.LBB130_31:
	s_or_b32 exec_lo, exec_lo, s18
	v_add_nc_u32_e32 v1, s17, v0
	s_mov_b32 s17, exec_lo
	v_cmpx_gt_i32_e64 s13, v1
	s_cbranch_execz .LBB130_35
; %bb.32:
	s_mov_b32 s18, 0
	s_inst_prefetch 0x1
	.p2align	6
.LBB130_33:                             ; =>This Inner Loop Header: Depth=1
	v_ashrrev_i32_e32 v2, 31, v1
	v_lshlrev_b64 v[15:16], 1, v[1:2]
	v_add_nc_u32_e32 v1, v1, v5
	v_add_co_u32 v15, vcc_lo, s4, v15
	v_add_co_ci_u32_e64 v16, null, s5, v16, vcc_lo
	global_load_ushort v2, v[15:16], off
	s_waitcnt vmcnt(0)
	v_cvt_f32_f16_e32 v2, v2
	v_sub_f32_e32 v2, v2, v4
	v_mul_f32_e32 v15, 0x3fb8aa3b, v2
	v_cmp_ngt_f32_e32 vcc_lo, 0xc2ce8ed0, v2
	v_fma_f32 v16, 0x3fb8aa3b, v2, -v15
	v_rndne_f32_e32 v17, v15
	v_fmac_f32_e32 v16, 0x32a5705f, v2
	v_sub_f32_e32 v15, v15, v17
	v_add_f32_e32 v15, v15, v16
	v_cvt_i32_f32_e32 v16, v17
	v_exp_f32_e32 v15, v15
	v_ldexp_f32 v15, v15, v16
	v_cndmask_b32_e32 v15, 0, v15, vcc_lo
	v_cmp_nlt_f32_e32 vcc_lo, 0x42b17218, v2
	v_cndmask_b32_e32 v2, 0x7f800000, v15, vcc_lo
	v_cmp_le_i32_e32 vcc_lo, s13, v1
	v_add_f32_e32 v14, v14, v2
	s_or_b32 s18, vcc_lo, s18
	s_andn2_b32 exec_lo, exec_lo, s18
	s_cbranch_execnz .LBB130_33
; %bb.34:
	s_inst_prefetch 0x2
	s_or_b32 exec_lo, exec_lo, s18
.LBB130_35:
	s_or_b32 exec_lo, exec_lo, s17
	ds_bpermute_b32 v1, v7, v14
	s_waitcnt lgkmcnt(0)
	s_barrier
	buffer_gl0_inv
	v_add_f32_e32 v1, v14, v1
	ds_bpermute_b32 v2, v8, v1
	s_waitcnt lgkmcnt(0)
	v_add_f32_e32 v1, v1, v2
	ds_bpermute_b32 v2, v9, v1
	s_waitcnt lgkmcnt(0)
	;; [unrolled: 3-line block ×3, first 2 shown]
	v_add_f32_e32 v1, v1, v2
	ds_bpermute_b32 v2, v11, v1
	s_and_saveexec_b32 s4, s0
	s_cbranch_execz .LBB130_37
; %bb.36:
	v_add_nc_u32_e32 v12, 0, v12
	s_waitcnt lgkmcnt(0)
	v_add_f32_e32 v1, v1, v2
	ds_write_b32 v12, v1
.LBB130_37:
	s_or_b32 exec_lo, exec_lo, s4
	v_mov_b32_e32 v1, 0
	s_waitcnt lgkmcnt(0)
	s_barrier
	buffer_gl0_inv
	s_and_saveexec_b32 s0, s1
	s_cbranch_execnz .LBB130_58
; %bb.38:
	s_or_b32 exec_lo, exec_lo, s0
	s_and_saveexec_b32 s0, s2
	s_cbranch_execnz .LBB130_59
.LBB130_39:
	s_or_b32 exec_lo, exec_lo, s0
	s_and_saveexec_b32 s0, s3
	s_cbranch_execz .LBB130_41
.LBB130_40:
	v_mov_b32_e32 v2, 0
	s_waitcnt lgkmcnt(0)
	ds_write_b32 v2, v1
.LBB130_41:
	s_or_b32 exec_lo, exec_lo, s0
	s_waitcnt lgkmcnt(0)
	v_mov_b32_e32 v1, 0
	s_barrier
	buffer_gl0_inv
	s_lshl_b64 s[2:3], s[14:15], 2
	ds_read_b32 v1, v1
	s_and_b32 s17, 0xffff, s20
	s_add_u32 s1, s8, s2
	s_addc_u32 s3, s9, s3
	s_bfe_u32 s0, s1, 0x20002
	s_waitcnt lgkmcnt(0)
	v_cmp_gt_f32_e32 vcc_lo, 0x800000, v1
	s_and_b32 s2, vcc_lo, exec_lo
	s_cselect_b32 s2, 32, 0
	v_cndmask_b32_e64 v2, 0, 0x41b17218, vcc_lo
	v_ldexp_f32 v1, v1, s2
	s_cmp_lg_u32 s12, s0
	s_mov_b32 s0, -1
	v_log_f32_e32 v1, v1
	v_mul_f32_e32 v7, 0x3f317217, v1
	v_cmp_gt_f32_e64 vcc_lo, 0x7f800000, |v1|
	v_fma_f32 v7, 0x3f317217, v1, -v7
	v_fmamk_f32 v7, v1, 0x3377d1cf, v7
	v_fmac_f32_e32 v7, 0x3f317217, v1
	v_cndmask_b32_e32 v1, v1, v7, vcc_lo
	v_sub_f32_e32 v7, v1, v2
	s_cbranch_scc0 .LBB130_46
; %bb.42:
	s_mov_b32 s2, exec_lo
	v_cmpx_gt_i32_e64 s7, v0
	s_cbranch_execz .LBB130_45
; %bb.43:
	v_mov_b32_e32 v1, v0
	s_mov_b32 s4, 0
	.p2align	6
.LBB130_44:                             ; =>This Inner Loop Header: Depth=1
	v_ashrrev_i32_e32 v2, 31, v1
	v_lshlrev_b64 v[8:9], 1, v[1:2]
	v_add_co_u32 v8, vcc_lo, s10, v8
	v_add_co_ci_u32_e64 v9, null, s11, v9, vcc_lo
	global_load_ushort v8, v[8:9], off
	s_waitcnt vmcnt(0)
	v_cvt_f32_f16_e32 v10, v8
	v_lshlrev_b64 v[8:9], 2, v[1:2]
	v_add_nc_u32_e32 v1, s17, v1
	v_sub_f32_e32 v2, v10, v4
	v_cmp_le_i32_e32 vcc_lo, s7, v1
	v_add_co_u32 v8, s0, s1, v8
	v_sub_f32_e32 v2, v2, v7
	v_add_co_ci_u32_e64 v9, null, s3, v9, s0
	s_or_b32 s4, vcc_lo, s4
	global_store_dword v[8:9], v2, off
	s_andn2_b32 exec_lo, exec_lo, s4
	s_cbranch_execnz .LBB130_44
.LBB130_45:
	s_or_b32 exec_lo, exec_lo, s2
	s_mov_b32 s0, 0
.LBB130_46:
	s_andn2_b32 vcc_lo, exec_lo, s0
	s_cbranch_vccnz .LBB130_57
; %bb.47:
	v_cmp_ne_u32_e32 vcc_lo, 1, v6
	s_cbranch_vccnz .LBB130_51
; %bb.48:
	s_mov_b32 s13, 0
	v_cmp_le_u32_e32 vcc_lo, s12, v0
	s_lshl_b64 s[4:5], s[12:13], 1
	s_sub_u32 s4, s10, s4
	s_subb_u32 s5, s11, s5
	s_lshl_b64 s[8:9], s[12:13], 2
	s_sub_u32 s2, s1, s8
	s_subb_u32 s3, s3, s9
	s_add_i32 s1, s12, s7
	v_cmp_gt_i32_e64 s0, s1, v0
	s_and_b32 s7, vcc_lo, s0
	s_and_saveexec_b32 s0, s7
	s_cbranch_execz .LBB130_50
; %bb.49:
	v_lshlrev_b32_e32 v1, 1, v0
	v_lshlrev_b32_e32 v2, 2, v0
	global_load_ushort v1, v1, s[4:5]
	s_waitcnt vmcnt(0)
	v_cvt_f32_f16_e32 v1, v1
	v_sub_f32_e32 v1, v1, v4
	v_sub_f32_e32 v1, v1, v7
	global_store_dword v2, v1, s[2:3]
.LBB130_50:
	s_or_b32 exec_lo, exec_lo, s0
	v_sub_nc_u32_e64 v1, s1, s17 clamp
	s_lshl_b32 s0, s17, 1
	s_add_u32 s10, s4, s0
	s_addc_u32 s11, s5, 0
	v_readfirstlane_b32 s7, v1
	s_lshl_b32 s0, s17, 2
	s_add_u32 s1, s2, s0
	s_addc_u32 s3, s3, 0
.LBB130_51:
	s_mul_hi_u32 s0, s7, s16
	s_mul_i32 s0, s0, s6
	s_sub_i32 s0, s7, s0
	s_sub_i32 s2, s0, s6
	s_cmp_ge_u32 s0, s6
	s_cselect_b32 s0, s2, s0
	s_sub_i32 s2, s0, s6
	s_cmp_ge_u32 s0, s6
	s_cselect_b32 s0, s2, s0
	s_mov_b32 s2, exec_lo
	s_sub_i32 s0, s7, s0
	v_cmpx_gt_i32_e64 s0, v3
	s_cbranch_execz .LBB130_54
; %bb.52:
	v_mov_b32_e32 v1, v0
	s_mov_b32 s4, 0
.LBB130_53:                             ; =>This Inner Loop Header: Depth=1
	v_ashrrev_i32_e32 v2, 31, v1
	v_lshlrev_b64 v[8:9], 4, v[1:2]
	v_lshlrev_b64 v[2:3], 5, v[1:2]
	v_add_nc_u32_e32 v1, v1, v5
	v_add_co_u32 v8, vcc_lo, s10, v8
	v_add_co_ci_u32_e64 v9, null, s11, v9, vcc_lo
	v_lshlrev_b32_e32 v6, 3, v1
	v_add_co_u32 v2, vcc_lo, s1, v2
	global_load_dwordx4 v[8:11], v[8:9], off
	v_add_co_ci_u32_e64 v3, null, s3, v3, vcc_lo
	v_cmp_le_i32_e32 vcc_lo, s0, v6
	s_or_b32 s4, vcc_lo, s4
	s_waitcnt vmcnt(0)
	v_cvt_f32_f16_e32 v6, v8
	v_cvt_f32_f16_sdwa v8, v8 dst_sel:DWORD dst_unused:UNUSED_PAD src0_sel:WORD_1
	v_cvt_f32_f16_e32 v12, v9
	v_cvt_f32_f16_sdwa v9, v9 dst_sel:DWORD dst_unused:UNUSED_PAD src0_sel:WORD_1
	;; [unrolled: 2-line block ×4, first 2 shown]
	v_sub_f32_e32 v6, v6, v4
	v_sub_f32_e32 v15, v8, v4
	;; [unrolled: 1-line block ×16, first 2 shown]
	global_store_dwordx4 v[2:3], v[8:11], off
	global_store_dwordx4 v[2:3], v[12:15], off offset:16
	s_andn2_b32 exec_lo, exec_lo, s4
	s_cbranch_execnz .LBB130_53
.LBB130_54:
	s_or_b32 exec_lo, exec_lo, s2
	v_add_nc_u32_e32 v0, s0, v0
	s_mov_b32 s0, exec_lo
	v_cmpx_gt_i32_e64 s7, v0
	s_cbranch_execz .LBB130_57
; %bb.55:
	s_mov_b32 s2, 0
	.p2align	6
.LBB130_56:                             ; =>This Inner Loop Header: Depth=1
	v_ashrrev_i32_e32 v1, 31, v0
	v_lshlrev_b64 v[2:3], 1, v[0:1]
	v_add_co_u32 v2, vcc_lo, s10, v2
	v_add_co_ci_u32_e64 v3, null, s11, v3, vcc_lo
	global_load_ushort v2, v[2:3], off
	s_waitcnt vmcnt(0)
	v_cvt_f32_f16_e32 v3, v2
	v_lshlrev_b64 v[1:2], 2, v[0:1]
	v_add_nc_u32_e32 v0, v0, v5
	v_sub_f32_e32 v3, v3, v4
	v_cmp_le_i32_e32 vcc_lo, s7, v0
	v_add_co_u32 v1, s0, s1, v1
	v_sub_f32_e32 v3, v3, v7
	v_add_co_ci_u32_e64 v2, null, s3, v2, s0
	s_or_b32 s2, vcc_lo, s2
	global_store_dword v[1:2], v3, off
	s_andn2_b32 exec_lo, exec_lo, s2
	s_cbranch_execnz .LBB130_56
.LBB130_57:
	s_endpgm
.LBB130_58:
	ds_read_b32 v1, v13
	s_or_b32 exec_lo, exec_lo, s0
	s_and_saveexec_b32 s0, s2
	s_cbranch_execz .LBB130_39
.LBB130_59:
	s_waitcnt lgkmcnt(0)
	ds_bpermute_b32 v2, v7, v1
	s_waitcnt lgkmcnt(0)
	v_add_f32_e32 v1, v1, v2
	ds_bpermute_b32 v2, v8, v1
	s_waitcnt lgkmcnt(0)
	v_add_f32_e32 v1, v1, v2
	;; [unrolled: 3-line block ×5, first 2 shown]
	s_or_b32 exec_lo, exec_lo, s0
	s_and_saveexec_b32 s0, s3
	s_cbranch_execnz .LBB130_40
	s_branch .LBB130_41
	.section	.rodata,"a",@progbits
	.p2align	6, 0x0
	.amdhsa_kernel _ZN2at6native12_GLOBAL__N_119cunn_SoftMaxForwardILi8EN3c104HalfEffNS1_25LogSoftMaxForwardEpilogueEEEvPT2_PKT0_i
		.amdhsa_group_segment_fixed_size 0
		.amdhsa_private_segment_fixed_size 0
		.amdhsa_kernarg_size 280
		.amdhsa_user_sgpr_count 6
		.amdhsa_user_sgpr_private_segment_buffer 1
		.amdhsa_user_sgpr_dispatch_ptr 0
		.amdhsa_user_sgpr_queue_ptr 0
		.amdhsa_user_sgpr_kernarg_segment_ptr 1
		.amdhsa_user_sgpr_dispatch_id 0
		.amdhsa_user_sgpr_flat_scratch_init 0
		.amdhsa_user_sgpr_private_segment_size 0
		.amdhsa_wavefront_size32 1
		.amdhsa_uses_dynamic_stack 0
		.amdhsa_system_sgpr_private_segment_wavefront_offset 0
		.amdhsa_system_sgpr_workgroup_id_x 1
		.amdhsa_system_sgpr_workgroup_id_y 0
		.amdhsa_system_sgpr_workgroup_id_z 0
		.amdhsa_system_sgpr_workgroup_info 0
		.amdhsa_system_vgpr_workitem_id 0
		.amdhsa_next_free_vgpr 46
		.amdhsa_next_free_sgpr 21
		.amdhsa_reserve_vcc 1
		.amdhsa_reserve_flat_scratch 0
		.amdhsa_float_round_mode_32 0
		.amdhsa_float_round_mode_16_64 0
		.amdhsa_float_denorm_mode_32 3
		.amdhsa_float_denorm_mode_16_64 3
		.amdhsa_dx10_clamp 1
		.amdhsa_ieee_mode 1
		.amdhsa_fp16_overflow 0
		.amdhsa_workgroup_processor_mode 1
		.amdhsa_memory_ordered 1
		.amdhsa_forward_progress 1
		.amdhsa_shared_vgpr_count 0
		.amdhsa_exception_fp_ieee_invalid_op 0
		.amdhsa_exception_fp_denorm_src 0
		.amdhsa_exception_fp_ieee_div_zero 0
		.amdhsa_exception_fp_ieee_overflow 0
		.amdhsa_exception_fp_ieee_underflow 0
		.amdhsa_exception_fp_ieee_inexact 0
		.amdhsa_exception_int_div_zero 0
	.end_amdhsa_kernel
	.section	.text._ZN2at6native12_GLOBAL__N_119cunn_SoftMaxForwardILi8EN3c104HalfEffNS1_25LogSoftMaxForwardEpilogueEEEvPT2_PKT0_i,"axG",@progbits,_ZN2at6native12_GLOBAL__N_119cunn_SoftMaxForwardILi8EN3c104HalfEffNS1_25LogSoftMaxForwardEpilogueEEEvPT2_PKT0_i,comdat
.Lfunc_end130:
	.size	_ZN2at6native12_GLOBAL__N_119cunn_SoftMaxForwardILi8EN3c104HalfEffNS1_25LogSoftMaxForwardEpilogueEEEvPT2_PKT0_i, .Lfunc_end130-_ZN2at6native12_GLOBAL__N_119cunn_SoftMaxForwardILi8EN3c104HalfEffNS1_25LogSoftMaxForwardEpilogueEEEvPT2_PKT0_i
                                        ; -- End function
	.set _ZN2at6native12_GLOBAL__N_119cunn_SoftMaxForwardILi8EN3c104HalfEffNS1_25LogSoftMaxForwardEpilogueEEEvPT2_PKT0_i.num_vgpr, 46
	.set _ZN2at6native12_GLOBAL__N_119cunn_SoftMaxForwardILi8EN3c104HalfEffNS1_25LogSoftMaxForwardEpilogueEEEvPT2_PKT0_i.num_agpr, 0
	.set _ZN2at6native12_GLOBAL__N_119cunn_SoftMaxForwardILi8EN3c104HalfEffNS1_25LogSoftMaxForwardEpilogueEEEvPT2_PKT0_i.numbered_sgpr, 21
	.set _ZN2at6native12_GLOBAL__N_119cunn_SoftMaxForwardILi8EN3c104HalfEffNS1_25LogSoftMaxForwardEpilogueEEEvPT2_PKT0_i.num_named_barrier, 0
	.set _ZN2at6native12_GLOBAL__N_119cunn_SoftMaxForwardILi8EN3c104HalfEffNS1_25LogSoftMaxForwardEpilogueEEEvPT2_PKT0_i.private_seg_size, 0
	.set _ZN2at6native12_GLOBAL__N_119cunn_SoftMaxForwardILi8EN3c104HalfEffNS1_25LogSoftMaxForwardEpilogueEEEvPT2_PKT0_i.uses_vcc, 1
	.set _ZN2at6native12_GLOBAL__N_119cunn_SoftMaxForwardILi8EN3c104HalfEffNS1_25LogSoftMaxForwardEpilogueEEEvPT2_PKT0_i.uses_flat_scratch, 0
	.set _ZN2at6native12_GLOBAL__N_119cunn_SoftMaxForwardILi8EN3c104HalfEffNS1_25LogSoftMaxForwardEpilogueEEEvPT2_PKT0_i.has_dyn_sized_stack, 0
	.set _ZN2at6native12_GLOBAL__N_119cunn_SoftMaxForwardILi8EN3c104HalfEffNS1_25LogSoftMaxForwardEpilogueEEEvPT2_PKT0_i.has_recursion, 0
	.set _ZN2at6native12_GLOBAL__N_119cunn_SoftMaxForwardILi8EN3c104HalfEffNS1_25LogSoftMaxForwardEpilogueEEEvPT2_PKT0_i.has_indirect_call, 0
	.section	.AMDGPU.csdata,"",@progbits
; Kernel info:
; codeLenInByte = 3940
; TotalNumSgprs: 23
; NumVgprs: 46
; ScratchSize: 0
; MemoryBound: 0
; FloatMode: 240
; IeeeMode: 1
; LDSByteSize: 0 bytes/workgroup (compile time only)
; SGPRBlocks: 0
; VGPRBlocks: 5
; NumSGPRsForWavesPerEU: 23
; NumVGPRsForWavesPerEU: 46
; Occupancy: 16
; WaveLimiterHint : 0
; COMPUTE_PGM_RSRC2:SCRATCH_EN: 0
; COMPUTE_PGM_RSRC2:USER_SGPR: 6
; COMPUTE_PGM_RSRC2:TRAP_HANDLER: 0
; COMPUTE_PGM_RSRC2:TGID_X_EN: 1
; COMPUTE_PGM_RSRC2:TGID_Y_EN: 0
; COMPUTE_PGM_RSRC2:TGID_Z_EN: 0
; COMPUTE_PGM_RSRC2:TIDIG_COMP_CNT: 0
	.section	.text._ZN12_GLOBAL__N_120softmax_warp_forwardIN3c108BFloat16ES2_fLi0ELb1ELb0ELi64EEEvPT0_PKT_iiiPKbib,"axG",@progbits,_ZN12_GLOBAL__N_120softmax_warp_forwardIN3c108BFloat16ES2_fLi0ELb1ELb0ELi64EEEvPT0_PKT_iiiPKbib,comdat
	.globl	_ZN12_GLOBAL__N_120softmax_warp_forwardIN3c108BFloat16ES2_fLi0ELb1ELb0ELi64EEEvPT0_PKT_iiiPKbib ; -- Begin function _ZN12_GLOBAL__N_120softmax_warp_forwardIN3c108BFloat16ES2_fLi0ELb1ELb0ELi64EEEvPT0_PKT_iiiPKbib
	.p2align	8
	.type	_ZN12_GLOBAL__N_120softmax_warp_forwardIN3c108BFloat16ES2_fLi0ELb1ELb0ELi64EEEvPT0_PKT_iiiPKbib,@function
_ZN12_GLOBAL__N_120softmax_warp_forwardIN3c108BFloat16ES2_fLi0ELb1ELb0ELi64EEEvPT0_PKT_iiiPKbib: ; @_ZN12_GLOBAL__N_120softmax_warp_forwardIN3c108BFloat16ES2_fLi0ELb1ELb0ELi64EEEvPT0_PKT_iiiPKbib
; %bb.0:
	s_clause 0x1
	s_load_dword s0, s[4:5], 0x3c
	s_load_dwordx8 s[8:15], s[4:5], 0x0
	v_mov_b32_e32 v6, 0xff800000
	v_mov_b32_e32 v7, 0xff800000
	s_waitcnt lgkmcnt(0)
	s_lshr_b32 s0, s0, 16
	s_and_b32 s0, s0, 0xffff
	s_mul_i32 s6, s6, s0
	v_cmp_gt_i32_e64 s0, s14, v0
	v_add_lshl_u32 v3, s6, v1, 1
	v_mad_u64_u32 v[1:2], null, v3, s13, v[0:1]
	v_sub_nc_u32_e32 v5, s12, v3
	v_cmp_lt_i32_e32 vcc_lo, 0, v5
	v_ashrrev_i32_e32 v2, 31, v1
	s_and_b32 s2, s0, vcc_lo
	v_lshlrev_b64 v[1:2], 1, v[1:2]
	v_add_co_u32 v3, s1, s10, v1
	v_add_co_ci_u32_e64 v4, null, s11, v2, s1
	s_and_saveexec_b32 s1, s2
	s_cbranch_execz .LBB131_2
; %bb.1:
	global_load_ushort v0, v[3:4], off
	s_waitcnt vmcnt(0)
	v_lshlrev_b32_e32 v7, 16, v0
.LBB131_2:
	s_or_b32 exec_lo, exec_lo, s1
	v_cmp_lt_i32_e64 s1, 1, v5
	s_and_b32 s1, s0, s1
	s_and_saveexec_b32 s2, s1
	s_cbranch_execz .LBB131_4
; %bb.3:
	s_mov_b32 s15, 0
	s_lshl_b64 s[4:5], s[14:15], 1
	v_add_co_u32 v3, s1, v3, s4
	v_add_co_ci_u32_e64 v4, null, s5, v4, s1
	global_load_ushort v0, v[3:4], off
	s_waitcnt vmcnt(0)
	v_lshlrev_b32_e32 v6, 16, v0
.LBB131_4:
	s_or_b32 exec_lo, exec_lo, s2
	s_and_saveexec_b32 s1, vcc_lo
	s_cbranch_execz .LBB131_9
; %bb.5:
	v_add_co_u32 v0, vcc_lo, s8, v1
	v_add_co_ci_u32_e64 v1, null, s9, v2, vcc_lo
	s_and_saveexec_b32 s1, s0
	s_cbranch_execz .LBB131_7
; %bb.6:
	v_sub_f32_e32 v2, v7, v7
	v_mul_f32_e32 v3, 0x3fb8aa3b, v2
	v_cmp_ngt_f32_e32 vcc_lo, 0xc2ce8ed0, v2
	v_rndne_f32_e32 v4, v3
	v_fma_f32 v7, 0x3fb8aa3b, v2, -v3
	v_sub_f32_e32 v3, v3, v4
	v_fmamk_f32 v7, v2, 0x32a5705f, v7
	v_cvt_i32_f32_e32 v4, v4
	v_add_f32_e32 v3, v3, v7
	v_exp_f32_e32 v3, v3
	v_ldexp_f32 v3, v3, v4
	v_cndmask_b32_e32 v3, 0, v3, vcc_lo
	v_cmp_nlt_f32_e32 vcc_lo, 0x42b17218, v2
	v_cndmask_b32_e32 v3, 0x7f800000, v3, vcc_lo
	v_cmp_gt_f32_e32 vcc_lo, 0x800000, v3
	v_cndmask_b32_e64 v4, 0, 32, vcc_lo
	v_cndmask_b32_e64 v7, 0, 0x41b17218, vcc_lo
	v_ldexp_f32 v3, v3, v4
	v_log_f32_e32 v3, v3
	v_mul_f32_e32 v4, 0x3f317217, v3
	v_cmp_gt_f32_e64 vcc_lo, 0x7f800000, |v3|
	v_fma_f32 v4, 0x3f317217, v3, -v4
	v_fmamk_f32 v4, v3, 0x3377d1cf, v4
	v_fmac_f32_e32 v4, 0x3f317217, v3
	v_cndmask_b32_e32 v3, v3, v4, vcc_lo
	v_sub_f32_e32 v3, v3, v7
	v_sub_f32_e32 v2, v2, v3
	v_bfe_u32 v3, v2, 16, 1
	v_cmp_o_f32_e32 vcc_lo, v2, v2
	v_add3_u32 v2, v2, v3, 0x7fff
	v_mov_b32_e32 v3, 0x7fc0
	v_cndmask_b32_sdwa v2, v3, v2, vcc_lo dst_sel:DWORD dst_unused:UNUSED_PAD src0_sel:DWORD src1_sel:WORD_1
	global_store_short v[0:1], v2, off
.LBB131_7:
	s_or_b32 exec_lo, exec_lo, s1
	v_cmp_ne_u32_e32 vcc_lo, 1, v5
	s_and_b32 s0, vcc_lo, s0
	s_and_b32 exec_lo, exec_lo, s0
	s_cbranch_execz .LBB131_9
; %bb.8:
	v_sub_f32_e32 v2, v6, v6
	s_mov_b32 s15, 0
	s_lshl_b64 s[0:1], s[14:15], 1
	v_mul_f32_e32 v3, 0x3fb8aa3b, v2
	v_cmp_ngt_f32_e32 vcc_lo, 0xc2ce8ed0, v2
	v_rndne_f32_e32 v4, v3
	v_fma_f32 v5, 0x3fb8aa3b, v2, -v3
	v_sub_f32_e32 v3, v3, v4
	v_fmamk_f32 v5, v2, 0x32a5705f, v5
	v_cvt_i32_f32_e32 v4, v4
	v_add_f32_e32 v3, v3, v5
	v_exp_f32_e32 v3, v3
	v_ldexp_f32 v3, v3, v4
	v_cndmask_b32_e32 v3, 0, v3, vcc_lo
	v_cmp_nlt_f32_e32 vcc_lo, 0x42b17218, v2
	v_cndmask_b32_e32 v3, 0x7f800000, v3, vcc_lo
	v_cmp_gt_f32_e32 vcc_lo, 0x800000, v3
	v_cndmask_b32_e64 v4, 0, 32, vcc_lo
	v_cndmask_b32_e64 v5, 0, 0x41b17218, vcc_lo
	v_ldexp_f32 v3, v3, v4
	v_log_f32_e32 v3, v3
	v_mul_f32_e32 v4, 0x3f317217, v3
	v_cmp_gt_f32_e64 vcc_lo, 0x7f800000, |v3|
	v_fma_f32 v4, 0x3f317217, v3, -v4
	v_fmamk_f32 v4, v3, 0x3377d1cf, v4
	v_fmac_f32_e32 v4, 0x3f317217, v3
	v_cndmask_b32_e32 v3, v3, v4, vcc_lo
	v_mov_b32_e32 v4, 0x7fc0
	v_sub_f32_e32 v3, v3, v5
	v_sub_f32_e32 v2, v2, v3
	v_bfe_u32 v3, v2, 16, 1
	v_cmp_o_f32_e32 vcc_lo, v2, v2
	v_add3_u32 v2, v2, v3, 0x7fff
	v_cndmask_b32_sdwa v2, v4, v2, vcc_lo dst_sel:DWORD dst_unused:UNUSED_PAD src0_sel:DWORD src1_sel:WORD_1
	v_add_co_u32 v0, vcc_lo, v0, s0
	v_add_co_ci_u32_e64 v1, null, s1, v1, vcc_lo
	global_store_short v[0:1], v2, off
.LBB131_9:
	s_endpgm
	.section	.rodata,"a",@progbits
	.p2align	6, 0x0
	.amdhsa_kernel _ZN12_GLOBAL__N_120softmax_warp_forwardIN3c108BFloat16ES2_fLi0ELb1ELb0ELi64EEEvPT0_PKT_iiiPKbib
		.amdhsa_group_segment_fixed_size 0
		.amdhsa_private_segment_fixed_size 0
		.amdhsa_kernarg_size 304
		.amdhsa_user_sgpr_count 6
		.amdhsa_user_sgpr_private_segment_buffer 1
		.amdhsa_user_sgpr_dispatch_ptr 0
		.amdhsa_user_sgpr_queue_ptr 0
		.amdhsa_user_sgpr_kernarg_segment_ptr 1
		.amdhsa_user_sgpr_dispatch_id 0
		.amdhsa_user_sgpr_flat_scratch_init 0
		.amdhsa_user_sgpr_private_segment_size 0
		.amdhsa_wavefront_size32 1
		.amdhsa_uses_dynamic_stack 0
		.amdhsa_system_sgpr_private_segment_wavefront_offset 0
		.amdhsa_system_sgpr_workgroup_id_x 1
		.amdhsa_system_sgpr_workgroup_id_y 0
		.amdhsa_system_sgpr_workgroup_id_z 0
		.amdhsa_system_sgpr_workgroup_info 0
		.amdhsa_system_vgpr_workitem_id 1
		.amdhsa_next_free_vgpr 8
		.amdhsa_next_free_sgpr 16
		.amdhsa_reserve_vcc 1
		.amdhsa_reserve_flat_scratch 0
		.amdhsa_float_round_mode_32 0
		.amdhsa_float_round_mode_16_64 0
		.amdhsa_float_denorm_mode_32 3
		.amdhsa_float_denorm_mode_16_64 3
		.amdhsa_dx10_clamp 1
		.amdhsa_ieee_mode 1
		.amdhsa_fp16_overflow 0
		.amdhsa_workgroup_processor_mode 1
		.amdhsa_memory_ordered 1
		.amdhsa_forward_progress 1
		.amdhsa_shared_vgpr_count 0
		.amdhsa_exception_fp_ieee_invalid_op 0
		.amdhsa_exception_fp_denorm_src 0
		.amdhsa_exception_fp_ieee_div_zero 0
		.amdhsa_exception_fp_ieee_overflow 0
		.amdhsa_exception_fp_ieee_underflow 0
		.amdhsa_exception_fp_ieee_inexact 0
		.amdhsa_exception_int_div_zero 0
	.end_amdhsa_kernel
	.section	.text._ZN12_GLOBAL__N_120softmax_warp_forwardIN3c108BFloat16ES2_fLi0ELb1ELb0ELi64EEEvPT0_PKT_iiiPKbib,"axG",@progbits,_ZN12_GLOBAL__N_120softmax_warp_forwardIN3c108BFloat16ES2_fLi0ELb1ELb0ELi64EEEvPT0_PKT_iiiPKbib,comdat
.Lfunc_end131:
	.size	_ZN12_GLOBAL__N_120softmax_warp_forwardIN3c108BFloat16ES2_fLi0ELb1ELb0ELi64EEEvPT0_PKT_iiiPKbib, .Lfunc_end131-_ZN12_GLOBAL__N_120softmax_warp_forwardIN3c108BFloat16ES2_fLi0ELb1ELb0ELi64EEEvPT0_PKT_iiiPKbib
                                        ; -- End function
	.set _ZN12_GLOBAL__N_120softmax_warp_forwardIN3c108BFloat16ES2_fLi0ELb1ELb0ELi64EEEvPT0_PKT_iiiPKbib.num_vgpr, 8
	.set _ZN12_GLOBAL__N_120softmax_warp_forwardIN3c108BFloat16ES2_fLi0ELb1ELb0ELi64EEEvPT0_PKT_iiiPKbib.num_agpr, 0
	.set _ZN12_GLOBAL__N_120softmax_warp_forwardIN3c108BFloat16ES2_fLi0ELb1ELb0ELi64EEEvPT0_PKT_iiiPKbib.numbered_sgpr, 16
	.set _ZN12_GLOBAL__N_120softmax_warp_forwardIN3c108BFloat16ES2_fLi0ELb1ELb0ELi64EEEvPT0_PKT_iiiPKbib.num_named_barrier, 0
	.set _ZN12_GLOBAL__N_120softmax_warp_forwardIN3c108BFloat16ES2_fLi0ELb1ELb0ELi64EEEvPT0_PKT_iiiPKbib.private_seg_size, 0
	.set _ZN12_GLOBAL__N_120softmax_warp_forwardIN3c108BFloat16ES2_fLi0ELb1ELb0ELi64EEEvPT0_PKT_iiiPKbib.uses_vcc, 1
	.set _ZN12_GLOBAL__N_120softmax_warp_forwardIN3c108BFloat16ES2_fLi0ELb1ELb0ELi64EEEvPT0_PKT_iiiPKbib.uses_flat_scratch, 0
	.set _ZN12_GLOBAL__N_120softmax_warp_forwardIN3c108BFloat16ES2_fLi0ELb1ELb0ELi64EEEvPT0_PKT_iiiPKbib.has_dyn_sized_stack, 0
	.set _ZN12_GLOBAL__N_120softmax_warp_forwardIN3c108BFloat16ES2_fLi0ELb1ELb0ELi64EEEvPT0_PKT_iiiPKbib.has_recursion, 0
	.set _ZN12_GLOBAL__N_120softmax_warp_forwardIN3c108BFloat16ES2_fLi0ELb1ELb0ELi64EEEvPT0_PKT_iiiPKbib.has_indirect_call, 0
	.section	.AMDGPU.csdata,"",@progbits
; Kernel info:
; codeLenInByte = 764
; TotalNumSgprs: 18
; NumVgprs: 8
; ScratchSize: 0
; MemoryBound: 0
; FloatMode: 240
; IeeeMode: 1
; LDSByteSize: 0 bytes/workgroup (compile time only)
; SGPRBlocks: 0
; VGPRBlocks: 0
; NumSGPRsForWavesPerEU: 18
; NumVGPRsForWavesPerEU: 8
; Occupancy: 16
; WaveLimiterHint : 0
; COMPUTE_PGM_RSRC2:SCRATCH_EN: 0
; COMPUTE_PGM_RSRC2:USER_SGPR: 6
; COMPUTE_PGM_RSRC2:TRAP_HANDLER: 0
; COMPUTE_PGM_RSRC2:TGID_X_EN: 1
; COMPUTE_PGM_RSRC2:TGID_Y_EN: 0
; COMPUTE_PGM_RSRC2:TGID_Z_EN: 0
; COMPUTE_PGM_RSRC2:TIDIG_COMP_CNT: 1
	.section	.text._ZN12_GLOBAL__N_120softmax_warp_forwardIN3c108BFloat16ES2_fLi0ELb1ELb0ELi32EEEvPT0_PKT_iiiPKbib,"axG",@progbits,_ZN12_GLOBAL__N_120softmax_warp_forwardIN3c108BFloat16ES2_fLi0ELb1ELb0ELi32EEEvPT0_PKT_iiiPKbib,comdat
	.globl	_ZN12_GLOBAL__N_120softmax_warp_forwardIN3c108BFloat16ES2_fLi0ELb1ELb0ELi32EEEvPT0_PKT_iiiPKbib ; -- Begin function _ZN12_GLOBAL__N_120softmax_warp_forwardIN3c108BFloat16ES2_fLi0ELb1ELb0ELi32EEEvPT0_PKT_iiiPKbib
	.p2align	8
	.type	_ZN12_GLOBAL__N_120softmax_warp_forwardIN3c108BFloat16ES2_fLi0ELb1ELb0ELi32EEEvPT0_PKT_iiiPKbib,@function
_ZN12_GLOBAL__N_120softmax_warp_forwardIN3c108BFloat16ES2_fLi0ELb1ELb0ELi32EEEvPT0_PKT_iiiPKbib: ; @_ZN12_GLOBAL__N_120softmax_warp_forwardIN3c108BFloat16ES2_fLi0ELb1ELb0ELi32EEEvPT0_PKT_iiiPKbib
; %bb.0:
	s_clause 0x1
	s_load_dword s0, s[4:5], 0x3c
	s_load_dwordx8 s[8:15], s[4:5], 0x0
	v_mov_b32_e32 v6, 0xff800000
	v_mov_b32_e32 v7, 0xff800000
	s_waitcnt lgkmcnt(0)
	s_lshr_b32 s0, s0, 16
	s_and_b32 s0, s0, 0xffff
	s_mul_i32 s6, s6, s0
	v_cmp_gt_i32_e64 s0, s14, v0
	v_add_lshl_u32 v3, s6, v1, 1
	v_mad_u64_u32 v[1:2], null, v3, s13, v[0:1]
	v_sub_nc_u32_e32 v5, s12, v3
	v_cmp_lt_i32_e32 vcc_lo, 0, v5
	v_ashrrev_i32_e32 v2, 31, v1
	s_and_b32 s2, s0, vcc_lo
	v_lshlrev_b64 v[1:2], 1, v[1:2]
	v_add_co_u32 v3, s1, s10, v1
	v_add_co_ci_u32_e64 v4, null, s11, v2, s1
	s_and_saveexec_b32 s1, s2
	s_cbranch_execz .LBB132_2
; %bb.1:
	global_load_ushort v0, v[3:4], off
	s_waitcnt vmcnt(0)
	v_lshlrev_b32_e32 v7, 16, v0
.LBB132_2:
	s_or_b32 exec_lo, exec_lo, s1
	v_cmp_lt_i32_e64 s1, 1, v5
	s_and_b32 s1, s0, s1
	s_and_saveexec_b32 s2, s1
	s_cbranch_execz .LBB132_4
; %bb.3:
	s_mov_b32 s15, 0
	s_lshl_b64 s[4:5], s[14:15], 1
	v_add_co_u32 v3, s1, v3, s4
	v_add_co_ci_u32_e64 v4, null, s5, v4, s1
	global_load_ushort v0, v[3:4], off
	s_waitcnt vmcnt(0)
	v_lshlrev_b32_e32 v6, 16, v0
.LBB132_4:
	s_or_b32 exec_lo, exec_lo, s2
	s_and_saveexec_b32 s1, vcc_lo
	s_cbranch_execz .LBB132_9
; %bb.5:
	v_add_co_u32 v0, vcc_lo, s8, v1
	v_add_co_ci_u32_e64 v1, null, s9, v2, vcc_lo
	s_and_saveexec_b32 s1, s0
	s_cbranch_execz .LBB132_7
; %bb.6:
	v_sub_f32_e32 v2, v7, v7
	v_mul_f32_e32 v3, 0x3fb8aa3b, v2
	v_cmp_ngt_f32_e32 vcc_lo, 0xc2ce8ed0, v2
	v_rndne_f32_e32 v4, v3
	v_fma_f32 v7, 0x3fb8aa3b, v2, -v3
	v_sub_f32_e32 v3, v3, v4
	v_fmamk_f32 v7, v2, 0x32a5705f, v7
	v_cvt_i32_f32_e32 v4, v4
	v_add_f32_e32 v3, v3, v7
	v_exp_f32_e32 v3, v3
	v_ldexp_f32 v3, v3, v4
	v_cndmask_b32_e32 v3, 0, v3, vcc_lo
	v_cmp_nlt_f32_e32 vcc_lo, 0x42b17218, v2
	v_cndmask_b32_e32 v3, 0x7f800000, v3, vcc_lo
	v_cmp_gt_f32_e32 vcc_lo, 0x800000, v3
	v_cndmask_b32_e64 v4, 0, 32, vcc_lo
	v_cndmask_b32_e64 v7, 0, 0x41b17218, vcc_lo
	v_ldexp_f32 v3, v3, v4
	v_log_f32_e32 v3, v3
	v_mul_f32_e32 v4, 0x3f317217, v3
	v_cmp_gt_f32_e64 vcc_lo, 0x7f800000, |v3|
	v_fma_f32 v4, 0x3f317217, v3, -v4
	v_fmamk_f32 v4, v3, 0x3377d1cf, v4
	v_fmac_f32_e32 v4, 0x3f317217, v3
	v_cndmask_b32_e32 v3, v3, v4, vcc_lo
	v_sub_f32_e32 v3, v3, v7
	v_sub_f32_e32 v2, v2, v3
	v_bfe_u32 v3, v2, 16, 1
	v_cmp_o_f32_e32 vcc_lo, v2, v2
	v_add3_u32 v2, v2, v3, 0x7fff
	v_mov_b32_e32 v3, 0x7fc0
	v_cndmask_b32_sdwa v2, v3, v2, vcc_lo dst_sel:DWORD dst_unused:UNUSED_PAD src0_sel:DWORD src1_sel:WORD_1
	global_store_short v[0:1], v2, off
.LBB132_7:
	s_or_b32 exec_lo, exec_lo, s1
	v_cmp_ne_u32_e32 vcc_lo, 1, v5
	s_and_b32 s0, vcc_lo, s0
	s_and_b32 exec_lo, exec_lo, s0
	s_cbranch_execz .LBB132_9
; %bb.8:
	v_sub_f32_e32 v2, v6, v6
	s_mov_b32 s15, 0
	s_lshl_b64 s[0:1], s[14:15], 1
	v_mul_f32_e32 v3, 0x3fb8aa3b, v2
	v_cmp_ngt_f32_e32 vcc_lo, 0xc2ce8ed0, v2
	v_rndne_f32_e32 v4, v3
	v_fma_f32 v5, 0x3fb8aa3b, v2, -v3
	v_sub_f32_e32 v3, v3, v4
	v_fmamk_f32 v5, v2, 0x32a5705f, v5
	v_cvt_i32_f32_e32 v4, v4
	v_add_f32_e32 v3, v3, v5
	v_exp_f32_e32 v3, v3
	v_ldexp_f32 v3, v3, v4
	v_cndmask_b32_e32 v3, 0, v3, vcc_lo
	v_cmp_nlt_f32_e32 vcc_lo, 0x42b17218, v2
	v_cndmask_b32_e32 v3, 0x7f800000, v3, vcc_lo
	v_cmp_gt_f32_e32 vcc_lo, 0x800000, v3
	v_cndmask_b32_e64 v4, 0, 32, vcc_lo
	v_cndmask_b32_e64 v5, 0, 0x41b17218, vcc_lo
	v_ldexp_f32 v3, v3, v4
	v_log_f32_e32 v3, v3
	v_mul_f32_e32 v4, 0x3f317217, v3
	v_cmp_gt_f32_e64 vcc_lo, 0x7f800000, |v3|
	v_fma_f32 v4, 0x3f317217, v3, -v4
	v_fmamk_f32 v4, v3, 0x3377d1cf, v4
	v_fmac_f32_e32 v4, 0x3f317217, v3
	v_cndmask_b32_e32 v3, v3, v4, vcc_lo
	v_mov_b32_e32 v4, 0x7fc0
	v_sub_f32_e32 v3, v3, v5
	v_sub_f32_e32 v2, v2, v3
	v_bfe_u32 v3, v2, 16, 1
	v_cmp_o_f32_e32 vcc_lo, v2, v2
	v_add3_u32 v2, v2, v3, 0x7fff
	v_cndmask_b32_sdwa v2, v4, v2, vcc_lo dst_sel:DWORD dst_unused:UNUSED_PAD src0_sel:DWORD src1_sel:WORD_1
	v_add_co_u32 v0, vcc_lo, v0, s0
	v_add_co_ci_u32_e64 v1, null, s1, v1, vcc_lo
	global_store_short v[0:1], v2, off
.LBB132_9:
	s_endpgm
	.section	.rodata,"a",@progbits
	.p2align	6, 0x0
	.amdhsa_kernel _ZN12_GLOBAL__N_120softmax_warp_forwardIN3c108BFloat16ES2_fLi0ELb1ELb0ELi32EEEvPT0_PKT_iiiPKbib
		.amdhsa_group_segment_fixed_size 0
		.amdhsa_private_segment_fixed_size 0
		.amdhsa_kernarg_size 304
		.amdhsa_user_sgpr_count 6
		.amdhsa_user_sgpr_private_segment_buffer 1
		.amdhsa_user_sgpr_dispatch_ptr 0
		.amdhsa_user_sgpr_queue_ptr 0
		.amdhsa_user_sgpr_kernarg_segment_ptr 1
		.amdhsa_user_sgpr_dispatch_id 0
		.amdhsa_user_sgpr_flat_scratch_init 0
		.amdhsa_user_sgpr_private_segment_size 0
		.amdhsa_wavefront_size32 1
		.amdhsa_uses_dynamic_stack 0
		.amdhsa_system_sgpr_private_segment_wavefront_offset 0
		.amdhsa_system_sgpr_workgroup_id_x 1
		.amdhsa_system_sgpr_workgroup_id_y 0
		.amdhsa_system_sgpr_workgroup_id_z 0
		.amdhsa_system_sgpr_workgroup_info 0
		.amdhsa_system_vgpr_workitem_id 1
		.amdhsa_next_free_vgpr 8
		.amdhsa_next_free_sgpr 16
		.amdhsa_reserve_vcc 1
		.amdhsa_reserve_flat_scratch 0
		.amdhsa_float_round_mode_32 0
		.amdhsa_float_round_mode_16_64 0
		.amdhsa_float_denorm_mode_32 3
		.amdhsa_float_denorm_mode_16_64 3
		.amdhsa_dx10_clamp 1
		.amdhsa_ieee_mode 1
		.amdhsa_fp16_overflow 0
		.amdhsa_workgroup_processor_mode 1
		.amdhsa_memory_ordered 1
		.amdhsa_forward_progress 1
		.amdhsa_shared_vgpr_count 0
		.amdhsa_exception_fp_ieee_invalid_op 0
		.amdhsa_exception_fp_denorm_src 0
		.amdhsa_exception_fp_ieee_div_zero 0
		.amdhsa_exception_fp_ieee_overflow 0
		.amdhsa_exception_fp_ieee_underflow 0
		.amdhsa_exception_fp_ieee_inexact 0
		.amdhsa_exception_int_div_zero 0
	.end_amdhsa_kernel
	.section	.text._ZN12_GLOBAL__N_120softmax_warp_forwardIN3c108BFloat16ES2_fLi0ELb1ELb0ELi32EEEvPT0_PKT_iiiPKbib,"axG",@progbits,_ZN12_GLOBAL__N_120softmax_warp_forwardIN3c108BFloat16ES2_fLi0ELb1ELb0ELi32EEEvPT0_PKT_iiiPKbib,comdat
.Lfunc_end132:
	.size	_ZN12_GLOBAL__N_120softmax_warp_forwardIN3c108BFloat16ES2_fLi0ELb1ELb0ELi32EEEvPT0_PKT_iiiPKbib, .Lfunc_end132-_ZN12_GLOBAL__N_120softmax_warp_forwardIN3c108BFloat16ES2_fLi0ELb1ELb0ELi32EEEvPT0_PKT_iiiPKbib
                                        ; -- End function
	.set _ZN12_GLOBAL__N_120softmax_warp_forwardIN3c108BFloat16ES2_fLi0ELb1ELb0ELi32EEEvPT0_PKT_iiiPKbib.num_vgpr, 8
	.set _ZN12_GLOBAL__N_120softmax_warp_forwardIN3c108BFloat16ES2_fLi0ELb1ELb0ELi32EEEvPT0_PKT_iiiPKbib.num_agpr, 0
	.set _ZN12_GLOBAL__N_120softmax_warp_forwardIN3c108BFloat16ES2_fLi0ELb1ELb0ELi32EEEvPT0_PKT_iiiPKbib.numbered_sgpr, 16
	.set _ZN12_GLOBAL__N_120softmax_warp_forwardIN3c108BFloat16ES2_fLi0ELb1ELb0ELi32EEEvPT0_PKT_iiiPKbib.num_named_barrier, 0
	.set _ZN12_GLOBAL__N_120softmax_warp_forwardIN3c108BFloat16ES2_fLi0ELb1ELb0ELi32EEEvPT0_PKT_iiiPKbib.private_seg_size, 0
	.set _ZN12_GLOBAL__N_120softmax_warp_forwardIN3c108BFloat16ES2_fLi0ELb1ELb0ELi32EEEvPT0_PKT_iiiPKbib.uses_vcc, 1
	.set _ZN12_GLOBAL__N_120softmax_warp_forwardIN3c108BFloat16ES2_fLi0ELb1ELb0ELi32EEEvPT0_PKT_iiiPKbib.uses_flat_scratch, 0
	.set _ZN12_GLOBAL__N_120softmax_warp_forwardIN3c108BFloat16ES2_fLi0ELb1ELb0ELi32EEEvPT0_PKT_iiiPKbib.has_dyn_sized_stack, 0
	.set _ZN12_GLOBAL__N_120softmax_warp_forwardIN3c108BFloat16ES2_fLi0ELb1ELb0ELi32EEEvPT0_PKT_iiiPKbib.has_recursion, 0
	.set _ZN12_GLOBAL__N_120softmax_warp_forwardIN3c108BFloat16ES2_fLi0ELb1ELb0ELi32EEEvPT0_PKT_iiiPKbib.has_indirect_call, 0
	.section	.AMDGPU.csdata,"",@progbits
; Kernel info:
; codeLenInByte = 764
; TotalNumSgprs: 18
; NumVgprs: 8
; ScratchSize: 0
; MemoryBound: 0
; FloatMode: 240
; IeeeMode: 1
; LDSByteSize: 0 bytes/workgroup (compile time only)
; SGPRBlocks: 0
; VGPRBlocks: 0
; NumSGPRsForWavesPerEU: 18
; NumVGPRsForWavesPerEU: 8
; Occupancy: 16
; WaveLimiterHint : 0
; COMPUTE_PGM_RSRC2:SCRATCH_EN: 0
; COMPUTE_PGM_RSRC2:USER_SGPR: 6
; COMPUTE_PGM_RSRC2:TRAP_HANDLER: 0
; COMPUTE_PGM_RSRC2:TGID_X_EN: 1
; COMPUTE_PGM_RSRC2:TGID_Y_EN: 0
; COMPUTE_PGM_RSRC2:TGID_Z_EN: 0
; COMPUTE_PGM_RSRC2:TIDIG_COMP_CNT: 1
	.section	.text._ZN12_GLOBAL__N_120softmax_warp_forwardIN3c108BFloat16ES2_fLi1ELb1ELb0ELi64EEEvPT0_PKT_iiiPKbib,"axG",@progbits,_ZN12_GLOBAL__N_120softmax_warp_forwardIN3c108BFloat16ES2_fLi1ELb1ELb0ELi64EEEvPT0_PKT_iiiPKbib,comdat
	.globl	_ZN12_GLOBAL__N_120softmax_warp_forwardIN3c108BFloat16ES2_fLi1ELb1ELb0ELi64EEEvPT0_PKT_iiiPKbib ; -- Begin function _ZN12_GLOBAL__N_120softmax_warp_forwardIN3c108BFloat16ES2_fLi1ELb1ELb0ELi64EEEvPT0_PKT_iiiPKbib
	.p2align	8
	.type	_ZN12_GLOBAL__N_120softmax_warp_forwardIN3c108BFloat16ES2_fLi1ELb1ELb0ELi64EEEvPT0_PKT_iiiPKbib,@function
_ZN12_GLOBAL__N_120softmax_warp_forwardIN3c108BFloat16ES2_fLi1ELb1ELb0ELi64EEEvPT0_PKT_iiiPKbib: ; @_ZN12_GLOBAL__N_120softmax_warp_forwardIN3c108BFloat16ES2_fLi1ELb1ELb0ELi64EEEvPT0_PKT_iiiPKbib
; %bb.0:
	s_clause 0x1
	s_load_dword s0, s[4:5], 0x3c
	s_load_dwordx8 s[8:15], s[4:5], 0x0
	v_mov_b32_e32 v6, 0xff800000
	s_waitcnt lgkmcnt(0)
	s_lshr_b32 s0, s0, 16
	s_and_b32 s0, s0, 0xffff
	s_mul_i32 s6, s6, s0
	v_cmp_gt_i32_e64 s0, s14, v0
	v_add_lshl_u32 v3, s6, v1, 1
	v_mad_u64_u32 v[1:2], null, v3, s13, v[0:1]
	v_sub_nc_u32_e32 v5, s12, v3
	v_mov_b32_e32 v0, 0xff800000
	v_cmp_lt_i32_e32 vcc_lo, 0, v5
	v_ashrrev_i32_e32 v2, 31, v1
	s_and_b32 s2, s0, vcc_lo
	v_lshlrev_b64 v[1:2], 1, v[1:2]
	v_add_co_u32 v3, s1, s10, v1
	v_add_co_ci_u32_e64 v4, null, s11, v2, s1
	s_and_saveexec_b32 s1, s2
	s_cbranch_execz .LBB133_2
; %bb.1:
	global_load_ushort v0, v[3:4], off
	s_waitcnt vmcnt(0)
	v_lshlrev_b32_e32 v0, 16, v0
.LBB133_2:
	s_or_b32 exec_lo, exec_lo, s1
	v_cmp_lt_i32_e64 s1, 1, v5
	s_and_b32 s1, s0, s1
	s_and_saveexec_b32 s2, s1
	s_cbranch_execz .LBB133_4
; %bb.3:
	s_mov_b32 s15, 0
	s_lshl_b64 s[4:5], s[14:15], 1
	v_add_co_u32 v3, s1, v3, s4
	v_add_co_ci_u32_e64 v4, null, s5, v4, s1
	global_load_ushort v3, v[3:4], off
	s_waitcnt vmcnt(0)
	v_lshlrev_b32_e32 v6, 16, v3
.LBB133_4:
	s_or_b32 exec_lo, exec_lo, s2
	v_mbcnt_lo_u32_b32 v3, -1, 0
	v_and_b32_e32 v4, 30, v3
	v_xor_b32_e32 v7, 1, v3
	v_add_nc_u32_e32 v4, 2, v4
	v_cmp_lt_i32_e64 s1, v7, v4
	v_cndmask_b32_e64 v3, v3, v7, s1
	v_lshlrev_b32_e32 v7, 2, v3
	ds_bpermute_b32 v3, v7, v0
	ds_bpermute_b32 v4, v7, v6
	s_waitcnt lgkmcnt(1)
	v_cmp_lt_f32_e64 s1, v0, v3
	v_cndmask_b32_e64 v3, v0, v3, s1
	s_waitcnt lgkmcnt(0)
	v_cmp_lt_f32_e64 s1, v6, v4
	v_cndmask_b32_e64 v8, v6, v4, s1
	v_sub_f32_e32 v4, v0, v3
	v_sub_f32_e32 v3, v6, v8
	v_mul_f32_e32 v0, 0x3fb8aa3b, v4
	v_cmp_ngt_f32_e64 s1, 0xc2ce8ed0, v4
	v_mul_f32_e32 v6, 0x3fb8aa3b, v3
	v_fma_f32 v8, 0x3fb8aa3b, v4, -v0
	v_rndne_f32_e32 v9, v0
	v_fma_f32 v10, 0x3fb8aa3b, v3, -v6
	v_rndne_f32_e32 v11, v6
	v_fmac_f32_e32 v8, 0x32a5705f, v4
	v_sub_f32_e32 v0, v0, v9
	v_fmac_f32_e32 v10, 0x32a5705f, v3
	v_sub_f32_e32 v6, v6, v11
	v_add_f32_e32 v0, v0, v8
	v_cvt_i32_f32_e32 v8, v9
	v_cvt_i32_f32_e32 v9, v11
	v_add_f32_e32 v6, v6, v10
	v_exp_f32_e32 v0, v0
	v_exp_f32_e32 v6, v6
	v_ldexp_f32 v0, v0, v8
	v_ldexp_f32 v6, v6, v9
	v_cndmask_b32_e64 v0, 0, v0, s1
	v_cmp_ngt_f32_e64 s1, 0xc2ce8ed0, v3
	v_cndmask_b32_e64 v6, 0, v6, s1
	v_cmp_nlt_f32_e64 s1, 0x42b17218, v4
	v_cndmask_b32_e64 v8, 0x7f800000, v0, s1
	v_cmp_nlt_f32_e64 s1, 0x42b17218, v3
	ds_bpermute_b32 v9, v7, v8
	v_cndmask_b32_e64 v6, 0x7f800000, v6, s1
	ds_bpermute_b32 v7, v7, v6
	s_and_saveexec_b32 s1, vcc_lo
	s_cbranch_execz .LBB133_9
; %bb.5:
	v_add_co_u32 v0, vcc_lo, s8, v1
	v_add_co_ci_u32_e64 v1, null, s9, v2, vcc_lo
	s_and_saveexec_b32 s1, s0
	s_cbranch_execz .LBB133_7
; %bb.6:
	s_waitcnt lgkmcnt(1)
	v_add_f32_e32 v2, v8, v9
	v_cmp_gt_f32_e32 vcc_lo, 0x800000, v2
	v_cndmask_b32_e64 v8, 0, 32, vcc_lo
	v_cndmask_b32_e64 v9, 0, 0x41b17218, vcc_lo
	v_ldexp_f32 v2, v2, v8
	v_log_f32_e32 v2, v2
	v_mul_f32_e32 v8, 0x3f317217, v2
	v_cmp_gt_f32_e64 vcc_lo, 0x7f800000, |v2|
	v_fma_f32 v8, 0x3f317217, v2, -v8
	v_fmamk_f32 v8, v2, 0x3377d1cf, v8
	v_fmac_f32_e32 v8, 0x3f317217, v2
	v_cndmask_b32_e32 v2, v2, v8, vcc_lo
	v_sub_f32_e32 v2, v2, v9
	v_sub_f32_e32 v2, v4, v2
	v_bfe_u32 v4, v2, 16, 1
	v_cmp_o_f32_e32 vcc_lo, v2, v2
	v_add3_u32 v2, v2, v4, 0x7fff
	v_mov_b32_e32 v4, 0x7fc0
	v_cndmask_b32_sdwa v2, v4, v2, vcc_lo dst_sel:DWORD dst_unused:UNUSED_PAD src0_sel:DWORD src1_sel:WORD_1
	global_store_short v[0:1], v2, off
.LBB133_7:
	s_or_b32 exec_lo, exec_lo, s1
	v_cmp_ne_u32_e32 vcc_lo, 1, v5
	s_and_b32 s0, vcc_lo, s0
	s_and_b32 exec_lo, exec_lo, s0
	s_cbranch_execz .LBB133_9
; %bb.8:
	s_waitcnt lgkmcnt(0)
	v_add_f32_e32 v2, v6, v7
	s_mov_b32 s15, 0
	s_lshl_b64 s[0:1], s[14:15], 1
	v_cmp_gt_f32_e32 vcc_lo, 0x800000, v2
	v_cndmask_b32_e64 v4, 0, 32, vcc_lo
	v_cndmask_b32_e64 v5, 0, 0x41b17218, vcc_lo
	v_ldexp_f32 v2, v2, v4
	v_log_f32_e32 v2, v2
	v_mul_f32_e32 v4, 0x3f317217, v2
	v_cmp_gt_f32_e64 vcc_lo, 0x7f800000, |v2|
	v_fma_f32 v4, 0x3f317217, v2, -v4
	v_fmamk_f32 v4, v2, 0x3377d1cf, v4
	v_fmac_f32_e32 v4, 0x3f317217, v2
	v_cndmask_b32_e32 v2, v2, v4, vcc_lo
	v_mov_b32_e32 v4, 0x7fc0
	v_sub_f32_e32 v2, v2, v5
	v_sub_f32_e32 v2, v3, v2
	v_bfe_u32 v3, v2, 16, 1
	v_cmp_o_f32_e32 vcc_lo, v2, v2
	v_add3_u32 v2, v2, v3, 0x7fff
	v_cndmask_b32_sdwa v2, v4, v2, vcc_lo dst_sel:DWORD dst_unused:UNUSED_PAD src0_sel:DWORD src1_sel:WORD_1
	v_add_co_u32 v0, vcc_lo, v0, s0
	v_add_co_ci_u32_e64 v1, null, s1, v1, vcc_lo
	global_store_short v[0:1], v2, off
.LBB133_9:
	s_endpgm
	.section	.rodata,"a",@progbits
	.p2align	6, 0x0
	.amdhsa_kernel _ZN12_GLOBAL__N_120softmax_warp_forwardIN3c108BFloat16ES2_fLi1ELb1ELb0ELi64EEEvPT0_PKT_iiiPKbib
		.amdhsa_group_segment_fixed_size 0
		.amdhsa_private_segment_fixed_size 0
		.amdhsa_kernarg_size 304
		.amdhsa_user_sgpr_count 6
		.amdhsa_user_sgpr_private_segment_buffer 1
		.amdhsa_user_sgpr_dispatch_ptr 0
		.amdhsa_user_sgpr_queue_ptr 0
		.amdhsa_user_sgpr_kernarg_segment_ptr 1
		.amdhsa_user_sgpr_dispatch_id 0
		.amdhsa_user_sgpr_flat_scratch_init 0
		.amdhsa_user_sgpr_private_segment_size 0
		.amdhsa_wavefront_size32 1
		.amdhsa_uses_dynamic_stack 0
		.amdhsa_system_sgpr_private_segment_wavefront_offset 0
		.amdhsa_system_sgpr_workgroup_id_x 1
		.amdhsa_system_sgpr_workgroup_id_y 0
		.amdhsa_system_sgpr_workgroup_id_z 0
		.amdhsa_system_sgpr_workgroup_info 0
		.amdhsa_system_vgpr_workitem_id 1
		.amdhsa_next_free_vgpr 12
		.amdhsa_next_free_sgpr 16
		.amdhsa_reserve_vcc 1
		.amdhsa_reserve_flat_scratch 0
		.amdhsa_float_round_mode_32 0
		.amdhsa_float_round_mode_16_64 0
		.amdhsa_float_denorm_mode_32 3
		.amdhsa_float_denorm_mode_16_64 3
		.amdhsa_dx10_clamp 1
		.amdhsa_ieee_mode 1
		.amdhsa_fp16_overflow 0
		.amdhsa_workgroup_processor_mode 1
		.amdhsa_memory_ordered 1
		.amdhsa_forward_progress 1
		.amdhsa_shared_vgpr_count 0
		.amdhsa_exception_fp_ieee_invalid_op 0
		.amdhsa_exception_fp_denorm_src 0
		.amdhsa_exception_fp_ieee_div_zero 0
		.amdhsa_exception_fp_ieee_overflow 0
		.amdhsa_exception_fp_ieee_underflow 0
		.amdhsa_exception_fp_ieee_inexact 0
		.amdhsa_exception_int_div_zero 0
	.end_amdhsa_kernel
	.section	.text._ZN12_GLOBAL__N_120softmax_warp_forwardIN3c108BFloat16ES2_fLi1ELb1ELb0ELi64EEEvPT0_PKT_iiiPKbib,"axG",@progbits,_ZN12_GLOBAL__N_120softmax_warp_forwardIN3c108BFloat16ES2_fLi1ELb1ELb0ELi64EEEvPT0_PKT_iiiPKbib,comdat
.Lfunc_end133:
	.size	_ZN12_GLOBAL__N_120softmax_warp_forwardIN3c108BFloat16ES2_fLi1ELb1ELb0ELi64EEEvPT0_PKT_iiiPKbib, .Lfunc_end133-_ZN12_GLOBAL__N_120softmax_warp_forwardIN3c108BFloat16ES2_fLi1ELb1ELb0ELi64EEEvPT0_PKT_iiiPKbib
                                        ; -- End function
	.set _ZN12_GLOBAL__N_120softmax_warp_forwardIN3c108BFloat16ES2_fLi1ELb1ELb0ELi64EEEvPT0_PKT_iiiPKbib.num_vgpr, 12
	.set _ZN12_GLOBAL__N_120softmax_warp_forwardIN3c108BFloat16ES2_fLi1ELb1ELb0ELi64EEEvPT0_PKT_iiiPKbib.num_agpr, 0
	.set _ZN12_GLOBAL__N_120softmax_warp_forwardIN3c108BFloat16ES2_fLi1ELb1ELb0ELi64EEEvPT0_PKT_iiiPKbib.numbered_sgpr, 16
	.set _ZN12_GLOBAL__N_120softmax_warp_forwardIN3c108BFloat16ES2_fLi1ELb1ELb0ELi64EEEvPT0_PKT_iiiPKbib.num_named_barrier, 0
	.set _ZN12_GLOBAL__N_120softmax_warp_forwardIN3c108BFloat16ES2_fLi1ELb1ELb0ELi64EEEvPT0_PKT_iiiPKbib.private_seg_size, 0
	.set _ZN12_GLOBAL__N_120softmax_warp_forwardIN3c108BFloat16ES2_fLi1ELb1ELb0ELi64EEEvPT0_PKT_iiiPKbib.uses_vcc, 1
	.set _ZN12_GLOBAL__N_120softmax_warp_forwardIN3c108BFloat16ES2_fLi1ELb1ELb0ELi64EEEvPT0_PKT_iiiPKbib.uses_flat_scratch, 0
	.set _ZN12_GLOBAL__N_120softmax_warp_forwardIN3c108BFloat16ES2_fLi1ELb1ELb0ELi64EEEvPT0_PKT_iiiPKbib.has_dyn_sized_stack, 0
	.set _ZN12_GLOBAL__N_120softmax_warp_forwardIN3c108BFloat16ES2_fLi1ELb1ELb0ELi64EEEvPT0_PKT_iiiPKbib.has_recursion, 0
	.set _ZN12_GLOBAL__N_120softmax_warp_forwardIN3c108BFloat16ES2_fLi1ELb1ELb0ELi64EEEvPT0_PKT_iiiPKbib.has_indirect_call, 0
	.section	.AMDGPU.csdata,"",@progbits
; Kernel info:
; codeLenInByte = 924
; TotalNumSgprs: 18
; NumVgprs: 12
; ScratchSize: 0
; MemoryBound: 0
; FloatMode: 240
; IeeeMode: 1
; LDSByteSize: 0 bytes/workgroup (compile time only)
; SGPRBlocks: 0
; VGPRBlocks: 1
; NumSGPRsForWavesPerEU: 18
; NumVGPRsForWavesPerEU: 12
; Occupancy: 16
; WaveLimiterHint : 0
; COMPUTE_PGM_RSRC2:SCRATCH_EN: 0
; COMPUTE_PGM_RSRC2:USER_SGPR: 6
; COMPUTE_PGM_RSRC2:TRAP_HANDLER: 0
; COMPUTE_PGM_RSRC2:TGID_X_EN: 1
; COMPUTE_PGM_RSRC2:TGID_Y_EN: 0
; COMPUTE_PGM_RSRC2:TGID_Z_EN: 0
; COMPUTE_PGM_RSRC2:TIDIG_COMP_CNT: 1
	.section	.text._ZN12_GLOBAL__N_120softmax_warp_forwardIN3c108BFloat16ES2_fLi1ELb1ELb0ELi32EEEvPT0_PKT_iiiPKbib,"axG",@progbits,_ZN12_GLOBAL__N_120softmax_warp_forwardIN3c108BFloat16ES2_fLi1ELb1ELb0ELi32EEEvPT0_PKT_iiiPKbib,comdat
	.globl	_ZN12_GLOBAL__N_120softmax_warp_forwardIN3c108BFloat16ES2_fLi1ELb1ELb0ELi32EEEvPT0_PKT_iiiPKbib ; -- Begin function _ZN12_GLOBAL__N_120softmax_warp_forwardIN3c108BFloat16ES2_fLi1ELb1ELb0ELi32EEEvPT0_PKT_iiiPKbib
	.p2align	8
	.type	_ZN12_GLOBAL__N_120softmax_warp_forwardIN3c108BFloat16ES2_fLi1ELb1ELb0ELi32EEEvPT0_PKT_iiiPKbib,@function
_ZN12_GLOBAL__N_120softmax_warp_forwardIN3c108BFloat16ES2_fLi1ELb1ELb0ELi32EEEvPT0_PKT_iiiPKbib: ; @_ZN12_GLOBAL__N_120softmax_warp_forwardIN3c108BFloat16ES2_fLi1ELb1ELb0ELi32EEEvPT0_PKT_iiiPKbib
; %bb.0:
	s_clause 0x1
	s_load_dword s0, s[4:5], 0x3c
	s_load_dwordx8 s[8:15], s[4:5], 0x0
	v_mov_b32_e32 v6, 0xff800000
	s_waitcnt lgkmcnt(0)
	s_lshr_b32 s0, s0, 16
	s_and_b32 s0, s0, 0xffff
	s_mul_i32 s6, s6, s0
	v_cmp_gt_i32_e64 s0, s14, v0
	v_add_lshl_u32 v3, s6, v1, 1
	v_mad_u64_u32 v[1:2], null, v3, s13, v[0:1]
	v_sub_nc_u32_e32 v5, s12, v3
	v_mov_b32_e32 v0, 0xff800000
	v_cmp_lt_i32_e32 vcc_lo, 0, v5
	v_ashrrev_i32_e32 v2, 31, v1
	s_and_b32 s2, s0, vcc_lo
	v_lshlrev_b64 v[1:2], 1, v[1:2]
	v_add_co_u32 v3, s1, s10, v1
	v_add_co_ci_u32_e64 v4, null, s11, v2, s1
	s_and_saveexec_b32 s1, s2
	s_cbranch_execz .LBB134_2
; %bb.1:
	global_load_ushort v0, v[3:4], off
	s_waitcnt vmcnt(0)
	v_lshlrev_b32_e32 v0, 16, v0
.LBB134_2:
	s_or_b32 exec_lo, exec_lo, s1
	v_cmp_lt_i32_e64 s1, 1, v5
	s_and_b32 s1, s0, s1
	s_and_saveexec_b32 s2, s1
	s_cbranch_execz .LBB134_4
; %bb.3:
	s_mov_b32 s15, 0
	s_lshl_b64 s[4:5], s[14:15], 1
	v_add_co_u32 v3, s1, v3, s4
	v_add_co_ci_u32_e64 v4, null, s5, v4, s1
	global_load_ushort v3, v[3:4], off
	s_waitcnt vmcnt(0)
	v_lshlrev_b32_e32 v6, 16, v3
.LBB134_4:
	s_or_b32 exec_lo, exec_lo, s2
	v_mbcnt_lo_u32_b32 v3, -1, 0
	v_and_b32_e32 v4, 30, v3
	v_xor_b32_e32 v7, 1, v3
	v_add_nc_u32_e32 v4, 2, v4
	v_cmp_lt_i32_e64 s1, v7, v4
	v_cndmask_b32_e64 v3, v3, v7, s1
	v_lshlrev_b32_e32 v7, 2, v3
	ds_bpermute_b32 v3, v7, v0
	ds_bpermute_b32 v4, v7, v6
	s_waitcnt lgkmcnt(1)
	v_cmp_lt_f32_e64 s1, v0, v3
	v_cndmask_b32_e64 v3, v0, v3, s1
	s_waitcnt lgkmcnt(0)
	v_cmp_lt_f32_e64 s1, v6, v4
	v_cndmask_b32_e64 v8, v6, v4, s1
	v_sub_f32_e32 v4, v0, v3
	v_sub_f32_e32 v3, v6, v8
	v_mul_f32_e32 v0, 0x3fb8aa3b, v4
	v_cmp_ngt_f32_e64 s1, 0xc2ce8ed0, v4
	v_mul_f32_e32 v6, 0x3fb8aa3b, v3
	v_fma_f32 v8, 0x3fb8aa3b, v4, -v0
	v_rndne_f32_e32 v9, v0
	v_fma_f32 v10, 0x3fb8aa3b, v3, -v6
	v_rndne_f32_e32 v11, v6
	v_fmac_f32_e32 v8, 0x32a5705f, v4
	v_sub_f32_e32 v0, v0, v9
	v_fmac_f32_e32 v10, 0x32a5705f, v3
	v_sub_f32_e32 v6, v6, v11
	v_add_f32_e32 v0, v0, v8
	v_cvt_i32_f32_e32 v8, v9
	v_cvt_i32_f32_e32 v9, v11
	v_add_f32_e32 v6, v6, v10
	v_exp_f32_e32 v0, v0
	v_exp_f32_e32 v6, v6
	v_ldexp_f32 v0, v0, v8
	v_ldexp_f32 v6, v6, v9
	v_cndmask_b32_e64 v0, 0, v0, s1
	v_cmp_ngt_f32_e64 s1, 0xc2ce8ed0, v3
	v_cndmask_b32_e64 v6, 0, v6, s1
	v_cmp_nlt_f32_e64 s1, 0x42b17218, v4
	v_cndmask_b32_e64 v8, 0x7f800000, v0, s1
	v_cmp_nlt_f32_e64 s1, 0x42b17218, v3
	ds_bpermute_b32 v9, v7, v8
	v_cndmask_b32_e64 v6, 0x7f800000, v6, s1
	ds_bpermute_b32 v7, v7, v6
	s_and_saveexec_b32 s1, vcc_lo
	s_cbranch_execz .LBB134_9
; %bb.5:
	v_add_co_u32 v0, vcc_lo, s8, v1
	v_add_co_ci_u32_e64 v1, null, s9, v2, vcc_lo
	s_and_saveexec_b32 s1, s0
	s_cbranch_execz .LBB134_7
; %bb.6:
	s_waitcnt lgkmcnt(1)
	v_add_f32_e32 v2, v8, v9
	v_cmp_gt_f32_e32 vcc_lo, 0x800000, v2
	v_cndmask_b32_e64 v8, 0, 32, vcc_lo
	v_cndmask_b32_e64 v9, 0, 0x41b17218, vcc_lo
	v_ldexp_f32 v2, v2, v8
	v_log_f32_e32 v2, v2
	v_mul_f32_e32 v8, 0x3f317217, v2
	v_cmp_gt_f32_e64 vcc_lo, 0x7f800000, |v2|
	v_fma_f32 v8, 0x3f317217, v2, -v8
	v_fmamk_f32 v8, v2, 0x3377d1cf, v8
	v_fmac_f32_e32 v8, 0x3f317217, v2
	v_cndmask_b32_e32 v2, v2, v8, vcc_lo
	v_sub_f32_e32 v2, v2, v9
	v_sub_f32_e32 v2, v4, v2
	v_bfe_u32 v4, v2, 16, 1
	v_cmp_o_f32_e32 vcc_lo, v2, v2
	v_add3_u32 v2, v2, v4, 0x7fff
	v_mov_b32_e32 v4, 0x7fc0
	v_cndmask_b32_sdwa v2, v4, v2, vcc_lo dst_sel:DWORD dst_unused:UNUSED_PAD src0_sel:DWORD src1_sel:WORD_1
	global_store_short v[0:1], v2, off
.LBB134_7:
	s_or_b32 exec_lo, exec_lo, s1
	v_cmp_ne_u32_e32 vcc_lo, 1, v5
	s_and_b32 s0, vcc_lo, s0
	s_and_b32 exec_lo, exec_lo, s0
	s_cbranch_execz .LBB134_9
; %bb.8:
	s_waitcnt lgkmcnt(0)
	v_add_f32_e32 v2, v6, v7
	s_mov_b32 s15, 0
	s_lshl_b64 s[0:1], s[14:15], 1
	v_cmp_gt_f32_e32 vcc_lo, 0x800000, v2
	v_cndmask_b32_e64 v4, 0, 32, vcc_lo
	v_cndmask_b32_e64 v5, 0, 0x41b17218, vcc_lo
	v_ldexp_f32 v2, v2, v4
	v_log_f32_e32 v2, v2
	v_mul_f32_e32 v4, 0x3f317217, v2
	v_cmp_gt_f32_e64 vcc_lo, 0x7f800000, |v2|
	v_fma_f32 v4, 0x3f317217, v2, -v4
	v_fmamk_f32 v4, v2, 0x3377d1cf, v4
	v_fmac_f32_e32 v4, 0x3f317217, v2
	v_cndmask_b32_e32 v2, v2, v4, vcc_lo
	v_mov_b32_e32 v4, 0x7fc0
	v_sub_f32_e32 v2, v2, v5
	v_sub_f32_e32 v2, v3, v2
	v_bfe_u32 v3, v2, 16, 1
	v_cmp_o_f32_e32 vcc_lo, v2, v2
	v_add3_u32 v2, v2, v3, 0x7fff
	v_cndmask_b32_sdwa v2, v4, v2, vcc_lo dst_sel:DWORD dst_unused:UNUSED_PAD src0_sel:DWORD src1_sel:WORD_1
	v_add_co_u32 v0, vcc_lo, v0, s0
	v_add_co_ci_u32_e64 v1, null, s1, v1, vcc_lo
	global_store_short v[0:1], v2, off
.LBB134_9:
	s_endpgm
	.section	.rodata,"a",@progbits
	.p2align	6, 0x0
	.amdhsa_kernel _ZN12_GLOBAL__N_120softmax_warp_forwardIN3c108BFloat16ES2_fLi1ELb1ELb0ELi32EEEvPT0_PKT_iiiPKbib
		.amdhsa_group_segment_fixed_size 0
		.amdhsa_private_segment_fixed_size 0
		.amdhsa_kernarg_size 304
		.amdhsa_user_sgpr_count 6
		.amdhsa_user_sgpr_private_segment_buffer 1
		.amdhsa_user_sgpr_dispatch_ptr 0
		.amdhsa_user_sgpr_queue_ptr 0
		.amdhsa_user_sgpr_kernarg_segment_ptr 1
		.amdhsa_user_sgpr_dispatch_id 0
		.amdhsa_user_sgpr_flat_scratch_init 0
		.amdhsa_user_sgpr_private_segment_size 0
		.amdhsa_wavefront_size32 1
		.amdhsa_uses_dynamic_stack 0
		.amdhsa_system_sgpr_private_segment_wavefront_offset 0
		.amdhsa_system_sgpr_workgroup_id_x 1
		.amdhsa_system_sgpr_workgroup_id_y 0
		.amdhsa_system_sgpr_workgroup_id_z 0
		.amdhsa_system_sgpr_workgroup_info 0
		.amdhsa_system_vgpr_workitem_id 1
		.amdhsa_next_free_vgpr 12
		.amdhsa_next_free_sgpr 16
		.amdhsa_reserve_vcc 1
		.amdhsa_reserve_flat_scratch 0
		.amdhsa_float_round_mode_32 0
		.amdhsa_float_round_mode_16_64 0
		.amdhsa_float_denorm_mode_32 3
		.amdhsa_float_denorm_mode_16_64 3
		.amdhsa_dx10_clamp 1
		.amdhsa_ieee_mode 1
		.amdhsa_fp16_overflow 0
		.amdhsa_workgroup_processor_mode 1
		.amdhsa_memory_ordered 1
		.amdhsa_forward_progress 1
		.amdhsa_shared_vgpr_count 0
		.amdhsa_exception_fp_ieee_invalid_op 0
		.amdhsa_exception_fp_denorm_src 0
		.amdhsa_exception_fp_ieee_div_zero 0
		.amdhsa_exception_fp_ieee_overflow 0
		.amdhsa_exception_fp_ieee_underflow 0
		.amdhsa_exception_fp_ieee_inexact 0
		.amdhsa_exception_int_div_zero 0
	.end_amdhsa_kernel
	.section	.text._ZN12_GLOBAL__N_120softmax_warp_forwardIN3c108BFloat16ES2_fLi1ELb1ELb0ELi32EEEvPT0_PKT_iiiPKbib,"axG",@progbits,_ZN12_GLOBAL__N_120softmax_warp_forwardIN3c108BFloat16ES2_fLi1ELb1ELb0ELi32EEEvPT0_PKT_iiiPKbib,comdat
.Lfunc_end134:
	.size	_ZN12_GLOBAL__N_120softmax_warp_forwardIN3c108BFloat16ES2_fLi1ELb1ELb0ELi32EEEvPT0_PKT_iiiPKbib, .Lfunc_end134-_ZN12_GLOBAL__N_120softmax_warp_forwardIN3c108BFloat16ES2_fLi1ELb1ELb0ELi32EEEvPT0_PKT_iiiPKbib
                                        ; -- End function
	.set _ZN12_GLOBAL__N_120softmax_warp_forwardIN3c108BFloat16ES2_fLi1ELb1ELb0ELi32EEEvPT0_PKT_iiiPKbib.num_vgpr, 12
	.set _ZN12_GLOBAL__N_120softmax_warp_forwardIN3c108BFloat16ES2_fLi1ELb1ELb0ELi32EEEvPT0_PKT_iiiPKbib.num_agpr, 0
	.set _ZN12_GLOBAL__N_120softmax_warp_forwardIN3c108BFloat16ES2_fLi1ELb1ELb0ELi32EEEvPT0_PKT_iiiPKbib.numbered_sgpr, 16
	.set _ZN12_GLOBAL__N_120softmax_warp_forwardIN3c108BFloat16ES2_fLi1ELb1ELb0ELi32EEEvPT0_PKT_iiiPKbib.num_named_barrier, 0
	.set _ZN12_GLOBAL__N_120softmax_warp_forwardIN3c108BFloat16ES2_fLi1ELb1ELb0ELi32EEEvPT0_PKT_iiiPKbib.private_seg_size, 0
	.set _ZN12_GLOBAL__N_120softmax_warp_forwardIN3c108BFloat16ES2_fLi1ELb1ELb0ELi32EEEvPT0_PKT_iiiPKbib.uses_vcc, 1
	.set _ZN12_GLOBAL__N_120softmax_warp_forwardIN3c108BFloat16ES2_fLi1ELb1ELb0ELi32EEEvPT0_PKT_iiiPKbib.uses_flat_scratch, 0
	.set _ZN12_GLOBAL__N_120softmax_warp_forwardIN3c108BFloat16ES2_fLi1ELb1ELb0ELi32EEEvPT0_PKT_iiiPKbib.has_dyn_sized_stack, 0
	.set _ZN12_GLOBAL__N_120softmax_warp_forwardIN3c108BFloat16ES2_fLi1ELb1ELb0ELi32EEEvPT0_PKT_iiiPKbib.has_recursion, 0
	.set _ZN12_GLOBAL__N_120softmax_warp_forwardIN3c108BFloat16ES2_fLi1ELb1ELb0ELi32EEEvPT0_PKT_iiiPKbib.has_indirect_call, 0
	.section	.AMDGPU.csdata,"",@progbits
; Kernel info:
; codeLenInByte = 924
; TotalNumSgprs: 18
; NumVgprs: 12
; ScratchSize: 0
; MemoryBound: 0
; FloatMode: 240
; IeeeMode: 1
; LDSByteSize: 0 bytes/workgroup (compile time only)
; SGPRBlocks: 0
; VGPRBlocks: 1
; NumSGPRsForWavesPerEU: 18
; NumVGPRsForWavesPerEU: 12
; Occupancy: 16
; WaveLimiterHint : 0
; COMPUTE_PGM_RSRC2:SCRATCH_EN: 0
; COMPUTE_PGM_RSRC2:USER_SGPR: 6
; COMPUTE_PGM_RSRC2:TRAP_HANDLER: 0
; COMPUTE_PGM_RSRC2:TGID_X_EN: 1
; COMPUTE_PGM_RSRC2:TGID_Y_EN: 0
; COMPUTE_PGM_RSRC2:TGID_Z_EN: 0
; COMPUTE_PGM_RSRC2:TIDIG_COMP_CNT: 1
	.section	.text._ZN12_GLOBAL__N_120softmax_warp_forwardIN3c108BFloat16ES2_fLi2ELb1ELb0ELi64EEEvPT0_PKT_iiiPKbib,"axG",@progbits,_ZN12_GLOBAL__N_120softmax_warp_forwardIN3c108BFloat16ES2_fLi2ELb1ELb0ELi64EEEvPT0_PKT_iiiPKbib,comdat
	.globl	_ZN12_GLOBAL__N_120softmax_warp_forwardIN3c108BFloat16ES2_fLi2ELb1ELb0ELi64EEEvPT0_PKT_iiiPKbib ; -- Begin function _ZN12_GLOBAL__N_120softmax_warp_forwardIN3c108BFloat16ES2_fLi2ELb1ELb0ELi64EEEvPT0_PKT_iiiPKbib
	.p2align	8
	.type	_ZN12_GLOBAL__N_120softmax_warp_forwardIN3c108BFloat16ES2_fLi2ELb1ELb0ELi64EEEvPT0_PKT_iiiPKbib,@function
_ZN12_GLOBAL__N_120softmax_warp_forwardIN3c108BFloat16ES2_fLi2ELb1ELb0ELi64EEEvPT0_PKT_iiiPKbib: ; @_ZN12_GLOBAL__N_120softmax_warp_forwardIN3c108BFloat16ES2_fLi2ELb1ELb0ELi64EEEvPT0_PKT_iiiPKbib
; %bb.0:
	s_clause 0x1
	s_load_dword s0, s[4:5], 0x3c
	s_load_dwordx8 s[8:15], s[4:5], 0x0
	v_mov_b32_e32 v6, 0xff800000
	s_waitcnt lgkmcnt(0)
	s_lshr_b32 s0, s0, 16
	s_and_b32 s0, s0, 0xffff
	s_mul_i32 s6, s6, s0
	v_cmp_gt_i32_e64 s0, s14, v0
	v_add_lshl_u32 v3, s6, v1, 1
	v_mad_u64_u32 v[1:2], null, v3, s13, v[0:1]
	v_sub_nc_u32_e32 v5, s12, v3
	v_mov_b32_e32 v0, 0xff800000
	v_cmp_lt_i32_e32 vcc_lo, 0, v5
	v_ashrrev_i32_e32 v2, 31, v1
	s_and_b32 s2, s0, vcc_lo
	v_lshlrev_b64 v[1:2], 1, v[1:2]
	v_add_co_u32 v3, s1, s10, v1
	v_add_co_ci_u32_e64 v4, null, s11, v2, s1
	s_and_saveexec_b32 s1, s2
	s_cbranch_execz .LBB135_2
; %bb.1:
	global_load_ushort v0, v[3:4], off
	s_waitcnt vmcnt(0)
	v_lshlrev_b32_e32 v0, 16, v0
.LBB135_2:
	s_or_b32 exec_lo, exec_lo, s1
	v_cmp_lt_i32_e64 s1, 1, v5
	s_and_b32 s1, s0, s1
	s_and_saveexec_b32 s2, s1
	s_cbranch_execz .LBB135_4
; %bb.3:
	s_mov_b32 s15, 0
	s_lshl_b64 s[4:5], s[14:15], 1
	v_add_co_u32 v3, s1, v3, s4
	v_add_co_ci_u32_e64 v4, null, s5, v4, s1
	global_load_ushort v3, v[3:4], off
	s_waitcnt vmcnt(0)
	v_lshlrev_b32_e32 v6, 16, v3
.LBB135_4:
	s_or_b32 exec_lo, exec_lo, s2
	v_mbcnt_lo_u32_b32 v3, -1, 0
	v_and_b32_e32 v4, 28, v3
	v_xor_b32_e32 v7, 2, v3
	v_xor_b32_e32 v10, 1, v3
	v_add_nc_u32_e32 v4, 4, v4
	v_cmp_lt_i32_e64 s1, v7, v4
	v_cndmask_b32_e64 v7, v3, v7, s1
	v_cmp_lt_i32_e64 s1, v10, v4
	v_lshlrev_b32_e32 v7, 2, v7
	v_cndmask_b32_e64 v3, v3, v10, s1
	ds_bpermute_b32 v8, v7, v0
	ds_bpermute_b32 v9, v7, v6
	v_lshlrev_b32_e32 v10, 2, v3
	s_waitcnt lgkmcnt(1)
	v_cmp_lt_f32_e64 s1, v0, v8
	v_cndmask_b32_e64 v3, v0, v8, s1
	s_waitcnt lgkmcnt(0)
	v_cmp_lt_f32_e64 s1, v6, v9
	ds_bpermute_b32 v8, v10, v3
	v_cndmask_b32_e64 v4, v6, v9, s1
	ds_bpermute_b32 v9, v10, v4
	s_waitcnt lgkmcnt(1)
	v_cmp_lt_f32_e64 s1, v3, v8
	v_cndmask_b32_e64 v3, v3, v8, s1
	s_waitcnt lgkmcnt(0)
	v_cmp_lt_f32_e64 s1, v4, v9
	v_cndmask_b32_e64 v8, v4, v9, s1
	v_sub_f32_e32 v4, v0, v3
	v_sub_f32_e32 v3, v6, v8
	v_mul_f32_e32 v0, 0x3fb8aa3b, v4
	v_cmp_ngt_f32_e64 s1, 0xc2ce8ed0, v4
	v_mul_f32_e32 v6, 0x3fb8aa3b, v3
	v_fma_f32 v8, 0x3fb8aa3b, v4, -v0
	v_rndne_f32_e32 v9, v0
	v_fma_f32 v11, 0x3fb8aa3b, v3, -v6
	v_rndne_f32_e32 v12, v6
	v_fmac_f32_e32 v8, 0x32a5705f, v4
	v_sub_f32_e32 v0, v0, v9
	v_fmac_f32_e32 v11, 0x32a5705f, v3
	v_sub_f32_e32 v6, v6, v12
	v_add_f32_e32 v0, v0, v8
	v_cvt_i32_f32_e32 v8, v9
	v_cvt_i32_f32_e32 v9, v12
	v_add_f32_e32 v6, v6, v11
	v_exp_f32_e32 v0, v0
	v_exp_f32_e32 v6, v6
	v_ldexp_f32 v0, v0, v8
	v_ldexp_f32 v6, v6, v9
	v_cndmask_b32_e64 v0, 0, v0, s1
	v_cmp_ngt_f32_e64 s1, 0xc2ce8ed0, v3
	v_cndmask_b32_e64 v6, 0, v6, s1
	v_cmp_nlt_f32_e64 s1, 0x42b17218, v4
	v_cndmask_b32_e64 v0, 0x7f800000, v0, s1
	v_cmp_nlt_f32_e64 s1, 0x42b17218, v3
	ds_bpermute_b32 v8, v7, v0
	v_cndmask_b32_e64 v6, 0x7f800000, v6, s1
	ds_bpermute_b32 v7, v7, v6
	s_waitcnt lgkmcnt(1)
	v_add_f32_e32 v8, v0, v8
	ds_bpermute_b32 v9, v10, v8
	s_waitcnt lgkmcnt(1)
	v_add_f32_e32 v6, v6, v7
	ds_bpermute_b32 v7, v10, v6
	s_and_saveexec_b32 s1, vcc_lo
	s_cbranch_execz .LBB135_9
; %bb.5:
	v_add_co_u32 v0, vcc_lo, s8, v1
	v_add_co_ci_u32_e64 v1, null, s9, v2, vcc_lo
	s_and_saveexec_b32 s1, s0
	s_cbranch_execz .LBB135_7
; %bb.6:
	s_waitcnt lgkmcnt(1)
	v_add_f32_e32 v2, v8, v9
	v_cmp_gt_f32_e32 vcc_lo, 0x800000, v2
	v_cndmask_b32_e64 v8, 0, 32, vcc_lo
	v_cndmask_b32_e64 v9, 0, 0x41b17218, vcc_lo
	v_ldexp_f32 v2, v2, v8
	v_log_f32_e32 v2, v2
	v_mul_f32_e32 v8, 0x3f317217, v2
	v_cmp_gt_f32_e64 vcc_lo, 0x7f800000, |v2|
	v_fma_f32 v8, 0x3f317217, v2, -v8
	v_fmamk_f32 v8, v2, 0x3377d1cf, v8
	v_fmac_f32_e32 v8, 0x3f317217, v2
	v_cndmask_b32_e32 v2, v2, v8, vcc_lo
	v_sub_f32_e32 v2, v2, v9
	v_sub_f32_e32 v2, v4, v2
	v_bfe_u32 v4, v2, 16, 1
	v_cmp_o_f32_e32 vcc_lo, v2, v2
	v_add3_u32 v2, v2, v4, 0x7fff
	v_mov_b32_e32 v4, 0x7fc0
	v_cndmask_b32_sdwa v2, v4, v2, vcc_lo dst_sel:DWORD dst_unused:UNUSED_PAD src0_sel:DWORD src1_sel:WORD_1
	global_store_short v[0:1], v2, off
.LBB135_7:
	s_or_b32 exec_lo, exec_lo, s1
	v_cmp_ne_u32_e32 vcc_lo, 1, v5
	s_and_b32 s0, vcc_lo, s0
	s_and_b32 exec_lo, exec_lo, s0
	s_cbranch_execz .LBB135_9
; %bb.8:
	s_waitcnt lgkmcnt(0)
	v_add_f32_e32 v2, v6, v7
	s_mov_b32 s15, 0
	s_lshl_b64 s[0:1], s[14:15], 1
	v_cmp_gt_f32_e32 vcc_lo, 0x800000, v2
	v_cndmask_b32_e64 v4, 0, 32, vcc_lo
	v_cndmask_b32_e64 v5, 0, 0x41b17218, vcc_lo
	v_ldexp_f32 v2, v2, v4
	v_log_f32_e32 v2, v2
	v_mul_f32_e32 v4, 0x3f317217, v2
	v_cmp_gt_f32_e64 vcc_lo, 0x7f800000, |v2|
	v_fma_f32 v4, 0x3f317217, v2, -v4
	v_fmamk_f32 v4, v2, 0x3377d1cf, v4
	v_fmac_f32_e32 v4, 0x3f317217, v2
	v_cndmask_b32_e32 v2, v2, v4, vcc_lo
	v_mov_b32_e32 v4, 0x7fc0
	v_sub_f32_e32 v2, v2, v5
	v_sub_f32_e32 v2, v3, v2
	v_bfe_u32 v3, v2, 16, 1
	v_cmp_o_f32_e32 vcc_lo, v2, v2
	v_add3_u32 v2, v2, v3, 0x7fff
	v_cndmask_b32_sdwa v2, v4, v2, vcc_lo dst_sel:DWORD dst_unused:UNUSED_PAD src0_sel:DWORD src1_sel:WORD_1
	v_add_co_u32 v0, vcc_lo, v0, s0
	v_add_co_ci_u32_e64 v1, null, s1, v1, vcc_lo
	global_store_short v[0:1], v2, off
.LBB135_9:
	s_endpgm
	.section	.rodata,"a",@progbits
	.p2align	6, 0x0
	.amdhsa_kernel _ZN12_GLOBAL__N_120softmax_warp_forwardIN3c108BFloat16ES2_fLi2ELb1ELb0ELi64EEEvPT0_PKT_iiiPKbib
		.amdhsa_group_segment_fixed_size 0
		.amdhsa_private_segment_fixed_size 0
		.amdhsa_kernarg_size 304
		.amdhsa_user_sgpr_count 6
		.amdhsa_user_sgpr_private_segment_buffer 1
		.amdhsa_user_sgpr_dispatch_ptr 0
		.amdhsa_user_sgpr_queue_ptr 0
		.amdhsa_user_sgpr_kernarg_segment_ptr 1
		.amdhsa_user_sgpr_dispatch_id 0
		.amdhsa_user_sgpr_flat_scratch_init 0
		.amdhsa_user_sgpr_private_segment_size 0
		.amdhsa_wavefront_size32 1
		.amdhsa_uses_dynamic_stack 0
		.amdhsa_system_sgpr_private_segment_wavefront_offset 0
		.amdhsa_system_sgpr_workgroup_id_x 1
		.amdhsa_system_sgpr_workgroup_id_y 0
		.amdhsa_system_sgpr_workgroup_id_z 0
		.amdhsa_system_sgpr_workgroup_info 0
		.amdhsa_system_vgpr_workitem_id 1
		.amdhsa_next_free_vgpr 13
		.amdhsa_next_free_sgpr 16
		.amdhsa_reserve_vcc 1
		.amdhsa_reserve_flat_scratch 0
		.amdhsa_float_round_mode_32 0
		.amdhsa_float_round_mode_16_64 0
		.amdhsa_float_denorm_mode_32 3
		.amdhsa_float_denorm_mode_16_64 3
		.amdhsa_dx10_clamp 1
		.amdhsa_ieee_mode 1
		.amdhsa_fp16_overflow 0
		.amdhsa_workgroup_processor_mode 1
		.amdhsa_memory_ordered 1
		.amdhsa_forward_progress 1
		.amdhsa_shared_vgpr_count 0
		.amdhsa_exception_fp_ieee_invalid_op 0
		.amdhsa_exception_fp_denorm_src 0
		.amdhsa_exception_fp_ieee_div_zero 0
		.amdhsa_exception_fp_ieee_overflow 0
		.amdhsa_exception_fp_ieee_underflow 0
		.amdhsa_exception_fp_ieee_inexact 0
		.amdhsa_exception_int_div_zero 0
	.end_amdhsa_kernel
	.section	.text._ZN12_GLOBAL__N_120softmax_warp_forwardIN3c108BFloat16ES2_fLi2ELb1ELb0ELi64EEEvPT0_PKT_iiiPKbib,"axG",@progbits,_ZN12_GLOBAL__N_120softmax_warp_forwardIN3c108BFloat16ES2_fLi2ELb1ELb0ELi64EEEvPT0_PKT_iiiPKbib,comdat
.Lfunc_end135:
	.size	_ZN12_GLOBAL__N_120softmax_warp_forwardIN3c108BFloat16ES2_fLi2ELb1ELb0ELi64EEEvPT0_PKT_iiiPKbib, .Lfunc_end135-_ZN12_GLOBAL__N_120softmax_warp_forwardIN3c108BFloat16ES2_fLi2ELb1ELb0ELi64EEEvPT0_PKT_iiiPKbib
                                        ; -- End function
	.set _ZN12_GLOBAL__N_120softmax_warp_forwardIN3c108BFloat16ES2_fLi2ELb1ELb0ELi64EEEvPT0_PKT_iiiPKbib.num_vgpr, 13
	.set _ZN12_GLOBAL__N_120softmax_warp_forwardIN3c108BFloat16ES2_fLi2ELb1ELb0ELi64EEEvPT0_PKT_iiiPKbib.num_agpr, 0
	.set _ZN12_GLOBAL__N_120softmax_warp_forwardIN3c108BFloat16ES2_fLi2ELb1ELb0ELi64EEEvPT0_PKT_iiiPKbib.numbered_sgpr, 16
	.set _ZN12_GLOBAL__N_120softmax_warp_forwardIN3c108BFloat16ES2_fLi2ELb1ELb0ELi64EEEvPT0_PKT_iiiPKbib.num_named_barrier, 0
	.set _ZN12_GLOBAL__N_120softmax_warp_forwardIN3c108BFloat16ES2_fLi2ELb1ELb0ELi64EEEvPT0_PKT_iiiPKbib.private_seg_size, 0
	.set _ZN12_GLOBAL__N_120softmax_warp_forwardIN3c108BFloat16ES2_fLi2ELb1ELb0ELi64EEEvPT0_PKT_iiiPKbib.uses_vcc, 1
	.set _ZN12_GLOBAL__N_120softmax_warp_forwardIN3c108BFloat16ES2_fLi2ELb1ELb0ELi64EEEvPT0_PKT_iiiPKbib.uses_flat_scratch, 0
	.set _ZN12_GLOBAL__N_120softmax_warp_forwardIN3c108BFloat16ES2_fLi2ELb1ELb0ELi64EEEvPT0_PKT_iiiPKbib.has_dyn_sized_stack, 0
	.set _ZN12_GLOBAL__N_120softmax_warp_forwardIN3c108BFloat16ES2_fLi2ELb1ELb0ELi64EEEvPT0_PKT_iiiPKbib.has_recursion, 0
	.set _ZN12_GLOBAL__N_120softmax_warp_forwardIN3c108BFloat16ES2_fLi2ELb1ELb0ELi64EEEvPT0_PKT_iiiPKbib.has_indirect_call, 0
	.section	.AMDGPU.csdata,"",@progbits
; Kernel info:
; codeLenInByte = 1036
; TotalNumSgprs: 18
; NumVgprs: 13
; ScratchSize: 0
; MemoryBound: 0
; FloatMode: 240
; IeeeMode: 1
; LDSByteSize: 0 bytes/workgroup (compile time only)
; SGPRBlocks: 0
; VGPRBlocks: 1
; NumSGPRsForWavesPerEU: 18
; NumVGPRsForWavesPerEU: 13
; Occupancy: 16
; WaveLimiterHint : 0
; COMPUTE_PGM_RSRC2:SCRATCH_EN: 0
; COMPUTE_PGM_RSRC2:USER_SGPR: 6
; COMPUTE_PGM_RSRC2:TRAP_HANDLER: 0
; COMPUTE_PGM_RSRC2:TGID_X_EN: 1
; COMPUTE_PGM_RSRC2:TGID_Y_EN: 0
; COMPUTE_PGM_RSRC2:TGID_Z_EN: 0
; COMPUTE_PGM_RSRC2:TIDIG_COMP_CNT: 1
	.section	.text._ZN12_GLOBAL__N_120softmax_warp_forwardIN3c108BFloat16ES2_fLi2ELb1ELb0ELi32EEEvPT0_PKT_iiiPKbib,"axG",@progbits,_ZN12_GLOBAL__N_120softmax_warp_forwardIN3c108BFloat16ES2_fLi2ELb1ELb0ELi32EEEvPT0_PKT_iiiPKbib,comdat
	.globl	_ZN12_GLOBAL__N_120softmax_warp_forwardIN3c108BFloat16ES2_fLi2ELb1ELb0ELi32EEEvPT0_PKT_iiiPKbib ; -- Begin function _ZN12_GLOBAL__N_120softmax_warp_forwardIN3c108BFloat16ES2_fLi2ELb1ELb0ELi32EEEvPT0_PKT_iiiPKbib
	.p2align	8
	.type	_ZN12_GLOBAL__N_120softmax_warp_forwardIN3c108BFloat16ES2_fLi2ELb1ELb0ELi32EEEvPT0_PKT_iiiPKbib,@function
_ZN12_GLOBAL__N_120softmax_warp_forwardIN3c108BFloat16ES2_fLi2ELb1ELb0ELi32EEEvPT0_PKT_iiiPKbib: ; @_ZN12_GLOBAL__N_120softmax_warp_forwardIN3c108BFloat16ES2_fLi2ELb1ELb0ELi32EEEvPT0_PKT_iiiPKbib
; %bb.0:
	s_clause 0x1
	s_load_dword s0, s[4:5], 0x3c
	s_load_dwordx8 s[8:15], s[4:5], 0x0
	v_mov_b32_e32 v6, 0xff800000
	s_waitcnt lgkmcnt(0)
	s_lshr_b32 s0, s0, 16
	s_and_b32 s0, s0, 0xffff
	s_mul_i32 s6, s6, s0
	v_cmp_gt_i32_e64 s0, s14, v0
	v_add_lshl_u32 v3, s6, v1, 1
	v_mad_u64_u32 v[1:2], null, v3, s13, v[0:1]
	v_sub_nc_u32_e32 v5, s12, v3
	v_mov_b32_e32 v0, 0xff800000
	v_cmp_lt_i32_e32 vcc_lo, 0, v5
	v_ashrrev_i32_e32 v2, 31, v1
	s_and_b32 s2, s0, vcc_lo
	v_lshlrev_b64 v[1:2], 1, v[1:2]
	v_add_co_u32 v3, s1, s10, v1
	v_add_co_ci_u32_e64 v4, null, s11, v2, s1
	s_and_saveexec_b32 s1, s2
	s_cbranch_execz .LBB136_2
; %bb.1:
	global_load_ushort v0, v[3:4], off
	s_waitcnt vmcnt(0)
	v_lshlrev_b32_e32 v0, 16, v0
.LBB136_2:
	s_or_b32 exec_lo, exec_lo, s1
	v_cmp_lt_i32_e64 s1, 1, v5
	s_and_b32 s1, s0, s1
	s_and_saveexec_b32 s2, s1
	s_cbranch_execz .LBB136_4
; %bb.3:
	s_mov_b32 s15, 0
	s_lshl_b64 s[4:5], s[14:15], 1
	v_add_co_u32 v3, s1, v3, s4
	v_add_co_ci_u32_e64 v4, null, s5, v4, s1
	global_load_ushort v3, v[3:4], off
	s_waitcnt vmcnt(0)
	v_lshlrev_b32_e32 v6, 16, v3
.LBB136_4:
	s_or_b32 exec_lo, exec_lo, s2
	v_mbcnt_lo_u32_b32 v3, -1, 0
	v_and_b32_e32 v4, 28, v3
	v_xor_b32_e32 v7, 2, v3
	v_xor_b32_e32 v10, 1, v3
	v_add_nc_u32_e32 v4, 4, v4
	v_cmp_lt_i32_e64 s1, v7, v4
	v_cndmask_b32_e64 v7, v3, v7, s1
	v_cmp_lt_i32_e64 s1, v10, v4
	v_lshlrev_b32_e32 v7, 2, v7
	v_cndmask_b32_e64 v3, v3, v10, s1
	ds_bpermute_b32 v8, v7, v0
	ds_bpermute_b32 v9, v7, v6
	v_lshlrev_b32_e32 v10, 2, v3
	s_waitcnt lgkmcnt(1)
	v_cmp_lt_f32_e64 s1, v0, v8
	v_cndmask_b32_e64 v3, v0, v8, s1
	s_waitcnt lgkmcnt(0)
	v_cmp_lt_f32_e64 s1, v6, v9
	ds_bpermute_b32 v8, v10, v3
	v_cndmask_b32_e64 v4, v6, v9, s1
	ds_bpermute_b32 v9, v10, v4
	s_waitcnt lgkmcnt(1)
	v_cmp_lt_f32_e64 s1, v3, v8
	v_cndmask_b32_e64 v3, v3, v8, s1
	s_waitcnt lgkmcnt(0)
	v_cmp_lt_f32_e64 s1, v4, v9
	v_cndmask_b32_e64 v8, v4, v9, s1
	v_sub_f32_e32 v4, v0, v3
	v_sub_f32_e32 v3, v6, v8
	v_mul_f32_e32 v0, 0x3fb8aa3b, v4
	v_cmp_ngt_f32_e64 s1, 0xc2ce8ed0, v4
	v_mul_f32_e32 v6, 0x3fb8aa3b, v3
	v_fma_f32 v8, 0x3fb8aa3b, v4, -v0
	v_rndne_f32_e32 v9, v0
	v_fma_f32 v11, 0x3fb8aa3b, v3, -v6
	v_rndne_f32_e32 v12, v6
	v_fmac_f32_e32 v8, 0x32a5705f, v4
	v_sub_f32_e32 v0, v0, v9
	v_fmac_f32_e32 v11, 0x32a5705f, v3
	v_sub_f32_e32 v6, v6, v12
	v_add_f32_e32 v0, v0, v8
	v_cvt_i32_f32_e32 v8, v9
	v_cvt_i32_f32_e32 v9, v12
	v_add_f32_e32 v6, v6, v11
	v_exp_f32_e32 v0, v0
	v_exp_f32_e32 v6, v6
	v_ldexp_f32 v0, v0, v8
	v_ldexp_f32 v6, v6, v9
	v_cndmask_b32_e64 v0, 0, v0, s1
	v_cmp_ngt_f32_e64 s1, 0xc2ce8ed0, v3
	v_cndmask_b32_e64 v6, 0, v6, s1
	v_cmp_nlt_f32_e64 s1, 0x42b17218, v4
	v_cndmask_b32_e64 v0, 0x7f800000, v0, s1
	v_cmp_nlt_f32_e64 s1, 0x42b17218, v3
	ds_bpermute_b32 v8, v7, v0
	v_cndmask_b32_e64 v6, 0x7f800000, v6, s1
	ds_bpermute_b32 v7, v7, v6
	s_waitcnt lgkmcnt(1)
	v_add_f32_e32 v8, v0, v8
	ds_bpermute_b32 v9, v10, v8
	s_waitcnt lgkmcnt(1)
	v_add_f32_e32 v6, v6, v7
	ds_bpermute_b32 v7, v10, v6
	s_and_saveexec_b32 s1, vcc_lo
	s_cbranch_execz .LBB136_9
; %bb.5:
	v_add_co_u32 v0, vcc_lo, s8, v1
	v_add_co_ci_u32_e64 v1, null, s9, v2, vcc_lo
	s_and_saveexec_b32 s1, s0
	s_cbranch_execz .LBB136_7
; %bb.6:
	s_waitcnt lgkmcnt(1)
	v_add_f32_e32 v2, v8, v9
	v_cmp_gt_f32_e32 vcc_lo, 0x800000, v2
	v_cndmask_b32_e64 v8, 0, 32, vcc_lo
	v_cndmask_b32_e64 v9, 0, 0x41b17218, vcc_lo
	v_ldexp_f32 v2, v2, v8
	v_log_f32_e32 v2, v2
	v_mul_f32_e32 v8, 0x3f317217, v2
	v_cmp_gt_f32_e64 vcc_lo, 0x7f800000, |v2|
	v_fma_f32 v8, 0x3f317217, v2, -v8
	v_fmamk_f32 v8, v2, 0x3377d1cf, v8
	v_fmac_f32_e32 v8, 0x3f317217, v2
	v_cndmask_b32_e32 v2, v2, v8, vcc_lo
	v_sub_f32_e32 v2, v2, v9
	v_sub_f32_e32 v2, v4, v2
	v_bfe_u32 v4, v2, 16, 1
	v_cmp_o_f32_e32 vcc_lo, v2, v2
	v_add3_u32 v2, v2, v4, 0x7fff
	v_mov_b32_e32 v4, 0x7fc0
	v_cndmask_b32_sdwa v2, v4, v2, vcc_lo dst_sel:DWORD dst_unused:UNUSED_PAD src0_sel:DWORD src1_sel:WORD_1
	global_store_short v[0:1], v2, off
.LBB136_7:
	s_or_b32 exec_lo, exec_lo, s1
	v_cmp_ne_u32_e32 vcc_lo, 1, v5
	s_and_b32 s0, vcc_lo, s0
	s_and_b32 exec_lo, exec_lo, s0
	s_cbranch_execz .LBB136_9
; %bb.8:
	s_waitcnt lgkmcnt(0)
	v_add_f32_e32 v2, v6, v7
	s_mov_b32 s15, 0
	s_lshl_b64 s[0:1], s[14:15], 1
	v_cmp_gt_f32_e32 vcc_lo, 0x800000, v2
	v_cndmask_b32_e64 v4, 0, 32, vcc_lo
	v_cndmask_b32_e64 v5, 0, 0x41b17218, vcc_lo
	v_ldexp_f32 v2, v2, v4
	v_log_f32_e32 v2, v2
	v_mul_f32_e32 v4, 0x3f317217, v2
	v_cmp_gt_f32_e64 vcc_lo, 0x7f800000, |v2|
	v_fma_f32 v4, 0x3f317217, v2, -v4
	v_fmamk_f32 v4, v2, 0x3377d1cf, v4
	v_fmac_f32_e32 v4, 0x3f317217, v2
	v_cndmask_b32_e32 v2, v2, v4, vcc_lo
	v_mov_b32_e32 v4, 0x7fc0
	v_sub_f32_e32 v2, v2, v5
	v_sub_f32_e32 v2, v3, v2
	v_bfe_u32 v3, v2, 16, 1
	v_cmp_o_f32_e32 vcc_lo, v2, v2
	v_add3_u32 v2, v2, v3, 0x7fff
	v_cndmask_b32_sdwa v2, v4, v2, vcc_lo dst_sel:DWORD dst_unused:UNUSED_PAD src0_sel:DWORD src1_sel:WORD_1
	v_add_co_u32 v0, vcc_lo, v0, s0
	v_add_co_ci_u32_e64 v1, null, s1, v1, vcc_lo
	global_store_short v[0:1], v2, off
.LBB136_9:
	s_endpgm
	.section	.rodata,"a",@progbits
	.p2align	6, 0x0
	.amdhsa_kernel _ZN12_GLOBAL__N_120softmax_warp_forwardIN3c108BFloat16ES2_fLi2ELb1ELb0ELi32EEEvPT0_PKT_iiiPKbib
		.amdhsa_group_segment_fixed_size 0
		.amdhsa_private_segment_fixed_size 0
		.amdhsa_kernarg_size 304
		.amdhsa_user_sgpr_count 6
		.amdhsa_user_sgpr_private_segment_buffer 1
		.amdhsa_user_sgpr_dispatch_ptr 0
		.amdhsa_user_sgpr_queue_ptr 0
		.amdhsa_user_sgpr_kernarg_segment_ptr 1
		.amdhsa_user_sgpr_dispatch_id 0
		.amdhsa_user_sgpr_flat_scratch_init 0
		.amdhsa_user_sgpr_private_segment_size 0
		.amdhsa_wavefront_size32 1
		.amdhsa_uses_dynamic_stack 0
		.amdhsa_system_sgpr_private_segment_wavefront_offset 0
		.amdhsa_system_sgpr_workgroup_id_x 1
		.amdhsa_system_sgpr_workgroup_id_y 0
		.amdhsa_system_sgpr_workgroup_id_z 0
		.amdhsa_system_sgpr_workgroup_info 0
		.amdhsa_system_vgpr_workitem_id 1
		.amdhsa_next_free_vgpr 13
		.amdhsa_next_free_sgpr 16
		.amdhsa_reserve_vcc 1
		.amdhsa_reserve_flat_scratch 0
		.amdhsa_float_round_mode_32 0
		.amdhsa_float_round_mode_16_64 0
		.amdhsa_float_denorm_mode_32 3
		.amdhsa_float_denorm_mode_16_64 3
		.amdhsa_dx10_clamp 1
		.amdhsa_ieee_mode 1
		.amdhsa_fp16_overflow 0
		.amdhsa_workgroup_processor_mode 1
		.amdhsa_memory_ordered 1
		.amdhsa_forward_progress 1
		.amdhsa_shared_vgpr_count 0
		.amdhsa_exception_fp_ieee_invalid_op 0
		.amdhsa_exception_fp_denorm_src 0
		.amdhsa_exception_fp_ieee_div_zero 0
		.amdhsa_exception_fp_ieee_overflow 0
		.amdhsa_exception_fp_ieee_underflow 0
		.amdhsa_exception_fp_ieee_inexact 0
		.amdhsa_exception_int_div_zero 0
	.end_amdhsa_kernel
	.section	.text._ZN12_GLOBAL__N_120softmax_warp_forwardIN3c108BFloat16ES2_fLi2ELb1ELb0ELi32EEEvPT0_PKT_iiiPKbib,"axG",@progbits,_ZN12_GLOBAL__N_120softmax_warp_forwardIN3c108BFloat16ES2_fLi2ELb1ELb0ELi32EEEvPT0_PKT_iiiPKbib,comdat
.Lfunc_end136:
	.size	_ZN12_GLOBAL__N_120softmax_warp_forwardIN3c108BFloat16ES2_fLi2ELb1ELb0ELi32EEEvPT0_PKT_iiiPKbib, .Lfunc_end136-_ZN12_GLOBAL__N_120softmax_warp_forwardIN3c108BFloat16ES2_fLi2ELb1ELb0ELi32EEEvPT0_PKT_iiiPKbib
                                        ; -- End function
	.set _ZN12_GLOBAL__N_120softmax_warp_forwardIN3c108BFloat16ES2_fLi2ELb1ELb0ELi32EEEvPT0_PKT_iiiPKbib.num_vgpr, 13
	.set _ZN12_GLOBAL__N_120softmax_warp_forwardIN3c108BFloat16ES2_fLi2ELb1ELb0ELi32EEEvPT0_PKT_iiiPKbib.num_agpr, 0
	.set _ZN12_GLOBAL__N_120softmax_warp_forwardIN3c108BFloat16ES2_fLi2ELb1ELb0ELi32EEEvPT0_PKT_iiiPKbib.numbered_sgpr, 16
	.set _ZN12_GLOBAL__N_120softmax_warp_forwardIN3c108BFloat16ES2_fLi2ELb1ELb0ELi32EEEvPT0_PKT_iiiPKbib.num_named_barrier, 0
	.set _ZN12_GLOBAL__N_120softmax_warp_forwardIN3c108BFloat16ES2_fLi2ELb1ELb0ELi32EEEvPT0_PKT_iiiPKbib.private_seg_size, 0
	.set _ZN12_GLOBAL__N_120softmax_warp_forwardIN3c108BFloat16ES2_fLi2ELb1ELb0ELi32EEEvPT0_PKT_iiiPKbib.uses_vcc, 1
	.set _ZN12_GLOBAL__N_120softmax_warp_forwardIN3c108BFloat16ES2_fLi2ELb1ELb0ELi32EEEvPT0_PKT_iiiPKbib.uses_flat_scratch, 0
	.set _ZN12_GLOBAL__N_120softmax_warp_forwardIN3c108BFloat16ES2_fLi2ELb1ELb0ELi32EEEvPT0_PKT_iiiPKbib.has_dyn_sized_stack, 0
	.set _ZN12_GLOBAL__N_120softmax_warp_forwardIN3c108BFloat16ES2_fLi2ELb1ELb0ELi32EEEvPT0_PKT_iiiPKbib.has_recursion, 0
	.set _ZN12_GLOBAL__N_120softmax_warp_forwardIN3c108BFloat16ES2_fLi2ELb1ELb0ELi32EEEvPT0_PKT_iiiPKbib.has_indirect_call, 0
	.section	.AMDGPU.csdata,"",@progbits
; Kernel info:
; codeLenInByte = 1036
; TotalNumSgprs: 18
; NumVgprs: 13
; ScratchSize: 0
; MemoryBound: 0
; FloatMode: 240
; IeeeMode: 1
; LDSByteSize: 0 bytes/workgroup (compile time only)
; SGPRBlocks: 0
; VGPRBlocks: 1
; NumSGPRsForWavesPerEU: 18
; NumVGPRsForWavesPerEU: 13
; Occupancy: 16
; WaveLimiterHint : 0
; COMPUTE_PGM_RSRC2:SCRATCH_EN: 0
; COMPUTE_PGM_RSRC2:USER_SGPR: 6
; COMPUTE_PGM_RSRC2:TRAP_HANDLER: 0
; COMPUTE_PGM_RSRC2:TGID_X_EN: 1
; COMPUTE_PGM_RSRC2:TGID_Y_EN: 0
; COMPUTE_PGM_RSRC2:TGID_Z_EN: 0
; COMPUTE_PGM_RSRC2:TIDIG_COMP_CNT: 1
	.section	.text._ZN12_GLOBAL__N_120softmax_warp_forwardIN3c108BFloat16ES2_fLi3ELb1ELb0ELi64EEEvPT0_PKT_iiiPKbib,"axG",@progbits,_ZN12_GLOBAL__N_120softmax_warp_forwardIN3c108BFloat16ES2_fLi3ELb1ELb0ELi64EEEvPT0_PKT_iiiPKbib,comdat
	.globl	_ZN12_GLOBAL__N_120softmax_warp_forwardIN3c108BFloat16ES2_fLi3ELb1ELb0ELi64EEEvPT0_PKT_iiiPKbib ; -- Begin function _ZN12_GLOBAL__N_120softmax_warp_forwardIN3c108BFloat16ES2_fLi3ELb1ELb0ELi64EEEvPT0_PKT_iiiPKbib
	.p2align	8
	.type	_ZN12_GLOBAL__N_120softmax_warp_forwardIN3c108BFloat16ES2_fLi3ELb1ELb0ELi64EEEvPT0_PKT_iiiPKbib,@function
_ZN12_GLOBAL__N_120softmax_warp_forwardIN3c108BFloat16ES2_fLi3ELb1ELb0ELi64EEEvPT0_PKT_iiiPKbib: ; @_ZN12_GLOBAL__N_120softmax_warp_forwardIN3c108BFloat16ES2_fLi3ELb1ELb0ELi64EEEvPT0_PKT_iiiPKbib
; %bb.0:
	s_clause 0x1
	s_load_dword s0, s[4:5], 0x3c
	s_load_dwordx8 s[8:15], s[4:5], 0x0
	v_mov_b32_e32 v6, 0xff800000
	s_waitcnt lgkmcnt(0)
	s_lshr_b32 s0, s0, 16
	s_and_b32 s0, s0, 0xffff
	s_mul_i32 s6, s6, s0
	v_cmp_gt_i32_e64 s0, s14, v0
	v_add_lshl_u32 v3, s6, v1, 1
	v_mad_u64_u32 v[1:2], null, v3, s13, v[0:1]
	v_sub_nc_u32_e32 v5, s12, v3
	v_mov_b32_e32 v0, 0xff800000
	v_cmp_lt_i32_e32 vcc_lo, 0, v5
	v_ashrrev_i32_e32 v2, 31, v1
	s_and_b32 s2, s0, vcc_lo
	v_lshlrev_b64 v[1:2], 1, v[1:2]
	v_add_co_u32 v3, s1, s10, v1
	v_add_co_ci_u32_e64 v4, null, s11, v2, s1
	s_and_saveexec_b32 s1, s2
	s_cbranch_execz .LBB137_2
; %bb.1:
	global_load_ushort v0, v[3:4], off
	s_waitcnt vmcnt(0)
	v_lshlrev_b32_e32 v0, 16, v0
.LBB137_2:
	s_or_b32 exec_lo, exec_lo, s1
	v_cmp_lt_i32_e64 s1, 1, v5
	s_and_b32 s1, s0, s1
	s_and_saveexec_b32 s2, s1
	s_cbranch_execz .LBB137_4
; %bb.3:
	s_mov_b32 s15, 0
	s_lshl_b64 s[4:5], s[14:15], 1
	v_add_co_u32 v3, s1, v3, s4
	v_add_co_ci_u32_e64 v4, null, s5, v4, s1
	global_load_ushort v3, v[3:4], off
	s_waitcnt vmcnt(0)
	v_lshlrev_b32_e32 v6, 16, v3
.LBB137_4:
	s_or_b32 exec_lo, exec_lo, s2
	v_mbcnt_lo_u32_b32 v3, -1, 0
	v_and_b32_e32 v4, 24, v3
	v_xor_b32_e32 v7, 4, v3
	v_xor_b32_e32 v10, 2, v3
	;; [unrolled: 1-line block ×3, first 2 shown]
	v_add_nc_u32_e32 v4, 8, v4
	v_cmp_lt_i32_e64 s1, v7, v4
	v_cndmask_b32_e64 v7, v3, v7, s1
	v_cmp_lt_i32_e64 s1, v10, v4
	v_lshlrev_b32_e32 v7, 2, v7
	v_cndmask_b32_e64 v10, v3, v10, s1
	ds_bpermute_b32 v8, v7, v0
	ds_bpermute_b32 v9, v7, v6
	v_lshlrev_b32_e32 v10, 2, v10
	s_waitcnt lgkmcnt(1)
	v_cmp_lt_f32_e64 s1, v0, v8
	v_cndmask_b32_e64 v8, v0, v8, s1
	s_waitcnt lgkmcnt(0)
	v_cmp_lt_f32_e64 s1, v6, v9
	ds_bpermute_b32 v11, v10, v8
	v_cndmask_b32_e64 v9, v6, v9, s1
	v_cmp_lt_i32_e64 s1, v13, v4
	ds_bpermute_b32 v12, v10, v9
	v_cndmask_b32_e64 v3, v3, v13, s1
	v_lshlrev_b32_e32 v13, 2, v3
	s_waitcnt lgkmcnt(1)
	v_cmp_lt_f32_e64 s1, v8, v11
	v_cndmask_b32_e64 v3, v8, v11, s1
	s_waitcnt lgkmcnt(0)
	v_cmp_lt_f32_e64 s1, v9, v12
	ds_bpermute_b32 v8, v13, v3
	v_cndmask_b32_e64 v4, v9, v12, s1
	ds_bpermute_b32 v9, v13, v4
	s_waitcnt lgkmcnt(1)
	v_cmp_lt_f32_e64 s1, v3, v8
	v_cndmask_b32_e64 v3, v3, v8, s1
	s_waitcnt lgkmcnt(0)
	v_cmp_lt_f32_e64 s1, v4, v9
	v_cndmask_b32_e64 v8, v4, v9, s1
	v_sub_f32_e32 v4, v0, v3
	v_sub_f32_e32 v3, v6, v8
	v_mul_f32_e32 v0, 0x3fb8aa3b, v4
	v_cmp_ngt_f32_e64 s1, 0xc2ce8ed0, v4
	v_mul_f32_e32 v6, 0x3fb8aa3b, v3
	v_fma_f32 v8, 0x3fb8aa3b, v4, -v0
	v_rndne_f32_e32 v9, v0
	v_fma_f32 v11, 0x3fb8aa3b, v3, -v6
	v_rndne_f32_e32 v12, v6
	v_fmac_f32_e32 v8, 0x32a5705f, v4
	v_sub_f32_e32 v0, v0, v9
	v_fmac_f32_e32 v11, 0x32a5705f, v3
	v_sub_f32_e32 v6, v6, v12
	v_add_f32_e32 v0, v0, v8
	v_cvt_i32_f32_e32 v8, v9
	v_cvt_i32_f32_e32 v9, v12
	v_add_f32_e32 v6, v6, v11
	v_exp_f32_e32 v0, v0
	v_exp_f32_e32 v6, v6
	v_ldexp_f32 v0, v0, v8
	v_ldexp_f32 v6, v6, v9
	v_cndmask_b32_e64 v0, 0, v0, s1
	v_cmp_ngt_f32_e64 s1, 0xc2ce8ed0, v3
	v_cndmask_b32_e64 v6, 0, v6, s1
	v_cmp_nlt_f32_e64 s1, 0x42b17218, v4
	v_cndmask_b32_e64 v0, 0x7f800000, v0, s1
	v_cmp_nlt_f32_e64 s1, 0x42b17218, v3
	ds_bpermute_b32 v8, v7, v0
	v_cndmask_b32_e64 v6, 0x7f800000, v6, s1
	ds_bpermute_b32 v7, v7, v6
	s_waitcnt lgkmcnt(1)
	v_add_f32_e32 v0, v0, v8
	s_waitcnt lgkmcnt(0)
	v_add_f32_e32 v6, v6, v7
	ds_bpermute_b32 v7, v10, v0
	ds_bpermute_b32 v9, v10, v6
	s_waitcnt lgkmcnt(1)
	v_add_f32_e32 v8, v0, v7
	s_waitcnt lgkmcnt(0)
	v_add_f32_e32 v6, v6, v9
	ds_bpermute_b32 v9, v13, v8
	ds_bpermute_b32 v7, v13, v6
	s_and_saveexec_b32 s1, vcc_lo
	s_cbranch_execz .LBB137_9
; %bb.5:
	v_add_co_u32 v0, vcc_lo, s8, v1
	v_add_co_ci_u32_e64 v1, null, s9, v2, vcc_lo
	s_and_saveexec_b32 s1, s0
	s_cbranch_execz .LBB137_7
; %bb.6:
	s_waitcnt lgkmcnt(1)
	v_add_f32_e32 v2, v8, v9
	v_cmp_gt_f32_e32 vcc_lo, 0x800000, v2
	v_cndmask_b32_e64 v8, 0, 32, vcc_lo
	v_cndmask_b32_e64 v9, 0, 0x41b17218, vcc_lo
	v_ldexp_f32 v2, v2, v8
	v_log_f32_e32 v2, v2
	v_mul_f32_e32 v8, 0x3f317217, v2
	v_cmp_gt_f32_e64 vcc_lo, 0x7f800000, |v2|
	v_fma_f32 v8, 0x3f317217, v2, -v8
	v_fmamk_f32 v8, v2, 0x3377d1cf, v8
	v_fmac_f32_e32 v8, 0x3f317217, v2
	v_cndmask_b32_e32 v2, v2, v8, vcc_lo
	v_sub_f32_e32 v2, v2, v9
	v_sub_f32_e32 v2, v4, v2
	v_bfe_u32 v4, v2, 16, 1
	v_cmp_o_f32_e32 vcc_lo, v2, v2
	v_add3_u32 v2, v2, v4, 0x7fff
	v_mov_b32_e32 v4, 0x7fc0
	v_cndmask_b32_sdwa v2, v4, v2, vcc_lo dst_sel:DWORD dst_unused:UNUSED_PAD src0_sel:DWORD src1_sel:WORD_1
	global_store_short v[0:1], v2, off
.LBB137_7:
	s_or_b32 exec_lo, exec_lo, s1
	v_cmp_ne_u32_e32 vcc_lo, 1, v5
	s_and_b32 s0, vcc_lo, s0
	s_and_b32 exec_lo, exec_lo, s0
	s_cbranch_execz .LBB137_9
; %bb.8:
	s_waitcnt lgkmcnt(0)
	v_add_f32_e32 v2, v6, v7
	s_mov_b32 s15, 0
	s_lshl_b64 s[0:1], s[14:15], 1
	v_cmp_gt_f32_e32 vcc_lo, 0x800000, v2
	v_cndmask_b32_e64 v4, 0, 32, vcc_lo
	v_cndmask_b32_e64 v5, 0, 0x41b17218, vcc_lo
	v_ldexp_f32 v2, v2, v4
	v_log_f32_e32 v2, v2
	v_mul_f32_e32 v4, 0x3f317217, v2
	v_cmp_gt_f32_e64 vcc_lo, 0x7f800000, |v2|
	v_fma_f32 v4, 0x3f317217, v2, -v4
	v_fmamk_f32 v4, v2, 0x3377d1cf, v4
	v_fmac_f32_e32 v4, 0x3f317217, v2
	v_cndmask_b32_e32 v2, v2, v4, vcc_lo
	v_mov_b32_e32 v4, 0x7fc0
	v_sub_f32_e32 v2, v2, v5
	v_sub_f32_e32 v2, v3, v2
	v_bfe_u32 v3, v2, 16, 1
	v_cmp_o_f32_e32 vcc_lo, v2, v2
	v_add3_u32 v2, v2, v3, 0x7fff
	v_cndmask_b32_sdwa v2, v4, v2, vcc_lo dst_sel:DWORD dst_unused:UNUSED_PAD src0_sel:DWORD src1_sel:WORD_1
	v_add_co_u32 v0, vcc_lo, v0, s0
	v_add_co_ci_u32_e64 v1, null, s1, v1, vcc_lo
	global_store_short v[0:1], v2, off
.LBB137_9:
	s_endpgm
	.section	.rodata,"a",@progbits
	.p2align	6, 0x0
	.amdhsa_kernel _ZN12_GLOBAL__N_120softmax_warp_forwardIN3c108BFloat16ES2_fLi3ELb1ELb0ELi64EEEvPT0_PKT_iiiPKbib
		.amdhsa_group_segment_fixed_size 0
		.amdhsa_private_segment_fixed_size 0
		.amdhsa_kernarg_size 304
		.amdhsa_user_sgpr_count 6
		.amdhsa_user_sgpr_private_segment_buffer 1
		.amdhsa_user_sgpr_dispatch_ptr 0
		.amdhsa_user_sgpr_queue_ptr 0
		.amdhsa_user_sgpr_kernarg_segment_ptr 1
		.amdhsa_user_sgpr_dispatch_id 0
		.amdhsa_user_sgpr_flat_scratch_init 0
		.amdhsa_user_sgpr_private_segment_size 0
		.amdhsa_wavefront_size32 1
		.amdhsa_uses_dynamic_stack 0
		.amdhsa_system_sgpr_private_segment_wavefront_offset 0
		.amdhsa_system_sgpr_workgroup_id_x 1
		.amdhsa_system_sgpr_workgroup_id_y 0
		.amdhsa_system_sgpr_workgroup_id_z 0
		.amdhsa_system_sgpr_workgroup_info 0
		.amdhsa_system_vgpr_workitem_id 1
		.amdhsa_next_free_vgpr 14
		.amdhsa_next_free_sgpr 16
		.amdhsa_reserve_vcc 1
		.amdhsa_reserve_flat_scratch 0
		.amdhsa_float_round_mode_32 0
		.amdhsa_float_round_mode_16_64 0
		.amdhsa_float_denorm_mode_32 3
		.amdhsa_float_denorm_mode_16_64 3
		.amdhsa_dx10_clamp 1
		.amdhsa_ieee_mode 1
		.amdhsa_fp16_overflow 0
		.amdhsa_workgroup_processor_mode 1
		.amdhsa_memory_ordered 1
		.amdhsa_forward_progress 1
		.amdhsa_shared_vgpr_count 0
		.amdhsa_exception_fp_ieee_invalid_op 0
		.amdhsa_exception_fp_denorm_src 0
		.amdhsa_exception_fp_ieee_div_zero 0
		.amdhsa_exception_fp_ieee_overflow 0
		.amdhsa_exception_fp_ieee_underflow 0
		.amdhsa_exception_fp_ieee_inexact 0
		.amdhsa_exception_int_div_zero 0
	.end_amdhsa_kernel
	.section	.text._ZN12_GLOBAL__N_120softmax_warp_forwardIN3c108BFloat16ES2_fLi3ELb1ELb0ELi64EEEvPT0_PKT_iiiPKbib,"axG",@progbits,_ZN12_GLOBAL__N_120softmax_warp_forwardIN3c108BFloat16ES2_fLi3ELb1ELb0ELi64EEEvPT0_PKT_iiiPKbib,comdat
.Lfunc_end137:
	.size	_ZN12_GLOBAL__N_120softmax_warp_forwardIN3c108BFloat16ES2_fLi3ELb1ELb0ELi64EEEvPT0_PKT_iiiPKbib, .Lfunc_end137-_ZN12_GLOBAL__N_120softmax_warp_forwardIN3c108BFloat16ES2_fLi3ELb1ELb0ELi64EEEvPT0_PKT_iiiPKbib
                                        ; -- End function
	.set _ZN12_GLOBAL__N_120softmax_warp_forwardIN3c108BFloat16ES2_fLi3ELb1ELb0ELi64EEEvPT0_PKT_iiiPKbib.num_vgpr, 14
	.set _ZN12_GLOBAL__N_120softmax_warp_forwardIN3c108BFloat16ES2_fLi3ELb1ELb0ELi64EEEvPT0_PKT_iiiPKbib.num_agpr, 0
	.set _ZN12_GLOBAL__N_120softmax_warp_forwardIN3c108BFloat16ES2_fLi3ELb1ELb0ELi64EEEvPT0_PKT_iiiPKbib.numbered_sgpr, 16
	.set _ZN12_GLOBAL__N_120softmax_warp_forwardIN3c108BFloat16ES2_fLi3ELb1ELb0ELi64EEEvPT0_PKT_iiiPKbib.num_named_barrier, 0
	.set _ZN12_GLOBAL__N_120softmax_warp_forwardIN3c108BFloat16ES2_fLi3ELb1ELb0ELi64EEEvPT0_PKT_iiiPKbib.private_seg_size, 0
	.set _ZN12_GLOBAL__N_120softmax_warp_forwardIN3c108BFloat16ES2_fLi3ELb1ELb0ELi64EEEvPT0_PKT_iiiPKbib.uses_vcc, 1
	.set _ZN12_GLOBAL__N_120softmax_warp_forwardIN3c108BFloat16ES2_fLi3ELb1ELb0ELi64EEEvPT0_PKT_iiiPKbib.uses_flat_scratch, 0
	.set _ZN12_GLOBAL__N_120softmax_warp_forwardIN3c108BFloat16ES2_fLi3ELb1ELb0ELi64EEEvPT0_PKT_iiiPKbib.has_dyn_sized_stack, 0
	.set _ZN12_GLOBAL__N_120softmax_warp_forwardIN3c108BFloat16ES2_fLi3ELb1ELb0ELi64EEEvPT0_PKT_iiiPKbib.has_recursion, 0
	.set _ZN12_GLOBAL__N_120softmax_warp_forwardIN3c108BFloat16ES2_fLi3ELb1ELb0ELi64EEEvPT0_PKT_iiiPKbib.has_indirect_call, 0
	.section	.AMDGPU.csdata,"",@progbits
; Kernel info:
; codeLenInByte = 1148
; TotalNumSgprs: 18
; NumVgprs: 14
; ScratchSize: 0
; MemoryBound: 0
; FloatMode: 240
; IeeeMode: 1
; LDSByteSize: 0 bytes/workgroup (compile time only)
; SGPRBlocks: 0
; VGPRBlocks: 1
; NumSGPRsForWavesPerEU: 18
; NumVGPRsForWavesPerEU: 14
; Occupancy: 16
; WaveLimiterHint : 0
; COMPUTE_PGM_RSRC2:SCRATCH_EN: 0
; COMPUTE_PGM_RSRC2:USER_SGPR: 6
; COMPUTE_PGM_RSRC2:TRAP_HANDLER: 0
; COMPUTE_PGM_RSRC2:TGID_X_EN: 1
; COMPUTE_PGM_RSRC2:TGID_Y_EN: 0
; COMPUTE_PGM_RSRC2:TGID_Z_EN: 0
; COMPUTE_PGM_RSRC2:TIDIG_COMP_CNT: 1
	.section	.text._ZN12_GLOBAL__N_120softmax_warp_forwardIN3c108BFloat16ES2_fLi3ELb1ELb0ELi32EEEvPT0_PKT_iiiPKbib,"axG",@progbits,_ZN12_GLOBAL__N_120softmax_warp_forwardIN3c108BFloat16ES2_fLi3ELb1ELb0ELi32EEEvPT0_PKT_iiiPKbib,comdat
	.globl	_ZN12_GLOBAL__N_120softmax_warp_forwardIN3c108BFloat16ES2_fLi3ELb1ELb0ELi32EEEvPT0_PKT_iiiPKbib ; -- Begin function _ZN12_GLOBAL__N_120softmax_warp_forwardIN3c108BFloat16ES2_fLi3ELb1ELb0ELi32EEEvPT0_PKT_iiiPKbib
	.p2align	8
	.type	_ZN12_GLOBAL__N_120softmax_warp_forwardIN3c108BFloat16ES2_fLi3ELb1ELb0ELi32EEEvPT0_PKT_iiiPKbib,@function
_ZN12_GLOBAL__N_120softmax_warp_forwardIN3c108BFloat16ES2_fLi3ELb1ELb0ELi32EEEvPT0_PKT_iiiPKbib: ; @_ZN12_GLOBAL__N_120softmax_warp_forwardIN3c108BFloat16ES2_fLi3ELb1ELb0ELi32EEEvPT0_PKT_iiiPKbib
; %bb.0:
	s_clause 0x1
	s_load_dword s0, s[4:5], 0x3c
	s_load_dwordx8 s[8:15], s[4:5], 0x0
	v_mov_b32_e32 v6, 0xff800000
	s_waitcnt lgkmcnt(0)
	s_lshr_b32 s0, s0, 16
	s_and_b32 s0, s0, 0xffff
	s_mul_i32 s6, s6, s0
	v_cmp_gt_i32_e64 s0, s14, v0
	v_add_lshl_u32 v3, s6, v1, 1
	v_mad_u64_u32 v[1:2], null, v3, s13, v[0:1]
	v_sub_nc_u32_e32 v5, s12, v3
	v_mov_b32_e32 v0, 0xff800000
	v_cmp_lt_i32_e32 vcc_lo, 0, v5
	v_ashrrev_i32_e32 v2, 31, v1
	s_and_b32 s2, s0, vcc_lo
	v_lshlrev_b64 v[1:2], 1, v[1:2]
	v_add_co_u32 v3, s1, s10, v1
	v_add_co_ci_u32_e64 v4, null, s11, v2, s1
	s_and_saveexec_b32 s1, s2
	s_cbranch_execz .LBB138_2
; %bb.1:
	global_load_ushort v0, v[3:4], off
	s_waitcnt vmcnt(0)
	v_lshlrev_b32_e32 v0, 16, v0
.LBB138_2:
	s_or_b32 exec_lo, exec_lo, s1
	v_cmp_lt_i32_e64 s1, 1, v5
	s_and_b32 s1, s0, s1
	s_and_saveexec_b32 s2, s1
	s_cbranch_execz .LBB138_4
; %bb.3:
	s_mov_b32 s15, 0
	s_lshl_b64 s[4:5], s[14:15], 1
	v_add_co_u32 v3, s1, v3, s4
	v_add_co_ci_u32_e64 v4, null, s5, v4, s1
	global_load_ushort v3, v[3:4], off
	s_waitcnt vmcnt(0)
	v_lshlrev_b32_e32 v6, 16, v3
.LBB138_4:
	s_or_b32 exec_lo, exec_lo, s2
	v_mbcnt_lo_u32_b32 v3, -1, 0
	v_and_b32_e32 v4, 24, v3
	v_xor_b32_e32 v7, 4, v3
	v_xor_b32_e32 v10, 2, v3
	;; [unrolled: 1-line block ×3, first 2 shown]
	v_add_nc_u32_e32 v4, 8, v4
	v_cmp_lt_i32_e64 s1, v7, v4
	v_cndmask_b32_e64 v7, v3, v7, s1
	v_cmp_lt_i32_e64 s1, v10, v4
	v_lshlrev_b32_e32 v7, 2, v7
	v_cndmask_b32_e64 v10, v3, v10, s1
	ds_bpermute_b32 v8, v7, v0
	ds_bpermute_b32 v9, v7, v6
	v_lshlrev_b32_e32 v10, 2, v10
	s_waitcnt lgkmcnt(1)
	v_cmp_lt_f32_e64 s1, v0, v8
	v_cndmask_b32_e64 v8, v0, v8, s1
	s_waitcnt lgkmcnt(0)
	v_cmp_lt_f32_e64 s1, v6, v9
	ds_bpermute_b32 v11, v10, v8
	v_cndmask_b32_e64 v9, v6, v9, s1
	v_cmp_lt_i32_e64 s1, v13, v4
	ds_bpermute_b32 v12, v10, v9
	v_cndmask_b32_e64 v3, v3, v13, s1
	v_lshlrev_b32_e32 v13, 2, v3
	s_waitcnt lgkmcnt(1)
	v_cmp_lt_f32_e64 s1, v8, v11
	v_cndmask_b32_e64 v3, v8, v11, s1
	s_waitcnt lgkmcnt(0)
	v_cmp_lt_f32_e64 s1, v9, v12
	ds_bpermute_b32 v8, v13, v3
	v_cndmask_b32_e64 v4, v9, v12, s1
	ds_bpermute_b32 v9, v13, v4
	s_waitcnt lgkmcnt(1)
	v_cmp_lt_f32_e64 s1, v3, v8
	v_cndmask_b32_e64 v3, v3, v8, s1
	s_waitcnt lgkmcnt(0)
	v_cmp_lt_f32_e64 s1, v4, v9
	v_cndmask_b32_e64 v8, v4, v9, s1
	v_sub_f32_e32 v4, v0, v3
	v_sub_f32_e32 v3, v6, v8
	v_mul_f32_e32 v0, 0x3fb8aa3b, v4
	v_cmp_ngt_f32_e64 s1, 0xc2ce8ed0, v4
	v_mul_f32_e32 v6, 0x3fb8aa3b, v3
	v_fma_f32 v8, 0x3fb8aa3b, v4, -v0
	v_rndne_f32_e32 v9, v0
	v_fma_f32 v11, 0x3fb8aa3b, v3, -v6
	v_rndne_f32_e32 v12, v6
	v_fmac_f32_e32 v8, 0x32a5705f, v4
	v_sub_f32_e32 v0, v0, v9
	v_fmac_f32_e32 v11, 0x32a5705f, v3
	v_sub_f32_e32 v6, v6, v12
	v_add_f32_e32 v0, v0, v8
	v_cvt_i32_f32_e32 v8, v9
	v_cvt_i32_f32_e32 v9, v12
	v_add_f32_e32 v6, v6, v11
	v_exp_f32_e32 v0, v0
	v_exp_f32_e32 v6, v6
	v_ldexp_f32 v0, v0, v8
	v_ldexp_f32 v6, v6, v9
	v_cndmask_b32_e64 v0, 0, v0, s1
	v_cmp_ngt_f32_e64 s1, 0xc2ce8ed0, v3
	v_cndmask_b32_e64 v6, 0, v6, s1
	v_cmp_nlt_f32_e64 s1, 0x42b17218, v4
	v_cndmask_b32_e64 v0, 0x7f800000, v0, s1
	v_cmp_nlt_f32_e64 s1, 0x42b17218, v3
	ds_bpermute_b32 v8, v7, v0
	v_cndmask_b32_e64 v6, 0x7f800000, v6, s1
	ds_bpermute_b32 v7, v7, v6
	s_waitcnt lgkmcnt(1)
	v_add_f32_e32 v0, v0, v8
	s_waitcnt lgkmcnt(0)
	v_add_f32_e32 v6, v6, v7
	ds_bpermute_b32 v7, v10, v0
	ds_bpermute_b32 v9, v10, v6
	s_waitcnt lgkmcnt(1)
	v_add_f32_e32 v8, v0, v7
	s_waitcnt lgkmcnt(0)
	v_add_f32_e32 v6, v6, v9
	ds_bpermute_b32 v9, v13, v8
	ds_bpermute_b32 v7, v13, v6
	s_and_saveexec_b32 s1, vcc_lo
	s_cbranch_execz .LBB138_9
; %bb.5:
	v_add_co_u32 v0, vcc_lo, s8, v1
	v_add_co_ci_u32_e64 v1, null, s9, v2, vcc_lo
	s_and_saveexec_b32 s1, s0
	s_cbranch_execz .LBB138_7
; %bb.6:
	s_waitcnt lgkmcnt(1)
	v_add_f32_e32 v2, v8, v9
	v_cmp_gt_f32_e32 vcc_lo, 0x800000, v2
	v_cndmask_b32_e64 v8, 0, 32, vcc_lo
	v_cndmask_b32_e64 v9, 0, 0x41b17218, vcc_lo
	v_ldexp_f32 v2, v2, v8
	v_log_f32_e32 v2, v2
	v_mul_f32_e32 v8, 0x3f317217, v2
	v_cmp_gt_f32_e64 vcc_lo, 0x7f800000, |v2|
	v_fma_f32 v8, 0x3f317217, v2, -v8
	v_fmamk_f32 v8, v2, 0x3377d1cf, v8
	v_fmac_f32_e32 v8, 0x3f317217, v2
	v_cndmask_b32_e32 v2, v2, v8, vcc_lo
	v_sub_f32_e32 v2, v2, v9
	v_sub_f32_e32 v2, v4, v2
	v_bfe_u32 v4, v2, 16, 1
	v_cmp_o_f32_e32 vcc_lo, v2, v2
	v_add3_u32 v2, v2, v4, 0x7fff
	v_mov_b32_e32 v4, 0x7fc0
	v_cndmask_b32_sdwa v2, v4, v2, vcc_lo dst_sel:DWORD dst_unused:UNUSED_PAD src0_sel:DWORD src1_sel:WORD_1
	global_store_short v[0:1], v2, off
.LBB138_7:
	s_or_b32 exec_lo, exec_lo, s1
	v_cmp_ne_u32_e32 vcc_lo, 1, v5
	s_and_b32 s0, vcc_lo, s0
	s_and_b32 exec_lo, exec_lo, s0
	s_cbranch_execz .LBB138_9
; %bb.8:
	s_waitcnt lgkmcnt(0)
	v_add_f32_e32 v2, v6, v7
	s_mov_b32 s15, 0
	s_lshl_b64 s[0:1], s[14:15], 1
	v_cmp_gt_f32_e32 vcc_lo, 0x800000, v2
	v_cndmask_b32_e64 v4, 0, 32, vcc_lo
	v_cndmask_b32_e64 v5, 0, 0x41b17218, vcc_lo
	v_ldexp_f32 v2, v2, v4
	v_log_f32_e32 v2, v2
	v_mul_f32_e32 v4, 0x3f317217, v2
	v_cmp_gt_f32_e64 vcc_lo, 0x7f800000, |v2|
	v_fma_f32 v4, 0x3f317217, v2, -v4
	v_fmamk_f32 v4, v2, 0x3377d1cf, v4
	v_fmac_f32_e32 v4, 0x3f317217, v2
	v_cndmask_b32_e32 v2, v2, v4, vcc_lo
	v_mov_b32_e32 v4, 0x7fc0
	v_sub_f32_e32 v2, v2, v5
	v_sub_f32_e32 v2, v3, v2
	v_bfe_u32 v3, v2, 16, 1
	v_cmp_o_f32_e32 vcc_lo, v2, v2
	v_add3_u32 v2, v2, v3, 0x7fff
	v_cndmask_b32_sdwa v2, v4, v2, vcc_lo dst_sel:DWORD dst_unused:UNUSED_PAD src0_sel:DWORD src1_sel:WORD_1
	v_add_co_u32 v0, vcc_lo, v0, s0
	v_add_co_ci_u32_e64 v1, null, s1, v1, vcc_lo
	global_store_short v[0:1], v2, off
.LBB138_9:
	s_endpgm
	.section	.rodata,"a",@progbits
	.p2align	6, 0x0
	.amdhsa_kernel _ZN12_GLOBAL__N_120softmax_warp_forwardIN3c108BFloat16ES2_fLi3ELb1ELb0ELi32EEEvPT0_PKT_iiiPKbib
		.amdhsa_group_segment_fixed_size 0
		.amdhsa_private_segment_fixed_size 0
		.amdhsa_kernarg_size 304
		.amdhsa_user_sgpr_count 6
		.amdhsa_user_sgpr_private_segment_buffer 1
		.amdhsa_user_sgpr_dispatch_ptr 0
		.amdhsa_user_sgpr_queue_ptr 0
		.amdhsa_user_sgpr_kernarg_segment_ptr 1
		.amdhsa_user_sgpr_dispatch_id 0
		.amdhsa_user_sgpr_flat_scratch_init 0
		.amdhsa_user_sgpr_private_segment_size 0
		.amdhsa_wavefront_size32 1
		.amdhsa_uses_dynamic_stack 0
		.amdhsa_system_sgpr_private_segment_wavefront_offset 0
		.amdhsa_system_sgpr_workgroup_id_x 1
		.amdhsa_system_sgpr_workgroup_id_y 0
		.amdhsa_system_sgpr_workgroup_id_z 0
		.amdhsa_system_sgpr_workgroup_info 0
		.amdhsa_system_vgpr_workitem_id 1
		.amdhsa_next_free_vgpr 14
		.amdhsa_next_free_sgpr 16
		.amdhsa_reserve_vcc 1
		.amdhsa_reserve_flat_scratch 0
		.amdhsa_float_round_mode_32 0
		.amdhsa_float_round_mode_16_64 0
		.amdhsa_float_denorm_mode_32 3
		.amdhsa_float_denorm_mode_16_64 3
		.amdhsa_dx10_clamp 1
		.amdhsa_ieee_mode 1
		.amdhsa_fp16_overflow 0
		.amdhsa_workgroup_processor_mode 1
		.amdhsa_memory_ordered 1
		.amdhsa_forward_progress 1
		.amdhsa_shared_vgpr_count 0
		.amdhsa_exception_fp_ieee_invalid_op 0
		.amdhsa_exception_fp_denorm_src 0
		.amdhsa_exception_fp_ieee_div_zero 0
		.amdhsa_exception_fp_ieee_overflow 0
		.amdhsa_exception_fp_ieee_underflow 0
		.amdhsa_exception_fp_ieee_inexact 0
		.amdhsa_exception_int_div_zero 0
	.end_amdhsa_kernel
	.section	.text._ZN12_GLOBAL__N_120softmax_warp_forwardIN3c108BFloat16ES2_fLi3ELb1ELb0ELi32EEEvPT0_PKT_iiiPKbib,"axG",@progbits,_ZN12_GLOBAL__N_120softmax_warp_forwardIN3c108BFloat16ES2_fLi3ELb1ELb0ELi32EEEvPT0_PKT_iiiPKbib,comdat
.Lfunc_end138:
	.size	_ZN12_GLOBAL__N_120softmax_warp_forwardIN3c108BFloat16ES2_fLi3ELb1ELb0ELi32EEEvPT0_PKT_iiiPKbib, .Lfunc_end138-_ZN12_GLOBAL__N_120softmax_warp_forwardIN3c108BFloat16ES2_fLi3ELb1ELb0ELi32EEEvPT0_PKT_iiiPKbib
                                        ; -- End function
	.set _ZN12_GLOBAL__N_120softmax_warp_forwardIN3c108BFloat16ES2_fLi3ELb1ELb0ELi32EEEvPT0_PKT_iiiPKbib.num_vgpr, 14
	.set _ZN12_GLOBAL__N_120softmax_warp_forwardIN3c108BFloat16ES2_fLi3ELb1ELb0ELi32EEEvPT0_PKT_iiiPKbib.num_agpr, 0
	.set _ZN12_GLOBAL__N_120softmax_warp_forwardIN3c108BFloat16ES2_fLi3ELb1ELb0ELi32EEEvPT0_PKT_iiiPKbib.numbered_sgpr, 16
	.set _ZN12_GLOBAL__N_120softmax_warp_forwardIN3c108BFloat16ES2_fLi3ELb1ELb0ELi32EEEvPT0_PKT_iiiPKbib.num_named_barrier, 0
	.set _ZN12_GLOBAL__N_120softmax_warp_forwardIN3c108BFloat16ES2_fLi3ELb1ELb0ELi32EEEvPT0_PKT_iiiPKbib.private_seg_size, 0
	.set _ZN12_GLOBAL__N_120softmax_warp_forwardIN3c108BFloat16ES2_fLi3ELb1ELb0ELi32EEEvPT0_PKT_iiiPKbib.uses_vcc, 1
	.set _ZN12_GLOBAL__N_120softmax_warp_forwardIN3c108BFloat16ES2_fLi3ELb1ELb0ELi32EEEvPT0_PKT_iiiPKbib.uses_flat_scratch, 0
	.set _ZN12_GLOBAL__N_120softmax_warp_forwardIN3c108BFloat16ES2_fLi3ELb1ELb0ELi32EEEvPT0_PKT_iiiPKbib.has_dyn_sized_stack, 0
	.set _ZN12_GLOBAL__N_120softmax_warp_forwardIN3c108BFloat16ES2_fLi3ELb1ELb0ELi32EEEvPT0_PKT_iiiPKbib.has_recursion, 0
	.set _ZN12_GLOBAL__N_120softmax_warp_forwardIN3c108BFloat16ES2_fLi3ELb1ELb0ELi32EEEvPT0_PKT_iiiPKbib.has_indirect_call, 0
	.section	.AMDGPU.csdata,"",@progbits
; Kernel info:
; codeLenInByte = 1148
; TotalNumSgprs: 18
; NumVgprs: 14
; ScratchSize: 0
; MemoryBound: 0
; FloatMode: 240
; IeeeMode: 1
; LDSByteSize: 0 bytes/workgroup (compile time only)
; SGPRBlocks: 0
; VGPRBlocks: 1
; NumSGPRsForWavesPerEU: 18
; NumVGPRsForWavesPerEU: 14
; Occupancy: 16
; WaveLimiterHint : 0
; COMPUTE_PGM_RSRC2:SCRATCH_EN: 0
; COMPUTE_PGM_RSRC2:USER_SGPR: 6
; COMPUTE_PGM_RSRC2:TRAP_HANDLER: 0
; COMPUTE_PGM_RSRC2:TGID_X_EN: 1
; COMPUTE_PGM_RSRC2:TGID_Y_EN: 0
; COMPUTE_PGM_RSRC2:TGID_Z_EN: 0
; COMPUTE_PGM_RSRC2:TIDIG_COMP_CNT: 1
	.section	.text._ZN12_GLOBAL__N_120softmax_warp_forwardIN3c108BFloat16ES2_fLi4ELb1ELb0ELi64EEEvPT0_PKT_iiiPKbib,"axG",@progbits,_ZN12_GLOBAL__N_120softmax_warp_forwardIN3c108BFloat16ES2_fLi4ELb1ELb0ELi64EEEvPT0_PKT_iiiPKbib,comdat
	.globl	_ZN12_GLOBAL__N_120softmax_warp_forwardIN3c108BFloat16ES2_fLi4ELb1ELb0ELi64EEEvPT0_PKT_iiiPKbib ; -- Begin function _ZN12_GLOBAL__N_120softmax_warp_forwardIN3c108BFloat16ES2_fLi4ELb1ELb0ELi64EEEvPT0_PKT_iiiPKbib
	.p2align	8
	.type	_ZN12_GLOBAL__N_120softmax_warp_forwardIN3c108BFloat16ES2_fLi4ELb1ELb0ELi64EEEvPT0_PKT_iiiPKbib,@function
_ZN12_GLOBAL__N_120softmax_warp_forwardIN3c108BFloat16ES2_fLi4ELb1ELb0ELi64EEEvPT0_PKT_iiiPKbib: ; @_ZN12_GLOBAL__N_120softmax_warp_forwardIN3c108BFloat16ES2_fLi4ELb1ELb0ELi64EEEvPT0_PKT_iiiPKbib
; %bb.0:
	s_clause 0x1
	s_load_dword s0, s[4:5], 0x3c
	s_load_dwordx8 s[8:15], s[4:5], 0x0
	v_mov_b32_e32 v6, 0xff800000
	s_waitcnt lgkmcnt(0)
	s_lshr_b32 s0, s0, 16
	s_and_b32 s0, s0, 0xffff
	s_mul_i32 s6, s6, s0
	v_cmp_gt_i32_e64 s0, s14, v0
	v_add_lshl_u32 v3, s6, v1, 1
	v_mad_u64_u32 v[1:2], null, v3, s13, v[0:1]
	v_sub_nc_u32_e32 v5, s12, v3
	v_mov_b32_e32 v0, 0xff800000
	v_cmp_lt_i32_e32 vcc_lo, 0, v5
	v_ashrrev_i32_e32 v2, 31, v1
	s_and_b32 s2, s0, vcc_lo
	v_lshlrev_b64 v[1:2], 1, v[1:2]
	v_add_co_u32 v3, s1, s10, v1
	v_add_co_ci_u32_e64 v4, null, s11, v2, s1
	s_and_saveexec_b32 s1, s2
	s_cbranch_execz .LBB139_2
; %bb.1:
	global_load_ushort v0, v[3:4], off
	s_waitcnt vmcnt(0)
	v_lshlrev_b32_e32 v0, 16, v0
.LBB139_2:
	s_or_b32 exec_lo, exec_lo, s1
	v_cmp_lt_i32_e64 s1, 1, v5
	s_and_b32 s1, s0, s1
	s_and_saveexec_b32 s2, s1
	s_cbranch_execz .LBB139_4
; %bb.3:
	s_mov_b32 s15, 0
	s_lshl_b64 s[4:5], s[14:15], 1
	v_add_co_u32 v3, s1, v3, s4
	v_add_co_ci_u32_e64 v4, null, s5, v4, s1
	global_load_ushort v3, v[3:4], off
	s_waitcnt vmcnt(0)
	v_lshlrev_b32_e32 v6, 16, v3
.LBB139_4:
	s_or_b32 exec_lo, exec_lo, s2
	v_mbcnt_lo_u32_b32 v3, -1, 0
	v_and_b32_e32 v4, 16, v3
	v_xor_b32_e32 v7, 8, v3
	v_xor_b32_e32 v10, 4, v3
	;; [unrolled: 1-line block ×4, first 2 shown]
	v_add_nc_u32_e32 v4, 16, v4
	v_cmp_lt_i32_e64 s1, v7, v4
	v_cndmask_b32_e64 v7, v3, v7, s1
	v_cmp_lt_i32_e64 s1, v10, v4
	v_lshlrev_b32_e32 v7, 2, v7
	v_cndmask_b32_e64 v10, v3, v10, s1
	ds_bpermute_b32 v8, v7, v0
	ds_bpermute_b32 v9, v7, v6
	v_lshlrev_b32_e32 v10, 2, v10
	s_waitcnt lgkmcnt(1)
	v_cmp_lt_f32_e64 s1, v0, v8
	v_cndmask_b32_e64 v8, v0, v8, s1
	s_waitcnt lgkmcnt(0)
	v_cmp_lt_f32_e64 s1, v6, v9
	ds_bpermute_b32 v11, v10, v8
	v_cndmask_b32_e64 v9, v6, v9, s1
	v_cmp_lt_i32_e64 s1, v13, v4
	ds_bpermute_b32 v12, v10, v9
	v_cndmask_b32_e64 v13, v3, v13, s1
	v_lshlrev_b32_e32 v13, 2, v13
	s_waitcnt lgkmcnt(1)
	v_cmp_lt_f32_e64 s1, v8, v11
	v_cndmask_b32_e64 v8, v8, v11, s1
	s_waitcnt lgkmcnt(0)
	v_cmp_lt_f32_e64 s1, v9, v12
	ds_bpermute_b32 v11, v13, v8
	v_cndmask_b32_e64 v9, v9, v12, s1
	v_cmp_lt_i32_e64 s1, v14, v4
	ds_bpermute_b32 v12, v13, v9
	v_cndmask_b32_e64 v3, v3, v14, s1
	v_lshlrev_b32_e32 v14, 2, v3
	s_waitcnt lgkmcnt(1)
	v_cmp_lt_f32_e64 s1, v8, v11
	v_cndmask_b32_e64 v3, v8, v11, s1
	s_waitcnt lgkmcnt(0)
	v_cmp_lt_f32_e64 s1, v9, v12
	ds_bpermute_b32 v8, v14, v3
	v_cndmask_b32_e64 v4, v9, v12, s1
	ds_bpermute_b32 v9, v14, v4
	s_waitcnt lgkmcnt(1)
	v_cmp_lt_f32_e64 s1, v3, v8
	v_cndmask_b32_e64 v3, v3, v8, s1
	s_waitcnt lgkmcnt(0)
	v_cmp_lt_f32_e64 s1, v4, v9
	v_cndmask_b32_e64 v8, v4, v9, s1
	v_sub_f32_e32 v4, v0, v3
	v_sub_f32_e32 v3, v6, v8
	v_mul_f32_e32 v0, 0x3fb8aa3b, v4
	v_cmp_ngt_f32_e64 s1, 0xc2ce8ed0, v4
	v_mul_f32_e32 v6, 0x3fb8aa3b, v3
	v_fma_f32 v8, 0x3fb8aa3b, v4, -v0
	v_rndne_f32_e32 v9, v0
	v_fma_f32 v11, 0x3fb8aa3b, v3, -v6
	v_rndne_f32_e32 v12, v6
	v_fmac_f32_e32 v8, 0x32a5705f, v4
	v_sub_f32_e32 v0, v0, v9
	v_fmac_f32_e32 v11, 0x32a5705f, v3
	v_sub_f32_e32 v6, v6, v12
	v_add_f32_e32 v0, v0, v8
	v_cvt_i32_f32_e32 v8, v9
	v_cvt_i32_f32_e32 v9, v12
	v_add_f32_e32 v6, v6, v11
	v_exp_f32_e32 v0, v0
	v_exp_f32_e32 v6, v6
	v_ldexp_f32 v0, v0, v8
	v_ldexp_f32 v6, v6, v9
	v_cndmask_b32_e64 v0, 0, v0, s1
	v_cmp_ngt_f32_e64 s1, 0xc2ce8ed0, v3
	v_cndmask_b32_e64 v6, 0, v6, s1
	v_cmp_nlt_f32_e64 s1, 0x42b17218, v4
	v_cndmask_b32_e64 v0, 0x7f800000, v0, s1
	v_cmp_nlt_f32_e64 s1, 0x42b17218, v3
	ds_bpermute_b32 v8, v7, v0
	v_cndmask_b32_e64 v6, 0x7f800000, v6, s1
	ds_bpermute_b32 v7, v7, v6
	s_waitcnt lgkmcnt(1)
	v_add_f32_e32 v0, v0, v8
	s_waitcnt lgkmcnt(0)
	v_add_f32_e32 v6, v6, v7
	ds_bpermute_b32 v7, v10, v0
	ds_bpermute_b32 v8, v10, v6
	s_waitcnt lgkmcnt(1)
	v_add_f32_e32 v0, v0, v7
	s_waitcnt lgkmcnt(0)
	v_add_f32_e32 v6, v6, v8
	ds_bpermute_b32 v7, v13, v0
	ds_bpermute_b32 v9, v13, v6
	s_waitcnt lgkmcnt(1)
	v_add_f32_e32 v8, v0, v7
	s_waitcnt lgkmcnt(0)
	v_add_f32_e32 v6, v6, v9
	ds_bpermute_b32 v9, v14, v8
	ds_bpermute_b32 v7, v14, v6
	s_and_saveexec_b32 s1, vcc_lo
	s_cbranch_execz .LBB139_9
; %bb.5:
	v_add_co_u32 v0, vcc_lo, s8, v1
	v_add_co_ci_u32_e64 v1, null, s9, v2, vcc_lo
	s_and_saveexec_b32 s1, s0
	s_cbranch_execz .LBB139_7
; %bb.6:
	s_waitcnt lgkmcnt(1)
	v_add_f32_e32 v2, v8, v9
	v_cmp_gt_f32_e32 vcc_lo, 0x800000, v2
	v_cndmask_b32_e64 v8, 0, 32, vcc_lo
	v_cndmask_b32_e64 v9, 0, 0x41b17218, vcc_lo
	v_ldexp_f32 v2, v2, v8
	v_log_f32_e32 v2, v2
	v_mul_f32_e32 v8, 0x3f317217, v2
	v_cmp_gt_f32_e64 vcc_lo, 0x7f800000, |v2|
	v_fma_f32 v8, 0x3f317217, v2, -v8
	v_fmamk_f32 v8, v2, 0x3377d1cf, v8
	v_fmac_f32_e32 v8, 0x3f317217, v2
	v_cndmask_b32_e32 v2, v2, v8, vcc_lo
	v_sub_f32_e32 v2, v2, v9
	v_sub_f32_e32 v2, v4, v2
	v_bfe_u32 v4, v2, 16, 1
	v_cmp_o_f32_e32 vcc_lo, v2, v2
	v_add3_u32 v2, v2, v4, 0x7fff
	v_mov_b32_e32 v4, 0x7fc0
	v_cndmask_b32_sdwa v2, v4, v2, vcc_lo dst_sel:DWORD dst_unused:UNUSED_PAD src0_sel:DWORD src1_sel:WORD_1
	global_store_short v[0:1], v2, off
.LBB139_7:
	s_or_b32 exec_lo, exec_lo, s1
	v_cmp_ne_u32_e32 vcc_lo, 1, v5
	s_and_b32 s0, vcc_lo, s0
	s_and_b32 exec_lo, exec_lo, s0
	s_cbranch_execz .LBB139_9
; %bb.8:
	s_waitcnt lgkmcnt(0)
	v_add_f32_e32 v2, v6, v7
	s_mov_b32 s15, 0
	s_lshl_b64 s[0:1], s[14:15], 1
	v_cmp_gt_f32_e32 vcc_lo, 0x800000, v2
	v_cndmask_b32_e64 v4, 0, 32, vcc_lo
	v_cndmask_b32_e64 v5, 0, 0x41b17218, vcc_lo
	v_ldexp_f32 v2, v2, v4
	v_log_f32_e32 v2, v2
	v_mul_f32_e32 v4, 0x3f317217, v2
	v_cmp_gt_f32_e64 vcc_lo, 0x7f800000, |v2|
	v_fma_f32 v4, 0x3f317217, v2, -v4
	v_fmamk_f32 v4, v2, 0x3377d1cf, v4
	v_fmac_f32_e32 v4, 0x3f317217, v2
	v_cndmask_b32_e32 v2, v2, v4, vcc_lo
	v_mov_b32_e32 v4, 0x7fc0
	v_sub_f32_e32 v2, v2, v5
	v_sub_f32_e32 v2, v3, v2
	v_bfe_u32 v3, v2, 16, 1
	v_cmp_o_f32_e32 vcc_lo, v2, v2
	v_add3_u32 v2, v2, v3, 0x7fff
	v_cndmask_b32_sdwa v2, v4, v2, vcc_lo dst_sel:DWORD dst_unused:UNUSED_PAD src0_sel:DWORD src1_sel:WORD_1
	v_add_co_u32 v0, vcc_lo, v0, s0
	v_add_co_ci_u32_e64 v1, null, s1, v1, vcc_lo
	global_store_short v[0:1], v2, off
.LBB139_9:
	s_endpgm
	.section	.rodata,"a",@progbits
	.p2align	6, 0x0
	.amdhsa_kernel _ZN12_GLOBAL__N_120softmax_warp_forwardIN3c108BFloat16ES2_fLi4ELb1ELb0ELi64EEEvPT0_PKT_iiiPKbib
		.amdhsa_group_segment_fixed_size 0
		.amdhsa_private_segment_fixed_size 0
		.amdhsa_kernarg_size 304
		.amdhsa_user_sgpr_count 6
		.amdhsa_user_sgpr_private_segment_buffer 1
		.amdhsa_user_sgpr_dispatch_ptr 0
		.amdhsa_user_sgpr_queue_ptr 0
		.amdhsa_user_sgpr_kernarg_segment_ptr 1
		.amdhsa_user_sgpr_dispatch_id 0
		.amdhsa_user_sgpr_flat_scratch_init 0
		.amdhsa_user_sgpr_private_segment_size 0
		.amdhsa_wavefront_size32 1
		.amdhsa_uses_dynamic_stack 0
		.amdhsa_system_sgpr_private_segment_wavefront_offset 0
		.amdhsa_system_sgpr_workgroup_id_x 1
		.amdhsa_system_sgpr_workgroup_id_y 0
		.amdhsa_system_sgpr_workgroup_id_z 0
		.amdhsa_system_sgpr_workgroup_info 0
		.amdhsa_system_vgpr_workitem_id 1
		.amdhsa_next_free_vgpr 15
		.amdhsa_next_free_sgpr 16
		.amdhsa_reserve_vcc 1
		.amdhsa_reserve_flat_scratch 0
		.amdhsa_float_round_mode_32 0
		.amdhsa_float_round_mode_16_64 0
		.amdhsa_float_denorm_mode_32 3
		.amdhsa_float_denorm_mode_16_64 3
		.amdhsa_dx10_clamp 1
		.amdhsa_ieee_mode 1
		.amdhsa_fp16_overflow 0
		.amdhsa_workgroup_processor_mode 1
		.amdhsa_memory_ordered 1
		.amdhsa_forward_progress 1
		.amdhsa_shared_vgpr_count 0
		.amdhsa_exception_fp_ieee_invalid_op 0
		.amdhsa_exception_fp_denorm_src 0
		.amdhsa_exception_fp_ieee_div_zero 0
		.amdhsa_exception_fp_ieee_overflow 0
		.amdhsa_exception_fp_ieee_underflow 0
		.amdhsa_exception_fp_ieee_inexact 0
		.amdhsa_exception_int_div_zero 0
	.end_amdhsa_kernel
	.section	.text._ZN12_GLOBAL__N_120softmax_warp_forwardIN3c108BFloat16ES2_fLi4ELb1ELb0ELi64EEEvPT0_PKT_iiiPKbib,"axG",@progbits,_ZN12_GLOBAL__N_120softmax_warp_forwardIN3c108BFloat16ES2_fLi4ELb1ELb0ELi64EEEvPT0_PKT_iiiPKbib,comdat
.Lfunc_end139:
	.size	_ZN12_GLOBAL__N_120softmax_warp_forwardIN3c108BFloat16ES2_fLi4ELb1ELb0ELi64EEEvPT0_PKT_iiiPKbib, .Lfunc_end139-_ZN12_GLOBAL__N_120softmax_warp_forwardIN3c108BFloat16ES2_fLi4ELb1ELb0ELi64EEEvPT0_PKT_iiiPKbib
                                        ; -- End function
	.set _ZN12_GLOBAL__N_120softmax_warp_forwardIN3c108BFloat16ES2_fLi4ELb1ELb0ELi64EEEvPT0_PKT_iiiPKbib.num_vgpr, 15
	.set _ZN12_GLOBAL__N_120softmax_warp_forwardIN3c108BFloat16ES2_fLi4ELb1ELb0ELi64EEEvPT0_PKT_iiiPKbib.num_agpr, 0
	.set _ZN12_GLOBAL__N_120softmax_warp_forwardIN3c108BFloat16ES2_fLi4ELb1ELb0ELi64EEEvPT0_PKT_iiiPKbib.numbered_sgpr, 16
	.set _ZN12_GLOBAL__N_120softmax_warp_forwardIN3c108BFloat16ES2_fLi4ELb1ELb0ELi64EEEvPT0_PKT_iiiPKbib.num_named_barrier, 0
	.set _ZN12_GLOBAL__N_120softmax_warp_forwardIN3c108BFloat16ES2_fLi4ELb1ELb0ELi64EEEvPT0_PKT_iiiPKbib.private_seg_size, 0
	.set _ZN12_GLOBAL__N_120softmax_warp_forwardIN3c108BFloat16ES2_fLi4ELb1ELb0ELi64EEEvPT0_PKT_iiiPKbib.uses_vcc, 1
	.set _ZN12_GLOBAL__N_120softmax_warp_forwardIN3c108BFloat16ES2_fLi4ELb1ELb0ELi64EEEvPT0_PKT_iiiPKbib.uses_flat_scratch, 0
	.set _ZN12_GLOBAL__N_120softmax_warp_forwardIN3c108BFloat16ES2_fLi4ELb1ELb0ELi64EEEvPT0_PKT_iiiPKbib.has_dyn_sized_stack, 0
	.set _ZN12_GLOBAL__N_120softmax_warp_forwardIN3c108BFloat16ES2_fLi4ELb1ELb0ELi64EEEvPT0_PKT_iiiPKbib.has_recursion, 0
	.set _ZN12_GLOBAL__N_120softmax_warp_forwardIN3c108BFloat16ES2_fLi4ELb1ELb0ELi64EEEvPT0_PKT_iiiPKbib.has_indirect_call, 0
	.section	.AMDGPU.csdata,"",@progbits
; Kernel info:
; codeLenInByte = 1260
; TotalNumSgprs: 18
; NumVgprs: 15
; ScratchSize: 0
; MemoryBound: 0
; FloatMode: 240
; IeeeMode: 1
; LDSByteSize: 0 bytes/workgroup (compile time only)
; SGPRBlocks: 0
; VGPRBlocks: 1
; NumSGPRsForWavesPerEU: 18
; NumVGPRsForWavesPerEU: 15
; Occupancy: 16
; WaveLimiterHint : 0
; COMPUTE_PGM_RSRC2:SCRATCH_EN: 0
; COMPUTE_PGM_RSRC2:USER_SGPR: 6
; COMPUTE_PGM_RSRC2:TRAP_HANDLER: 0
; COMPUTE_PGM_RSRC2:TGID_X_EN: 1
; COMPUTE_PGM_RSRC2:TGID_Y_EN: 0
; COMPUTE_PGM_RSRC2:TGID_Z_EN: 0
; COMPUTE_PGM_RSRC2:TIDIG_COMP_CNT: 1
	.section	.text._ZN12_GLOBAL__N_120softmax_warp_forwardIN3c108BFloat16ES2_fLi4ELb1ELb0ELi32EEEvPT0_PKT_iiiPKbib,"axG",@progbits,_ZN12_GLOBAL__N_120softmax_warp_forwardIN3c108BFloat16ES2_fLi4ELb1ELb0ELi32EEEvPT0_PKT_iiiPKbib,comdat
	.globl	_ZN12_GLOBAL__N_120softmax_warp_forwardIN3c108BFloat16ES2_fLi4ELb1ELb0ELi32EEEvPT0_PKT_iiiPKbib ; -- Begin function _ZN12_GLOBAL__N_120softmax_warp_forwardIN3c108BFloat16ES2_fLi4ELb1ELb0ELi32EEEvPT0_PKT_iiiPKbib
	.p2align	8
	.type	_ZN12_GLOBAL__N_120softmax_warp_forwardIN3c108BFloat16ES2_fLi4ELb1ELb0ELi32EEEvPT0_PKT_iiiPKbib,@function
_ZN12_GLOBAL__N_120softmax_warp_forwardIN3c108BFloat16ES2_fLi4ELb1ELb0ELi32EEEvPT0_PKT_iiiPKbib: ; @_ZN12_GLOBAL__N_120softmax_warp_forwardIN3c108BFloat16ES2_fLi4ELb1ELb0ELi32EEEvPT0_PKT_iiiPKbib
; %bb.0:
	s_clause 0x1
	s_load_dword s0, s[4:5], 0x3c
	s_load_dwordx8 s[8:15], s[4:5], 0x0
	v_mov_b32_e32 v6, 0xff800000
	s_waitcnt lgkmcnt(0)
	s_lshr_b32 s0, s0, 16
	s_and_b32 s0, s0, 0xffff
	s_mul_i32 s6, s6, s0
	v_cmp_gt_i32_e64 s0, s14, v0
	v_add_lshl_u32 v3, s6, v1, 1
	v_mad_u64_u32 v[1:2], null, v3, s13, v[0:1]
	v_sub_nc_u32_e32 v5, s12, v3
	v_mov_b32_e32 v0, 0xff800000
	v_cmp_lt_i32_e32 vcc_lo, 0, v5
	v_ashrrev_i32_e32 v2, 31, v1
	s_and_b32 s2, s0, vcc_lo
	v_lshlrev_b64 v[1:2], 1, v[1:2]
	v_add_co_u32 v3, s1, s10, v1
	v_add_co_ci_u32_e64 v4, null, s11, v2, s1
	s_and_saveexec_b32 s1, s2
	s_cbranch_execz .LBB140_2
; %bb.1:
	global_load_ushort v0, v[3:4], off
	s_waitcnt vmcnt(0)
	v_lshlrev_b32_e32 v0, 16, v0
.LBB140_2:
	s_or_b32 exec_lo, exec_lo, s1
	v_cmp_lt_i32_e64 s1, 1, v5
	s_and_b32 s1, s0, s1
	s_and_saveexec_b32 s2, s1
	s_cbranch_execz .LBB140_4
; %bb.3:
	s_mov_b32 s15, 0
	s_lshl_b64 s[4:5], s[14:15], 1
	v_add_co_u32 v3, s1, v3, s4
	v_add_co_ci_u32_e64 v4, null, s5, v4, s1
	global_load_ushort v3, v[3:4], off
	s_waitcnt vmcnt(0)
	v_lshlrev_b32_e32 v6, 16, v3
.LBB140_4:
	s_or_b32 exec_lo, exec_lo, s2
	v_mbcnt_lo_u32_b32 v3, -1, 0
	v_and_b32_e32 v4, 16, v3
	v_xor_b32_e32 v7, 8, v3
	v_xor_b32_e32 v10, 4, v3
	;; [unrolled: 1-line block ×4, first 2 shown]
	v_add_nc_u32_e32 v4, 16, v4
	v_cmp_lt_i32_e64 s1, v7, v4
	v_cndmask_b32_e64 v7, v3, v7, s1
	v_cmp_lt_i32_e64 s1, v10, v4
	v_lshlrev_b32_e32 v7, 2, v7
	v_cndmask_b32_e64 v10, v3, v10, s1
	ds_bpermute_b32 v8, v7, v0
	ds_bpermute_b32 v9, v7, v6
	v_lshlrev_b32_e32 v10, 2, v10
	s_waitcnt lgkmcnt(1)
	v_cmp_lt_f32_e64 s1, v0, v8
	v_cndmask_b32_e64 v8, v0, v8, s1
	s_waitcnt lgkmcnt(0)
	v_cmp_lt_f32_e64 s1, v6, v9
	ds_bpermute_b32 v11, v10, v8
	v_cndmask_b32_e64 v9, v6, v9, s1
	v_cmp_lt_i32_e64 s1, v13, v4
	ds_bpermute_b32 v12, v10, v9
	v_cndmask_b32_e64 v13, v3, v13, s1
	v_lshlrev_b32_e32 v13, 2, v13
	s_waitcnt lgkmcnt(1)
	v_cmp_lt_f32_e64 s1, v8, v11
	v_cndmask_b32_e64 v8, v8, v11, s1
	s_waitcnt lgkmcnt(0)
	v_cmp_lt_f32_e64 s1, v9, v12
	ds_bpermute_b32 v11, v13, v8
	v_cndmask_b32_e64 v9, v9, v12, s1
	v_cmp_lt_i32_e64 s1, v14, v4
	ds_bpermute_b32 v12, v13, v9
	v_cndmask_b32_e64 v3, v3, v14, s1
	v_lshlrev_b32_e32 v14, 2, v3
	s_waitcnt lgkmcnt(1)
	v_cmp_lt_f32_e64 s1, v8, v11
	v_cndmask_b32_e64 v3, v8, v11, s1
	s_waitcnt lgkmcnt(0)
	v_cmp_lt_f32_e64 s1, v9, v12
	ds_bpermute_b32 v8, v14, v3
	v_cndmask_b32_e64 v4, v9, v12, s1
	ds_bpermute_b32 v9, v14, v4
	s_waitcnt lgkmcnt(1)
	v_cmp_lt_f32_e64 s1, v3, v8
	v_cndmask_b32_e64 v3, v3, v8, s1
	s_waitcnt lgkmcnt(0)
	v_cmp_lt_f32_e64 s1, v4, v9
	v_cndmask_b32_e64 v8, v4, v9, s1
	v_sub_f32_e32 v4, v0, v3
	v_sub_f32_e32 v3, v6, v8
	v_mul_f32_e32 v0, 0x3fb8aa3b, v4
	v_cmp_ngt_f32_e64 s1, 0xc2ce8ed0, v4
	v_mul_f32_e32 v6, 0x3fb8aa3b, v3
	v_fma_f32 v8, 0x3fb8aa3b, v4, -v0
	v_rndne_f32_e32 v9, v0
	v_fma_f32 v11, 0x3fb8aa3b, v3, -v6
	v_rndne_f32_e32 v12, v6
	v_fmac_f32_e32 v8, 0x32a5705f, v4
	v_sub_f32_e32 v0, v0, v9
	v_fmac_f32_e32 v11, 0x32a5705f, v3
	v_sub_f32_e32 v6, v6, v12
	v_add_f32_e32 v0, v0, v8
	v_cvt_i32_f32_e32 v8, v9
	v_cvt_i32_f32_e32 v9, v12
	v_add_f32_e32 v6, v6, v11
	v_exp_f32_e32 v0, v0
	v_exp_f32_e32 v6, v6
	v_ldexp_f32 v0, v0, v8
	v_ldexp_f32 v6, v6, v9
	v_cndmask_b32_e64 v0, 0, v0, s1
	v_cmp_ngt_f32_e64 s1, 0xc2ce8ed0, v3
	v_cndmask_b32_e64 v6, 0, v6, s1
	v_cmp_nlt_f32_e64 s1, 0x42b17218, v4
	v_cndmask_b32_e64 v0, 0x7f800000, v0, s1
	v_cmp_nlt_f32_e64 s1, 0x42b17218, v3
	ds_bpermute_b32 v8, v7, v0
	v_cndmask_b32_e64 v6, 0x7f800000, v6, s1
	ds_bpermute_b32 v7, v7, v6
	s_waitcnt lgkmcnt(1)
	v_add_f32_e32 v0, v0, v8
	s_waitcnt lgkmcnt(0)
	v_add_f32_e32 v6, v6, v7
	ds_bpermute_b32 v7, v10, v0
	ds_bpermute_b32 v8, v10, v6
	s_waitcnt lgkmcnt(1)
	v_add_f32_e32 v0, v0, v7
	s_waitcnt lgkmcnt(0)
	v_add_f32_e32 v6, v6, v8
	ds_bpermute_b32 v7, v13, v0
	;; [unrolled: 6-line block ×3, first 2 shown]
	ds_bpermute_b32 v7, v14, v6
	s_and_saveexec_b32 s1, vcc_lo
	s_cbranch_execz .LBB140_9
; %bb.5:
	v_add_co_u32 v0, vcc_lo, s8, v1
	v_add_co_ci_u32_e64 v1, null, s9, v2, vcc_lo
	s_and_saveexec_b32 s1, s0
	s_cbranch_execz .LBB140_7
; %bb.6:
	s_waitcnt lgkmcnt(1)
	v_add_f32_e32 v2, v8, v9
	v_cmp_gt_f32_e32 vcc_lo, 0x800000, v2
	v_cndmask_b32_e64 v8, 0, 32, vcc_lo
	v_cndmask_b32_e64 v9, 0, 0x41b17218, vcc_lo
	v_ldexp_f32 v2, v2, v8
	v_log_f32_e32 v2, v2
	v_mul_f32_e32 v8, 0x3f317217, v2
	v_cmp_gt_f32_e64 vcc_lo, 0x7f800000, |v2|
	v_fma_f32 v8, 0x3f317217, v2, -v8
	v_fmamk_f32 v8, v2, 0x3377d1cf, v8
	v_fmac_f32_e32 v8, 0x3f317217, v2
	v_cndmask_b32_e32 v2, v2, v8, vcc_lo
	v_sub_f32_e32 v2, v2, v9
	v_sub_f32_e32 v2, v4, v2
	v_bfe_u32 v4, v2, 16, 1
	v_cmp_o_f32_e32 vcc_lo, v2, v2
	v_add3_u32 v2, v2, v4, 0x7fff
	v_mov_b32_e32 v4, 0x7fc0
	v_cndmask_b32_sdwa v2, v4, v2, vcc_lo dst_sel:DWORD dst_unused:UNUSED_PAD src0_sel:DWORD src1_sel:WORD_1
	global_store_short v[0:1], v2, off
.LBB140_7:
	s_or_b32 exec_lo, exec_lo, s1
	v_cmp_ne_u32_e32 vcc_lo, 1, v5
	s_and_b32 s0, vcc_lo, s0
	s_and_b32 exec_lo, exec_lo, s0
	s_cbranch_execz .LBB140_9
; %bb.8:
	s_waitcnt lgkmcnt(0)
	v_add_f32_e32 v2, v6, v7
	s_mov_b32 s15, 0
	s_lshl_b64 s[0:1], s[14:15], 1
	v_cmp_gt_f32_e32 vcc_lo, 0x800000, v2
	v_cndmask_b32_e64 v4, 0, 32, vcc_lo
	v_cndmask_b32_e64 v5, 0, 0x41b17218, vcc_lo
	v_ldexp_f32 v2, v2, v4
	v_log_f32_e32 v2, v2
	v_mul_f32_e32 v4, 0x3f317217, v2
	v_cmp_gt_f32_e64 vcc_lo, 0x7f800000, |v2|
	v_fma_f32 v4, 0x3f317217, v2, -v4
	v_fmamk_f32 v4, v2, 0x3377d1cf, v4
	v_fmac_f32_e32 v4, 0x3f317217, v2
	v_cndmask_b32_e32 v2, v2, v4, vcc_lo
	v_mov_b32_e32 v4, 0x7fc0
	v_sub_f32_e32 v2, v2, v5
	v_sub_f32_e32 v2, v3, v2
	v_bfe_u32 v3, v2, 16, 1
	v_cmp_o_f32_e32 vcc_lo, v2, v2
	v_add3_u32 v2, v2, v3, 0x7fff
	v_cndmask_b32_sdwa v2, v4, v2, vcc_lo dst_sel:DWORD dst_unused:UNUSED_PAD src0_sel:DWORD src1_sel:WORD_1
	v_add_co_u32 v0, vcc_lo, v0, s0
	v_add_co_ci_u32_e64 v1, null, s1, v1, vcc_lo
	global_store_short v[0:1], v2, off
.LBB140_9:
	s_endpgm
	.section	.rodata,"a",@progbits
	.p2align	6, 0x0
	.amdhsa_kernel _ZN12_GLOBAL__N_120softmax_warp_forwardIN3c108BFloat16ES2_fLi4ELb1ELb0ELi32EEEvPT0_PKT_iiiPKbib
		.amdhsa_group_segment_fixed_size 0
		.amdhsa_private_segment_fixed_size 0
		.amdhsa_kernarg_size 304
		.amdhsa_user_sgpr_count 6
		.amdhsa_user_sgpr_private_segment_buffer 1
		.amdhsa_user_sgpr_dispatch_ptr 0
		.amdhsa_user_sgpr_queue_ptr 0
		.amdhsa_user_sgpr_kernarg_segment_ptr 1
		.amdhsa_user_sgpr_dispatch_id 0
		.amdhsa_user_sgpr_flat_scratch_init 0
		.amdhsa_user_sgpr_private_segment_size 0
		.amdhsa_wavefront_size32 1
		.amdhsa_uses_dynamic_stack 0
		.amdhsa_system_sgpr_private_segment_wavefront_offset 0
		.amdhsa_system_sgpr_workgroup_id_x 1
		.amdhsa_system_sgpr_workgroup_id_y 0
		.amdhsa_system_sgpr_workgroup_id_z 0
		.amdhsa_system_sgpr_workgroup_info 0
		.amdhsa_system_vgpr_workitem_id 1
		.amdhsa_next_free_vgpr 15
		.amdhsa_next_free_sgpr 16
		.amdhsa_reserve_vcc 1
		.amdhsa_reserve_flat_scratch 0
		.amdhsa_float_round_mode_32 0
		.amdhsa_float_round_mode_16_64 0
		.amdhsa_float_denorm_mode_32 3
		.amdhsa_float_denorm_mode_16_64 3
		.amdhsa_dx10_clamp 1
		.amdhsa_ieee_mode 1
		.amdhsa_fp16_overflow 0
		.amdhsa_workgroup_processor_mode 1
		.amdhsa_memory_ordered 1
		.amdhsa_forward_progress 1
		.amdhsa_shared_vgpr_count 0
		.amdhsa_exception_fp_ieee_invalid_op 0
		.amdhsa_exception_fp_denorm_src 0
		.amdhsa_exception_fp_ieee_div_zero 0
		.amdhsa_exception_fp_ieee_overflow 0
		.amdhsa_exception_fp_ieee_underflow 0
		.amdhsa_exception_fp_ieee_inexact 0
		.amdhsa_exception_int_div_zero 0
	.end_amdhsa_kernel
	.section	.text._ZN12_GLOBAL__N_120softmax_warp_forwardIN3c108BFloat16ES2_fLi4ELb1ELb0ELi32EEEvPT0_PKT_iiiPKbib,"axG",@progbits,_ZN12_GLOBAL__N_120softmax_warp_forwardIN3c108BFloat16ES2_fLi4ELb1ELb0ELi32EEEvPT0_PKT_iiiPKbib,comdat
.Lfunc_end140:
	.size	_ZN12_GLOBAL__N_120softmax_warp_forwardIN3c108BFloat16ES2_fLi4ELb1ELb0ELi32EEEvPT0_PKT_iiiPKbib, .Lfunc_end140-_ZN12_GLOBAL__N_120softmax_warp_forwardIN3c108BFloat16ES2_fLi4ELb1ELb0ELi32EEEvPT0_PKT_iiiPKbib
                                        ; -- End function
	.set _ZN12_GLOBAL__N_120softmax_warp_forwardIN3c108BFloat16ES2_fLi4ELb1ELb0ELi32EEEvPT0_PKT_iiiPKbib.num_vgpr, 15
	.set _ZN12_GLOBAL__N_120softmax_warp_forwardIN3c108BFloat16ES2_fLi4ELb1ELb0ELi32EEEvPT0_PKT_iiiPKbib.num_agpr, 0
	.set _ZN12_GLOBAL__N_120softmax_warp_forwardIN3c108BFloat16ES2_fLi4ELb1ELb0ELi32EEEvPT0_PKT_iiiPKbib.numbered_sgpr, 16
	.set _ZN12_GLOBAL__N_120softmax_warp_forwardIN3c108BFloat16ES2_fLi4ELb1ELb0ELi32EEEvPT0_PKT_iiiPKbib.num_named_barrier, 0
	.set _ZN12_GLOBAL__N_120softmax_warp_forwardIN3c108BFloat16ES2_fLi4ELb1ELb0ELi32EEEvPT0_PKT_iiiPKbib.private_seg_size, 0
	.set _ZN12_GLOBAL__N_120softmax_warp_forwardIN3c108BFloat16ES2_fLi4ELb1ELb0ELi32EEEvPT0_PKT_iiiPKbib.uses_vcc, 1
	.set _ZN12_GLOBAL__N_120softmax_warp_forwardIN3c108BFloat16ES2_fLi4ELb1ELb0ELi32EEEvPT0_PKT_iiiPKbib.uses_flat_scratch, 0
	.set _ZN12_GLOBAL__N_120softmax_warp_forwardIN3c108BFloat16ES2_fLi4ELb1ELb0ELi32EEEvPT0_PKT_iiiPKbib.has_dyn_sized_stack, 0
	.set _ZN12_GLOBAL__N_120softmax_warp_forwardIN3c108BFloat16ES2_fLi4ELb1ELb0ELi32EEEvPT0_PKT_iiiPKbib.has_recursion, 0
	.set _ZN12_GLOBAL__N_120softmax_warp_forwardIN3c108BFloat16ES2_fLi4ELb1ELb0ELi32EEEvPT0_PKT_iiiPKbib.has_indirect_call, 0
	.section	.AMDGPU.csdata,"",@progbits
; Kernel info:
; codeLenInByte = 1260
; TotalNumSgprs: 18
; NumVgprs: 15
; ScratchSize: 0
; MemoryBound: 0
; FloatMode: 240
; IeeeMode: 1
; LDSByteSize: 0 bytes/workgroup (compile time only)
; SGPRBlocks: 0
; VGPRBlocks: 1
; NumSGPRsForWavesPerEU: 18
; NumVGPRsForWavesPerEU: 15
; Occupancy: 16
; WaveLimiterHint : 0
; COMPUTE_PGM_RSRC2:SCRATCH_EN: 0
; COMPUTE_PGM_RSRC2:USER_SGPR: 6
; COMPUTE_PGM_RSRC2:TRAP_HANDLER: 0
; COMPUTE_PGM_RSRC2:TGID_X_EN: 1
; COMPUTE_PGM_RSRC2:TGID_Y_EN: 0
; COMPUTE_PGM_RSRC2:TGID_Z_EN: 0
; COMPUTE_PGM_RSRC2:TIDIG_COMP_CNT: 1
	.section	.text._ZN12_GLOBAL__N_120softmax_warp_forwardIN3c108BFloat16ES2_fLi5ELb1ELb0ELi64EEEvPT0_PKT_iiiPKbib,"axG",@progbits,_ZN12_GLOBAL__N_120softmax_warp_forwardIN3c108BFloat16ES2_fLi5ELb1ELb0ELi64EEEvPT0_PKT_iiiPKbib,comdat
	.globl	_ZN12_GLOBAL__N_120softmax_warp_forwardIN3c108BFloat16ES2_fLi5ELb1ELb0ELi64EEEvPT0_PKT_iiiPKbib ; -- Begin function _ZN12_GLOBAL__N_120softmax_warp_forwardIN3c108BFloat16ES2_fLi5ELb1ELb0ELi64EEEvPT0_PKT_iiiPKbib
	.p2align	8
	.type	_ZN12_GLOBAL__N_120softmax_warp_forwardIN3c108BFloat16ES2_fLi5ELb1ELb0ELi64EEEvPT0_PKT_iiiPKbib,@function
_ZN12_GLOBAL__N_120softmax_warp_forwardIN3c108BFloat16ES2_fLi5ELb1ELb0ELi64EEEvPT0_PKT_iiiPKbib: ; @_ZN12_GLOBAL__N_120softmax_warp_forwardIN3c108BFloat16ES2_fLi5ELb1ELb0ELi64EEEvPT0_PKT_iiiPKbib
; %bb.0:
	s_clause 0x1
	s_load_dword s0, s[4:5], 0x3c
	s_load_dwordx8 s[8:15], s[4:5], 0x0
	v_mov_b32_e32 v6, 0xff800000
	s_waitcnt lgkmcnt(0)
	s_lshr_b32 s0, s0, 16
	s_and_b32 s0, s0, 0xffff
	s_mul_i32 s6, s6, s0
	v_cmp_gt_i32_e64 s0, s14, v0
	v_add_lshl_u32 v3, s6, v1, 1
	v_mad_u64_u32 v[1:2], null, v3, s13, v[0:1]
	v_sub_nc_u32_e32 v5, s12, v3
	v_mov_b32_e32 v0, 0xff800000
	v_cmp_lt_i32_e32 vcc_lo, 0, v5
	v_ashrrev_i32_e32 v2, 31, v1
	s_and_b32 s2, s0, vcc_lo
	v_lshlrev_b64 v[1:2], 1, v[1:2]
	v_add_co_u32 v3, s1, s10, v1
	v_add_co_ci_u32_e64 v4, null, s11, v2, s1
	s_and_saveexec_b32 s1, s2
	s_cbranch_execz .LBB141_2
; %bb.1:
	global_load_ushort v0, v[3:4], off
	s_waitcnt vmcnt(0)
	v_lshlrev_b32_e32 v0, 16, v0
.LBB141_2:
	s_or_b32 exec_lo, exec_lo, s1
	v_cmp_lt_i32_e64 s1, 1, v5
	s_and_b32 s1, s0, s1
	s_and_saveexec_b32 s2, s1
	s_cbranch_execz .LBB141_4
; %bb.3:
	s_mov_b32 s15, 0
	s_lshl_b64 s[4:5], s[14:15], 1
	v_add_co_u32 v3, s1, v3, s4
	v_add_co_ci_u32_e64 v4, null, s5, v4, s1
	global_load_ushort v3, v[3:4], off
	s_waitcnt vmcnt(0)
	v_lshlrev_b32_e32 v6, 16, v3
.LBB141_4:
	s_or_b32 exec_lo, exec_lo, s2
	v_mbcnt_lo_u32_b32 v3, -1, 0
	v_xor_b32_e32 v4, 16, v3
	v_xor_b32_e32 v9, 8, v3
	;; [unrolled: 1-line block ×5, first 2 shown]
	v_cmp_gt_i32_e64 s1, 32, v4
	v_cndmask_b32_e64 v4, v3, v4, s1
	v_cmp_gt_i32_e64 s1, 32, v9
	v_lshlrev_b32_e32 v7, 2, v4
	v_cndmask_b32_e64 v9, v3, v9, s1
	ds_bpermute_b32 v4, v7, v0
	ds_bpermute_b32 v8, v7, v6
	v_lshlrev_b32_e32 v9, 2, v9
	s_waitcnt lgkmcnt(1)
	v_cmp_lt_f32_e64 s1, v0, v4
	v_cndmask_b32_e64 v4, v0, v4, s1
	s_waitcnt lgkmcnt(0)
	v_cmp_lt_f32_e64 s1, v6, v8
	ds_bpermute_b32 v10, v9, v4
	v_cndmask_b32_e64 v8, v6, v8, s1
	v_cmp_gt_i32_e64 s1, 32, v12
	ds_bpermute_b32 v11, v9, v8
	v_cndmask_b32_e64 v12, v3, v12, s1
	v_lshlrev_b32_e32 v12, 2, v12
	s_waitcnt lgkmcnt(1)
	v_cmp_lt_f32_e64 s1, v4, v10
	v_cndmask_b32_e64 v4, v4, v10, s1
	s_waitcnt lgkmcnt(0)
	v_cmp_lt_f32_e64 s1, v8, v11
	ds_bpermute_b32 v10, v12, v4
	v_cndmask_b32_e64 v8, v8, v11, s1
	v_cmp_gt_i32_e64 s1, 32, v13
	ds_bpermute_b32 v11, v12, v8
	v_cndmask_b32_e64 v13, v3, v13, s1
	;; [unrolled: 11-line block ×3, first 2 shown]
	v_lshlrev_b32_e32 v14, 2, v3
	s_waitcnt lgkmcnt(1)
	v_cmp_lt_f32_e64 s1, v4, v10
	v_cndmask_b32_e64 v3, v4, v10, s1
	s_waitcnt lgkmcnt(0)
	v_cmp_lt_f32_e64 s1, v8, v11
	v_cndmask_b32_e64 v4, v8, v11, s1
	ds_bpermute_b32 v8, v14, v3
	ds_bpermute_b32 v10, v14, v4
	s_waitcnt lgkmcnt(1)
	v_cmp_lt_f32_e64 s1, v3, v8
	v_cndmask_b32_e64 v3, v3, v8, s1
	s_waitcnt lgkmcnt(0)
	v_cmp_lt_f32_e64 s1, v4, v10
	v_cndmask_b32_e64 v8, v4, v10, s1
	v_sub_f32_e32 v4, v0, v3
	v_sub_f32_e32 v3, v6, v8
	v_mul_f32_e32 v0, 0x3fb8aa3b, v4
	v_cmp_ngt_f32_e64 s1, 0xc2ce8ed0, v4
	v_mul_f32_e32 v6, 0x3fb8aa3b, v3
	v_fma_f32 v8, 0x3fb8aa3b, v4, -v0
	v_rndne_f32_e32 v10, v0
	v_fma_f32 v11, 0x3fb8aa3b, v3, -v6
	v_rndne_f32_e32 v15, v6
	v_fmac_f32_e32 v8, 0x32a5705f, v4
	v_sub_f32_e32 v0, v0, v10
	v_fmac_f32_e32 v11, 0x32a5705f, v3
	v_sub_f32_e32 v6, v6, v15
	v_add_f32_e32 v0, v0, v8
	v_cvt_i32_f32_e32 v8, v10
	v_cvt_i32_f32_e32 v10, v15
	v_add_f32_e32 v6, v6, v11
	v_exp_f32_e32 v0, v0
	v_exp_f32_e32 v6, v6
	v_ldexp_f32 v0, v0, v8
	v_ldexp_f32 v6, v6, v10
	v_cndmask_b32_e64 v0, 0, v0, s1
	v_cmp_ngt_f32_e64 s1, 0xc2ce8ed0, v3
	v_cndmask_b32_e64 v6, 0, v6, s1
	v_cmp_nlt_f32_e64 s1, 0x42b17218, v4
	v_cndmask_b32_e64 v0, 0x7f800000, v0, s1
	v_cmp_nlt_f32_e64 s1, 0x42b17218, v3
	ds_bpermute_b32 v8, v7, v0
	v_cndmask_b32_e64 v6, 0x7f800000, v6, s1
	ds_bpermute_b32 v7, v7, v6
	s_waitcnt lgkmcnt(1)
	v_add_f32_e32 v0, v0, v8
	s_waitcnt lgkmcnt(0)
	v_add_f32_e32 v6, v6, v7
	ds_bpermute_b32 v7, v9, v0
	ds_bpermute_b32 v8, v9, v6
	s_waitcnt lgkmcnt(1)
	v_add_f32_e32 v0, v0, v7
	s_waitcnt lgkmcnt(0)
	v_add_f32_e32 v6, v6, v8
	ds_bpermute_b32 v7, v12, v0
	;; [unrolled: 6-line block ×4, first 2 shown]
	ds_bpermute_b32 v7, v14, v6
	s_and_saveexec_b32 s1, vcc_lo
	s_cbranch_execz .LBB141_9
; %bb.5:
	v_add_co_u32 v0, vcc_lo, s8, v1
	v_add_co_ci_u32_e64 v1, null, s9, v2, vcc_lo
	s_and_saveexec_b32 s1, s0
	s_cbranch_execz .LBB141_7
; %bb.6:
	s_waitcnt lgkmcnt(1)
	v_add_f32_e32 v2, v8, v9
	v_cmp_gt_f32_e32 vcc_lo, 0x800000, v2
	v_cndmask_b32_e64 v8, 0, 32, vcc_lo
	v_cndmask_b32_e64 v9, 0, 0x41b17218, vcc_lo
	v_ldexp_f32 v2, v2, v8
	v_log_f32_e32 v2, v2
	v_mul_f32_e32 v8, 0x3f317217, v2
	v_cmp_gt_f32_e64 vcc_lo, 0x7f800000, |v2|
	v_fma_f32 v8, 0x3f317217, v2, -v8
	v_fmamk_f32 v8, v2, 0x3377d1cf, v8
	v_fmac_f32_e32 v8, 0x3f317217, v2
	v_cndmask_b32_e32 v2, v2, v8, vcc_lo
	v_sub_f32_e32 v2, v2, v9
	v_sub_f32_e32 v2, v4, v2
	v_bfe_u32 v4, v2, 16, 1
	v_cmp_o_f32_e32 vcc_lo, v2, v2
	v_add3_u32 v2, v2, v4, 0x7fff
	v_mov_b32_e32 v4, 0x7fc0
	v_cndmask_b32_sdwa v2, v4, v2, vcc_lo dst_sel:DWORD dst_unused:UNUSED_PAD src0_sel:DWORD src1_sel:WORD_1
	global_store_short v[0:1], v2, off
.LBB141_7:
	s_or_b32 exec_lo, exec_lo, s1
	v_cmp_ne_u32_e32 vcc_lo, 1, v5
	s_and_b32 s0, vcc_lo, s0
	s_and_b32 exec_lo, exec_lo, s0
	s_cbranch_execz .LBB141_9
; %bb.8:
	s_waitcnt lgkmcnt(0)
	v_add_f32_e32 v2, v6, v7
	s_mov_b32 s15, 0
	s_lshl_b64 s[0:1], s[14:15], 1
	v_cmp_gt_f32_e32 vcc_lo, 0x800000, v2
	v_cndmask_b32_e64 v4, 0, 32, vcc_lo
	v_cndmask_b32_e64 v5, 0, 0x41b17218, vcc_lo
	v_ldexp_f32 v2, v2, v4
	v_log_f32_e32 v2, v2
	v_mul_f32_e32 v4, 0x3f317217, v2
	v_cmp_gt_f32_e64 vcc_lo, 0x7f800000, |v2|
	v_fma_f32 v4, 0x3f317217, v2, -v4
	v_fmamk_f32 v4, v2, 0x3377d1cf, v4
	v_fmac_f32_e32 v4, 0x3f317217, v2
	v_cndmask_b32_e32 v2, v2, v4, vcc_lo
	v_mov_b32_e32 v4, 0x7fc0
	v_sub_f32_e32 v2, v2, v5
	v_sub_f32_e32 v2, v3, v2
	v_bfe_u32 v3, v2, 16, 1
	v_cmp_o_f32_e32 vcc_lo, v2, v2
	v_add3_u32 v2, v2, v3, 0x7fff
	v_cndmask_b32_sdwa v2, v4, v2, vcc_lo dst_sel:DWORD dst_unused:UNUSED_PAD src0_sel:DWORD src1_sel:WORD_1
	v_add_co_u32 v0, vcc_lo, v0, s0
	v_add_co_ci_u32_e64 v1, null, s1, v1, vcc_lo
	global_store_short v[0:1], v2, off
.LBB141_9:
	s_endpgm
	.section	.rodata,"a",@progbits
	.p2align	6, 0x0
	.amdhsa_kernel _ZN12_GLOBAL__N_120softmax_warp_forwardIN3c108BFloat16ES2_fLi5ELb1ELb0ELi64EEEvPT0_PKT_iiiPKbib
		.amdhsa_group_segment_fixed_size 0
		.amdhsa_private_segment_fixed_size 0
		.amdhsa_kernarg_size 304
		.amdhsa_user_sgpr_count 6
		.amdhsa_user_sgpr_private_segment_buffer 1
		.amdhsa_user_sgpr_dispatch_ptr 0
		.amdhsa_user_sgpr_queue_ptr 0
		.amdhsa_user_sgpr_kernarg_segment_ptr 1
		.amdhsa_user_sgpr_dispatch_id 0
		.amdhsa_user_sgpr_flat_scratch_init 0
		.amdhsa_user_sgpr_private_segment_size 0
		.amdhsa_wavefront_size32 1
		.amdhsa_uses_dynamic_stack 0
		.amdhsa_system_sgpr_private_segment_wavefront_offset 0
		.amdhsa_system_sgpr_workgroup_id_x 1
		.amdhsa_system_sgpr_workgroup_id_y 0
		.amdhsa_system_sgpr_workgroup_id_z 0
		.amdhsa_system_sgpr_workgroup_info 0
		.amdhsa_system_vgpr_workitem_id 1
		.amdhsa_next_free_vgpr 16
		.amdhsa_next_free_sgpr 16
		.amdhsa_reserve_vcc 1
		.amdhsa_reserve_flat_scratch 0
		.amdhsa_float_round_mode_32 0
		.amdhsa_float_round_mode_16_64 0
		.amdhsa_float_denorm_mode_32 3
		.amdhsa_float_denorm_mode_16_64 3
		.amdhsa_dx10_clamp 1
		.amdhsa_ieee_mode 1
		.amdhsa_fp16_overflow 0
		.amdhsa_workgroup_processor_mode 1
		.amdhsa_memory_ordered 1
		.amdhsa_forward_progress 1
		.amdhsa_shared_vgpr_count 0
		.amdhsa_exception_fp_ieee_invalid_op 0
		.amdhsa_exception_fp_denorm_src 0
		.amdhsa_exception_fp_ieee_div_zero 0
		.amdhsa_exception_fp_ieee_overflow 0
		.amdhsa_exception_fp_ieee_underflow 0
		.amdhsa_exception_fp_ieee_inexact 0
		.amdhsa_exception_int_div_zero 0
	.end_amdhsa_kernel
	.section	.text._ZN12_GLOBAL__N_120softmax_warp_forwardIN3c108BFloat16ES2_fLi5ELb1ELb0ELi64EEEvPT0_PKT_iiiPKbib,"axG",@progbits,_ZN12_GLOBAL__N_120softmax_warp_forwardIN3c108BFloat16ES2_fLi5ELb1ELb0ELi64EEEvPT0_PKT_iiiPKbib,comdat
.Lfunc_end141:
	.size	_ZN12_GLOBAL__N_120softmax_warp_forwardIN3c108BFloat16ES2_fLi5ELb1ELb0ELi64EEEvPT0_PKT_iiiPKbib, .Lfunc_end141-_ZN12_GLOBAL__N_120softmax_warp_forwardIN3c108BFloat16ES2_fLi5ELb1ELb0ELi64EEEvPT0_PKT_iiiPKbib
                                        ; -- End function
	.set _ZN12_GLOBAL__N_120softmax_warp_forwardIN3c108BFloat16ES2_fLi5ELb1ELb0ELi64EEEvPT0_PKT_iiiPKbib.num_vgpr, 16
	.set _ZN12_GLOBAL__N_120softmax_warp_forwardIN3c108BFloat16ES2_fLi5ELb1ELb0ELi64EEEvPT0_PKT_iiiPKbib.num_agpr, 0
	.set _ZN12_GLOBAL__N_120softmax_warp_forwardIN3c108BFloat16ES2_fLi5ELb1ELb0ELi64EEEvPT0_PKT_iiiPKbib.numbered_sgpr, 16
	.set _ZN12_GLOBAL__N_120softmax_warp_forwardIN3c108BFloat16ES2_fLi5ELb1ELb0ELi64EEEvPT0_PKT_iiiPKbib.num_named_barrier, 0
	.set _ZN12_GLOBAL__N_120softmax_warp_forwardIN3c108BFloat16ES2_fLi5ELb1ELb0ELi64EEEvPT0_PKT_iiiPKbib.private_seg_size, 0
	.set _ZN12_GLOBAL__N_120softmax_warp_forwardIN3c108BFloat16ES2_fLi5ELb1ELb0ELi64EEEvPT0_PKT_iiiPKbib.uses_vcc, 1
	.set _ZN12_GLOBAL__N_120softmax_warp_forwardIN3c108BFloat16ES2_fLi5ELb1ELb0ELi64EEEvPT0_PKT_iiiPKbib.uses_flat_scratch, 0
	.set _ZN12_GLOBAL__N_120softmax_warp_forwardIN3c108BFloat16ES2_fLi5ELb1ELb0ELi64EEEvPT0_PKT_iiiPKbib.has_dyn_sized_stack, 0
	.set _ZN12_GLOBAL__N_120softmax_warp_forwardIN3c108BFloat16ES2_fLi5ELb1ELb0ELi64EEEvPT0_PKT_iiiPKbib.has_recursion, 0
	.set _ZN12_GLOBAL__N_120softmax_warp_forwardIN3c108BFloat16ES2_fLi5ELb1ELb0ELi64EEEvPT0_PKT_iiiPKbib.has_indirect_call, 0
	.section	.AMDGPU.csdata,"",@progbits
; Kernel info:
; codeLenInByte = 1364
; TotalNumSgprs: 18
; NumVgprs: 16
; ScratchSize: 0
; MemoryBound: 0
; FloatMode: 240
; IeeeMode: 1
; LDSByteSize: 0 bytes/workgroup (compile time only)
; SGPRBlocks: 0
; VGPRBlocks: 1
; NumSGPRsForWavesPerEU: 18
; NumVGPRsForWavesPerEU: 16
; Occupancy: 16
; WaveLimiterHint : 0
; COMPUTE_PGM_RSRC2:SCRATCH_EN: 0
; COMPUTE_PGM_RSRC2:USER_SGPR: 6
; COMPUTE_PGM_RSRC2:TRAP_HANDLER: 0
; COMPUTE_PGM_RSRC2:TGID_X_EN: 1
; COMPUTE_PGM_RSRC2:TGID_Y_EN: 0
; COMPUTE_PGM_RSRC2:TGID_Z_EN: 0
; COMPUTE_PGM_RSRC2:TIDIG_COMP_CNT: 1
	.section	.text._ZN12_GLOBAL__N_120softmax_warp_forwardIN3c108BFloat16ES2_fLi5ELb1ELb0ELi32EEEvPT0_PKT_iiiPKbib,"axG",@progbits,_ZN12_GLOBAL__N_120softmax_warp_forwardIN3c108BFloat16ES2_fLi5ELb1ELb0ELi32EEEvPT0_PKT_iiiPKbib,comdat
	.globl	_ZN12_GLOBAL__N_120softmax_warp_forwardIN3c108BFloat16ES2_fLi5ELb1ELb0ELi32EEEvPT0_PKT_iiiPKbib ; -- Begin function _ZN12_GLOBAL__N_120softmax_warp_forwardIN3c108BFloat16ES2_fLi5ELb1ELb0ELi32EEEvPT0_PKT_iiiPKbib
	.p2align	8
	.type	_ZN12_GLOBAL__N_120softmax_warp_forwardIN3c108BFloat16ES2_fLi5ELb1ELb0ELi32EEEvPT0_PKT_iiiPKbib,@function
_ZN12_GLOBAL__N_120softmax_warp_forwardIN3c108BFloat16ES2_fLi5ELb1ELb0ELi32EEEvPT0_PKT_iiiPKbib: ; @_ZN12_GLOBAL__N_120softmax_warp_forwardIN3c108BFloat16ES2_fLi5ELb1ELb0ELi32EEEvPT0_PKT_iiiPKbib
; %bb.0:
	s_clause 0x1
	s_load_dword s0, s[4:5], 0x3c
	s_load_dwordx8 s[8:15], s[4:5], 0x0
	v_mov_b32_e32 v6, 0xff800000
	s_waitcnt lgkmcnt(0)
	s_lshr_b32 s0, s0, 16
	s_and_b32 s0, s0, 0xffff
	s_mul_i32 s6, s6, s0
	v_cmp_gt_i32_e64 s0, s14, v0
	v_add_lshl_u32 v3, s6, v1, 1
	v_mad_u64_u32 v[1:2], null, v3, s13, v[0:1]
	v_sub_nc_u32_e32 v5, s12, v3
	v_mov_b32_e32 v0, 0xff800000
	v_cmp_lt_i32_e32 vcc_lo, 0, v5
	v_ashrrev_i32_e32 v2, 31, v1
	s_and_b32 s2, s0, vcc_lo
	v_lshlrev_b64 v[1:2], 1, v[1:2]
	v_add_co_u32 v3, s1, s10, v1
	v_add_co_ci_u32_e64 v4, null, s11, v2, s1
	s_and_saveexec_b32 s1, s2
	s_cbranch_execz .LBB142_2
; %bb.1:
	global_load_ushort v0, v[3:4], off
	s_waitcnt vmcnt(0)
	v_lshlrev_b32_e32 v0, 16, v0
.LBB142_2:
	s_or_b32 exec_lo, exec_lo, s1
	v_cmp_lt_i32_e64 s1, 1, v5
	s_and_b32 s1, s0, s1
	s_and_saveexec_b32 s2, s1
	s_cbranch_execz .LBB142_4
; %bb.3:
	s_mov_b32 s15, 0
	s_lshl_b64 s[4:5], s[14:15], 1
	v_add_co_u32 v3, s1, v3, s4
	v_add_co_ci_u32_e64 v4, null, s5, v4, s1
	global_load_ushort v3, v[3:4], off
	s_waitcnt vmcnt(0)
	v_lshlrev_b32_e32 v6, 16, v3
.LBB142_4:
	s_or_b32 exec_lo, exec_lo, s2
	v_mbcnt_lo_u32_b32 v3, -1, 0
	v_xor_b32_e32 v4, 16, v3
	v_xor_b32_e32 v9, 8, v3
	v_xor_b32_e32 v12, 4, v3
	v_xor_b32_e32 v13, 2, v3
	v_xor_b32_e32 v14, 1, v3
	v_cmp_gt_i32_e64 s1, 32, v4
	v_cndmask_b32_e64 v4, v3, v4, s1
	v_cmp_gt_i32_e64 s1, 32, v9
	v_lshlrev_b32_e32 v7, 2, v4
	v_cndmask_b32_e64 v9, v3, v9, s1
	ds_bpermute_b32 v4, v7, v0
	ds_bpermute_b32 v8, v7, v6
	v_lshlrev_b32_e32 v9, 2, v9
	s_waitcnt lgkmcnt(1)
	v_cmp_lt_f32_e64 s1, v0, v4
	v_cndmask_b32_e64 v4, v0, v4, s1
	s_waitcnt lgkmcnt(0)
	v_cmp_lt_f32_e64 s1, v6, v8
	ds_bpermute_b32 v10, v9, v4
	v_cndmask_b32_e64 v8, v6, v8, s1
	v_cmp_gt_i32_e64 s1, 32, v12
	ds_bpermute_b32 v11, v9, v8
	v_cndmask_b32_e64 v12, v3, v12, s1
	v_lshlrev_b32_e32 v12, 2, v12
	s_waitcnt lgkmcnt(1)
	v_cmp_lt_f32_e64 s1, v4, v10
	v_cndmask_b32_e64 v4, v4, v10, s1
	s_waitcnt lgkmcnt(0)
	v_cmp_lt_f32_e64 s1, v8, v11
	ds_bpermute_b32 v10, v12, v4
	v_cndmask_b32_e64 v8, v8, v11, s1
	v_cmp_gt_i32_e64 s1, 32, v13
	ds_bpermute_b32 v11, v12, v8
	v_cndmask_b32_e64 v13, v3, v13, s1
	v_lshlrev_b32_e32 v13, 2, v13
	s_waitcnt lgkmcnt(1)
	v_cmp_lt_f32_e64 s1, v4, v10
	v_cndmask_b32_e64 v4, v4, v10, s1
	s_waitcnt lgkmcnt(0)
	v_cmp_lt_f32_e64 s1, v8, v11
	ds_bpermute_b32 v10, v13, v4
	v_cndmask_b32_e64 v8, v8, v11, s1
	v_cmp_gt_i32_e64 s1, 32, v14
	ds_bpermute_b32 v11, v13, v8
	v_cndmask_b32_e64 v3, v3, v14, s1
	v_lshlrev_b32_e32 v14, 2, v3
	s_waitcnt lgkmcnt(1)
	v_cmp_lt_f32_e64 s1, v4, v10
	v_cndmask_b32_e64 v3, v4, v10, s1
	s_waitcnt lgkmcnt(0)
	v_cmp_lt_f32_e64 s1, v8, v11
	v_cndmask_b32_e64 v4, v8, v11, s1
	ds_bpermute_b32 v8, v14, v3
	ds_bpermute_b32 v10, v14, v4
	s_waitcnt lgkmcnt(1)
	v_cmp_lt_f32_e64 s1, v3, v8
	v_cndmask_b32_e64 v3, v3, v8, s1
	s_waitcnt lgkmcnt(0)
	v_cmp_lt_f32_e64 s1, v4, v10
	v_cndmask_b32_e64 v8, v4, v10, s1
	v_sub_f32_e32 v4, v0, v3
	v_sub_f32_e32 v3, v6, v8
	v_mul_f32_e32 v0, 0x3fb8aa3b, v4
	v_cmp_ngt_f32_e64 s1, 0xc2ce8ed0, v4
	v_mul_f32_e32 v6, 0x3fb8aa3b, v3
	v_fma_f32 v8, 0x3fb8aa3b, v4, -v0
	v_rndne_f32_e32 v10, v0
	v_fma_f32 v11, 0x3fb8aa3b, v3, -v6
	v_rndne_f32_e32 v15, v6
	v_fmac_f32_e32 v8, 0x32a5705f, v4
	v_sub_f32_e32 v0, v0, v10
	v_fmac_f32_e32 v11, 0x32a5705f, v3
	v_sub_f32_e32 v6, v6, v15
	v_add_f32_e32 v0, v0, v8
	v_cvt_i32_f32_e32 v8, v10
	v_cvt_i32_f32_e32 v10, v15
	v_add_f32_e32 v6, v6, v11
	v_exp_f32_e32 v0, v0
	v_exp_f32_e32 v6, v6
	v_ldexp_f32 v0, v0, v8
	v_ldexp_f32 v6, v6, v10
	v_cndmask_b32_e64 v0, 0, v0, s1
	v_cmp_ngt_f32_e64 s1, 0xc2ce8ed0, v3
	v_cndmask_b32_e64 v6, 0, v6, s1
	v_cmp_nlt_f32_e64 s1, 0x42b17218, v4
	v_cndmask_b32_e64 v0, 0x7f800000, v0, s1
	v_cmp_nlt_f32_e64 s1, 0x42b17218, v3
	ds_bpermute_b32 v8, v7, v0
	v_cndmask_b32_e64 v6, 0x7f800000, v6, s1
	ds_bpermute_b32 v7, v7, v6
	s_waitcnt lgkmcnt(1)
	v_add_f32_e32 v0, v0, v8
	s_waitcnt lgkmcnt(0)
	v_add_f32_e32 v6, v6, v7
	ds_bpermute_b32 v7, v9, v0
	ds_bpermute_b32 v8, v9, v6
	s_waitcnt lgkmcnt(1)
	v_add_f32_e32 v0, v0, v7
	s_waitcnt lgkmcnt(0)
	v_add_f32_e32 v6, v6, v8
	ds_bpermute_b32 v7, v12, v0
	;; [unrolled: 6-line block ×4, first 2 shown]
	ds_bpermute_b32 v7, v14, v6
	s_and_saveexec_b32 s1, vcc_lo
	s_cbranch_execz .LBB142_9
; %bb.5:
	v_add_co_u32 v0, vcc_lo, s8, v1
	v_add_co_ci_u32_e64 v1, null, s9, v2, vcc_lo
	s_and_saveexec_b32 s1, s0
	s_cbranch_execz .LBB142_7
; %bb.6:
	s_waitcnt lgkmcnt(1)
	v_add_f32_e32 v2, v8, v9
	v_cmp_gt_f32_e32 vcc_lo, 0x800000, v2
	v_cndmask_b32_e64 v8, 0, 32, vcc_lo
	v_cndmask_b32_e64 v9, 0, 0x41b17218, vcc_lo
	v_ldexp_f32 v2, v2, v8
	v_log_f32_e32 v2, v2
	v_mul_f32_e32 v8, 0x3f317217, v2
	v_cmp_gt_f32_e64 vcc_lo, 0x7f800000, |v2|
	v_fma_f32 v8, 0x3f317217, v2, -v8
	v_fmamk_f32 v8, v2, 0x3377d1cf, v8
	v_fmac_f32_e32 v8, 0x3f317217, v2
	v_cndmask_b32_e32 v2, v2, v8, vcc_lo
	v_sub_f32_e32 v2, v2, v9
	v_sub_f32_e32 v2, v4, v2
	v_bfe_u32 v4, v2, 16, 1
	v_cmp_o_f32_e32 vcc_lo, v2, v2
	v_add3_u32 v2, v2, v4, 0x7fff
	v_mov_b32_e32 v4, 0x7fc0
	v_cndmask_b32_sdwa v2, v4, v2, vcc_lo dst_sel:DWORD dst_unused:UNUSED_PAD src0_sel:DWORD src1_sel:WORD_1
	global_store_short v[0:1], v2, off
.LBB142_7:
	s_or_b32 exec_lo, exec_lo, s1
	v_cmp_ne_u32_e32 vcc_lo, 1, v5
	s_and_b32 s0, vcc_lo, s0
	s_and_b32 exec_lo, exec_lo, s0
	s_cbranch_execz .LBB142_9
; %bb.8:
	s_waitcnt lgkmcnt(0)
	v_add_f32_e32 v2, v6, v7
	s_mov_b32 s15, 0
	s_lshl_b64 s[0:1], s[14:15], 1
	v_cmp_gt_f32_e32 vcc_lo, 0x800000, v2
	v_cndmask_b32_e64 v4, 0, 32, vcc_lo
	v_cndmask_b32_e64 v5, 0, 0x41b17218, vcc_lo
	v_ldexp_f32 v2, v2, v4
	v_log_f32_e32 v2, v2
	v_mul_f32_e32 v4, 0x3f317217, v2
	v_cmp_gt_f32_e64 vcc_lo, 0x7f800000, |v2|
	v_fma_f32 v4, 0x3f317217, v2, -v4
	v_fmamk_f32 v4, v2, 0x3377d1cf, v4
	v_fmac_f32_e32 v4, 0x3f317217, v2
	v_cndmask_b32_e32 v2, v2, v4, vcc_lo
	v_mov_b32_e32 v4, 0x7fc0
	v_sub_f32_e32 v2, v2, v5
	v_sub_f32_e32 v2, v3, v2
	v_bfe_u32 v3, v2, 16, 1
	v_cmp_o_f32_e32 vcc_lo, v2, v2
	v_add3_u32 v2, v2, v3, 0x7fff
	v_cndmask_b32_sdwa v2, v4, v2, vcc_lo dst_sel:DWORD dst_unused:UNUSED_PAD src0_sel:DWORD src1_sel:WORD_1
	v_add_co_u32 v0, vcc_lo, v0, s0
	v_add_co_ci_u32_e64 v1, null, s1, v1, vcc_lo
	global_store_short v[0:1], v2, off
.LBB142_9:
	s_endpgm
	.section	.rodata,"a",@progbits
	.p2align	6, 0x0
	.amdhsa_kernel _ZN12_GLOBAL__N_120softmax_warp_forwardIN3c108BFloat16ES2_fLi5ELb1ELb0ELi32EEEvPT0_PKT_iiiPKbib
		.amdhsa_group_segment_fixed_size 0
		.amdhsa_private_segment_fixed_size 0
		.amdhsa_kernarg_size 304
		.amdhsa_user_sgpr_count 6
		.amdhsa_user_sgpr_private_segment_buffer 1
		.amdhsa_user_sgpr_dispatch_ptr 0
		.amdhsa_user_sgpr_queue_ptr 0
		.amdhsa_user_sgpr_kernarg_segment_ptr 1
		.amdhsa_user_sgpr_dispatch_id 0
		.amdhsa_user_sgpr_flat_scratch_init 0
		.amdhsa_user_sgpr_private_segment_size 0
		.amdhsa_wavefront_size32 1
		.amdhsa_uses_dynamic_stack 0
		.amdhsa_system_sgpr_private_segment_wavefront_offset 0
		.amdhsa_system_sgpr_workgroup_id_x 1
		.amdhsa_system_sgpr_workgroup_id_y 0
		.amdhsa_system_sgpr_workgroup_id_z 0
		.amdhsa_system_sgpr_workgroup_info 0
		.amdhsa_system_vgpr_workitem_id 1
		.amdhsa_next_free_vgpr 16
		.amdhsa_next_free_sgpr 16
		.amdhsa_reserve_vcc 1
		.amdhsa_reserve_flat_scratch 0
		.amdhsa_float_round_mode_32 0
		.amdhsa_float_round_mode_16_64 0
		.amdhsa_float_denorm_mode_32 3
		.amdhsa_float_denorm_mode_16_64 3
		.amdhsa_dx10_clamp 1
		.amdhsa_ieee_mode 1
		.amdhsa_fp16_overflow 0
		.amdhsa_workgroup_processor_mode 1
		.amdhsa_memory_ordered 1
		.amdhsa_forward_progress 1
		.amdhsa_shared_vgpr_count 0
		.amdhsa_exception_fp_ieee_invalid_op 0
		.amdhsa_exception_fp_denorm_src 0
		.amdhsa_exception_fp_ieee_div_zero 0
		.amdhsa_exception_fp_ieee_overflow 0
		.amdhsa_exception_fp_ieee_underflow 0
		.amdhsa_exception_fp_ieee_inexact 0
		.amdhsa_exception_int_div_zero 0
	.end_amdhsa_kernel
	.section	.text._ZN12_GLOBAL__N_120softmax_warp_forwardIN3c108BFloat16ES2_fLi5ELb1ELb0ELi32EEEvPT0_PKT_iiiPKbib,"axG",@progbits,_ZN12_GLOBAL__N_120softmax_warp_forwardIN3c108BFloat16ES2_fLi5ELb1ELb0ELi32EEEvPT0_PKT_iiiPKbib,comdat
.Lfunc_end142:
	.size	_ZN12_GLOBAL__N_120softmax_warp_forwardIN3c108BFloat16ES2_fLi5ELb1ELb0ELi32EEEvPT0_PKT_iiiPKbib, .Lfunc_end142-_ZN12_GLOBAL__N_120softmax_warp_forwardIN3c108BFloat16ES2_fLi5ELb1ELb0ELi32EEEvPT0_PKT_iiiPKbib
                                        ; -- End function
	.set _ZN12_GLOBAL__N_120softmax_warp_forwardIN3c108BFloat16ES2_fLi5ELb1ELb0ELi32EEEvPT0_PKT_iiiPKbib.num_vgpr, 16
	.set _ZN12_GLOBAL__N_120softmax_warp_forwardIN3c108BFloat16ES2_fLi5ELb1ELb0ELi32EEEvPT0_PKT_iiiPKbib.num_agpr, 0
	.set _ZN12_GLOBAL__N_120softmax_warp_forwardIN3c108BFloat16ES2_fLi5ELb1ELb0ELi32EEEvPT0_PKT_iiiPKbib.numbered_sgpr, 16
	.set _ZN12_GLOBAL__N_120softmax_warp_forwardIN3c108BFloat16ES2_fLi5ELb1ELb0ELi32EEEvPT0_PKT_iiiPKbib.num_named_barrier, 0
	.set _ZN12_GLOBAL__N_120softmax_warp_forwardIN3c108BFloat16ES2_fLi5ELb1ELb0ELi32EEEvPT0_PKT_iiiPKbib.private_seg_size, 0
	.set _ZN12_GLOBAL__N_120softmax_warp_forwardIN3c108BFloat16ES2_fLi5ELb1ELb0ELi32EEEvPT0_PKT_iiiPKbib.uses_vcc, 1
	.set _ZN12_GLOBAL__N_120softmax_warp_forwardIN3c108BFloat16ES2_fLi5ELb1ELb0ELi32EEEvPT0_PKT_iiiPKbib.uses_flat_scratch, 0
	.set _ZN12_GLOBAL__N_120softmax_warp_forwardIN3c108BFloat16ES2_fLi5ELb1ELb0ELi32EEEvPT0_PKT_iiiPKbib.has_dyn_sized_stack, 0
	.set _ZN12_GLOBAL__N_120softmax_warp_forwardIN3c108BFloat16ES2_fLi5ELb1ELb0ELi32EEEvPT0_PKT_iiiPKbib.has_recursion, 0
	.set _ZN12_GLOBAL__N_120softmax_warp_forwardIN3c108BFloat16ES2_fLi5ELb1ELb0ELi32EEEvPT0_PKT_iiiPKbib.has_indirect_call, 0
	.section	.AMDGPU.csdata,"",@progbits
; Kernel info:
; codeLenInByte = 1364
; TotalNumSgprs: 18
; NumVgprs: 16
; ScratchSize: 0
; MemoryBound: 0
; FloatMode: 240
; IeeeMode: 1
; LDSByteSize: 0 bytes/workgroup (compile time only)
; SGPRBlocks: 0
; VGPRBlocks: 1
; NumSGPRsForWavesPerEU: 18
; NumVGPRsForWavesPerEU: 16
; Occupancy: 16
; WaveLimiterHint : 0
; COMPUTE_PGM_RSRC2:SCRATCH_EN: 0
; COMPUTE_PGM_RSRC2:USER_SGPR: 6
; COMPUTE_PGM_RSRC2:TRAP_HANDLER: 0
; COMPUTE_PGM_RSRC2:TGID_X_EN: 1
; COMPUTE_PGM_RSRC2:TGID_Y_EN: 0
; COMPUTE_PGM_RSRC2:TGID_Z_EN: 0
; COMPUTE_PGM_RSRC2:TIDIG_COMP_CNT: 1
	.section	.text._ZN12_GLOBAL__N_120softmax_warp_forwardIN3c108BFloat16ES2_fLi6ELb1ELb0ELi64EEEvPT0_PKT_iiiPKbib,"axG",@progbits,_ZN12_GLOBAL__N_120softmax_warp_forwardIN3c108BFloat16ES2_fLi6ELb1ELb0ELi64EEEvPT0_PKT_iiiPKbib,comdat
	.globl	_ZN12_GLOBAL__N_120softmax_warp_forwardIN3c108BFloat16ES2_fLi6ELb1ELb0ELi64EEEvPT0_PKT_iiiPKbib ; -- Begin function _ZN12_GLOBAL__N_120softmax_warp_forwardIN3c108BFloat16ES2_fLi6ELb1ELb0ELi64EEEvPT0_PKT_iiiPKbib
	.p2align	8
	.type	_ZN12_GLOBAL__N_120softmax_warp_forwardIN3c108BFloat16ES2_fLi6ELb1ELb0ELi64EEEvPT0_PKT_iiiPKbib,@function
_ZN12_GLOBAL__N_120softmax_warp_forwardIN3c108BFloat16ES2_fLi6ELb1ELb0ELi64EEEvPT0_PKT_iiiPKbib: ; @_ZN12_GLOBAL__N_120softmax_warp_forwardIN3c108BFloat16ES2_fLi6ELb1ELb0ELi64EEEvPT0_PKT_iiiPKbib
; %bb.0:
	s_clause 0x1
	s_load_dword s0, s[4:5], 0x3c
	s_load_dwordx8 s[8:15], s[4:5], 0x0
	v_mov_b32_e32 v6, 0xff800000
	s_waitcnt lgkmcnt(0)
	s_lshr_b32 s0, s0, 16
	s_and_b32 s0, s0, 0xffff
	s_mul_i32 s6, s6, s0
	v_cmp_gt_i32_e64 s0, s14, v0
	v_add_lshl_u32 v3, s6, v1, 1
	v_mad_u64_u32 v[1:2], null, v3, s13, v[0:1]
	v_sub_nc_u32_e32 v5, s12, v3
	v_mov_b32_e32 v0, 0xff800000
	v_cmp_lt_i32_e32 vcc_lo, 0, v5
	v_ashrrev_i32_e32 v2, 31, v1
	s_and_b32 s2, s0, vcc_lo
	v_lshlrev_b64 v[1:2], 1, v[1:2]
	v_add_co_u32 v3, s1, s10, v1
	v_add_co_ci_u32_e64 v4, null, s11, v2, s1
	s_and_saveexec_b32 s1, s2
	s_cbranch_execz .LBB143_2
; %bb.1:
	global_load_ushort v0, v[3:4], off
	s_waitcnt vmcnt(0)
	v_lshlrev_b32_e32 v0, 16, v0
.LBB143_2:
	s_or_b32 exec_lo, exec_lo, s1
	v_cmp_lt_i32_e64 s1, 1, v5
	s_and_b32 s1, s0, s1
	s_and_saveexec_b32 s2, s1
	s_cbranch_execz .LBB143_4
; %bb.3:
	s_mov_b32 s15, 0
	s_lshl_b64 s[4:5], s[14:15], 1
	v_add_co_u32 v3, s1, v3, s4
	v_add_co_ci_u32_e64 v4, null, s5, v4, s1
	global_load_ushort v3, v[3:4], off
	s_waitcnt vmcnt(0)
	v_lshlrev_b32_e32 v6, 16, v3
.LBB143_4:
	s_or_b32 exec_lo, exec_lo, s2
	v_mbcnt_lo_u32_b32 v3, -1, 0
	v_or_b32_e32 v4, 32, v3
	v_xor_b32_e32 v9, 16, v3
	v_xor_b32_e32 v12, 8, v3
	;; [unrolled: 1-line block ×4, first 2 shown]
	v_cmp_gt_i32_e64 s1, 64, v4
	v_xor_b32_e32 v15, 1, v3
	v_cndmask_b32_e64 v4, v3, v4, s1
	v_cmp_gt_i32_e64 s1, 64, v9
	v_lshlrev_b32_e32 v7, 2, v4
	v_cndmask_b32_e64 v9, v3, v9, s1
	ds_bpermute_b32 v4, v7, v0
	ds_bpermute_b32 v8, v7, v6
	v_lshlrev_b32_e32 v9, 2, v9
	s_waitcnt lgkmcnt(1)
	v_cmp_lt_f32_e64 s1, v0, v4
	v_cndmask_b32_e64 v4, v0, v4, s1
	s_waitcnt lgkmcnt(0)
	v_cmp_lt_f32_e64 s1, v6, v8
	ds_bpermute_b32 v10, v9, v4
	v_cndmask_b32_e64 v8, v6, v8, s1
	v_cmp_gt_i32_e64 s1, 64, v12
	ds_bpermute_b32 v11, v9, v8
	v_cndmask_b32_e64 v12, v3, v12, s1
	v_lshlrev_b32_e32 v12, 2, v12
	s_waitcnt lgkmcnt(1)
	v_cmp_lt_f32_e64 s1, v4, v10
	v_cndmask_b32_e64 v4, v4, v10, s1
	s_waitcnt lgkmcnt(0)
	v_cmp_lt_f32_e64 s1, v8, v11
	ds_bpermute_b32 v10, v12, v4
	v_cndmask_b32_e64 v8, v8, v11, s1
	v_cmp_gt_i32_e64 s1, 64, v13
	ds_bpermute_b32 v11, v12, v8
	v_cndmask_b32_e64 v13, v3, v13, s1
	;; [unrolled: 11-line block ×4, first 2 shown]
	v_lshlrev_b32_e32 v15, 2, v3
	s_waitcnt lgkmcnt(1)
	v_cmp_lt_f32_e64 s1, v4, v10
	v_cndmask_b32_e64 v3, v4, v10, s1
	s_waitcnt lgkmcnt(0)
	v_cmp_lt_f32_e64 s1, v8, v11
	v_cndmask_b32_e64 v4, v8, v11, s1
	ds_bpermute_b32 v8, v15, v3
	ds_bpermute_b32 v10, v15, v4
	s_waitcnt lgkmcnt(1)
	v_cmp_lt_f32_e64 s1, v3, v8
	v_cndmask_b32_e64 v3, v3, v8, s1
	s_waitcnt lgkmcnt(0)
	v_cmp_lt_f32_e64 s1, v4, v10
	v_cndmask_b32_e64 v8, v4, v10, s1
	v_sub_f32_e32 v4, v0, v3
	v_sub_f32_e32 v3, v6, v8
	v_mul_f32_e32 v0, 0x3fb8aa3b, v4
	v_cmp_ngt_f32_e64 s1, 0xc2ce8ed0, v4
	v_mul_f32_e32 v6, 0x3fb8aa3b, v3
	v_fma_f32 v8, 0x3fb8aa3b, v4, -v0
	v_rndne_f32_e32 v10, v0
	v_fma_f32 v11, 0x3fb8aa3b, v3, -v6
	v_rndne_f32_e32 v16, v6
	v_fmac_f32_e32 v8, 0x32a5705f, v4
	v_sub_f32_e32 v0, v0, v10
	v_fmac_f32_e32 v11, 0x32a5705f, v3
	v_sub_f32_e32 v6, v6, v16
	v_add_f32_e32 v0, v0, v8
	v_cvt_i32_f32_e32 v8, v10
	v_cvt_i32_f32_e32 v10, v16
	v_add_f32_e32 v6, v6, v11
	v_exp_f32_e32 v0, v0
	v_exp_f32_e32 v6, v6
	v_ldexp_f32 v0, v0, v8
	v_ldexp_f32 v6, v6, v10
	v_cndmask_b32_e64 v0, 0, v0, s1
	v_cmp_ngt_f32_e64 s1, 0xc2ce8ed0, v3
	v_cndmask_b32_e64 v6, 0, v6, s1
	v_cmp_nlt_f32_e64 s1, 0x42b17218, v4
	v_cndmask_b32_e64 v0, 0x7f800000, v0, s1
	v_cmp_nlt_f32_e64 s1, 0x42b17218, v3
	ds_bpermute_b32 v8, v7, v0
	v_cndmask_b32_e64 v6, 0x7f800000, v6, s1
	ds_bpermute_b32 v7, v7, v6
	s_waitcnt lgkmcnt(1)
	v_add_f32_e32 v0, v0, v8
	s_waitcnt lgkmcnt(0)
	v_add_f32_e32 v6, v6, v7
	ds_bpermute_b32 v7, v9, v0
	ds_bpermute_b32 v8, v9, v6
	s_waitcnt lgkmcnt(1)
	v_add_f32_e32 v0, v0, v7
	s_waitcnt lgkmcnt(0)
	v_add_f32_e32 v6, v6, v8
	ds_bpermute_b32 v7, v12, v0
	;; [unrolled: 6-line block ×5, first 2 shown]
	ds_bpermute_b32 v7, v15, v6
	s_and_saveexec_b32 s1, vcc_lo
	s_cbranch_execz .LBB143_9
; %bb.5:
	v_add_co_u32 v0, vcc_lo, s8, v1
	v_add_co_ci_u32_e64 v1, null, s9, v2, vcc_lo
	s_and_saveexec_b32 s1, s0
	s_cbranch_execz .LBB143_7
; %bb.6:
	s_waitcnt lgkmcnt(1)
	v_add_f32_e32 v2, v8, v9
	v_cmp_gt_f32_e32 vcc_lo, 0x800000, v2
	v_cndmask_b32_e64 v8, 0, 32, vcc_lo
	v_cndmask_b32_e64 v9, 0, 0x41b17218, vcc_lo
	v_ldexp_f32 v2, v2, v8
	v_log_f32_e32 v2, v2
	v_mul_f32_e32 v8, 0x3f317217, v2
	v_cmp_gt_f32_e64 vcc_lo, 0x7f800000, |v2|
	v_fma_f32 v8, 0x3f317217, v2, -v8
	v_fmamk_f32 v8, v2, 0x3377d1cf, v8
	v_fmac_f32_e32 v8, 0x3f317217, v2
	v_cndmask_b32_e32 v2, v2, v8, vcc_lo
	v_sub_f32_e32 v2, v2, v9
	v_sub_f32_e32 v2, v4, v2
	v_bfe_u32 v4, v2, 16, 1
	v_cmp_o_f32_e32 vcc_lo, v2, v2
	v_add3_u32 v2, v2, v4, 0x7fff
	v_mov_b32_e32 v4, 0x7fc0
	v_cndmask_b32_sdwa v2, v4, v2, vcc_lo dst_sel:DWORD dst_unused:UNUSED_PAD src0_sel:DWORD src1_sel:WORD_1
	global_store_short v[0:1], v2, off
.LBB143_7:
	s_or_b32 exec_lo, exec_lo, s1
	v_cmp_ne_u32_e32 vcc_lo, 1, v5
	s_and_b32 s0, vcc_lo, s0
	s_and_b32 exec_lo, exec_lo, s0
	s_cbranch_execz .LBB143_9
; %bb.8:
	s_waitcnt lgkmcnt(0)
	v_add_f32_e32 v2, v6, v7
	s_mov_b32 s15, 0
	s_lshl_b64 s[0:1], s[14:15], 1
	v_cmp_gt_f32_e32 vcc_lo, 0x800000, v2
	v_cndmask_b32_e64 v4, 0, 32, vcc_lo
	v_cndmask_b32_e64 v5, 0, 0x41b17218, vcc_lo
	v_ldexp_f32 v2, v2, v4
	v_log_f32_e32 v2, v2
	v_mul_f32_e32 v4, 0x3f317217, v2
	v_cmp_gt_f32_e64 vcc_lo, 0x7f800000, |v2|
	v_fma_f32 v4, 0x3f317217, v2, -v4
	v_fmamk_f32 v4, v2, 0x3377d1cf, v4
	v_fmac_f32_e32 v4, 0x3f317217, v2
	v_cndmask_b32_e32 v2, v2, v4, vcc_lo
	v_mov_b32_e32 v4, 0x7fc0
	v_sub_f32_e32 v2, v2, v5
	v_sub_f32_e32 v2, v3, v2
	v_bfe_u32 v3, v2, 16, 1
	v_cmp_o_f32_e32 vcc_lo, v2, v2
	v_add3_u32 v2, v2, v3, 0x7fff
	v_cndmask_b32_sdwa v2, v4, v2, vcc_lo dst_sel:DWORD dst_unused:UNUSED_PAD src0_sel:DWORD src1_sel:WORD_1
	v_add_co_u32 v0, vcc_lo, v0, s0
	v_add_co_ci_u32_e64 v1, null, s1, v1, vcc_lo
	global_store_short v[0:1], v2, off
.LBB143_9:
	s_endpgm
	.section	.rodata,"a",@progbits
	.p2align	6, 0x0
	.amdhsa_kernel _ZN12_GLOBAL__N_120softmax_warp_forwardIN3c108BFloat16ES2_fLi6ELb1ELb0ELi64EEEvPT0_PKT_iiiPKbib
		.amdhsa_group_segment_fixed_size 0
		.amdhsa_private_segment_fixed_size 0
		.amdhsa_kernarg_size 304
		.amdhsa_user_sgpr_count 6
		.amdhsa_user_sgpr_private_segment_buffer 1
		.amdhsa_user_sgpr_dispatch_ptr 0
		.amdhsa_user_sgpr_queue_ptr 0
		.amdhsa_user_sgpr_kernarg_segment_ptr 1
		.amdhsa_user_sgpr_dispatch_id 0
		.amdhsa_user_sgpr_flat_scratch_init 0
		.amdhsa_user_sgpr_private_segment_size 0
		.amdhsa_wavefront_size32 1
		.amdhsa_uses_dynamic_stack 0
		.amdhsa_system_sgpr_private_segment_wavefront_offset 0
		.amdhsa_system_sgpr_workgroup_id_x 1
		.amdhsa_system_sgpr_workgroup_id_y 0
		.amdhsa_system_sgpr_workgroup_id_z 0
		.amdhsa_system_sgpr_workgroup_info 0
		.amdhsa_system_vgpr_workitem_id 1
		.amdhsa_next_free_vgpr 17
		.amdhsa_next_free_sgpr 16
		.amdhsa_reserve_vcc 1
		.amdhsa_reserve_flat_scratch 0
		.amdhsa_float_round_mode_32 0
		.amdhsa_float_round_mode_16_64 0
		.amdhsa_float_denorm_mode_32 3
		.amdhsa_float_denorm_mode_16_64 3
		.amdhsa_dx10_clamp 1
		.amdhsa_ieee_mode 1
		.amdhsa_fp16_overflow 0
		.amdhsa_workgroup_processor_mode 1
		.amdhsa_memory_ordered 1
		.amdhsa_forward_progress 1
		.amdhsa_shared_vgpr_count 0
		.amdhsa_exception_fp_ieee_invalid_op 0
		.amdhsa_exception_fp_denorm_src 0
		.amdhsa_exception_fp_ieee_div_zero 0
		.amdhsa_exception_fp_ieee_overflow 0
		.amdhsa_exception_fp_ieee_underflow 0
		.amdhsa_exception_fp_ieee_inexact 0
		.amdhsa_exception_int_div_zero 0
	.end_amdhsa_kernel
	.section	.text._ZN12_GLOBAL__N_120softmax_warp_forwardIN3c108BFloat16ES2_fLi6ELb1ELb0ELi64EEEvPT0_PKT_iiiPKbib,"axG",@progbits,_ZN12_GLOBAL__N_120softmax_warp_forwardIN3c108BFloat16ES2_fLi6ELb1ELb0ELi64EEEvPT0_PKT_iiiPKbib,comdat
.Lfunc_end143:
	.size	_ZN12_GLOBAL__N_120softmax_warp_forwardIN3c108BFloat16ES2_fLi6ELb1ELb0ELi64EEEvPT0_PKT_iiiPKbib, .Lfunc_end143-_ZN12_GLOBAL__N_120softmax_warp_forwardIN3c108BFloat16ES2_fLi6ELb1ELb0ELi64EEEvPT0_PKT_iiiPKbib
                                        ; -- End function
	.set _ZN12_GLOBAL__N_120softmax_warp_forwardIN3c108BFloat16ES2_fLi6ELb1ELb0ELi64EEEvPT0_PKT_iiiPKbib.num_vgpr, 17
	.set _ZN12_GLOBAL__N_120softmax_warp_forwardIN3c108BFloat16ES2_fLi6ELb1ELb0ELi64EEEvPT0_PKT_iiiPKbib.num_agpr, 0
	.set _ZN12_GLOBAL__N_120softmax_warp_forwardIN3c108BFloat16ES2_fLi6ELb1ELb0ELi64EEEvPT0_PKT_iiiPKbib.numbered_sgpr, 16
	.set _ZN12_GLOBAL__N_120softmax_warp_forwardIN3c108BFloat16ES2_fLi6ELb1ELb0ELi64EEEvPT0_PKT_iiiPKbib.num_named_barrier, 0
	.set _ZN12_GLOBAL__N_120softmax_warp_forwardIN3c108BFloat16ES2_fLi6ELb1ELb0ELi64EEEvPT0_PKT_iiiPKbib.private_seg_size, 0
	.set _ZN12_GLOBAL__N_120softmax_warp_forwardIN3c108BFloat16ES2_fLi6ELb1ELb0ELi64EEEvPT0_PKT_iiiPKbib.uses_vcc, 1
	.set _ZN12_GLOBAL__N_120softmax_warp_forwardIN3c108BFloat16ES2_fLi6ELb1ELb0ELi64EEEvPT0_PKT_iiiPKbib.uses_flat_scratch, 0
	.set _ZN12_GLOBAL__N_120softmax_warp_forwardIN3c108BFloat16ES2_fLi6ELb1ELb0ELi64EEEvPT0_PKT_iiiPKbib.has_dyn_sized_stack, 0
	.set _ZN12_GLOBAL__N_120softmax_warp_forwardIN3c108BFloat16ES2_fLi6ELb1ELb0ELi64EEEvPT0_PKT_iiiPKbib.has_recursion, 0
	.set _ZN12_GLOBAL__N_120softmax_warp_forwardIN3c108BFloat16ES2_fLi6ELb1ELb0ELi64EEEvPT0_PKT_iiiPKbib.has_indirect_call, 0
	.section	.AMDGPU.csdata,"",@progbits
; Kernel info:
; codeLenInByte = 1476
; TotalNumSgprs: 18
; NumVgprs: 17
; ScratchSize: 0
; MemoryBound: 0
; FloatMode: 240
; IeeeMode: 1
; LDSByteSize: 0 bytes/workgroup (compile time only)
; SGPRBlocks: 0
; VGPRBlocks: 2
; NumSGPRsForWavesPerEU: 18
; NumVGPRsForWavesPerEU: 17
; Occupancy: 16
; WaveLimiterHint : 0
; COMPUTE_PGM_RSRC2:SCRATCH_EN: 0
; COMPUTE_PGM_RSRC2:USER_SGPR: 6
; COMPUTE_PGM_RSRC2:TRAP_HANDLER: 0
; COMPUTE_PGM_RSRC2:TGID_X_EN: 1
; COMPUTE_PGM_RSRC2:TGID_Y_EN: 0
; COMPUTE_PGM_RSRC2:TGID_Z_EN: 0
; COMPUTE_PGM_RSRC2:TIDIG_COMP_CNT: 1
	.section	.text._ZN12_GLOBAL__N_120softmax_warp_forwardIN3c108BFloat16ES2_fLi6ELb1ELb0ELi32EEEvPT0_PKT_iiiPKbib,"axG",@progbits,_ZN12_GLOBAL__N_120softmax_warp_forwardIN3c108BFloat16ES2_fLi6ELb1ELb0ELi32EEEvPT0_PKT_iiiPKbib,comdat
	.globl	_ZN12_GLOBAL__N_120softmax_warp_forwardIN3c108BFloat16ES2_fLi6ELb1ELb0ELi32EEEvPT0_PKT_iiiPKbib ; -- Begin function _ZN12_GLOBAL__N_120softmax_warp_forwardIN3c108BFloat16ES2_fLi6ELb1ELb0ELi32EEEvPT0_PKT_iiiPKbib
	.p2align	8
	.type	_ZN12_GLOBAL__N_120softmax_warp_forwardIN3c108BFloat16ES2_fLi6ELb1ELb0ELi32EEEvPT0_PKT_iiiPKbib,@function
_ZN12_GLOBAL__N_120softmax_warp_forwardIN3c108BFloat16ES2_fLi6ELb1ELb0ELi32EEEvPT0_PKT_iiiPKbib: ; @_ZN12_GLOBAL__N_120softmax_warp_forwardIN3c108BFloat16ES2_fLi6ELb1ELb0ELi32EEEvPT0_PKT_iiiPKbib
; %bb.0:
	s_clause 0x1
	s_load_dword s0, s[4:5], 0x3c
	s_load_dwordx8 s[8:15], s[4:5], 0x0
	v_mov_b32_e32 v6, 0xff800000
	v_mov_b32_e32 v7, 0xff800000
	s_waitcnt lgkmcnt(0)
	s_lshr_b32 s0, s0, 16
	v_cmp_gt_i32_e64 s1, s14, v0
	s_and_b32 s0, s0, 0xffff
	s_mul_i32 s6, s6, s0
	v_add_lshl_u32 v3, s6, v1, 1
	v_mad_u64_u32 v[1:2], null, v3, s13, v[0:1]
	v_sub_nc_u32_e32 v5, s12, v3
	v_cmp_lt_i32_e32 vcc_lo, 0, v5
	v_ashrrev_i32_e32 v2, 31, v1
	s_and_b32 s2, vcc_lo, s1
	v_lshlrev_b64 v[1:2], 1, v[1:2]
	v_add_co_u32 v3, s0, s10, v1
	v_add_co_ci_u32_e64 v4, null, s11, v2, s0
	s_and_saveexec_b32 s0, s2
	s_cbranch_execz .LBB144_2
; %bb.1:
	global_load_ushort v7, v[3:4], off
	s_waitcnt vmcnt(0)
	v_lshlrev_b32_e32 v7, 16, v7
.LBB144_2:
	s_or_b32 exec_lo, exec_lo, s0
	v_add_nc_u32_e32 v0, 32, v0
	v_cmp_gt_i32_e64 s0, s14, v0
	s_and_b32 s3, vcc_lo, s0
	s_and_saveexec_b32 s2, s3
	s_cbranch_execz .LBB144_4
; %bb.3:
	global_load_ushort v0, v[3:4], off offset:64
	s_waitcnt vmcnt(0)
	v_lshlrev_b32_e32 v6, 16, v0
.LBB144_4:
	s_or_b32 exec_lo, exec_lo, s2
	v_cmp_lt_i32_e64 s2, 1, v5
	v_mov_b32_e32 v0, 0xff800000
	v_mov_b32_e32 v8, 0xff800000
	s_and_b32 s3, s2, s1
	s_and_saveexec_b32 s4, s3
	s_cbranch_execz .LBB144_6
; %bb.5:
	s_mov_b32 s15, 0
	s_lshl_b64 s[6:7], s[14:15], 1
	v_add_co_u32 v8, s3, v3, s6
	v_add_co_ci_u32_e64 v9, null, s7, v4, s3
	global_load_ushort v8, v[8:9], off
	s_waitcnt vmcnt(0)
	v_lshlrev_b32_e32 v8, 16, v8
.LBB144_6:
	s_or_b32 exec_lo, exec_lo, s4
	s_and_b32 s2, s2, s0
	s_and_saveexec_b32 s3, s2
	s_cbranch_execz .LBB144_8
; %bb.7:
	s_mov_b32 s15, 0
	s_lshl_b64 s[4:5], s[14:15], 1
	v_add_co_u32 v3, s2, v3, s4
	v_add_co_ci_u32_e64 v4, null, s5, v4, s2
	global_load_ushort v0, v[3:4], off offset:64
	s_waitcnt vmcnt(0)
	v_lshlrev_b32_e32 v0, 16, v0
.LBB144_8:
	s_or_b32 exec_lo, exec_lo, s3
	v_mbcnt_lo_u32_b32 v3, -1, 0
	v_xor_b32_e32 v4, 16, v3
	v_xor_b32_e32 v13, 8, v3
	v_xor_b32_e32 v14, 4, v3
	v_xor_b32_e32 v15, 2, v3
	v_xor_b32_e32 v16, 1, v3
	v_cmp_gt_i32_e64 s2, 32, v4
	v_cndmask_b32_e64 v4, v3, v4, s2
	v_cmp_gt_f32_e64 s2, v7, v6
	v_lshlrev_b32_e32 v10, 2, v4
	v_cndmask_b32_e64 v9, v6, v7, s2
	v_cmp_gt_f32_e64 s2, v8, v0
	ds_bpermute_b32 v11, v10, v9
	v_cndmask_b32_e64 v4, v0, v8, s2
	v_cmp_gt_i32_e64 s2, 32, v13
	ds_bpermute_b32 v12, v10, v4
	v_cndmask_b32_e64 v13, v3, v13, s2
	v_lshlrev_b32_e32 v13, 2, v13
	s_waitcnt lgkmcnt(1)
	v_cmp_lt_f32_e64 s2, v9, v11
	v_cndmask_b32_e64 v9, v9, v11, s2
	s_waitcnt lgkmcnt(0)
	v_cmp_lt_f32_e64 s2, v4, v12
	ds_bpermute_b32 v11, v13, v9
	v_cndmask_b32_e64 v4, v4, v12, s2
	v_cmp_gt_i32_e64 s2, 32, v14
	ds_bpermute_b32 v12, v13, v4
	v_cndmask_b32_e64 v14, v3, v14, s2
	v_lshlrev_b32_e32 v14, 2, v14
	s_waitcnt lgkmcnt(1)
	v_cmp_lt_f32_e64 s2, v9, v11
	v_cndmask_b32_e64 v9, v9, v11, s2
	s_waitcnt lgkmcnt(0)
	v_cmp_lt_f32_e64 s2, v4, v12
	;; [unrolled: 11-line block ×4, first 2 shown]
	ds_bpermute_b32 v9, v16, v3
	v_cndmask_b32_e64 v4, v4, v12, s2
	ds_bpermute_b32 v11, v16, v4
	s_waitcnt lgkmcnt(1)
	v_cmp_lt_f32_e64 s2, v3, v9
	v_cndmask_b32_e64 v3, v3, v9, s2
	s_waitcnt lgkmcnt(0)
	v_cmp_lt_f32_e64 s2, v4, v11
	v_sub_f32_e32 v7, v7, v3
	v_cndmask_b32_e64 v9, v4, v11, s2
	v_sub_f32_e32 v6, v6, v3
	v_cmp_ngt_f32_e64 s2, 0xc2ce8ed0, v7
	v_sub_f32_e32 v3, v0, v9
	v_mul_f32_e32 v0, 0x3fb8aa3b, v7
	v_sub_f32_e32 v4, v8, v9
	v_mul_f32_e32 v8, 0x3fb8aa3b, v6
	v_mul_f32_e32 v11, 0x3fb8aa3b, v3
	v_fma_f32 v12, 0x3fb8aa3b, v7, -v0
	v_rndne_f32_e32 v17, v0
	v_mul_f32_e32 v9, 0x3fb8aa3b, v4
	v_fma_f32 v18, 0x3fb8aa3b, v6, -v8
	v_rndne_f32_e32 v19, v8
	v_fmac_f32_e32 v12, 0x32a5705f, v7
	v_sub_f32_e32 v0, v0, v17
	v_fma_f32 v20, 0x3fb8aa3b, v4, -v9
	v_rndne_f32_e32 v21, v9
	v_fmac_f32_e32 v18, 0x32a5705f, v6
	v_sub_f32_e32 v8, v8, v19
	v_add_f32_e32 v0, v0, v12
	v_fma_f32 v22, 0x3fb8aa3b, v3, -v11
	v_rndne_f32_e32 v23, v11
	v_fmac_f32_e32 v20, 0x32a5705f, v4
	v_sub_f32_e32 v9, v9, v21
	v_add_f32_e32 v8, v8, v18
	v_exp_f32_e32 v0, v0
	v_fmac_f32_e32 v22, 0x32a5705f, v3
	v_sub_f32_e32 v11, v11, v23
	v_add_f32_e32 v9, v9, v20
	v_exp_f32_e32 v8, v8
	v_cvt_i32_f32_e32 v12, v17
	v_cvt_i32_f32_e32 v17, v19
	v_add_f32_e32 v11, v11, v22
	v_exp_f32_e32 v9, v9
	v_cvt_i32_f32_e32 v18, v21
	v_ldexp_f32 v0, v0, v12
	v_cvt_i32_f32_e32 v19, v23
	v_exp_f32_e32 v11, v11
	v_ldexp_f32 v8, v8, v17
	v_cndmask_b32_e64 v0, 0, v0, s2
	v_cmp_ngt_f32_e64 s2, 0xc2ce8ed0, v6
	v_ldexp_f32 v9, v9, v18
	v_cndmask_b32_e64 v8, 0, v8, s2
	v_cmp_ngt_f32_e64 s2, 0xc2ce8ed0, v4
	v_ldexp_f32 v11, v11, v19
	v_cndmask_b32_e64 v9, 0, v9, s2
	v_cmp_ngt_f32_e64 s2, 0xc2ce8ed0, v3
	v_cndmask_b32_e64 v11, 0, v11, s2
	v_cmp_nlt_f32_e64 s2, 0x42b17218, v7
	v_cndmask_b32_e64 v0, 0x7f800000, v0, s2
	v_cmp_nlt_f32_e64 s2, 0x42b17218, v6
	;; [unrolled: 2-line block ×3, first 2 shown]
	v_add_f32_e32 v0, v0, v8
	v_cndmask_b32_e64 v9, 0x7f800000, v9, s2
	v_cmp_nlt_f32_e64 s2, 0x42b17218, v3
	v_cndmask_b32_e64 v11, 0x7f800000, v11, s2
	v_add_f32_e32 v8, v9, v11
	ds_bpermute_b32 v9, v10, v0
	ds_bpermute_b32 v10, v10, v8
	s_waitcnt lgkmcnt(1)
	v_add_f32_e32 v0, v0, v9
	s_waitcnt lgkmcnt(0)
	v_add_f32_e32 v8, v8, v10
	ds_bpermute_b32 v9, v13, v0
	ds_bpermute_b32 v10, v13, v8
	s_waitcnt lgkmcnt(1)
	v_add_f32_e32 v0, v0, v9
	s_waitcnt lgkmcnt(0)
	;; [unrolled: 6-line block ×4, first 2 shown]
	v_add_f32_e32 v8, v8, v11
	ds_bpermute_b32 v11, v16, v10
	ds_bpermute_b32 v9, v16, v8
	s_and_saveexec_b32 s2, vcc_lo
	s_cbranch_execz .LBB144_16
; %bb.9:
	v_add_co_u32 v0, vcc_lo, s8, v1
	v_add_co_ci_u32_e64 v1, null, s9, v2, vcc_lo
	s_and_saveexec_b32 s2, s1
	s_cbranch_execz .LBB144_12
; %bb.10:
	s_waitcnt lgkmcnt(1)
	v_add_f32_e32 v2, v10, v11
	v_cmp_gt_f32_e32 vcc_lo, 0x800000, v2
	v_cndmask_b32_e64 v10, 0, 32, vcc_lo
	v_cndmask_b32_e64 v11, 0, 0x41b17218, vcc_lo
	v_ldexp_f32 v2, v2, v10
	v_log_f32_e32 v2, v2
	v_mul_f32_e32 v10, 0x3f317217, v2
	v_cmp_gt_f32_e64 vcc_lo, 0x7f800000, |v2|
	v_fma_f32 v10, 0x3f317217, v2, -v10
	v_fmamk_f32 v10, v2, 0x3377d1cf, v10
	v_fmac_f32_e32 v10, 0x3f317217, v2
	v_cndmask_b32_e32 v2, v2, v10, vcc_lo
	v_sub_f32_e32 v2, v2, v11
	v_sub_f32_e32 v7, v7, v2
	v_bfe_u32 v10, v7, 16, 1
	v_cmp_o_f32_e32 vcc_lo, v7, v7
	v_add3_u32 v10, v7, v10, 0x7fff
	v_mov_b32_e32 v7, 0x7fc0
	v_cndmask_b32_sdwa v10, v7, v10, vcc_lo dst_sel:DWORD dst_unused:UNUSED_PAD src0_sel:DWORD src1_sel:WORD_1
	global_store_short v[0:1], v10, off
	s_and_b32 exec_lo, exec_lo, s0
	s_cbranch_execz .LBB144_12
; %bb.11:
	v_sub_f32_e32 v2, v6, v2
	v_bfe_u32 v6, v2, 16, 1
	v_cmp_o_f32_e32 vcc_lo, v2, v2
	v_add3_u32 v2, v2, v6, 0x7fff
	v_cndmask_b32_sdwa v2, v7, v2, vcc_lo dst_sel:DWORD dst_unused:UNUSED_PAD src0_sel:DWORD src1_sel:WORD_1
	global_store_short v[0:1], v2, off offset:64
.LBB144_12:
	s_or_b32 exec_lo, exec_lo, s2
	v_cmp_ne_u32_e32 vcc_lo, 1, v5
	s_and_b32 exec_lo, exec_lo, vcc_lo
	s_cbranch_execz .LBB144_16
; %bb.13:
	s_and_b32 exec_lo, exec_lo, s1
	s_cbranch_execz .LBB144_16
; %bb.14:
	s_waitcnt lgkmcnt(0)
	v_add_f32_e32 v2, v8, v9
	s_mov_b32 s15, 0
	s_lshl_b64 s[2:3], s[14:15], 1
	v_cmp_gt_f32_e32 vcc_lo, 0x800000, v2
	v_cndmask_b32_e64 v5, 0, 32, vcc_lo
	v_cndmask_b32_e64 v6, 0, 0x41b17218, vcc_lo
	v_ldexp_f32 v2, v2, v5
	v_log_f32_e32 v2, v2
	v_mul_f32_e32 v5, 0x3f317217, v2
	v_cmp_gt_f32_e64 vcc_lo, 0x7f800000, |v2|
	v_fma_f32 v5, 0x3f317217, v2, -v5
	v_fmamk_f32 v5, v2, 0x3377d1cf, v5
	v_fmac_f32_e32 v5, 0x3f317217, v2
	v_cndmask_b32_e32 v2, v2, v5, vcc_lo
	v_sub_f32_e32 v2, v2, v6
	v_sub_f32_e32 v5, v4, v2
	v_mov_b32_e32 v4, 0x7fc0
	v_bfe_u32 v6, v5, 16, 1
	v_cmp_o_f32_e32 vcc_lo, v5, v5
	v_add3_u32 v5, v5, v6, 0x7fff
	v_cndmask_b32_sdwa v5, v4, v5, vcc_lo dst_sel:DWORD dst_unused:UNUSED_PAD src0_sel:DWORD src1_sel:WORD_1
	v_add_co_u32 v0, vcc_lo, v0, s2
	v_add_co_ci_u32_e64 v1, null, s3, v1, vcc_lo
	global_store_short v[0:1], v5, off
	s_and_b32 exec_lo, exec_lo, s0
	s_cbranch_execz .LBB144_16
; %bb.15:
	v_sub_f32_e32 v2, v3, v2
	v_bfe_u32 v3, v2, 16, 1
	v_cmp_o_f32_e32 vcc_lo, v2, v2
	v_add3_u32 v2, v2, v3, 0x7fff
	v_cndmask_b32_sdwa v2, v4, v2, vcc_lo dst_sel:DWORD dst_unused:UNUSED_PAD src0_sel:DWORD src1_sel:WORD_1
	global_store_short v[0:1], v2, off offset:64
.LBB144_16:
	s_endpgm
	.section	.rodata,"a",@progbits
	.p2align	6, 0x0
	.amdhsa_kernel _ZN12_GLOBAL__N_120softmax_warp_forwardIN3c108BFloat16ES2_fLi6ELb1ELb0ELi32EEEvPT0_PKT_iiiPKbib
		.amdhsa_group_segment_fixed_size 0
		.amdhsa_private_segment_fixed_size 0
		.amdhsa_kernarg_size 304
		.amdhsa_user_sgpr_count 6
		.amdhsa_user_sgpr_private_segment_buffer 1
		.amdhsa_user_sgpr_dispatch_ptr 0
		.amdhsa_user_sgpr_queue_ptr 0
		.amdhsa_user_sgpr_kernarg_segment_ptr 1
		.amdhsa_user_sgpr_dispatch_id 0
		.amdhsa_user_sgpr_flat_scratch_init 0
		.amdhsa_user_sgpr_private_segment_size 0
		.amdhsa_wavefront_size32 1
		.amdhsa_uses_dynamic_stack 0
		.amdhsa_system_sgpr_private_segment_wavefront_offset 0
		.amdhsa_system_sgpr_workgroup_id_x 1
		.amdhsa_system_sgpr_workgroup_id_y 0
		.amdhsa_system_sgpr_workgroup_id_z 0
		.amdhsa_system_sgpr_workgroup_info 0
		.amdhsa_system_vgpr_workitem_id 1
		.amdhsa_next_free_vgpr 24
		.amdhsa_next_free_sgpr 16
		.amdhsa_reserve_vcc 1
		.amdhsa_reserve_flat_scratch 0
		.amdhsa_float_round_mode_32 0
		.amdhsa_float_round_mode_16_64 0
		.amdhsa_float_denorm_mode_32 3
		.amdhsa_float_denorm_mode_16_64 3
		.amdhsa_dx10_clamp 1
		.amdhsa_ieee_mode 1
		.amdhsa_fp16_overflow 0
		.amdhsa_workgroup_processor_mode 1
		.amdhsa_memory_ordered 1
		.amdhsa_forward_progress 1
		.amdhsa_shared_vgpr_count 0
		.amdhsa_exception_fp_ieee_invalid_op 0
		.amdhsa_exception_fp_denorm_src 0
		.amdhsa_exception_fp_ieee_div_zero 0
		.amdhsa_exception_fp_ieee_overflow 0
		.amdhsa_exception_fp_ieee_underflow 0
		.amdhsa_exception_fp_ieee_inexact 0
		.amdhsa_exception_int_div_zero 0
	.end_amdhsa_kernel
	.section	.text._ZN12_GLOBAL__N_120softmax_warp_forwardIN3c108BFloat16ES2_fLi6ELb1ELb0ELi32EEEvPT0_PKT_iiiPKbib,"axG",@progbits,_ZN12_GLOBAL__N_120softmax_warp_forwardIN3c108BFloat16ES2_fLi6ELb1ELb0ELi32EEEvPT0_PKT_iiiPKbib,comdat
.Lfunc_end144:
	.size	_ZN12_GLOBAL__N_120softmax_warp_forwardIN3c108BFloat16ES2_fLi6ELb1ELb0ELi32EEEvPT0_PKT_iiiPKbib, .Lfunc_end144-_ZN12_GLOBAL__N_120softmax_warp_forwardIN3c108BFloat16ES2_fLi6ELb1ELb0ELi32EEEvPT0_PKT_iiiPKbib
                                        ; -- End function
	.set _ZN12_GLOBAL__N_120softmax_warp_forwardIN3c108BFloat16ES2_fLi6ELb1ELb0ELi32EEEvPT0_PKT_iiiPKbib.num_vgpr, 24
	.set _ZN12_GLOBAL__N_120softmax_warp_forwardIN3c108BFloat16ES2_fLi6ELb1ELb0ELi32EEEvPT0_PKT_iiiPKbib.num_agpr, 0
	.set _ZN12_GLOBAL__N_120softmax_warp_forwardIN3c108BFloat16ES2_fLi6ELb1ELb0ELi32EEEvPT0_PKT_iiiPKbib.numbered_sgpr, 16
	.set _ZN12_GLOBAL__N_120softmax_warp_forwardIN3c108BFloat16ES2_fLi6ELb1ELb0ELi32EEEvPT0_PKT_iiiPKbib.num_named_barrier, 0
	.set _ZN12_GLOBAL__N_120softmax_warp_forwardIN3c108BFloat16ES2_fLi6ELb1ELb0ELi32EEEvPT0_PKT_iiiPKbib.private_seg_size, 0
	.set _ZN12_GLOBAL__N_120softmax_warp_forwardIN3c108BFloat16ES2_fLi6ELb1ELb0ELi32EEEvPT0_PKT_iiiPKbib.uses_vcc, 1
	.set _ZN12_GLOBAL__N_120softmax_warp_forwardIN3c108BFloat16ES2_fLi6ELb1ELb0ELi32EEEvPT0_PKT_iiiPKbib.uses_flat_scratch, 0
	.set _ZN12_GLOBAL__N_120softmax_warp_forwardIN3c108BFloat16ES2_fLi6ELb1ELb0ELi32EEEvPT0_PKT_iiiPKbib.has_dyn_sized_stack, 0
	.set _ZN12_GLOBAL__N_120softmax_warp_forwardIN3c108BFloat16ES2_fLi6ELb1ELb0ELi32EEEvPT0_PKT_iiiPKbib.has_recursion, 0
	.set _ZN12_GLOBAL__N_120softmax_warp_forwardIN3c108BFloat16ES2_fLi6ELb1ELb0ELi32EEEvPT0_PKT_iiiPKbib.has_indirect_call, 0
	.section	.AMDGPU.csdata,"",@progbits
; Kernel info:
; codeLenInByte = 1836
; TotalNumSgprs: 18
; NumVgprs: 24
; ScratchSize: 0
; MemoryBound: 0
; FloatMode: 240
; IeeeMode: 1
; LDSByteSize: 0 bytes/workgroup (compile time only)
; SGPRBlocks: 0
; VGPRBlocks: 2
; NumSGPRsForWavesPerEU: 18
; NumVGPRsForWavesPerEU: 24
; Occupancy: 16
; WaveLimiterHint : 0
; COMPUTE_PGM_RSRC2:SCRATCH_EN: 0
; COMPUTE_PGM_RSRC2:USER_SGPR: 6
; COMPUTE_PGM_RSRC2:TRAP_HANDLER: 0
; COMPUTE_PGM_RSRC2:TGID_X_EN: 1
; COMPUTE_PGM_RSRC2:TGID_Y_EN: 0
; COMPUTE_PGM_RSRC2:TGID_Z_EN: 0
; COMPUTE_PGM_RSRC2:TIDIG_COMP_CNT: 1
	.section	.text._ZN12_GLOBAL__N_120softmax_warp_forwardIN3c108BFloat16ES2_fLi7ELb1ELb0ELi64EEEvPT0_PKT_iiiPKbib,"axG",@progbits,_ZN12_GLOBAL__N_120softmax_warp_forwardIN3c108BFloat16ES2_fLi7ELb1ELb0ELi64EEEvPT0_PKT_iiiPKbib,comdat
	.globl	_ZN12_GLOBAL__N_120softmax_warp_forwardIN3c108BFloat16ES2_fLi7ELb1ELb0ELi64EEEvPT0_PKT_iiiPKbib ; -- Begin function _ZN12_GLOBAL__N_120softmax_warp_forwardIN3c108BFloat16ES2_fLi7ELb1ELb0ELi64EEEvPT0_PKT_iiiPKbib
	.p2align	8
	.type	_ZN12_GLOBAL__N_120softmax_warp_forwardIN3c108BFloat16ES2_fLi7ELb1ELb0ELi64EEEvPT0_PKT_iiiPKbib,@function
_ZN12_GLOBAL__N_120softmax_warp_forwardIN3c108BFloat16ES2_fLi7ELb1ELb0ELi64EEEvPT0_PKT_iiiPKbib: ; @_ZN12_GLOBAL__N_120softmax_warp_forwardIN3c108BFloat16ES2_fLi7ELb1ELb0ELi64EEEvPT0_PKT_iiiPKbib
; %bb.0:
	s_clause 0x1
	s_load_dword s0, s[4:5], 0x3c
	s_load_dwordx8 s[8:15], s[4:5], 0x0
	v_mov_b32_e32 v6, 0xff800000
	v_mov_b32_e32 v7, 0xff800000
	s_waitcnt lgkmcnt(0)
	s_lshr_b32 s0, s0, 16
	v_cmp_gt_i32_e64 s1, s14, v0
	s_and_b32 s0, s0, 0xffff
	s_mul_i32 s6, s6, s0
	v_add_lshl_u32 v3, s6, v1, 1
	v_mad_u64_u32 v[1:2], null, v3, s13, v[0:1]
	v_sub_nc_u32_e32 v5, s12, v3
	v_cmp_lt_i32_e32 vcc_lo, 0, v5
	v_ashrrev_i32_e32 v2, 31, v1
	s_and_b32 s2, vcc_lo, s1
	v_lshlrev_b64 v[1:2], 1, v[1:2]
	v_add_co_u32 v3, s0, s10, v1
	v_add_co_ci_u32_e64 v4, null, s11, v2, s0
	s_and_saveexec_b32 s0, s2
	s_cbranch_execz .LBB145_2
; %bb.1:
	global_load_ushort v7, v[3:4], off
	s_waitcnt vmcnt(0)
	v_lshlrev_b32_e32 v7, 16, v7
.LBB145_2:
	s_or_b32 exec_lo, exec_lo, s0
	v_add_nc_u32_e32 v0, 64, v0
	v_cmp_gt_i32_e64 s0, s14, v0
	s_and_b32 s3, vcc_lo, s0
	s_and_saveexec_b32 s2, s3
	s_cbranch_execz .LBB145_4
; %bb.3:
	global_load_ushort v0, v[3:4], off offset:128
	s_waitcnt vmcnt(0)
	v_lshlrev_b32_e32 v6, 16, v0
.LBB145_4:
	s_or_b32 exec_lo, exec_lo, s2
	v_cmp_lt_i32_e64 s2, 1, v5
	v_mov_b32_e32 v0, 0xff800000
	v_mov_b32_e32 v8, 0xff800000
	s_and_b32 s3, s2, s1
	s_and_saveexec_b32 s4, s3
	s_cbranch_execz .LBB145_6
; %bb.5:
	s_mov_b32 s15, 0
	s_lshl_b64 s[6:7], s[14:15], 1
	v_add_co_u32 v8, s3, v3, s6
	v_add_co_ci_u32_e64 v9, null, s7, v4, s3
	global_load_ushort v8, v[8:9], off
	s_waitcnt vmcnt(0)
	v_lshlrev_b32_e32 v8, 16, v8
.LBB145_6:
	s_or_b32 exec_lo, exec_lo, s4
	s_and_b32 s2, s2, s0
	s_and_saveexec_b32 s3, s2
	s_cbranch_execz .LBB145_8
; %bb.7:
	s_mov_b32 s15, 0
	s_lshl_b64 s[4:5], s[14:15], 1
	v_add_co_u32 v3, s2, v3, s4
	v_add_co_ci_u32_e64 v4, null, s5, v4, s2
	global_load_ushort v0, v[3:4], off offset:128
	s_waitcnt vmcnt(0)
	v_lshlrev_b32_e32 v0, 16, v0
.LBB145_8:
	s_or_b32 exec_lo, exec_lo, s3
	v_mbcnt_lo_u32_b32 v3, -1, 0
	v_or_b32_e32 v4, 32, v3
	v_xor_b32_e32 v13, 16, v3
	v_xor_b32_e32 v14, 8, v3
	;; [unrolled: 1-line block ×4, first 2 shown]
	v_cmp_gt_i32_e64 s2, 64, v4
	v_xor_b32_e32 v17, 1, v3
	v_cndmask_b32_e64 v4, v3, v4, s2
	v_cmp_gt_f32_e64 s2, v7, v6
	v_lshlrev_b32_e32 v10, 2, v4
	v_cndmask_b32_e64 v9, v6, v7, s2
	v_cmp_gt_f32_e64 s2, v8, v0
	ds_bpermute_b32 v11, v10, v9
	v_cndmask_b32_e64 v4, v0, v8, s2
	v_cmp_gt_i32_e64 s2, 64, v13
	ds_bpermute_b32 v12, v10, v4
	v_cndmask_b32_e64 v13, v3, v13, s2
	v_lshlrev_b32_e32 v13, 2, v13
	s_waitcnt lgkmcnt(1)
	v_cmp_lt_f32_e64 s2, v9, v11
	v_cndmask_b32_e64 v9, v9, v11, s2
	s_waitcnt lgkmcnt(0)
	v_cmp_lt_f32_e64 s2, v4, v12
	ds_bpermute_b32 v11, v13, v9
	v_cndmask_b32_e64 v4, v4, v12, s2
	v_cmp_gt_i32_e64 s2, 64, v14
	ds_bpermute_b32 v12, v13, v4
	v_cndmask_b32_e64 v14, v3, v14, s2
	v_lshlrev_b32_e32 v14, 2, v14
	s_waitcnt lgkmcnt(1)
	v_cmp_lt_f32_e64 s2, v9, v11
	v_cndmask_b32_e64 v9, v9, v11, s2
	s_waitcnt lgkmcnt(0)
	v_cmp_lt_f32_e64 s2, v4, v12
	;; [unrolled: 11-line block ×5, first 2 shown]
	ds_bpermute_b32 v9, v17, v3
	v_cndmask_b32_e64 v4, v4, v12, s2
	ds_bpermute_b32 v11, v17, v4
	s_waitcnt lgkmcnt(1)
	v_cmp_lt_f32_e64 s2, v3, v9
	v_cndmask_b32_e64 v3, v3, v9, s2
	s_waitcnt lgkmcnt(0)
	v_cmp_lt_f32_e64 s2, v4, v11
	v_sub_f32_e32 v7, v7, v3
	v_cndmask_b32_e64 v9, v4, v11, s2
	v_sub_f32_e32 v6, v6, v3
	v_cmp_ngt_f32_e64 s2, 0xc2ce8ed0, v7
	v_sub_f32_e32 v3, v0, v9
	v_mul_f32_e32 v0, 0x3fb8aa3b, v7
	v_sub_f32_e32 v4, v8, v9
	v_mul_f32_e32 v8, 0x3fb8aa3b, v6
	v_mul_f32_e32 v11, 0x3fb8aa3b, v3
	v_fma_f32 v12, 0x3fb8aa3b, v7, -v0
	v_rndne_f32_e32 v18, v0
	v_mul_f32_e32 v9, 0x3fb8aa3b, v4
	v_fma_f32 v19, 0x3fb8aa3b, v6, -v8
	v_rndne_f32_e32 v20, v8
	v_fmac_f32_e32 v12, 0x32a5705f, v7
	v_sub_f32_e32 v0, v0, v18
	v_fma_f32 v21, 0x3fb8aa3b, v4, -v9
	v_rndne_f32_e32 v22, v9
	v_fmac_f32_e32 v19, 0x32a5705f, v6
	v_sub_f32_e32 v8, v8, v20
	v_add_f32_e32 v0, v0, v12
	v_fma_f32 v23, 0x3fb8aa3b, v3, -v11
	v_rndne_f32_e32 v24, v11
	v_fmac_f32_e32 v21, 0x32a5705f, v4
	v_sub_f32_e32 v9, v9, v22
	v_add_f32_e32 v8, v8, v19
	v_exp_f32_e32 v0, v0
	v_fmac_f32_e32 v23, 0x32a5705f, v3
	v_sub_f32_e32 v11, v11, v24
	v_add_f32_e32 v9, v9, v21
	v_exp_f32_e32 v8, v8
	v_cvt_i32_f32_e32 v12, v18
	v_cvt_i32_f32_e32 v18, v20
	v_add_f32_e32 v11, v11, v23
	v_exp_f32_e32 v9, v9
	v_cvt_i32_f32_e32 v19, v22
	v_ldexp_f32 v0, v0, v12
	v_cvt_i32_f32_e32 v20, v24
	v_exp_f32_e32 v11, v11
	v_ldexp_f32 v8, v8, v18
	v_cndmask_b32_e64 v0, 0, v0, s2
	v_cmp_ngt_f32_e64 s2, 0xc2ce8ed0, v6
	v_ldexp_f32 v9, v9, v19
	v_cndmask_b32_e64 v8, 0, v8, s2
	v_cmp_ngt_f32_e64 s2, 0xc2ce8ed0, v4
	;; [unrolled: 3-line block ×3, first 2 shown]
	v_cndmask_b32_e64 v11, 0, v11, s2
	v_cmp_nlt_f32_e64 s2, 0x42b17218, v7
	v_cndmask_b32_e64 v0, 0x7f800000, v0, s2
	v_cmp_nlt_f32_e64 s2, 0x42b17218, v6
	;; [unrolled: 2-line block ×3, first 2 shown]
	v_add_f32_e32 v0, v0, v8
	v_cndmask_b32_e64 v9, 0x7f800000, v9, s2
	v_cmp_nlt_f32_e64 s2, 0x42b17218, v3
	v_cndmask_b32_e64 v11, 0x7f800000, v11, s2
	v_add_f32_e32 v8, v9, v11
	ds_bpermute_b32 v9, v10, v0
	ds_bpermute_b32 v10, v10, v8
	s_waitcnt lgkmcnt(1)
	v_add_f32_e32 v0, v0, v9
	s_waitcnt lgkmcnt(0)
	v_add_f32_e32 v8, v8, v10
	ds_bpermute_b32 v9, v13, v0
	ds_bpermute_b32 v10, v13, v8
	s_waitcnt lgkmcnt(1)
	v_add_f32_e32 v0, v0, v9
	s_waitcnt lgkmcnt(0)
	v_add_f32_e32 v8, v8, v10
	ds_bpermute_b32 v9, v14, v0
	ds_bpermute_b32 v10, v14, v8
	s_waitcnt lgkmcnt(1)
	v_add_f32_e32 v0, v0, v9
	s_waitcnt lgkmcnt(0)
	v_add_f32_e32 v8, v8, v10
	ds_bpermute_b32 v9, v15, v0
	ds_bpermute_b32 v10, v15, v8
	s_waitcnt lgkmcnt(1)
	v_add_f32_e32 v0, v0, v9
	s_waitcnt lgkmcnt(0)
	v_add_f32_e32 v8, v8, v10
	ds_bpermute_b32 v9, v16, v0
	ds_bpermute_b32 v11, v16, v8
	s_waitcnt lgkmcnt(1)
	v_add_f32_e32 v10, v0, v9
	s_waitcnt lgkmcnt(0)
	v_add_f32_e32 v8, v8, v11
	ds_bpermute_b32 v11, v17, v10
	ds_bpermute_b32 v9, v17, v8
	s_and_saveexec_b32 s2, vcc_lo
	s_cbranch_execz .LBB145_16
; %bb.9:
	v_add_co_u32 v0, vcc_lo, s8, v1
	v_add_co_ci_u32_e64 v1, null, s9, v2, vcc_lo
	s_and_saveexec_b32 s2, s1
	s_cbranch_execz .LBB145_12
; %bb.10:
	s_waitcnt lgkmcnt(1)
	v_add_f32_e32 v2, v10, v11
	v_cmp_gt_f32_e32 vcc_lo, 0x800000, v2
	v_cndmask_b32_e64 v10, 0, 32, vcc_lo
	v_cndmask_b32_e64 v11, 0, 0x41b17218, vcc_lo
	v_ldexp_f32 v2, v2, v10
	v_log_f32_e32 v2, v2
	v_mul_f32_e32 v10, 0x3f317217, v2
	v_cmp_gt_f32_e64 vcc_lo, 0x7f800000, |v2|
	v_fma_f32 v10, 0x3f317217, v2, -v10
	v_fmamk_f32 v10, v2, 0x3377d1cf, v10
	v_fmac_f32_e32 v10, 0x3f317217, v2
	v_cndmask_b32_e32 v2, v2, v10, vcc_lo
	v_sub_f32_e32 v2, v2, v11
	v_sub_f32_e32 v7, v7, v2
	v_bfe_u32 v10, v7, 16, 1
	v_cmp_o_f32_e32 vcc_lo, v7, v7
	v_add3_u32 v10, v7, v10, 0x7fff
	v_mov_b32_e32 v7, 0x7fc0
	v_cndmask_b32_sdwa v10, v7, v10, vcc_lo dst_sel:DWORD dst_unused:UNUSED_PAD src0_sel:DWORD src1_sel:WORD_1
	global_store_short v[0:1], v10, off
	s_and_b32 exec_lo, exec_lo, s0
	s_cbranch_execz .LBB145_12
; %bb.11:
	v_sub_f32_e32 v2, v6, v2
	v_bfe_u32 v6, v2, 16, 1
	v_cmp_o_f32_e32 vcc_lo, v2, v2
	v_add3_u32 v2, v2, v6, 0x7fff
	v_cndmask_b32_sdwa v2, v7, v2, vcc_lo dst_sel:DWORD dst_unused:UNUSED_PAD src0_sel:DWORD src1_sel:WORD_1
	global_store_short v[0:1], v2, off offset:128
.LBB145_12:
	s_or_b32 exec_lo, exec_lo, s2
	v_cmp_ne_u32_e32 vcc_lo, 1, v5
	s_and_b32 exec_lo, exec_lo, vcc_lo
	s_cbranch_execz .LBB145_16
; %bb.13:
	s_and_b32 exec_lo, exec_lo, s1
	s_cbranch_execz .LBB145_16
; %bb.14:
	s_waitcnt lgkmcnt(0)
	v_add_f32_e32 v2, v8, v9
	s_mov_b32 s15, 0
	s_lshl_b64 s[2:3], s[14:15], 1
	v_cmp_gt_f32_e32 vcc_lo, 0x800000, v2
	v_cndmask_b32_e64 v5, 0, 32, vcc_lo
	v_cndmask_b32_e64 v6, 0, 0x41b17218, vcc_lo
	v_ldexp_f32 v2, v2, v5
	v_log_f32_e32 v2, v2
	v_mul_f32_e32 v5, 0x3f317217, v2
	v_cmp_gt_f32_e64 vcc_lo, 0x7f800000, |v2|
	v_fma_f32 v5, 0x3f317217, v2, -v5
	v_fmamk_f32 v5, v2, 0x3377d1cf, v5
	v_fmac_f32_e32 v5, 0x3f317217, v2
	v_cndmask_b32_e32 v2, v2, v5, vcc_lo
	v_sub_f32_e32 v2, v2, v6
	v_sub_f32_e32 v5, v4, v2
	v_mov_b32_e32 v4, 0x7fc0
	v_bfe_u32 v6, v5, 16, 1
	v_cmp_o_f32_e32 vcc_lo, v5, v5
	v_add3_u32 v5, v5, v6, 0x7fff
	v_cndmask_b32_sdwa v5, v4, v5, vcc_lo dst_sel:DWORD dst_unused:UNUSED_PAD src0_sel:DWORD src1_sel:WORD_1
	v_add_co_u32 v0, vcc_lo, v0, s2
	v_add_co_ci_u32_e64 v1, null, s3, v1, vcc_lo
	global_store_short v[0:1], v5, off
	s_and_b32 exec_lo, exec_lo, s0
	s_cbranch_execz .LBB145_16
; %bb.15:
	v_sub_f32_e32 v2, v3, v2
	v_bfe_u32 v3, v2, 16, 1
	v_cmp_o_f32_e32 vcc_lo, v2, v2
	v_add3_u32 v2, v2, v3, 0x7fff
	v_cndmask_b32_sdwa v2, v4, v2, vcc_lo dst_sel:DWORD dst_unused:UNUSED_PAD src0_sel:DWORD src1_sel:WORD_1
	global_store_short v[0:1], v2, off offset:128
.LBB145_16:
	s_endpgm
	.section	.rodata,"a",@progbits
	.p2align	6, 0x0
	.amdhsa_kernel _ZN12_GLOBAL__N_120softmax_warp_forwardIN3c108BFloat16ES2_fLi7ELb1ELb0ELi64EEEvPT0_PKT_iiiPKbib
		.amdhsa_group_segment_fixed_size 0
		.amdhsa_private_segment_fixed_size 0
		.amdhsa_kernarg_size 304
		.amdhsa_user_sgpr_count 6
		.amdhsa_user_sgpr_private_segment_buffer 1
		.amdhsa_user_sgpr_dispatch_ptr 0
		.amdhsa_user_sgpr_queue_ptr 0
		.amdhsa_user_sgpr_kernarg_segment_ptr 1
		.amdhsa_user_sgpr_dispatch_id 0
		.amdhsa_user_sgpr_flat_scratch_init 0
		.amdhsa_user_sgpr_private_segment_size 0
		.amdhsa_wavefront_size32 1
		.amdhsa_uses_dynamic_stack 0
		.amdhsa_system_sgpr_private_segment_wavefront_offset 0
		.amdhsa_system_sgpr_workgroup_id_x 1
		.amdhsa_system_sgpr_workgroup_id_y 0
		.amdhsa_system_sgpr_workgroup_id_z 0
		.amdhsa_system_sgpr_workgroup_info 0
		.amdhsa_system_vgpr_workitem_id 1
		.amdhsa_next_free_vgpr 25
		.amdhsa_next_free_sgpr 16
		.amdhsa_reserve_vcc 1
		.amdhsa_reserve_flat_scratch 0
		.amdhsa_float_round_mode_32 0
		.amdhsa_float_round_mode_16_64 0
		.amdhsa_float_denorm_mode_32 3
		.amdhsa_float_denorm_mode_16_64 3
		.amdhsa_dx10_clamp 1
		.amdhsa_ieee_mode 1
		.amdhsa_fp16_overflow 0
		.amdhsa_workgroup_processor_mode 1
		.amdhsa_memory_ordered 1
		.amdhsa_forward_progress 1
		.amdhsa_shared_vgpr_count 0
		.amdhsa_exception_fp_ieee_invalid_op 0
		.amdhsa_exception_fp_denorm_src 0
		.amdhsa_exception_fp_ieee_div_zero 0
		.amdhsa_exception_fp_ieee_overflow 0
		.amdhsa_exception_fp_ieee_underflow 0
		.amdhsa_exception_fp_ieee_inexact 0
		.amdhsa_exception_int_div_zero 0
	.end_amdhsa_kernel
	.section	.text._ZN12_GLOBAL__N_120softmax_warp_forwardIN3c108BFloat16ES2_fLi7ELb1ELb0ELi64EEEvPT0_PKT_iiiPKbib,"axG",@progbits,_ZN12_GLOBAL__N_120softmax_warp_forwardIN3c108BFloat16ES2_fLi7ELb1ELb0ELi64EEEvPT0_PKT_iiiPKbib,comdat
.Lfunc_end145:
	.size	_ZN12_GLOBAL__N_120softmax_warp_forwardIN3c108BFloat16ES2_fLi7ELb1ELb0ELi64EEEvPT0_PKT_iiiPKbib, .Lfunc_end145-_ZN12_GLOBAL__N_120softmax_warp_forwardIN3c108BFloat16ES2_fLi7ELb1ELb0ELi64EEEvPT0_PKT_iiiPKbib
                                        ; -- End function
	.set _ZN12_GLOBAL__N_120softmax_warp_forwardIN3c108BFloat16ES2_fLi7ELb1ELb0ELi64EEEvPT0_PKT_iiiPKbib.num_vgpr, 25
	.set _ZN12_GLOBAL__N_120softmax_warp_forwardIN3c108BFloat16ES2_fLi7ELb1ELb0ELi64EEEvPT0_PKT_iiiPKbib.num_agpr, 0
	.set _ZN12_GLOBAL__N_120softmax_warp_forwardIN3c108BFloat16ES2_fLi7ELb1ELb0ELi64EEEvPT0_PKT_iiiPKbib.numbered_sgpr, 16
	.set _ZN12_GLOBAL__N_120softmax_warp_forwardIN3c108BFloat16ES2_fLi7ELb1ELb0ELi64EEEvPT0_PKT_iiiPKbib.num_named_barrier, 0
	.set _ZN12_GLOBAL__N_120softmax_warp_forwardIN3c108BFloat16ES2_fLi7ELb1ELb0ELi64EEEvPT0_PKT_iiiPKbib.private_seg_size, 0
	.set _ZN12_GLOBAL__N_120softmax_warp_forwardIN3c108BFloat16ES2_fLi7ELb1ELb0ELi64EEEvPT0_PKT_iiiPKbib.uses_vcc, 1
	.set _ZN12_GLOBAL__N_120softmax_warp_forwardIN3c108BFloat16ES2_fLi7ELb1ELb0ELi64EEEvPT0_PKT_iiiPKbib.uses_flat_scratch, 0
	.set _ZN12_GLOBAL__N_120softmax_warp_forwardIN3c108BFloat16ES2_fLi7ELb1ELb0ELi64EEEvPT0_PKT_iiiPKbib.has_dyn_sized_stack, 0
	.set _ZN12_GLOBAL__N_120softmax_warp_forwardIN3c108BFloat16ES2_fLi7ELb1ELb0ELi64EEEvPT0_PKT_iiiPKbib.has_recursion, 0
	.set _ZN12_GLOBAL__N_120softmax_warp_forwardIN3c108BFloat16ES2_fLi7ELb1ELb0ELi64EEEvPT0_PKT_iiiPKbib.has_indirect_call, 0
	.section	.AMDGPU.csdata,"",@progbits
; Kernel info:
; codeLenInByte = 1948
; TotalNumSgprs: 18
; NumVgprs: 25
; ScratchSize: 0
; MemoryBound: 0
; FloatMode: 240
; IeeeMode: 1
; LDSByteSize: 0 bytes/workgroup (compile time only)
; SGPRBlocks: 0
; VGPRBlocks: 3
; NumSGPRsForWavesPerEU: 18
; NumVGPRsForWavesPerEU: 25
; Occupancy: 16
; WaveLimiterHint : 0
; COMPUTE_PGM_RSRC2:SCRATCH_EN: 0
; COMPUTE_PGM_RSRC2:USER_SGPR: 6
; COMPUTE_PGM_RSRC2:TRAP_HANDLER: 0
; COMPUTE_PGM_RSRC2:TGID_X_EN: 1
; COMPUTE_PGM_RSRC2:TGID_Y_EN: 0
; COMPUTE_PGM_RSRC2:TGID_Z_EN: 0
; COMPUTE_PGM_RSRC2:TIDIG_COMP_CNT: 1
	.section	.text._ZN12_GLOBAL__N_120softmax_warp_forwardIN3c108BFloat16ES2_fLi7ELb1ELb0ELi32EEEvPT0_PKT_iiiPKbib,"axG",@progbits,_ZN12_GLOBAL__N_120softmax_warp_forwardIN3c108BFloat16ES2_fLi7ELb1ELb0ELi32EEEvPT0_PKT_iiiPKbib,comdat
	.globl	_ZN12_GLOBAL__N_120softmax_warp_forwardIN3c108BFloat16ES2_fLi7ELb1ELb0ELi32EEEvPT0_PKT_iiiPKbib ; -- Begin function _ZN12_GLOBAL__N_120softmax_warp_forwardIN3c108BFloat16ES2_fLi7ELb1ELb0ELi32EEEvPT0_PKT_iiiPKbib
	.p2align	8
	.type	_ZN12_GLOBAL__N_120softmax_warp_forwardIN3c108BFloat16ES2_fLi7ELb1ELb0ELi32EEEvPT0_PKT_iiiPKbib,@function
_ZN12_GLOBAL__N_120softmax_warp_forwardIN3c108BFloat16ES2_fLi7ELb1ELb0ELi32EEEvPT0_PKT_iiiPKbib: ; @_ZN12_GLOBAL__N_120softmax_warp_forwardIN3c108BFloat16ES2_fLi7ELb1ELb0ELi32EEEvPT0_PKT_iiiPKbib
; %bb.0:
	s_clause 0x1
	s_load_dword s0, s[4:5], 0x3c
	s_load_dwordx8 s[8:15], s[4:5], 0x0
	v_mov_b32_e32 v6, 0xff800000
	v_mov_b32_e32 v9, 0xff800000
	s_waitcnt lgkmcnt(0)
	s_lshr_b32 s0, s0, 16
	v_cmp_gt_i32_e64 s3, s14, v0
	s_and_b32 s0, s0, 0xffff
	s_mul_i32 s6, s6, s0
	v_add_lshl_u32 v3, s6, v1, 1
	v_mad_u64_u32 v[1:2], null, v3, s13, v[0:1]
	v_sub_nc_u32_e32 v5, s12, v3
	v_cmp_lt_i32_e32 vcc_lo, 0, v5
	v_ashrrev_i32_e32 v2, 31, v1
	s_and_b32 s1, vcc_lo, s3
	v_lshlrev_b64 v[1:2], 1, v[1:2]
	v_add_co_u32 v3, s0, s10, v1
	v_add_co_ci_u32_e64 v4, null, s11, v2, s0
	s_and_saveexec_b32 s0, s1
	s_cbranch_execz .LBB146_2
; %bb.1:
	global_load_ushort v7, v[3:4], off
	s_waitcnt vmcnt(0)
	v_lshlrev_b32_e32 v9, 16, v7
.LBB146_2:
	s_or_b32 exec_lo, exec_lo, s0
	v_add_nc_u32_e32 v7, 32, v0
	v_cmp_gt_i32_e64 s0, s14, v7
	s_and_b32 s2, vcc_lo, s0
	s_and_saveexec_b32 s1, s2
	s_cbranch_execz .LBB146_4
; %bb.3:
	global_load_ushort v6, v[3:4], off offset:64
	s_waitcnt vmcnt(0)
	v_lshlrev_b32_e32 v6, 16, v6
.LBB146_4:
	s_or_b32 exec_lo, exec_lo, s1
	v_add_nc_u32_e32 v7, 64, v0
	v_mov_b32_e32 v11, 0xff800000
	v_cmp_gt_i32_e64 s1, s14, v7
	v_mov_b32_e32 v7, 0xff800000
	s_and_b32 s4, vcc_lo, s1
	s_and_saveexec_b32 s2, s4
	s_cbranch_execz .LBB146_6
; %bb.5:
	global_load_ushort v8, v[3:4], off offset:128
	s_waitcnt vmcnt(0)
	v_lshlrev_b32_e32 v11, 16, v8
.LBB146_6:
	s_or_b32 exec_lo, exec_lo, s2
	v_add_nc_u32_e32 v0, 0x60, v0
	v_cmp_gt_i32_e64 s2, s14, v0
	s_and_b32 s5, vcc_lo, s2
	s_and_saveexec_b32 s4, s5
	s_cbranch_execz .LBB146_8
; %bb.7:
	global_load_ushort v0, v[3:4], off offset:192
	s_waitcnt vmcnt(0)
	v_lshlrev_b32_e32 v7, 16, v0
.LBB146_8:
	s_or_b32 exec_lo, exec_lo, s4
	v_cmp_lt_i32_e64 s4, 1, v5
	v_mov_b32_e32 v16, 0xff800000
	v_mov_b32_e32 v18, 0xff800000
	s_and_b32 s5, s4, s3
	s_and_saveexec_b32 s6, s5
	s_cbranch_execz .LBB146_10
; %bb.9:
	s_mov_b32 s15, 0
	s_lshl_b64 s[10:11], s[14:15], 1
	v_add_co_u32 v12, s5, v3, s10
	v_add_co_ci_u32_e64 v13, null, s11, v4, s5
	global_load_ushort v0, v[12:13], off
	s_waitcnt vmcnt(0)
	v_lshlrev_b32_e32 v18, 16, v0
.LBB146_10:
	s_or_b32 exec_lo, exec_lo, s6
	s_and_b32 s5, s4, s0
	s_and_saveexec_b32 s6, s5
	s_cbranch_execz .LBB146_12
; %bb.11:
	s_mov_b32 s15, 0
	s_lshl_b64 s[10:11], s[14:15], 1
	v_add_co_u32 v12, s5, v3, s10
	v_add_co_ci_u32_e64 v13, null, s11, v4, s5
	global_load_ushort v0, v[12:13], off offset:64
	s_waitcnt vmcnt(0)
	v_lshlrev_b32_e32 v16, 16, v0
.LBB146_12:
	s_or_b32 exec_lo, exec_lo, s6
	v_mov_b32_e32 v17, 0xff800000
	v_mov_b32_e32 v19, 0xff800000
	s_and_b32 s5, s4, s1
	s_and_saveexec_b32 s6, s5
	s_cbranch_execz .LBB146_14
; %bb.13:
	s_mov_b32 s15, 0
	s_lshl_b64 s[10:11], s[14:15], 1
	v_add_co_u32 v12, s5, v3, s10
	v_add_co_ci_u32_e64 v13, null, s11, v4, s5
	global_load_ushort v0, v[12:13], off offset:128
	s_waitcnt vmcnt(0)
	v_lshlrev_b32_e32 v19, 16, v0
.LBB146_14:
	s_or_b32 exec_lo, exec_lo, s6
	s_and_b32 s4, s4, s2
	s_and_saveexec_b32 s5, s4
	s_cbranch_execz .LBB146_16
; %bb.15:
	s_mov_b32 s15, 0
	s_lshl_b64 s[6:7], s[14:15], 1
	v_add_co_u32 v3, s4, v3, s6
	v_add_co_ci_u32_e64 v4, null, s7, v4, s4
	global_load_ushort v0, v[3:4], off offset:192
	s_waitcnt vmcnt(0)
	v_lshlrev_b32_e32 v17, 16, v0
.LBB146_16:
	s_or_b32 exec_lo, exec_lo, s5
	v_cmp_gt_f32_e64 s4, v9, v6
	v_mbcnt_lo_u32_b32 v3, -1, 0
	v_cndmask_b32_e64 v0, v6, v9, s4
	v_cmp_gt_f32_e64 s4, v18, v16
	v_xor_b32_e32 v4, 16, v3
	v_cndmask_b32_e64 v8, v16, v18, s4
	v_cmp_gt_f32_e64 s4, v0, v11
	v_cndmask_b32_e64 v0, v11, v0, s4
	v_cmp_gt_i32_e64 s4, 32, v4
	v_cndmask_b32_e64 v4, v3, v4, s4
	v_cmp_gt_f32_e64 s4, v8, v19
	v_cndmask_b32_e64 v8, v19, v8, s4
	v_cmp_gt_f32_e64 s4, v0, v7
	v_cndmask_b32_e64 v10, v7, v0, s4
	v_lshlrev_b32_e32 v0, 2, v4
	v_cmp_gt_f32_e64 s4, v8, v17
	ds_bpermute_b32 v12, v0, v10
	v_cndmask_b32_e64 v4, v17, v8, s4
	v_xor_b32_e32 v8, 8, v3
	ds_bpermute_b32 v13, v0, v4
	v_cmp_gt_i32_e64 s4, 32, v8
	v_cndmask_b32_e64 v8, v3, v8, s4
	v_lshlrev_b32_e32 v8, 2, v8
	s_waitcnt lgkmcnt(1)
	v_cmp_lt_f32_e64 s4, v10, v12
	v_cndmask_b32_e64 v10, v10, v12, s4
	s_waitcnt lgkmcnt(0)
	v_cmp_lt_f32_e64 s4, v4, v13
	ds_bpermute_b32 v12, v8, v10
	v_cndmask_b32_e64 v4, v4, v13, s4
	v_xor_b32_e32 v13, 4, v3
	ds_bpermute_b32 v14, v8, v4
	v_cmp_gt_i32_e64 s4, 32, v13
	v_cndmask_b32_e64 v13, v3, v13, s4
	v_lshlrev_b32_e32 v13, 2, v13
	s_waitcnt lgkmcnt(1)
	v_cmp_lt_f32_e64 s4, v10, v12
	v_cndmask_b32_e64 v10, v10, v12, s4
	s_waitcnt lgkmcnt(0)
	v_cmp_lt_f32_e64 s4, v4, v14
	;; [unrolled: 12-line block ×4, first 2 shown]
	ds_bpermute_b32 v10, v15, v3
	v_cndmask_b32_e64 v4, v4, v20, s4
	ds_bpermute_b32 v12, v15, v4
	s_waitcnt lgkmcnt(1)
	v_cmp_lt_f32_e64 s4, v3, v10
	v_cndmask_b32_e64 v3, v3, v10, s4
	s_waitcnt lgkmcnt(0)
	v_cmp_lt_f32_e64 s4, v4, v12
	v_sub_f32_e32 v10, v9, v3
	v_cndmask_b32_e64 v20, v4, v12, s4
	v_sub_f32_e32 v9, v6, v3
	v_sub_f32_e32 v11, v11, v3
	;; [unrolled: 1-line block ×3, first 2 shown]
	v_cmp_ngt_f32_e64 s4, 0xc2ce8ed0, v10
	v_sub_f32_e32 v3, v16, v20
	v_mul_f32_e32 v16, 0x3fb8aa3b, v10
	v_sub_f32_e32 v6, v17, v20
	v_mul_f32_e32 v17, 0x3fb8aa3b, v9
	;; [unrolled: 2-line block ×3, first 2 shown]
	v_fma_f32 v24, 0x3fb8aa3b, v10, -v16
	v_rndne_f32_e32 v25, v16
	v_fma_f32 v26, 0x3fb8aa3b, v9, -v17
	v_rndne_f32_e32 v27, v17
	v_sub_f32_e32 v4, v19, v20
	v_fmac_f32_e32 v24, 0x32a5705f, v10
	v_sub_f32_e32 v16, v16, v25
	v_mul_f32_e32 v19, 0x3fb8aa3b, v12
	v_fma_f32 v28, 0x3fb8aa3b, v11, -v18
	v_rndne_f32_e32 v29, v18
	v_fmac_f32_e32 v26, 0x32a5705f, v9
	v_sub_f32_e32 v17, v17, v27
	v_add_f32_e32 v16, v16, v24
	v_mul_f32_e32 v20, 0x3fb8aa3b, v7
	v_fma_f32 v30, 0x3fb8aa3b, v12, -v19
	v_rndne_f32_e32 v31, v19
	v_fmac_f32_e32 v28, 0x32a5705f, v11
	v_sub_f32_e32 v18, v18, v29
	v_add_f32_e32 v17, v17, v26
	v_exp_f32_e32 v16, v16
	v_mul_f32_e32 v21, 0x3fb8aa3b, v3
	v_fma_f32 v32, 0x3fb8aa3b, v7, -v20
	v_rndne_f32_e32 v33, v20
	v_cvt_i32_f32_e32 v25, v25
	v_fmac_f32_e32 v30, 0x32a5705f, v12
	v_sub_f32_e32 v19, v19, v31
	v_add_f32_e32 v18, v18, v28
	v_exp_f32_e32 v17, v17
	v_mul_f32_e32 v22, 0x3fb8aa3b, v4
	v_fma_f32 v34, 0x3fb8aa3b, v3, -v21
	v_rndne_f32_e32 v35, v21
	v_cvt_i32_f32_e32 v27, v27
	v_fmac_f32_e32 v32, 0x32a5705f, v7
	v_sub_f32_e32 v20, v20, v33
	v_add_f32_e32 v19, v19, v30
	v_exp_f32_e32 v18, v18
	v_ldexp_f32 v16, v16, v25
	v_mul_f32_e32 v23, 0x3fb8aa3b, v6
	v_fma_f32 v36, 0x3fb8aa3b, v4, -v22
	v_rndne_f32_e32 v37, v22
	v_cvt_i32_f32_e32 v29, v29
	v_fmac_f32_e32 v34, 0x32a5705f, v3
	v_sub_f32_e32 v21, v21, v35
	v_add_f32_e32 v20, v20, v32
	v_exp_f32_e32 v19, v19
	v_ldexp_f32 v17, v17, v27
	v_cndmask_b32_e64 v16, 0, v16, s4
	v_cmp_ngt_f32_e64 s4, 0xc2ce8ed0, v9
	v_fma_f32 v38, 0x3fb8aa3b, v6, -v23
	v_rndne_f32_e32 v39, v23
	v_cvt_i32_f32_e32 v31, v31
	v_fmac_f32_e32 v36, 0x32a5705f, v4
	v_sub_f32_e32 v22, v22, v37
	v_add_f32_e32 v21, v21, v34
	v_exp_f32_e32 v20, v20
	v_ldexp_f32 v18, v18, v29
	v_cndmask_b32_e64 v17, 0, v17, s4
	v_cmp_ngt_f32_e64 s4, 0xc2ce8ed0, v11
	v_cvt_i32_f32_e32 v33, v33
	v_fmac_f32_e32 v38, 0x32a5705f, v6
	v_sub_f32_e32 v23, v23, v39
	v_add_f32_e32 v22, v22, v36
	v_exp_f32_e32 v21, v21
	v_ldexp_f32 v19, v19, v31
	v_cndmask_b32_e64 v18, 0, v18, s4
	v_cmp_ngt_f32_e64 s4, 0xc2ce8ed0, v12
	v_cvt_i32_f32_e32 v35, v35
	v_add_f32_e32 v23, v23, v38
	v_exp_f32_e32 v22, v22
	v_ldexp_f32 v20, v20, v33
	v_cndmask_b32_e64 v19, 0, v19, s4
	v_cmp_ngt_f32_e64 s4, 0xc2ce8ed0, v7
	v_exp_f32_e32 v23, v23
	v_cvt_i32_f32_e32 v24, v37
	v_ldexp_f32 v21, v21, v35
	v_cvt_i32_f32_e32 v26, v39
	v_cndmask_b32_e64 v20, 0, v20, s4
	v_cmp_ngt_f32_e64 s4, 0xc2ce8ed0, v3
	v_ldexp_f32 v22, v22, v24
	v_cndmask_b32_e64 v21, 0, v21, s4
	v_cmp_ngt_f32_e64 s4, 0xc2ce8ed0, v4
	v_ldexp_f32 v23, v23, v26
	v_cndmask_b32_e64 v22, 0, v22, s4
	v_cmp_ngt_f32_e64 s4, 0xc2ce8ed0, v6
	v_cndmask_b32_e64 v23, 0, v23, s4
	v_cmp_nlt_f32_e64 s4, 0x42b17218, v10
	v_cndmask_b32_e64 v16, 0x7f800000, v16, s4
	v_cmp_nlt_f32_e64 s4, 0x42b17218, v9
	;; [unrolled: 2-line block ×3, first 2 shown]
	v_add_f32_e32 v16, v16, v17
	v_cndmask_b32_e64 v20, 0x7f800000, v20, s4
	v_cmp_nlt_f32_e64 s4, 0x42b17218, v3
	v_cndmask_b32_e64 v21, 0x7f800000, v21, s4
	v_cmp_nlt_f32_e64 s4, 0x42b17218, v11
	v_add_f32_e32 v17, v20, v21
	v_cndmask_b32_e64 v18, 0x7f800000, v18, s4
	v_cmp_nlt_f32_e64 s4, 0x42b17218, v4
	v_add_f32_e32 v16, v16, v18
	;; [unrolled: 3-line block ×4, first 2 shown]
	v_cndmask_b32_e64 v20, 0x7f800000, v23, s4
	ds_bpermute_b32 v18, v0, v16
	v_add_f32_e32 v17, v17, v20
	ds_bpermute_b32 v0, v0, v17
	s_waitcnt lgkmcnt(1)
	v_add_f32_e32 v16, v16, v18
	s_waitcnt lgkmcnt(0)
	v_add_f32_e32 v0, v17, v0
	ds_bpermute_b32 v17, v8, v16
	ds_bpermute_b32 v8, v8, v0
	s_waitcnt lgkmcnt(1)
	v_add_f32_e32 v16, v16, v17
	s_waitcnt lgkmcnt(0)
	v_add_f32_e32 v0, v0, v8
	ds_bpermute_b32 v8, v13, v16
	;; [unrolled: 6-line block ×4, first 2 shown]
	ds_bpermute_b32 v13, v15, v8
	s_and_saveexec_b32 s4, vcc_lo
	s_cbranch_execz .LBB146_28
; %bb.17:
	v_add_co_u32 v0, vcc_lo, s8, v1
	v_add_co_ci_u32_e64 v1, null, s9, v2, vcc_lo
	s_and_saveexec_b32 s4, s3
	s_cbranch_execz .LBB146_22
; %bb.18:
	s_waitcnt lgkmcnt(1)
	v_add_f32_e32 v2, v14, v16
	v_cmp_gt_f32_e32 vcc_lo, 0x800000, v2
	v_cndmask_b32_e64 v14, 0, 32, vcc_lo
	v_cndmask_b32_e64 v15, 0, 0x41b17218, vcc_lo
	v_ldexp_f32 v2, v2, v14
	v_log_f32_e32 v2, v2
	v_mul_f32_e32 v14, 0x3f317217, v2
	v_cmp_gt_f32_e64 vcc_lo, 0x7f800000, |v2|
	v_fma_f32 v14, 0x3f317217, v2, -v14
	v_fmamk_f32 v14, v2, 0x3377d1cf, v14
	v_fmac_f32_e32 v14, 0x3f317217, v2
	v_cndmask_b32_e32 v2, v2, v14, vcc_lo
	v_sub_f32_e32 v2, v2, v15
	v_sub_f32_e32 v10, v10, v2
	v_bfe_u32 v14, v10, 16, 1
	v_cmp_o_f32_e32 vcc_lo, v10, v10
	v_add3_u32 v14, v10, v14, 0x7fff
	v_mov_b32_e32 v10, 0x7fc0
	v_cndmask_b32_sdwa v14, v10, v14, vcc_lo dst_sel:DWORD dst_unused:UNUSED_PAD src0_sel:DWORD src1_sel:WORD_1
	global_store_short v[0:1], v14, off
	s_and_b32 exec_lo, exec_lo, s0
	s_cbranch_execz .LBB146_22
; %bb.19:
	v_sub_f32_e32 v9, v9, v2
	v_bfe_u32 v14, v9, 16, 1
	v_cmp_o_f32_e32 vcc_lo, v9, v9
	v_add3_u32 v9, v9, v14, 0x7fff
	v_cndmask_b32_sdwa v9, v10, v9, vcc_lo dst_sel:DWORD dst_unused:UNUSED_PAD src0_sel:DWORD src1_sel:WORD_1
	global_store_short v[0:1], v9, off offset:64
	s_and_b32 exec_lo, exec_lo, s1
	s_cbranch_execz .LBB146_22
; %bb.20:
	v_sub_f32_e32 v9, v11, v2
	v_bfe_u32 v10, v9, 16, 1
	v_cmp_o_f32_e32 vcc_lo, v9, v9
	v_add3_u32 v10, v9, v10, 0x7fff
	v_mov_b32_e32 v9, 0x7fc0
	v_cndmask_b32_sdwa v10, v9, v10, vcc_lo dst_sel:DWORD dst_unused:UNUSED_PAD src0_sel:DWORD src1_sel:WORD_1
	global_store_short v[0:1], v10, off offset:128
	s_and_b32 exec_lo, exec_lo, s2
	s_cbranch_execz .LBB146_22
; %bb.21:
	v_sub_f32_e32 v2, v12, v2
	v_bfe_u32 v10, v2, 16, 1
	v_cmp_o_f32_e32 vcc_lo, v2, v2
	v_add3_u32 v2, v2, v10, 0x7fff
	v_cndmask_b32_sdwa v2, v9, v2, vcc_lo dst_sel:DWORD dst_unused:UNUSED_PAD src0_sel:DWORD src1_sel:WORD_1
	global_store_short v[0:1], v2, off offset:192
.LBB146_22:
	s_or_b32 exec_lo, exec_lo, s4
	v_cmp_ne_u32_e32 vcc_lo, 1, v5
	s_and_b32 exec_lo, exec_lo, vcc_lo
	s_cbranch_execz .LBB146_28
; %bb.23:
	s_and_b32 exec_lo, exec_lo, s3
	s_cbranch_execz .LBB146_28
; %bb.24:
	s_waitcnt lgkmcnt(0)
	v_add_f32_e32 v2, v8, v13
	s_mov_b32 s15, 0
	s_lshl_b64 s[4:5], s[14:15], 1
	v_cmp_gt_f32_e32 vcc_lo, 0x800000, v2
	v_cndmask_b32_e64 v5, 0, 32, vcc_lo
	v_cndmask_b32_e64 v8, 0, 0x41b17218, vcc_lo
	v_ldexp_f32 v2, v2, v5
	v_log_f32_e32 v2, v2
	v_mul_f32_e32 v5, 0x3f317217, v2
	v_cmp_gt_f32_e64 vcc_lo, 0x7f800000, |v2|
	v_fma_f32 v5, 0x3f317217, v2, -v5
	v_fmamk_f32 v5, v2, 0x3377d1cf, v5
	v_fmac_f32_e32 v5, 0x3f317217, v2
	v_cndmask_b32_e32 v2, v2, v5, vcc_lo
	v_mov_b32_e32 v5, 0x7fc0
	v_sub_f32_e32 v2, v2, v8
	v_sub_f32_e32 v7, v7, v2
	v_bfe_u32 v8, v7, 16, 1
	v_cmp_o_f32_e32 vcc_lo, v7, v7
	v_add3_u32 v7, v7, v8, 0x7fff
	v_cndmask_b32_sdwa v7, v5, v7, vcc_lo dst_sel:DWORD dst_unused:UNUSED_PAD src0_sel:DWORD src1_sel:WORD_1
	v_add_co_u32 v0, vcc_lo, v0, s4
	v_add_co_ci_u32_e64 v1, null, s5, v1, vcc_lo
	global_store_short v[0:1], v7, off
	s_and_b32 exec_lo, exec_lo, s0
	s_cbranch_execz .LBB146_28
; %bb.25:
	v_sub_f32_e32 v3, v3, v2
	v_bfe_u32 v7, v3, 16, 1
	v_cmp_o_f32_e32 vcc_lo, v3, v3
	v_add3_u32 v3, v3, v7, 0x7fff
	v_cndmask_b32_sdwa v3, v5, v3, vcc_lo dst_sel:DWORD dst_unused:UNUSED_PAD src0_sel:DWORD src1_sel:WORD_1
	global_store_short v[0:1], v3, off offset:64
	s_and_b32 exec_lo, exec_lo, s1
	s_cbranch_execz .LBB146_28
; %bb.26:
	v_sub_f32_e32 v3, v4, v2
	v_bfe_u32 v4, v3, 16, 1
	v_cmp_o_f32_e32 vcc_lo, v3, v3
	v_add3_u32 v4, v3, v4, 0x7fff
	v_mov_b32_e32 v3, 0x7fc0
	v_cndmask_b32_sdwa v4, v3, v4, vcc_lo dst_sel:DWORD dst_unused:UNUSED_PAD src0_sel:DWORD src1_sel:WORD_1
	global_store_short v[0:1], v4, off offset:128
	s_and_b32 exec_lo, exec_lo, s2
	s_cbranch_execz .LBB146_28
; %bb.27:
	v_sub_f32_e32 v2, v6, v2
	v_bfe_u32 v4, v2, 16, 1
	v_cmp_o_f32_e32 vcc_lo, v2, v2
	v_add3_u32 v2, v2, v4, 0x7fff
	v_cndmask_b32_sdwa v2, v3, v2, vcc_lo dst_sel:DWORD dst_unused:UNUSED_PAD src0_sel:DWORD src1_sel:WORD_1
	global_store_short v[0:1], v2, off offset:192
.LBB146_28:
	s_endpgm
	.section	.rodata,"a",@progbits
	.p2align	6, 0x0
	.amdhsa_kernel _ZN12_GLOBAL__N_120softmax_warp_forwardIN3c108BFloat16ES2_fLi7ELb1ELb0ELi32EEEvPT0_PKT_iiiPKbib
		.amdhsa_group_segment_fixed_size 0
		.amdhsa_private_segment_fixed_size 0
		.amdhsa_kernarg_size 304
		.amdhsa_user_sgpr_count 6
		.amdhsa_user_sgpr_private_segment_buffer 1
		.amdhsa_user_sgpr_dispatch_ptr 0
		.amdhsa_user_sgpr_queue_ptr 0
		.amdhsa_user_sgpr_kernarg_segment_ptr 1
		.amdhsa_user_sgpr_dispatch_id 0
		.amdhsa_user_sgpr_flat_scratch_init 0
		.amdhsa_user_sgpr_private_segment_size 0
		.amdhsa_wavefront_size32 1
		.amdhsa_uses_dynamic_stack 0
		.amdhsa_system_sgpr_private_segment_wavefront_offset 0
		.amdhsa_system_sgpr_workgroup_id_x 1
		.amdhsa_system_sgpr_workgroup_id_y 0
		.amdhsa_system_sgpr_workgroup_id_z 0
		.amdhsa_system_sgpr_workgroup_info 0
		.amdhsa_system_vgpr_workitem_id 1
		.amdhsa_next_free_vgpr 40
		.amdhsa_next_free_sgpr 16
		.amdhsa_reserve_vcc 1
		.amdhsa_reserve_flat_scratch 0
		.amdhsa_float_round_mode_32 0
		.amdhsa_float_round_mode_16_64 0
		.amdhsa_float_denorm_mode_32 3
		.amdhsa_float_denorm_mode_16_64 3
		.amdhsa_dx10_clamp 1
		.amdhsa_ieee_mode 1
		.amdhsa_fp16_overflow 0
		.amdhsa_workgroup_processor_mode 1
		.amdhsa_memory_ordered 1
		.amdhsa_forward_progress 1
		.amdhsa_shared_vgpr_count 0
		.amdhsa_exception_fp_ieee_invalid_op 0
		.amdhsa_exception_fp_denorm_src 0
		.amdhsa_exception_fp_ieee_div_zero 0
		.amdhsa_exception_fp_ieee_overflow 0
		.amdhsa_exception_fp_ieee_underflow 0
		.amdhsa_exception_fp_ieee_inexact 0
		.amdhsa_exception_int_div_zero 0
	.end_amdhsa_kernel
	.section	.text._ZN12_GLOBAL__N_120softmax_warp_forwardIN3c108BFloat16ES2_fLi7ELb1ELb0ELi32EEEvPT0_PKT_iiiPKbib,"axG",@progbits,_ZN12_GLOBAL__N_120softmax_warp_forwardIN3c108BFloat16ES2_fLi7ELb1ELb0ELi32EEEvPT0_PKT_iiiPKbib,comdat
.Lfunc_end146:
	.size	_ZN12_GLOBAL__N_120softmax_warp_forwardIN3c108BFloat16ES2_fLi7ELb1ELb0ELi32EEEvPT0_PKT_iiiPKbib, .Lfunc_end146-_ZN12_GLOBAL__N_120softmax_warp_forwardIN3c108BFloat16ES2_fLi7ELb1ELb0ELi32EEEvPT0_PKT_iiiPKbib
                                        ; -- End function
	.set _ZN12_GLOBAL__N_120softmax_warp_forwardIN3c108BFloat16ES2_fLi7ELb1ELb0ELi32EEEvPT0_PKT_iiiPKbib.num_vgpr, 40
	.set _ZN12_GLOBAL__N_120softmax_warp_forwardIN3c108BFloat16ES2_fLi7ELb1ELb0ELi32EEEvPT0_PKT_iiiPKbib.num_agpr, 0
	.set _ZN12_GLOBAL__N_120softmax_warp_forwardIN3c108BFloat16ES2_fLi7ELb1ELb0ELi32EEEvPT0_PKT_iiiPKbib.numbered_sgpr, 16
	.set _ZN12_GLOBAL__N_120softmax_warp_forwardIN3c108BFloat16ES2_fLi7ELb1ELb0ELi32EEEvPT0_PKT_iiiPKbib.num_named_barrier, 0
	.set _ZN12_GLOBAL__N_120softmax_warp_forwardIN3c108BFloat16ES2_fLi7ELb1ELb0ELi32EEEvPT0_PKT_iiiPKbib.private_seg_size, 0
	.set _ZN12_GLOBAL__N_120softmax_warp_forwardIN3c108BFloat16ES2_fLi7ELb1ELb0ELi32EEEvPT0_PKT_iiiPKbib.uses_vcc, 1
	.set _ZN12_GLOBAL__N_120softmax_warp_forwardIN3c108BFloat16ES2_fLi7ELb1ELb0ELi32EEEvPT0_PKT_iiiPKbib.uses_flat_scratch, 0
	.set _ZN12_GLOBAL__N_120softmax_warp_forwardIN3c108BFloat16ES2_fLi7ELb1ELb0ELi32EEEvPT0_PKT_iiiPKbib.has_dyn_sized_stack, 0
	.set _ZN12_GLOBAL__N_120softmax_warp_forwardIN3c108BFloat16ES2_fLi7ELb1ELb0ELi32EEEvPT0_PKT_iiiPKbib.has_recursion, 0
	.set _ZN12_GLOBAL__N_120softmax_warp_forwardIN3c108BFloat16ES2_fLi7ELb1ELb0ELi32EEEvPT0_PKT_iiiPKbib.has_indirect_call, 0
	.section	.AMDGPU.csdata,"",@progbits
; Kernel info:
; codeLenInByte = 2792
; TotalNumSgprs: 18
; NumVgprs: 40
; ScratchSize: 0
; MemoryBound: 0
; FloatMode: 240
; IeeeMode: 1
; LDSByteSize: 0 bytes/workgroup (compile time only)
; SGPRBlocks: 0
; VGPRBlocks: 4
; NumSGPRsForWavesPerEU: 18
; NumVGPRsForWavesPerEU: 40
; Occupancy: 16
; WaveLimiterHint : 0
; COMPUTE_PGM_RSRC2:SCRATCH_EN: 0
; COMPUTE_PGM_RSRC2:USER_SGPR: 6
; COMPUTE_PGM_RSRC2:TRAP_HANDLER: 0
; COMPUTE_PGM_RSRC2:TGID_X_EN: 1
; COMPUTE_PGM_RSRC2:TGID_Y_EN: 0
; COMPUTE_PGM_RSRC2:TGID_Z_EN: 0
; COMPUTE_PGM_RSRC2:TIDIG_COMP_CNT: 1
	.section	.text._ZN12_GLOBAL__N_120softmax_warp_forwardIN3c108BFloat16ES2_fLi8ELb1ELb0ELi64EEEvPT0_PKT_iiiPKbib,"axG",@progbits,_ZN12_GLOBAL__N_120softmax_warp_forwardIN3c108BFloat16ES2_fLi8ELb1ELb0ELi64EEEvPT0_PKT_iiiPKbib,comdat
	.globl	_ZN12_GLOBAL__N_120softmax_warp_forwardIN3c108BFloat16ES2_fLi8ELb1ELb0ELi64EEEvPT0_PKT_iiiPKbib ; -- Begin function _ZN12_GLOBAL__N_120softmax_warp_forwardIN3c108BFloat16ES2_fLi8ELb1ELb0ELi64EEEvPT0_PKT_iiiPKbib
	.p2align	8
	.type	_ZN12_GLOBAL__N_120softmax_warp_forwardIN3c108BFloat16ES2_fLi8ELb1ELb0ELi64EEEvPT0_PKT_iiiPKbib,@function
_ZN12_GLOBAL__N_120softmax_warp_forwardIN3c108BFloat16ES2_fLi8ELb1ELb0ELi64EEEvPT0_PKT_iiiPKbib: ; @_ZN12_GLOBAL__N_120softmax_warp_forwardIN3c108BFloat16ES2_fLi8ELb1ELb0ELi64EEEvPT0_PKT_iiiPKbib
; %bb.0:
	s_clause 0x1
	s_load_dword s0, s[4:5], 0x3c
	s_load_dwordx8 s[8:15], s[4:5], 0x0
	v_mov_b32_e32 v6, 0xff800000
	v_mov_b32_e32 v8, 0xff800000
	s_waitcnt lgkmcnt(0)
	s_lshr_b32 s0, s0, 16
	v_cmp_gt_i32_e32 vcc_lo, s14, v0
	v_mad_u64_u32 v[1:2], null, s6, s0, v[1:2]
	v_mad_u64_u32 v[2:3], null, v1, s13, v[0:1]
	v_sub_nc_u32_e32 v5, s12, v1
	v_cmp_lt_i32_e64 s3, 0, v5
	v_ashrrev_i32_e32 v3, 31, v2
	s_and_b32 s1, s3, vcc_lo
	v_lshlrev_b64 v[1:2], 1, v[2:3]
	v_add_co_u32 v3, s0, s10, v1
	v_add_co_ci_u32_e64 v4, null, s11, v2, s0
	s_and_saveexec_b32 s0, s1
	s_cbranch_execz .LBB147_2
; %bb.1:
	global_load_ushort v7, v[3:4], off
	s_waitcnt vmcnt(0)
	v_lshlrev_b32_e32 v8, 16, v7
.LBB147_2:
	s_or_b32 exec_lo, exec_lo, s0
	v_add_nc_u32_e32 v7, 64, v0
	v_cmp_gt_i32_e64 s0, s14, v7
	s_and_b32 s2, s3, s0
	s_and_saveexec_b32 s1, s2
	s_cbranch_execz .LBB147_4
; %bb.3:
	global_load_ushort v6, v[3:4], off offset:128
	s_waitcnt vmcnt(0)
	v_lshlrev_b32_e32 v6, 16, v6
.LBB147_4:
	s_or_b32 exec_lo, exec_lo, s1
	v_add_nc_u32_e32 v7, 0x80, v0
	v_mov_b32_e32 v9, 0xff800000
	v_cmp_gt_i32_e64 s1, s14, v7
	v_mov_b32_e32 v7, 0xff800000
	s_and_b32 s4, s3, s1
	s_and_saveexec_b32 s2, s4
	s_cbranch_execz .LBB147_6
; %bb.5:
	global_load_ushort v9, v[3:4], off offset:256
	s_waitcnt vmcnt(0)
	v_lshlrev_b32_e32 v9, 16, v9
.LBB147_6:
	s_or_b32 exec_lo, exec_lo, s2
	v_add_nc_u32_e32 v0, 0xc0, v0
	v_cmp_gt_i32_e64 s2, s14, v0
	s_and_b32 s4, s3, s2
	s_and_saveexec_b32 s3, s4
	s_cbranch_execz .LBB147_8
; %bb.7:
	global_load_ushort v0, v[3:4], off offset:384
	s_waitcnt vmcnt(0)
	v_lshlrev_b32_e32 v7, 16, v0
.LBB147_8:
	s_or_b32 exec_lo, exec_lo, s3
	v_cmp_gt_f32_e64 s3, v8, v6
	v_mbcnt_lo_u32_b32 v0, -1, 0
	s_mov_b32 s4, exec_lo
	v_cndmask_b32_e64 v3, v6, v8, s3
	v_or_b32_e32 v4, 32, v0
	v_xor_b32_e32 v11, 16, v0
	v_xor_b32_e32 v12, 8, v0
	;; [unrolled: 1-line block ×3, first 2 shown]
	v_cmp_gt_f32_e64 s3, v3, v9
	v_xor_b32_e32 v14, 2, v0
	v_xor_b32_e32 v15, 1, v0
	v_cndmask_b32_e64 v3, v9, v3, s3
	v_cmp_gt_i32_e64 s3, 64, v4
	v_cndmask_b32_e64 v4, v0, v4, s3
	v_cmp_gt_f32_e64 s3, v3, v7
	v_lshlrev_b32_e32 v10, 2, v4
	v_cndmask_b32_e64 v3, v7, v3, s3
	v_cmp_gt_i32_e64 s3, 64, v11
	ds_bpermute_b32 v4, v10, v3
	v_cndmask_b32_e64 v11, v0, v11, s3
	v_lshlrev_b32_e32 v11, 2, v11
	s_waitcnt lgkmcnt(0)
	v_cmp_lt_f32_e64 s3, v3, v4
	v_cndmask_b32_e64 v3, v3, v4, s3
	v_cmp_gt_i32_e64 s3, 64, v12
	ds_bpermute_b32 v4, v11, v3
	v_cndmask_b32_e64 v12, v0, v12, s3
	v_lshlrev_b32_e32 v12, 2, v12
	s_waitcnt lgkmcnt(0)
	v_cmp_lt_f32_e64 s3, v3, v4
	;; [unrolled: 7-line block ×5, first 2 shown]
	v_cndmask_b32_e64 v0, v3, v4, s3
	ds_bpermute_b32 v3, v15, v0
	s_waitcnt lgkmcnt(0)
	v_cmp_lt_f32_e64 s3, v0, v3
	v_cndmask_b32_e64 v16, v0, v3, s3
	v_sub_f32_e32 v0, v8, v16
	v_sub_f32_e32 v3, v6, v16
	;; [unrolled: 1-line block ×4, first 2 shown]
	v_mul_f32_e32 v7, 0x3fb8aa3b, v0
	v_mul_f32_e32 v8, 0x3fb8aa3b, v3
	;; [unrolled: 1-line block ×4, first 2 shown]
	v_cmp_ngt_f32_e64 s3, 0xc2ce8ed0, v0
	v_fma_f32 v17, 0x3fb8aa3b, v0, -v7
	v_rndne_f32_e32 v18, v7
	v_fma_f32 v19, 0x3fb8aa3b, v3, -v8
	v_rndne_f32_e32 v20, v8
	v_fma_f32 v21, 0x3fb8aa3b, v4, -v9
	v_fmac_f32_e32 v17, 0x32a5705f, v0
	v_sub_f32_e32 v7, v7, v18
	v_rndne_f32_e32 v22, v9
	v_fmac_f32_e32 v19, 0x32a5705f, v3
	v_sub_f32_e32 v8, v8, v20
	v_fmac_f32_e32 v21, 0x32a5705f, v4
	v_add_f32_e32 v7, v7, v17
	v_sub_f32_e32 v9, v9, v22
	v_cvt_i32_f32_e32 v18, v18
	v_add_f32_e32 v8, v8, v19
	v_cvt_i32_f32_e32 v19, v20
	v_exp_f32_e32 v7, v7
	v_add_f32_e32 v9, v9, v21
	v_fma_f32 v23, 0x3fb8aa3b, v6, -v16
	v_exp_f32_e32 v8, v8
	v_rndne_f32_e32 v17, v16
	v_cvt_i32_f32_e32 v20, v22
	v_exp_f32_e32 v9, v9
	v_fmac_f32_e32 v23, 0x32a5705f, v6
	v_sub_f32_e32 v16, v16, v17
	v_ldexp_f32 v7, v7, v18
	v_cvt_i32_f32_e32 v17, v17
	v_ldexp_f32 v8, v8, v19
	v_add_f32_e32 v16, v16, v23
	v_cndmask_b32_e64 v7, 0, v7, s3
	v_cmp_ngt_f32_e64 s3, 0xc2ce8ed0, v3
	v_ldexp_f32 v9, v9, v20
	v_exp_f32_e32 v16, v16
	v_cndmask_b32_e64 v8, 0, v8, s3
	v_cmp_ngt_f32_e64 s3, 0xc2ce8ed0, v4
	v_cndmask_b32_e64 v9, 0, v9, s3
	v_cmp_nlt_f32_e64 s3, 0x42b17218, v0
	v_ldexp_f32 v16, v16, v17
	v_cndmask_b32_e64 v7, 0x7f800000, v7, s3
	v_cmp_nlt_f32_e64 s3, 0x42b17218, v3
	v_cndmask_b32_e64 v8, 0x7f800000, v8, s3
	v_cmp_nlt_f32_e64 s3, 0x42b17218, v4
	v_add_f32_e32 v7, v7, v8
	v_cndmask_b32_e64 v9, 0x7f800000, v9, s3
	v_cmp_ngt_f32_e64 s3, 0xc2ce8ed0, v6
	v_add_f32_e32 v7, v7, v9
	v_cndmask_b32_e64 v8, 0, v16, s3
	v_cmp_nlt_f32_e64 s3, 0x42b17218, v6
	v_cndmask_b32_e64 v8, 0x7f800000, v8, s3
	v_add_f32_e32 v7, v7, v8
	ds_bpermute_b32 v8, v10, v7
	s_waitcnt lgkmcnt(0)
	v_add_f32_e32 v7, v7, v8
	ds_bpermute_b32 v8, v11, v7
	s_waitcnt lgkmcnt(0)
	v_add_f32_e32 v7, v7, v8
	ds_bpermute_b32 v8, v12, v7
	s_waitcnt lgkmcnt(0)
	v_add_f32_e32 v7, v7, v8
	ds_bpermute_b32 v8, v13, v7
	s_waitcnt lgkmcnt(0)
	v_add_f32_e32 v7, v7, v8
	ds_bpermute_b32 v8, v14, v7
	s_waitcnt lgkmcnt(0)
	v_add_f32_e32 v7, v7, v8
	ds_bpermute_b32 v8, v15, v7
	v_cmpx_lt_i32_e32 0, v5
	s_cbranch_execz .LBB147_14
; %bb.9:
	s_and_b32 exec_lo, exec_lo, vcc_lo
	s_cbranch_execz .LBB147_14
; %bb.10:
	s_waitcnt lgkmcnt(0)
	v_add_f32_e32 v5, v7, v8
	v_cmp_gt_f32_e32 vcc_lo, 0x800000, v5
	v_cndmask_b32_e64 v7, 0, 32, vcc_lo
	v_cndmask_b32_e64 v8, 0, 0x41b17218, vcc_lo
	v_ldexp_f32 v5, v5, v7
	v_log_f32_e32 v5, v5
	v_mul_f32_e32 v7, 0x3f317217, v5
	v_cmp_gt_f32_e64 vcc_lo, 0x7f800000, |v5|
	v_fma_f32 v7, 0x3f317217, v5, -v7
	v_fmamk_f32 v7, v5, 0x3377d1cf, v7
	v_fmac_f32_e32 v7, 0x3f317217, v5
	v_cndmask_b32_e32 v5, v5, v7, vcc_lo
	v_mov_b32_e32 v7, 0x7fc0
	v_sub_f32_e32 v5, v5, v8
	v_sub_f32_e32 v0, v0, v5
	v_bfe_u32 v8, v0, 16, 1
	v_cmp_o_f32_e32 vcc_lo, v0, v0
	v_add3_u32 v8, v0, v8, 0x7fff
	v_add_co_u32 v0, s3, s8, v1
	v_add_co_ci_u32_e64 v1, null, s9, v2, s3
	v_cndmask_b32_sdwa v2, v7, v8, vcc_lo dst_sel:DWORD dst_unused:UNUSED_PAD src0_sel:DWORD src1_sel:WORD_1
	global_store_short v[0:1], v2, off
	s_and_b32 exec_lo, exec_lo, s0
	s_cbranch_execz .LBB147_14
; %bb.11:
	v_sub_f32_e32 v2, v3, v5
	v_bfe_u32 v3, v2, 16, 1
	v_cmp_o_f32_e32 vcc_lo, v2, v2
	v_add3_u32 v2, v2, v3, 0x7fff
	v_cndmask_b32_sdwa v2, v7, v2, vcc_lo dst_sel:DWORD dst_unused:UNUSED_PAD src0_sel:DWORD src1_sel:WORD_1
	global_store_short v[0:1], v2, off offset:128
	s_and_b32 exec_lo, exec_lo, s1
	s_cbranch_execz .LBB147_14
; %bb.12:
	v_sub_f32_e32 v2, v4, v5
	v_bfe_u32 v3, v2, 16, 1
	v_cmp_o_f32_e32 vcc_lo, v2, v2
	v_add3_u32 v3, v2, v3, 0x7fff
	v_mov_b32_e32 v2, 0x7fc0
	v_cndmask_b32_sdwa v3, v2, v3, vcc_lo dst_sel:DWORD dst_unused:UNUSED_PAD src0_sel:DWORD src1_sel:WORD_1
	global_store_short v[0:1], v3, off offset:256
	s_and_b32 exec_lo, exec_lo, s2
	s_cbranch_execz .LBB147_14
; %bb.13:
	v_sub_f32_e32 v3, v6, v5
	v_bfe_u32 v4, v3, 16, 1
	v_cmp_o_f32_e32 vcc_lo, v3, v3
	v_add3_u32 v3, v3, v4, 0x7fff
	v_cndmask_b32_sdwa v2, v2, v3, vcc_lo dst_sel:DWORD dst_unused:UNUSED_PAD src0_sel:DWORD src1_sel:WORD_1
	global_store_short v[0:1], v2, off offset:384
.LBB147_14:
	s_endpgm
	.section	.rodata,"a",@progbits
	.p2align	6, 0x0
	.amdhsa_kernel _ZN12_GLOBAL__N_120softmax_warp_forwardIN3c108BFloat16ES2_fLi8ELb1ELb0ELi64EEEvPT0_PKT_iiiPKbib
		.amdhsa_group_segment_fixed_size 0
		.amdhsa_private_segment_fixed_size 0
		.amdhsa_kernarg_size 304
		.amdhsa_user_sgpr_count 6
		.amdhsa_user_sgpr_private_segment_buffer 1
		.amdhsa_user_sgpr_dispatch_ptr 0
		.amdhsa_user_sgpr_queue_ptr 0
		.amdhsa_user_sgpr_kernarg_segment_ptr 1
		.amdhsa_user_sgpr_dispatch_id 0
		.amdhsa_user_sgpr_flat_scratch_init 0
		.amdhsa_user_sgpr_private_segment_size 0
		.amdhsa_wavefront_size32 1
		.amdhsa_uses_dynamic_stack 0
		.amdhsa_system_sgpr_private_segment_wavefront_offset 0
		.amdhsa_system_sgpr_workgroup_id_x 1
		.amdhsa_system_sgpr_workgroup_id_y 0
		.amdhsa_system_sgpr_workgroup_id_z 0
		.amdhsa_system_sgpr_workgroup_info 0
		.amdhsa_system_vgpr_workitem_id 1
		.amdhsa_next_free_vgpr 24
		.amdhsa_next_free_sgpr 16
		.amdhsa_reserve_vcc 1
		.amdhsa_reserve_flat_scratch 0
		.amdhsa_float_round_mode_32 0
		.amdhsa_float_round_mode_16_64 0
		.amdhsa_float_denorm_mode_32 3
		.amdhsa_float_denorm_mode_16_64 3
		.amdhsa_dx10_clamp 1
		.amdhsa_ieee_mode 1
		.amdhsa_fp16_overflow 0
		.amdhsa_workgroup_processor_mode 1
		.amdhsa_memory_ordered 1
		.amdhsa_forward_progress 1
		.amdhsa_shared_vgpr_count 0
		.amdhsa_exception_fp_ieee_invalid_op 0
		.amdhsa_exception_fp_denorm_src 0
		.amdhsa_exception_fp_ieee_div_zero 0
		.amdhsa_exception_fp_ieee_overflow 0
		.amdhsa_exception_fp_ieee_underflow 0
		.amdhsa_exception_fp_ieee_inexact 0
		.amdhsa_exception_int_div_zero 0
	.end_amdhsa_kernel
	.section	.text._ZN12_GLOBAL__N_120softmax_warp_forwardIN3c108BFloat16ES2_fLi8ELb1ELb0ELi64EEEvPT0_PKT_iiiPKbib,"axG",@progbits,_ZN12_GLOBAL__N_120softmax_warp_forwardIN3c108BFloat16ES2_fLi8ELb1ELb0ELi64EEEvPT0_PKT_iiiPKbib,comdat
.Lfunc_end147:
	.size	_ZN12_GLOBAL__N_120softmax_warp_forwardIN3c108BFloat16ES2_fLi8ELb1ELb0ELi64EEEvPT0_PKT_iiiPKbib, .Lfunc_end147-_ZN12_GLOBAL__N_120softmax_warp_forwardIN3c108BFloat16ES2_fLi8ELb1ELb0ELi64EEEvPT0_PKT_iiiPKbib
                                        ; -- End function
	.set _ZN12_GLOBAL__N_120softmax_warp_forwardIN3c108BFloat16ES2_fLi8ELb1ELb0ELi64EEEvPT0_PKT_iiiPKbib.num_vgpr, 24
	.set _ZN12_GLOBAL__N_120softmax_warp_forwardIN3c108BFloat16ES2_fLi8ELb1ELb0ELi64EEEvPT0_PKT_iiiPKbib.num_agpr, 0
	.set _ZN12_GLOBAL__N_120softmax_warp_forwardIN3c108BFloat16ES2_fLi8ELb1ELb0ELi64EEEvPT0_PKT_iiiPKbib.numbered_sgpr, 16
	.set _ZN12_GLOBAL__N_120softmax_warp_forwardIN3c108BFloat16ES2_fLi8ELb1ELb0ELi64EEEvPT0_PKT_iiiPKbib.num_named_barrier, 0
	.set _ZN12_GLOBAL__N_120softmax_warp_forwardIN3c108BFloat16ES2_fLi8ELb1ELb0ELi64EEEvPT0_PKT_iiiPKbib.private_seg_size, 0
	.set _ZN12_GLOBAL__N_120softmax_warp_forwardIN3c108BFloat16ES2_fLi8ELb1ELb0ELi64EEEvPT0_PKT_iiiPKbib.uses_vcc, 1
	.set _ZN12_GLOBAL__N_120softmax_warp_forwardIN3c108BFloat16ES2_fLi8ELb1ELb0ELi64EEEvPT0_PKT_iiiPKbib.uses_flat_scratch, 0
	.set _ZN12_GLOBAL__N_120softmax_warp_forwardIN3c108BFloat16ES2_fLi8ELb1ELb0ELi64EEEvPT0_PKT_iiiPKbib.has_dyn_sized_stack, 0
	.set _ZN12_GLOBAL__N_120softmax_warp_forwardIN3c108BFloat16ES2_fLi8ELb1ELb0ELi64EEEvPT0_PKT_iiiPKbib.has_recursion, 0
	.set _ZN12_GLOBAL__N_120softmax_warp_forwardIN3c108BFloat16ES2_fLi8ELb1ELb0ELi64EEEvPT0_PKT_iiiPKbib.has_indirect_call, 0
	.section	.AMDGPU.csdata,"",@progbits
; Kernel info:
; codeLenInByte = 1536
; TotalNumSgprs: 18
; NumVgprs: 24
; ScratchSize: 0
; MemoryBound: 0
; FloatMode: 240
; IeeeMode: 1
; LDSByteSize: 0 bytes/workgroup (compile time only)
; SGPRBlocks: 0
; VGPRBlocks: 2
; NumSGPRsForWavesPerEU: 18
; NumVGPRsForWavesPerEU: 24
; Occupancy: 16
; WaveLimiterHint : 0
; COMPUTE_PGM_RSRC2:SCRATCH_EN: 0
; COMPUTE_PGM_RSRC2:USER_SGPR: 6
; COMPUTE_PGM_RSRC2:TRAP_HANDLER: 0
; COMPUTE_PGM_RSRC2:TGID_X_EN: 1
; COMPUTE_PGM_RSRC2:TGID_Y_EN: 0
; COMPUTE_PGM_RSRC2:TGID_Z_EN: 0
; COMPUTE_PGM_RSRC2:TIDIG_COMP_CNT: 1
	.section	.text._ZN12_GLOBAL__N_120softmax_warp_forwardIN3c108BFloat16ES2_fLi8ELb1ELb0ELi32EEEvPT0_PKT_iiiPKbib,"axG",@progbits,_ZN12_GLOBAL__N_120softmax_warp_forwardIN3c108BFloat16ES2_fLi8ELb1ELb0ELi32EEEvPT0_PKT_iiiPKbib,comdat
	.globl	_ZN12_GLOBAL__N_120softmax_warp_forwardIN3c108BFloat16ES2_fLi8ELb1ELb0ELi32EEEvPT0_PKT_iiiPKbib ; -- Begin function _ZN12_GLOBAL__N_120softmax_warp_forwardIN3c108BFloat16ES2_fLi8ELb1ELb0ELi32EEEvPT0_PKT_iiiPKbib
	.p2align	8
	.type	_ZN12_GLOBAL__N_120softmax_warp_forwardIN3c108BFloat16ES2_fLi8ELb1ELb0ELi32EEEvPT0_PKT_iiiPKbib,@function
_ZN12_GLOBAL__N_120softmax_warp_forwardIN3c108BFloat16ES2_fLi8ELb1ELb0ELi32EEEvPT0_PKT_iiiPKbib: ; @_ZN12_GLOBAL__N_120softmax_warp_forwardIN3c108BFloat16ES2_fLi8ELb1ELb0ELi32EEEvPT0_PKT_iiiPKbib
; %bb.0:
	s_clause 0x1
	s_load_dword s0, s[4:5], 0x3c
	s_load_dwordx8 s[8:15], s[4:5], 0x0
	v_mov_b32_e32 v6, 0xff800000
	v_mov_b32_e32 v10, 0xff800000
	s_waitcnt lgkmcnt(0)
	s_lshr_b32 s0, s0, 16
	v_cmp_gt_i32_e32 vcc_lo, s14, v0
	v_mad_u64_u32 v[1:2], null, s6, s0, v[1:2]
	v_mad_u64_u32 v[2:3], null, v1, s13, v[0:1]
	v_sub_nc_u32_e32 v5, s12, v1
	v_cmp_lt_i32_e64 s7, 0, v5
	v_ashrrev_i32_e32 v3, 31, v2
	s_and_b32 s1, s7, vcc_lo
	v_lshlrev_b64 v[1:2], 1, v[2:3]
	v_add_co_u32 v3, s0, s10, v1
	v_add_co_ci_u32_e64 v4, null, s11, v2, s0
	s_and_saveexec_b32 s0, s1
	s_cbranch_execz .LBB148_2
; %bb.1:
	global_load_ushort v7, v[3:4], off
	s_waitcnt vmcnt(0)
	v_lshlrev_b32_e32 v10, 16, v7
.LBB148_2:
	s_or_b32 exec_lo, exec_lo, s0
	v_add_nc_u32_e32 v7, 32, v0
	v_cmp_gt_i32_e64 s0, s14, v7
	s_and_b32 s2, s7, s0
	s_and_saveexec_b32 s1, s2
	s_cbranch_execz .LBB148_4
; %bb.3:
	global_load_ushort v6, v[3:4], off offset:64
	s_waitcnt vmcnt(0)
	v_lshlrev_b32_e32 v6, 16, v6
.LBB148_4:
	s_or_b32 exec_lo, exec_lo, s1
	v_add_nc_u32_e32 v7, 64, v0
	v_mov_b32_e32 v13, 0xff800000
	v_cmp_gt_i32_e64 s1, s14, v7
	v_mov_b32_e32 v7, 0xff800000
	s_and_b32 s3, s7, s1
	s_and_saveexec_b32 s2, s3
	s_cbranch_execz .LBB148_6
; %bb.5:
	global_load_ushort v8, v[3:4], off offset:128
	s_waitcnt vmcnt(0)
	v_lshlrev_b32_e32 v13, 16, v8
.LBB148_6:
	s_or_b32 exec_lo, exec_lo, s2
	v_add_nc_u32_e32 v8, 0x60, v0
	v_cmp_gt_i32_e64 s2, s14, v8
	s_and_b32 s4, s7, s2
	s_and_saveexec_b32 s3, s4
	s_cbranch_execz .LBB148_8
; %bb.7:
	global_load_ushort v7, v[3:4], off offset:192
	s_waitcnt vmcnt(0)
	v_lshlrev_b32_e32 v7, 16, v7
.LBB148_8:
	s_or_b32 exec_lo, exec_lo, s3
	v_add_nc_u32_e32 v8, 0x80, v0
	v_mov_b32_e32 v14, 0xff800000
	v_cmp_gt_i32_e64 s3, s14, v8
	v_mov_b32_e32 v8, 0xff800000
	s_and_b32 s5, s7, s3
	s_and_saveexec_b32 s4, s5
	s_cbranch_execz .LBB148_10
; %bb.9:
	global_load_ushort v9, v[3:4], off offset:256
	s_waitcnt vmcnt(0)
	v_lshlrev_b32_e32 v14, 16, v9
.LBB148_10:
	s_or_b32 exec_lo, exec_lo, s4
	v_add_nc_u32_e32 v9, 0xa0, v0
	v_cmp_gt_i32_e64 s4, s14, v9
	s_and_b32 s6, s7, s4
	s_and_saveexec_b32 s5, s6
	s_cbranch_execz .LBB148_12
; %bb.11:
	global_load_ushort v8, v[3:4], off offset:320
	s_waitcnt vmcnt(0)
	v_lshlrev_b32_e32 v8, 16, v8
.LBB148_12:
	s_or_b32 exec_lo, exec_lo, s5
	v_add_nc_u32_e32 v9, 0xc0, v0
	v_mov_b32_e32 v11, 0xff800000
	v_mov_b32_e32 v15, 0xff800000
	v_cmp_gt_i32_e64 s5, s14, v9
	s_and_b32 s10, s7, s5
	s_and_saveexec_b32 s6, s10
	s_cbranch_execz .LBB148_14
; %bb.13:
	global_load_ushort v9, v[3:4], off offset:384
	s_waitcnt vmcnt(0)
	v_lshlrev_b32_e32 v15, 16, v9
.LBB148_14:
	s_or_b32 exec_lo, exec_lo, s6
	v_add_nc_u32_e32 v0, 0xe0, v0
	v_cmp_gt_i32_e64 s6, s14, v0
	s_and_b32 s10, s7, s6
	s_and_saveexec_b32 s7, s10
	s_cbranch_execz .LBB148_16
; %bb.15:
	global_load_ushort v0, v[3:4], off offset:448
	s_waitcnt vmcnt(0)
	v_lshlrev_b32_e32 v11, 16, v0
.LBB148_16:
	s_or_b32 exec_lo, exec_lo, s7
	v_cmp_gt_f32_e64 s7, v10, v6
	v_mbcnt_lo_u32_b32 v3, -1, 0
	s_mov_b32 s10, exec_lo
	v_cndmask_b32_e64 v0, v6, v10, s7
	v_xor_b32_e32 v4, 16, v3
	v_xor_b32_e32 v12, 8, v3
	;; [unrolled: 1-line block ×4, first 2 shown]
	v_cmp_gt_f32_e64 s7, v0, v13
	v_xor_b32_e32 v18, 1, v3
	v_cndmask_b32_e64 v0, v13, v0, s7
	v_cmp_gt_f32_e64 s7, v0, v7
	v_cndmask_b32_e64 v0, v7, v0, s7
	v_cmp_gt_f32_e64 s7, v0, v14
	;; [unrolled: 2-line block ×3, first 2 shown]
	v_cndmask_b32_e64 v0, v8, v0, s7
	v_cmp_gt_i32_e64 s7, 32, v4
	v_cndmask_b32_e64 v4, v3, v4, s7
	v_cmp_gt_f32_e64 s7, v0, v15
	v_lshlrev_b32_e32 v9, 2, v4
	v_cndmask_b32_e64 v0, v15, v0, s7
	v_cmp_gt_f32_e64 s7, v0, v11
	v_cndmask_b32_e64 v0, v11, v0, s7
	v_cmp_gt_i32_e64 s7, 32, v12
	ds_bpermute_b32 v4, v9, v0
	v_cndmask_b32_e64 v12, v3, v12, s7
	v_lshlrev_b32_e32 v12, 2, v12
	s_waitcnt lgkmcnt(0)
	v_cmp_lt_f32_e64 s7, v0, v4
	v_cndmask_b32_e64 v0, v0, v4, s7
	v_cmp_gt_i32_e64 s7, 32, v16
	ds_bpermute_b32 v4, v12, v0
	v_cndmask_b32_e64 v16, v3, v16, s7
	v_lshlrev_b32_e32 v16, 2, v16
	s_waitcnt lgkmcnt(0)
	v_cmp_lt_f32_e64 s7, v0, v4
	;; [unrolled: 7-line block ×4, first 2 shown]
	v_cndmask_b32_e64 v0, v0, v4, s7
	ds_bpermute_b32 v3, v18, v0
	s_waitcnt lgkmcnt(0)
	v_cmp_lt_f32_e64 s7, v0, v3
	v_cndmask_b32_e64 v19, v0, v3, s7
	v_sub_f32_e32 v0, v10, v19
	v_sub_f32_e32 v3, v6, v19
	;; [unrolled: 1-line block ×5, first 2 shown]
	v_mul_f32_e32 v13, 0x3fb8aa3b, v0
	v_mul_f32_e32 v14, 0x3fb8aa3b, v3
	v_sub_f32_e32 v10, v15, v19
	v_mul_f32_e32 v15, 0x3fb8aa3b, v4
	v_sub_f32_e32 v8, v8, v19
	v_fma_f32 v24, 0x3fb8aa3b, v0, -v13
	v_rndne_f32_e32 v25, v13
	v_fma_f32 v26, 0x3fb8aa3b, v3, -v14
	v_rndne_f32_e32 v27, v14
	v_fma_f32 v28, 0x3fb8aa3b, v4, -v15
	v_fmac_f32_e32 v24, 0x32a5705f, v0
	v_sub_f32_e32 v13, v13, v25
	v_rndne_f32_e32 v29, v15
	v_fmac_f32_e32 v26, 0x32a5705f, v3
	v_sub_f32_e32 v14, v14, v27
	v_fmac_f32_e32 v28, 0x32a5705f, v4
	v_add_f32_e32 v13, v13, v24
	v_sub_f32_e32 v15, v15, v29
	v_sub_f32_e32 v11, v11, v19
	v_add_f32_e32 v14, v14, v26
	v_mul_f32_e32 v19, 0x3fb8aa3b, v6
	v_exp_f32_e32 v13, v13
	v_cvt_i32_f32_e32 v25, v25
	v_add_f32_e32 v15, v15, v28
	v_exp_f32_e32 v14, v14
	v_fma_f32 v30, 0x3fb8aa3b, v6, -v19
	v_rndne_f32_e32 v31, v19
	v_cvt_i32_f32_e32 v27, v27
	v_exp_f32_e32 v15, v15
	v_cmp_ngt_f32_e64 s7, 0xc2ce8ed0, v0
	v_mul_f32_e32 v20, 0x3fb8aa3b, v7
	v_ldexp_f32 v13, v13, v25
	v_cvt_i32_f32_e32 v29, v29
	v_fmac_f32_e32 v30, 0x32a5705f, v6
	v_sub_f32_e32 v19, v19, v31
	v_ldexp_f32 v14, v14, v27
	v_cndmask_b32_e64 v13, 0, v13, s7
	v_cmp_ngt_f32_e64 s7, 0xc2ce8ed0, v3
	v_fma_f32 v32, 0x3fb8aa3b, v7, -v20
	v_rndne_f32_e32 v33, v20
	v_add_f32_e32 v19, v19, v30
	v_ldexp_f32 v15, v15, v29
	v_cndmask_b32_e64 v14, 0, v14, s7
	v_cmp_ngt_f32_e64 s7, 0xc2ce8ed0, v4
	v_mul_f32_e32 v21, 0x3fb8aa3b, v8
	v_fmac_f32_e32 v32, 0x32a5705f, v7
	v_sub_f32_e32 v20, v20, v33
	v_exp_f32_e32 v19, v19
	v_cndmask_b32_e64 v15, 0, v15, s7
	v_cmp_nlt_f32_e64 s7, 0x42b17218, v0
	v_fma_f32 v34, 0x3fb8aa3b, v8, -v21
	v_rndne_f32_e32 v35, v21
	v_cvt_i32_f32_e32 v31, v31
	v_add_f32_e32 v20, v20, v32
	v_cndmask_b32_e64 v13, 0x7f800000, v13, s7
	v_cmp_nlt_f32_e64 s7, 0x42b17218, v3
	v_mul_f32_e32 v22, 0x3fb8aa3b, v10
	v_fmac_f32_e32 v34, 0x32a5705f, v8
	v_sub_f32_e32 v21, v21, v35
	v_exp_f32_e32 v20, v20
	v_ldexp_f32 v19, v19, v31
	v_cndmask_b32_e64 v14, 0x7f800000, v14, s7
	v_cmp_ngt_f32_e64 s7, 0xc2ce8ed0, v6
	v_fma_f32 v36, 0x3fb8aa3b, v10, -v22
	v_rndne_f32_e32 v37, v22
	v_cvt_i32_f32_e32 v33, v33
	v_add_f32_e32 v21, v21, v34
	v_cndmask_b32_e64 v19, 0, v19, s7
	v_cmp_nlt_f32_e64 s7, 0x42b17218, v4
	v_fmac_f32_e32 v36, 0x32a5705f, v10
	v_sub_f32_e32 v22, v22, v37
	v_exp_f32_e32 v21, v21
	v_ldexp_f32 v20, v20, v33
	v_cndmask_b32_e64 v15, 0x7f800000, v15, s7
	v_cmp_ngt_f32_e64 s7, 0xc2ce8ed0, v7
	v_mul_f32_e32 v23, 0x3fb8aa3b, v11
	v_cvt_i32_f32_e32 v35, v35
	v_add_f32_e32 v22, v22, v36
	v_add_f32_e32 v13, v13, v14
	v_cndmask_b32_e64 v14, 0, v20, s7
	v_cmp_nlt_f32_e64 s7, 0x42b17218, v6
	v_fma_f32 v38, 0x3fb8aa3b, v11, -v23
	v_rndne_f32_e32 v39, v23
	v_exp_f32_e32 v22, v22
	v_ldexp_f32 v21, v21, v35
	v_cndmask_b32_e64 v19, 0x7f800000, v19, s7
	v_cmp_ngt_f32_e64 s7, 0xc2ce8ed0, v8
	v_fmac_f32_e32 v38, 0x32a5705f, v11
	v_sub_f32_e32 v23, v23, v39
	v_cvt_i32_f32_e32 v24, v37
	v_add_f32_e32 v13, v13, v15
	v_cndmask_b32_e64 v15, 0, v21, s7
	v_cmp_nlt_f32_e64 s7, 0x42b17218, v7
	v_add_f32_e32 v23, v23, v38
	v_ldexp_f32 v22, v22, v24
	v_add_f32_e32 v13, v13, v19
	v_cvt_i32_f32_e32 v26, v39
	v_cndmask_b32_e64 v14, 0x7f800000, v14, s7
	v_cmp_ngt_f32_e64 s7, 0xc2ce8ed0, v10
	v_exp_f32_e32 v23, v23
	v_add_f32_e32 v13, v13, v14
	v_cndmask_b32_e64 v19, 0, v22, s7
	v_cmp_nlt_f32_e64 s7, 0x42b17218, v8
	v_cndmask_b32_e64 v15, 0x7f800000, v15, s7
	v_cmp_nlt_f32_e64 s7, 0x42b17218, v10
	v_ldexp_f32 v14, v23, v26
	v_add_f32_e32 v13, v13, v15
	v_cndmask_b32_e64 v19, 0x7f800000, v19, s7
	v_cmp_ngt_f32_e64 s7, 0xc2ce8ed0, v11
	v_add_f32_e32 v13, v13, v19
	v_cndmask_b32_e64 v14, 0, v14, s7
	v_cmp_nlt_f32_e64 s7, 0x42b17218, v11
	v_cndmask_b32_e64 v14, 0x7f800000, v14, s7
	v_add_f32_e32 v13, v13, v14
	ds_bpermute_b32 v9, v9, v13
	s_waitcnt lgkmcnt(0)
	v_add_f32_e32 v9, v13, v9
	ds_bpermute_b32 v12, v12, v9
	s_waitcnt lgkmcnt(0)
	;; [unrolled: 3-line block ×4, first 2 shown]
	v_add_f32_e32 v9, v9, v12
	ds_bpermute_b32 v12, v18, v9
	v_cmpx_lt_i32_e32 0, v5
	s_cbranch_execz .LBB148_26
; %bb.17:
	s_and_b32 exec_lo, exec_lo, vcc_lo
	s_cbranch_execz .LBB148_26
; %bb.18:
	s_waitcnt lgkmcnt(0)
	v_add_f32_e32 v5, v9, v12
	v_cmp_gt_f32_e32 vcc_lo, 0x800000, v5
	v_cndmask_b32_e64 v9, 0, 32, vcc_lo
	v_cndmask_b32_e64 v12, 0, 0x41b17218, vcc_lo
	v_ldexp_f32 v5, v5, v9
	v_log_f32_e32 v5, v5
	v_mul_f32_e32 v9, 0x3f317217, v5
	v_cmp_gt_f32_e64 vcc_lo, 0x7f800000, |v5|
	v_fma_f32 v9, 0x3f317217, v5, -v9
	v_fmamk_f32 v9, v5, 0x3377d1cf, v9
	v_fmac_f32_e32 v9, 0x3f317217, v5
	v_cndmask_b32_e32 v5, v5, v9, vcc_lo
	v_mov_b32_e32 v9, 0x7fc0
	v_sub_f32_e32 v5, v5, v12
	v_sub_f32_e32 v0, v0, v5
	v_bfe_u32 v12, v0, 16, 1
	v_cmp_o_f32_e32 vcc_lo, v0, v0
	v_add3_u32 v12, v0, v12, 0x7fff
	v_add_co_u32 v0, s7, s8, v1
	v_add_co_ci_u32_e64 v1, null, s9, v2, s7
	v_cndmask_b32_sdwa v2, v9, v12, vcc_lo dst_sel:DWORD dst_unused:UNUSED_PAD src0_sel:DWORD src1_sel:WORD_1
	global_store_short v[0:1], v2, off
	s_and_b32 exec_lo, exec_lo, s0
	s_cbranch_execz .LBB148_26
; %bb.19:
	v_sub_f32_e32 v2, v3, v5
	v_bfe_u32 v3, v2, 16, 1
	v_cmp_o_f32_e32 vcc_lo, v2, v2
	v_add3_u32 v2, v2, v3, 0x7fff
	v_cndmask_b32_sdwa v2, v9, v2, vcc_lo dst_sel:DWORD dst_unused:UNUSED_PAD src0_sel:DWORD src1_sel:WORD_1
	global_store_short v[0:1], v2, off offset:64
	s_and_b32 exec_lo, exec_lo, s1
	s_cbranch_execz .LBB148_26
; %bb.20:
	v_sub_f32_e32 v2, v4, v5
	v_bfe_u32 v3, v2, 16, 1
	v_cmp_o_f32_e32 vcc_lo, v2, v2
	v_add3_u32 v3, v2, v3, 0x7fff
	v_mov_b32_e32 v2, 0x7fc0
	v_cndmask_b32_sdwa v3, v2, v3, vcc_lo dst_sel:DWORD dst_unused:UNUSED_PAD src0_sel:DWORD src1_sel:WORD_1
	global_store_short v[0:1], v3, off offset:128
	s_and_b32 exec_lo, exec_lo, s2
	s_cbranch_execz .LBB148_26
; %bb.21:
	v_sub_f32_e32 v3, v6, v5
	v_bfe_u32 v4, v3, 16, 1
	v_cmp_o_f32_e32 vcc_lo, v3, v3
	v_add3_u32 v3, v3, v4, 0x7fff
	v_cndmask_b32_sdwa v2, v2, v3, vcc_lo dst_sel:DWORD dst_unused:UNUSED_PAD src0_sel:DWORD src1_sel:WORD_1
	global_store_short v[0:1], v2, off offset:192
	s_and_b32 exec_lo, exec_lo, s3
	s_cbranch_execz .LBB148_26
; %bb.22:
	v_sub_f32_e32 v2, v7, v5
	v_bfe_u32 v3, v2, 16, 1
	v_cmp_o_f32_e32 vcc_lo, v2, v2
	v_add3_u32 v3, v2, v3, 0x7fff
	v_mov_b32_e32 v2, 0x7fc0
	v_cndmask_b32_sdwa v3, v2, v3, vcc_lo dst_sel:DWORD dst_unused:UNUSED_PAD src0_sel:DWORD src1_sel:WORD_1
	global_store_short v[0:1], v3, off offset:256
	;; [unrolled: 19-line block ×3, first 2 shown]
	s_and_b32 exec_lo, exec_lo, s6
	s_cbranch_execz .LBB148_26
; %bb.25:
	v_sub_f32_e32 v3, v11, v5
	v_bfe_u32 v4, v3, 16, 1
	v_cmp_o_f32_e32 vcc_lo, v3, v3
	v_add3_u32 v3, v3, v4, 0x7fff
	v_cndmask_b32_sdwa v2, v2, v3, vcc_lo dst_sel:DWORD dst_unused:UNUSED_PAD src0_sel:DWORD src1_sel:WORD_1
	global_store_short v[0:1], v2, off offset:448
.LBB148_26:
	s_endpgm
	.section	.rodata,"a",@progbits
	.p2align	6, 0x0
	.amdhsa_kernel _ZN12_GLOBAL__N_120softmax_warp_forwardIN3c108BFloat16ES2_fLi8ELb1ELb0ELi32EEEvPT0_PKT_iiiPKbib
		.amdhsa_group_segment_fixed_size 0
		.amdhsa_private_segment_fixed_size 0
		.amdhsa_kernarg_size 304
		.amdhsa_user_sgpr_count 6
		.amdhsa_user_sgpr_private_segment_buffer 1
		.amdhsa_user_sgpr_dispatch_ptr 0
		.amdhsa_user_sgpr_queue_ptr 0
		.amdhsa_user_sgpr_kernarg_segment_ptr 1
		.amdhsa_user_sgpr_dispatch_id 0
		.amdhsa_user_sgpr_flat_scratch_init 0
		.amdhsa_user_sgpr_private_segment_size 0
		.amdhsa_wavefront_size32 1
		.amdhsa_uses_dynamic_stack 0
		.amdhsa_system_sgpr_private_segment_wavefront_offset 0
		.amdhsa_system_sgpr_workgroup_id_x 1
		.amdhsa_system_sgpr_workgroup_id_y 0
		.amdhsa_system_sgpr_workgroup_id_z 0
		.amdhsa_system_sgpr_workgroup_info 0
		.amdhsa_system_vgpr_workitem_id 1
		.amdhsa_next_free_vgpr 40
		.amdhsa_next_free_sgpr 16
		.amdhsa_reserve_vcc 1
		.amdhsa_reserve_flat_scratch 0
		.amdhsa_float_round_mode_32 0
		.amdhsa_float_round_mode_16_64 0
		.amdhsa_float_denorm_mode_32 3
		.amdhsa_float_denorm_mode_16_64 3
		.amdhsa_dx10_clamp 1
		.amdhsa_ieee_mode 1
		.amdhsa_fp16_overflow 0
		.amdhsa_workgroup_processor_mode 1
		.amdhsa_memory_ordered 1
		.amdhsa_forward_progress 1
		.amdhsa_shared_vgpr_count 0
		.amdhsa_exception_fp_ieee_invalid_op 0
		.amdhsa_exception_fp_denorm_src 0
		.amdhsa_exception_fp_ieee_div_zero 0
		.amdhsa_exception_fp_ieee_overflow 0
		.amdhsa_exception_fp_ieee_underflow 0
		.amdhsa_exception_fp_ieee_inexact 0
		.amdhsa_exception_int_div_zero 0
	.end_amdhsa_kernel
	.section	.text._ZN12_GLOBAL__N_120softmax_warp_forwardIN3c108BFloat16ES2_fLi8ELb1ELb0ELi32EEEvPT0_PKT_iiiPKbib,"axG",@progbits,_ZN12_GLOBAL__N_120softmax_warp_forwardIN3c108BFloat16ES2_fLi8ELb1ELb0ELi32EEEvPT0_PKT_iiiPKbib,comdat
.Lfunc_end148:
	.size	_ZN12_GLOBAL__N_120softmax_warp_forwardIN3c108BFloat16ES2_fLi8ELb1ELb0ELi32EEEvPT0_PKT_iiiPKbib, .Lfunc_end148-_ZN12_GLOBAL__N_120softmax_warp_forwardIN3c108BFloat16ES2_fLi8ELb1ELb0ELi32EEEvPT0_PKT_iiiPKbib
                                        ; -- End function
	.set _ZN12_GLOBAL__N_120softmax_warp_forwardIN3c108BFloat16ES2_fLi8ELb1ELb0ELi32EEEvPT0_PKT_iiiPKbib.num_vgpr, 40
	.set _ZN12_GLOBAL__N_120softmax_warp_forwardIN3c108BFloat16ES2_fLi8ELb1ELb0ELi32EEEvPT0_PKT_iiiPKbib.num_agpr, 0
	.set _ZN12_GLOBAL__N_120softmax_warp_forwardIN3c108BFloat16ES2_fLi8ELb1ELb0ELi32EEEvPT0_PKT_iiiPKbib.numbered_sgpr, 16
	.set _ZN12_GLOBAL__N_120softmax_warp_forwardIN3c108BFloat16ES2_fLi8ELb1ELb0ELi32EEEvPT0_PKT_iiiPKbib.num_named_barrier, 0
	.set _ZN12_GLOBAL__N_120softmax_warp_forwardIN3c108BFloat16ES2_fLi8ELb1ELb0ELi32EEEvPT0_PKT_iiiPKbib.private_seg_size, 0
	.set _ZN12_GLOBAL__N_120softmax_warp_forwardIN3c108BFloat16ES2_fLi8ELb1ELb0ELi32EEEvPT0_PKT_iiiPKbib.uses_vcc, 1
	.set _ZN12_GLOBAL__N_120softmax_warp_forwardIN3c108BFloat16ES2_fLi8ELb1ELb0ELi32EEEvPT0_PKT_iiiPKbib.uses_flat_scratch, 0
	.set _ZN12_GLOBAL__N_120softmax_warp_forwardIN3c108BFloat16ES2_fLi8ELb1ELb0ELi32EEEvPT0_PKT_iiiPKbib.has_dyn_sized_stack, 0
	.set _ZN12_GLOBAL__N_120softmax_warp_forwardIN3c108BFloat16ES2_fLi8ELb1ELb0ELi32EEEvPT0_PKT_iiiPKbib.has_recursion, 0
	.set _ZN12_GLOBAL__N_120softmax_warp_forwardIN3c108BFloat16ES2_fLi8ELb1ELb0ELi32EEEvPT0_PKT_iiiPKbib.has_indirect_call, 0
	.section	.AMDGPU.csdata,"",@progbits
; Kernel info:
; codeLenInByte = 2408
; TotalNumSgprs: 18
; NumVgprs: 40
; ScratchSize: 0
; MemoryBound: 0
; FloatMode: 240
; IeeeMode: 1
; LDSByteSize: 0 bytes/workgroup (compile time only)
; SGPRBlocks: 0
; VGPRBlocks: 4
; NumSGPRsForWavesPerEU: 18
; NumVGPRsForWavesPerEU: 40
; Occupancy: 16
; WaveLimiterHint : 0
; COMPUTE_PGM_RSRC2:SCRATCH_EN: 0
; COMPUTE_PGM_RSRC2:USER_SGPR: 6
; COMPUTE_PGM_RSRC2:TRAP_HANDLER: 0
; COMPUTE_PGM_RSRC2:TGID_X_EN: 1
; COMPUTE_PGM_RSRC2:TGID_Y_EN: 0
; COMPUTE_PGM_RSRC2:TGID_Z_EN: 0
; COMPUTE_PGM_RSRC2:TIDIG_COMP_CNT: 1
	.section	.text._ZN12_GLOBAL__N_120softmax_warp_forwardIN3c108BFloat16ES2_fLi9ELb1ELb0ELi64EEEvPT0_PKT_iiiPKbib,"axG",@progbits,_ZN12_GLOBAL__N_120softmax_warp_forwardIN3c108BFloat16ES2_fLi9ELb1ELb0ELi64EEEvPT0_PKT_iiiPKbib,comdat
	.globl	_ZN12_GLOBAL__N_120softmax_warp_forwardIN3c108BFloat16ES2_fLi9ELb1ELb0ELi64EEEvPT0_PKT_iiiPKbib ; -- Begin function _ZN12_GLOBAL__N_120softmax_warp_forwardIN3c108BFloat16ES2_fLi9ELb1ELb0ELi64EEEvPT0_PKT_iiiPKbib
	.p2align	8
	.type	_ZN12_GLOBAL__N_120softmax_warp_forwardIN3c108BFloat16ES2_fLi9ELb1ELb0ELi64EEEvPT0_PKT_iiiPKbib,@function
_ZN12_GLOBAL__N_120softmax_warp_forwardIN3c108BFloat16ES2_fLi9ELb1ELb0ELi64EEEvPT0_PKT_iiiPKbib: ; @_ZN12_GLOBAL__N_120softmax_warp_forwardIN3c108BFloat16ES2_fLi9ELb1ELb0ELi64EEEvPT0_PKT_iiiPKbib
; %bb.0:
	s_clause 0x1
	s_load_dword s0, s[4:5], 0x3c
	s_load_dwordx8 s[8:15], s[4:5], 0x0
	v_mov_b32_e32 v6, 0xff800000
	v_mov_b32_e32 v7, 0xff800000
	s_waitcnt lgkmcnt(0)
	s_lshr_b32 s0, s0, 16
	v_cmp_gt_i32_e32 vcc_lo, s14, v0
	v_mad_u64_u32 v[1:2], null, s6, s0, v[1:2]
	v_mad_u64_u32 v[2:3], null, v1, s13, v[0:1]
	v_sub_nc_u32_e32 v5, s12, v1
	v_cmp_lt_i32_e64 s7, 0, v5
	v_ashrrev_i32_e32 v3, 31, v2
	s_and_b32 s1, s7, vcc_lo
	v_lshlrev_b64 v[1:2], 1, v[2:3]
	v_add_co_u32 v3, s0, s10, v1
	v_add_co_ci_u32_e64 v4, null, s11, v2, s0
	s_and_saveexec_b32 s0, s1
	s_cbranch_execz .LBB149_2
; %bb.1:
	global_load_ushort v7, v[3:4], off
	s_waitcnt vmcnt(0)
	v_lshlrev_b32_e32 v7, 16, v7
.LBB149_2:
	s_or_b32 exec_lo, exec_lo, s0
	v_add_nc_u32_e32 v8, 64, v0
	v_cmp_gt_i32_e64 s0, s14, v8
	s_and_b32 s2, s7, s0
	s_and_saveexec_b32 s1, s2
	s_cbranch_execz .LBB149_4
; %bb.3:
	global_load_ushort v6, v[3:4], off offset:128
	s_waitcnt vmcnt(0)
	v_lshlrev_b32_e32 v6, 16, v6
.LBB149_4:
	s_or_b32 exec_lo, exec_lo, s1
	v_add_nc_u32_e32 v8, 0x80, v0
	v_mov_b32_e32 v11, 0xff800000
	v_cmp_gt_i32_e64 s1, s14, v8
	v_mov_b32_e32 v8, 0xff800000
	s_and_b32 s3, s7, s1
	s_and_saveexec_b32 s2, s3
	s_cbranch_execz .LBB149_6
; %bb.5:
	global_load_ushort v9, v[3:4], off offset:256
	s_waitcnt vmcnt(0)
	v_lshlrev_b32_e32 v11, 16, v9
.LBB149_6:
	s_or_b32 exec_lo, exec_lo, s2
	v_add_nc_u32_e32 v9, 0xc0, v0
	v_cmp_gt_i32_e64 s2, s14, v9
	s_and_b32 s4, s7, s2
	s_and_saveexec_b32 s3, s4
	s_cbranch_execz .LBB149_8
; %bb.7:
	global_load_ushort v8, v[3:4], off offset:384
	s_waitcnt vmcnt(0)
	v_lshlrev_b32_e32 v8, 16, v8
.LBB149_8:
	s_or_b32 exec_lo, exec_lo, s3
	v_add_nc_u32_e32 v9, 0x100, v0
	v_mov_b32_e32 v14, 0xff800000
	v_cmp_gt_i32_e64 s3, s14, v9
	v_mov_b32_e32 v9, 0xff800000
	s_and_b32 s5, s7, s3
	s_and_saveexec_b32 s4, s5
	s_cbranch_execz .LBB149_10
; %bb.9:
	global_load_ushort v10, v[3:4], off offset:512
	s_waitcnt vmcnt(0)
	v_lshlrev_b32_e32 v14, 16, v10
.LBB149_10:
	s_or_b32 exec_lo, exec_lo, s4
	v_add_nc_u32_e32 v10, 0x140, v0
	v_cmp_gt_i32_e64 s4, s14, v10
	s_and_b32 s6, s7, s4
	s_and_saveexec_b32 s5, s6
	s_cbranch_execz .LBB149_12
; %bb.11:
	global_load_ushort v9, v[3:4], off offset:640
	s_waitcnt vmcnt(0)
	v_lshlrev_b32_e32 v9, 16, v9
.LBB149_12:
	s_or_b32 exec_lo, exec_lo, s5
	v_add_nc_u32_e32 v10, 0x180, v0
	v_mov_b32_e32 v12, 0xff800000
	v_mov_b32_e32 v15, 0xff800000
	v_cmp_gt_i32_e64 s5, s14, v10
	s_and_b32 s10, s7, s5
	s_and_saveexec_b32 s6, s10
	s_cbranch_execz .LBB149_14
; %bb.13:
	global_load_ushort v10, v[3:4], off offset:768
	s_waitcnt vmcnt(0)
	v_lshlrev_b32_e32 v15, 16, v10
.LBB149_14:
	s_or_b32 exec_lo, exec_lo, s6
	v_add_nc_u32_e32 v0, 0x1c0, v0
	v_cmp_gt_i32_e64 s6, s14, v0
	s_and_b32 s10, s7, s6
	s_and_saveexec_b32 s7, s10
	s_cbranch_execz .LBB149_16
; %bb.15:
	global_load_ushort v0, v[3:4], off offset:896
	s_waitcnt vmcnt(0)
	v_lshlrev_b32_e32 v12, 16, v0
.LBB149_16:
	s_or_b32 exec_lo, exec_lo, s7
	v_cmp_gt_f32_e64 s7, v7, v6
	v_mbcnt_lo_u32_b32 v3, -1, 0
	s_mov_b32 s10, exec_lo
	v_cndmask_b32_e64 v0, v6, v7, s7
	v_or_b32_e32 v4, 32, v3
	v_xor_b32_e32 v17, 4, v3
	v_xor_b32_e32 v18, 2, v3
	;; [unrolled: 1-line block ×3, first 2 shown]
	v_cmp_gt_f32_e64 s7, v0, v11
	v_cndmask_b32_e64 v0, v11, v0, s7
	v_cmp_gt_f32_e64 s7, v0, v8
	v_cndmask_b32_e64 v0, v8, v0, s7
	v_cmp_gt_f32_e64 s7, v0, v14
	v_cndmask_b32_e64 v0, v14, v0, s7
	v_cmp_gt_f32_e64 s7, v0, v9
	v_cndmask_b32_e64 v0, v9, v0, s7
	v_cmp_gt_i32_e64 s7, 64, v4
	v_cndmask_b32_e64 v4, v3, v4, s7
	v_cmp_gt_f32_e64 s7, v0, v15
	v_cndmask_b32_e64 v10, v15, v0, s7
	v_lshlrev_b32_e32 v0, 2, v4
	v_cmp_gt_f32_e64 s7, v10, v12
	v_cndmask_b32_e64 v4, v12, v10, s7
	v_xor_b32_e32 v10, 16, v3
	ds_bpermute_b32 v13, v0, v4
	v_cmp_gt_i32_e64 s7, 64, v10
	v_cndmask_b32_e64 v10, v3, v10, s7
	v_lshlrev_b32_e32 v10, 2, v10
	s_waitcnt lgkmcnt(0)
	v_cmp_lt_f32_e64 s7, v4, v13
	v_cndmask_b32_e64 v4, v4, v13, s7
	v_xor_b32_e32 v13, 8, v3
	ds_bpermute_b32 v16, v10, v4
	v_cmp_gt_i32_e64 s7, 64, v13
	v_cndmask_b32_e64 v13, v3, v13, s7
	v_lshlrev_b32_e32 v13, 2, v13
	s_waitcnt lgkmcnt(0)
	v_cmp_lt_f32_e64 s7, v4, v16
	v_cndmask_b32_e64 v4, v4, v16, s7
	v_cmp_gt_i32_e64 s7, 64, v17
	ds_bpermute_b32 v16, v13, v4
	v_cndmask_b32_e64 v17, v3, v17, s7
	v_lshlrev_b32_e32 v17, 2, v17
	s_waitcnt lgkmcnt(0)
	v_cmp_lt_f32_e64 s7, v4, v16
	v_cndmask_b32_e64 v4, v4, v16, s7
	v_cmp_gt_i32_e64 s7, 64, v18
	ds_bpermute_b32 v16, v17, v4
	;; [unrolled: 7-line block ×3, first 2 shown]
	v_cndmask_b32_e64 v3, v3, v19, s7
	v_lshlrev_b32_e32 v19, 2, v3
	s_waitcnt lgkmcnt(0)
	v_cmp_lt_f32_e64 s7, v4, v16
	v_cndmask_b32_e64 v3, v4, v16, s7
	ds_bpermute_b32 v4, v19, v3
	s_waitcnt lgkmcnt(0)
	v_cmp_lt_f32_e64 s7, v3, v4
	v_cndmask_b32_e64 v16, v3, v4, s7
	v_sub_f32_e32 v7, v7, v16
	v_sub_f32_e32 v3, v6, v16
	;; [unrolled: 1-line block ×5, first 2 shown]
	v_mul_f32_e32 v14, 0x3fb8aa3b, v7
	v_sub_f32_e32 v11, v15, v16
	v_mul_f32_e32 v15, 0x3fb8aa3b, v3
	v_sub_f32_e32 v9, v9, v16
	v_sub_f32_e32 v12, v12, v16
	v_fma_f32 v25, 0x3fb8aa3b, v7, -v14
	v_rndne_f32_e32 v26, v14
	v_mul_f32_e32 v16, 0x3fb8aa3b, v4
	v_fma_f32 v27, 0x3fb8aa3b, v3, -v15
	v_rndne_f32_e32 v28, v15
	v_fmac_f32_e32 v25, 0x32a5705f, v7
	v_sub_f32_e32 v14, v14, v26
	v_fma_f32 v29, 0x3fb8aa3b, v4, -v16
	v_rndne_f32_e32 v30, v16
	v_fmac_f32_e32 v27, 0x32a5705f, v3
	v_sub_f32_e32 v15, v15, v28
	v_add_f32_e32 v14, v14, v25
	v_fmac_f32_e32 v29, 0x32a5705f, v4
	v_sub_f32_e32 v16, v16, v30
	v_mul_f32_e32 v20, 0x3fb8aa3b, v6
	v_add_f32_e32 v15, v15, v27
	v_exp_f32_e32 v14, v14
	v_cvt_i32_f32_e32 v26, v26
	v_add_f32_e32 v16, v16, v29
	v_fma_f32 v31, 0x3fb8aa3b, v6, -v20
	v_exp_f32_e32 v15, v15
	v_rndne_f32_e32 v32, v20
	v_cvt_i32_f32_e32 v28, v28
	v_exp_f32_e32 v16, v16
	v_cmp_ngt_f32_e64 s7, 0xc2ce8ed0, v7
	v_mul_f32_e32 v21, 0x3fb8aa3b, v8
	v_ldexp_f32 v14, v14, v26
	v_cvt_i32_f32_e32 v30, v30
	v_fmac_f32_e32 v31, 0x32a5705f, v6
	v_sub_f32_e32 v20, v20, v32
	v_ldexp_f32 v15, v15, v28
	v_cndmask_b32_e64 v14, 0, v14, s7
	v_cmp_ngt_f32_e64 s7, 0xc2ce8ed0, v3
	v_fma_f32 v33, 0x3fb8aa3b, v8, -v21
	v_rndne_f32_e32 v34, v21
	v_add_f32_e32 v20, v20, v31
	v_ldexp_f32 v16, v16, v30
	v_cndmask_b32_e64 v15, 0, v15, s7
	v_cmp_ngt_f32_e64 s7, 0xc2ce8ed0, v4
	v_mul_f32_e32 v22, 0x3fb8aa3b, v9
	v_fmac_f32_e32 v33, 0x32a5705f, v8
	v_sub_f32_e32 v21, v21, v34
	v_exp_f32_e32 v20, v20
	v_cndmask_b32_e64 v16, 0, v16, s7
	v_cmp_nlt_f32_e64 s7, 0x42b17218, v7
	v_fma_f32 v35, 0x3fb8aa3b, v9, -v22
	v_rndne_f32_e32 v36, v22
	v_cvt_i32_f32_e32 v32, v32
	v_add_f32_e32 v21, v21, v33
	v_cndmask_b32_e64 v14, 0x7f800000, v14, s7
	v_cmp_nlt_f32_e64 s7, 0x42b17218, v3
	v_mul_f32_e32 v23, 0x3fb8aa3b, v11
	v_fmac_f32_e32 v35, 0x32a5705f, v9
	v_sub_f32_e32 v22, v22, v36
	v_exp_f32_e32 v21, v21
	v_ldexp_f32 v20, v20, v32
	v_cndmask_b32_e64 v15, 0x7f800000, v15, s7
	v_cmp_ngt_f32_e64 s7, 0xc2ce8ed0, v6
	v_fma_f32 v37, 0x3fb8aa3b, v11, -v23
	v_rndne_f32_e32 v38, v23
	v_cvt_i32_f32_e32 v34, v34
	v_add_f32_e32 v22, v22, v35
	v_cndmask_b32_e64 v20, 0, v20, s7
	v_cmp_nlt_f32_e64 s7, 0x42b17218, v4
	v_fmac_f32_e32 v37, 0x32a5705f, v11
	v_sub_f32_e32 v23, v23, v38
	v_exp_f32_e32 v22, v22
	v_ldexp_f32 v21, v21, v34
	v_cndmask_b32_e64 v16, 0x7f800000, v16, s7
	v_cmp_ngt_f32_e64 s7, 0xc2ce8ed0, v8
	v_mul_f32_e32 v24, 0x3fb8aa3b, v12
	v_cvt_i32_f32_e32 v36, v36
	v_add_f32_e32 v23, v23, v37
	v_add_f32_e32 v14, v14, v15
	v_cndmask_b32_e64 v15, 0, v21, s7
	v_cmp_nlt_f32_e64 s7, 0x42b17218, v6
	v_fma_f32 v39, 0x3fb8aa3b, v12, -v24
	v_rndne_f32_e32 v40, v24
	v_exp_f32_e32 v23, v23
	v_ldexp_f32 v22, v22, v36
	v_cndmask_b32_e64 v20, 0x7f800000, v20, s7
	v_cmp_ngt_f32_e64 s7, 0xc2ce8ed0, v9
	v_fmac_f32_e32 v39, 0x32a5705f, v12
	v_sub_f32_e32 v24, v24, v40
	v_cvt_i32_f32_e32 v25, v38
	v_add_f32_e32 v14, v14, v16
	v_cndmask_b32_e64 v16, 0, v22, s7
	v_cmp_nlt_f32_e64 s7, 0x42b17218, v8
	v_add_f32_e32 v24, v24, v39
	v_ldexp_f32 v23, v23, v25
	v_add_f32_e32 v14, v14, v20
	v_cvt_i32_f32_e32 v27, v40
	v_cndmask_b32_e64 v15, 0x7f800000, v15, s7
	v_cmp_ngt_f32_e64 s7, 0xc2ce8ed0, v11
	v_exp_f32_e32 v24, v24
	v_add_f32_e32 v14, v14, v15
	v_cndmask_b32_e64 v20, 0, v23, s7
	v_cmp_nlt_f32_e64 s7, 0x42b17218, v9
	v_cndmask_b32_e64 v16, 0x7f800000, v16, s7
	v_cmp_nlt_f32_e64 s7, 0x42b17218, v11
	v_ldexp_f32 v15, v24, v27
	v_add_f32_e32 v14, v14, v16
	v_cndmask_b32_e64 v20, 0x7f800000, v20, s7
	v_cmp_ngt_f32_e64 s7, 0xc2ce8ed0, v12
	v_add_f32_e32 v14, v14, v20
	v_cndmask_b32_e64 v15, 0, v15, s7
	v_cmp_nlt_f32_e64 s7, 0x42b17218, v12
	v_cndmask_b32_e64 v15, 0x7f800000, v15, s7
	v_add_f32_e32 v14, v14, v15
	ds_bpermute_b32 v0, v0, v14
	s_waitcnt lgkmcnt(0)
	v_add_f32_e32 v0, v14, v0
	ds_bpermute_b32 v10, v10, v0
	s_waitcnt lgkmcnt(0)
	;; [unrolled: 3-line block ×5, first 2 shown]
	v_add_f32_e32 v0, v0, v10
	ds_bpermute_b32 v10, v19, v0
	v_cmpx_lt_i32_e32 0, v5
	s_cbranch_execz .LBB149_26
; %bb.17:
	s_and_b32 exec_lo, exec_lo, vcc_lo
	s_cbranch_execz .LBB149_26
; %bb.18:
	s_waitcnt lgkmcnt(0)
	v_add_f32_e32 v0, v0, v10
	v_cmp_gt_f32_e32 vcc_lo, 0x800000, v0
	v_cndmask_b32_e64 v5, 0, 32, vcc_lo
	v_cndmask_b32_e64 v10, 0, 0x41b17218, vcc_lo
	v_ldexp_f32 v0, v0, v5
	v_log_f32_e32 v0, v0
	v_mul_f32_e32 v5, 0x3f317217, v0
	v_cmp_gt_f32_e64 vcc_lo, 0x7f800000, |v0|
	v_fma_f32 v5, 0x3f317217, v0, -v5
	v_fmamk_f32 v5, v0, 0x3377d1cf, v5
	v_fmac_f32_e32 v5, 0x3f317217, v0
	v_cndmask_b32_e32 v0, v0, v5, vcc_lo
	v_sub_f32_e32 v5, v0, v10
	v_sub_f32_e32 v0, v7, v5
	v_mov_b32_e32 v7, 0x7fc0
	v_bfe_u32 v10, v0, 16, 1
	v_cmp_o_f32_e32 vcc_lo, v0, v0
	v_add3_u32 v10, v0, v10, 0x7fff
	v_add_co_u32 v0, s7, s8, v1
	v_add_co_ci_u32_e64 v1, null, s9, v2, s7
	v_cndmask_b32_sdwa v2, v7, v10, vcc_lo dst_sel:DWORD dst_unused:UNUSED_PAD src0_sel:DWORD src1_sel:WORD_1
	global_store_short v[0:1], v2, off
	s_and_b32 exec_lo, exec_lo, s0
	s_cbranch_execz .LBB149_26
; %bb.19:
	v_sub_f32_e32 v2, v3, v5
	v_bfe_u32 v3, v2, 16, 1
	v_cmp_o_f32_e32 vcc_lo, v2, v2
	v_add3_u32 v2, v2, v3, 0x7fff
	v_cndmask_b32_sdwa v2, v7, v2, vcc_lo dst_sel:DWORD dst_unused:UNUSED_PAD src0_sel:DWORD src1_sel:WORD_1
	global_store_short v[0:1], v2, off offset:128
	s_and_b32 exec_lo, exec_lo, s1
	s_cbranch_execz .LBB149_26
; %bb.20:
	v_sub_f32_e32 v2, v4, v5
	v_bfe_u32 v3, v2, 16, 1
	v_cmp_o_f32_e32 vcc_lo, v2, v2
	v_add3_u32 v3, v2, v3, 0x7fff
	v_mov_b32_e32 v2, 0x7fc0
	v_cndmask_b32_sdwa v3, v2, v3, vcc_lo dst_sel:DWORD dst_unused:UNUSED_PAD src0_sel:DWORD src1_sel:WORD_1
	global_store_short v[0:1], v3, off offset:256
	s_and_b32 exec_lo, exec_lo, s2
	s_cbranch_execz .LBB149_26
; %bb.21:
	v_sub_f32_e32 v3, v6, v5
	v_bfe_u32 v4, v3, 16, 1
	v_cmp_o_f32_e32 vcc_lo, v3, v3
	v_add3_u32 v3, v3, v4, 0x7fff
	v_cndmask_b32_sdwa v2, v2, v3, vcc_lo dst_sel:DWORD dst_unused:UNUSED_PAD src0_sel:DWORD src1_sel:WORD_1
	global_store_short v[0:1], v2, off offset:384
	s_and_b32 exec_lo, exec_lo, s3
	s_cbranch_execz .LBB149_26
; %bb.22:
	v_sub_f32_e32 v2, v8, v5
	v_bfe_u32 v3, v2, 16, 1
	v_cmp_o_f32_e32 vcc_lo, v2, v2
	v_add3_u32 v3, v2, v3, 0x7fff
	v_mov_b32_e32 v2, 0x7fc0
	v_cndmask_b32_sdwa v3, v2, v3, vcc_lo dst_sel:DWORD dst_unused:UNUSED_PAD src0_sel:DWORD src1_sel:WORD_1
	global_store_short v[0:1], v3, off offset:512
	;; [unrolled: 19-line block ×3, first 2 shown]
	s_and_b32 exec_lo, exec_lo, s6
	s_cbranch_execz .LBB149_26
; %bb.25:
	v_sub_f32_e32 v3, v12, v5
	v_bfe_u32 v4, v3, 16, 1
	v_cmp_o_f32_e32 vcc_lo, v3, v3
	v_add3_u32 v3, v3, v4, 0x7fff
	v_cndmask_b32_sdwa v2, v2, v3, vcc_lo dst_sel:DWORD dst_unused:UNUSED_PAD src0_sel:DWORD src1_sel:WORD_1
	global_store_short v[0:1], v2, off offset:896
.LBB149_26:
	s_endpgm
	.section	.rodata,"a",@progbits
	.p2align	6, 0x0
	.amdhsa_kernel _ZN12_GLOBAL__N_120softmax_warp_forwardIN3c108BFloat16ES2_fLi9ELb1ELb0ELi64EEEvPT0_PKT_iiiPKbib
		.amdhsa_group_segment_fixed_size 0
		.amdhsa_private_segment_fixed_size 0
		.amdhsa_kernarg_size 304
		.amdhsa_user_sgpr_count 6
		.amdhsa_user_sgpr_private_segment_buffer 1
		.amdhsa_user_sgpr_dispatch_ptr 0
		.amdhsa_user_sgpr_queue_ptr 0
		.amdhsa_user_sgpr_kernarg_segment_ptr 1
		.amdhsa_user_sgpr_dispatch_id 0
		.amdhsa_user_sgpr_flat_scratch_init 0
		.amdhsa_user_sgpr_private_segment_size 0
		.amdhsa_wavefront_size32 1
		.amdhsa_uses_dynamic_stack 0
		.amdhsa_system_sgpr_private_segment_wavefront_offset 0
		.amdhsa_system_sgpr_workgroup_id_x 1
		.amdhsa_system_sgpr_workgroup_id_y 0
		.amdhsa_system_sgpr_workgroup_id_z 0
		.amdhsa_system_sgpr_workgroup_info 0
		.amdhsa_system_vgpr_workitem_id 1
		.amdhsa_next_free_vgpr 41
		.amdhsa_next_free_sgpr 16
		.amdhsa_reserve_vcc 1
		.amdhsa_reserve_flat_scratch 0
		.amdhsa_float_round_mode_32 0
		.amdhsa_float_round_mode_16_64 0
		.amdhsa_float_denorm_mode_32 3
		.amdhsa_float_denorm_mode_16_64 3
		.amdhsa_dx10_clamp 1
		.amdhsa_ieee_mode 1
		.amdhsa_fp16_overflow 0
		.amdhsa_workgroup_processor_mode 1
		.amdhsa_memory_ordered 1
		.amdhsa_forward_progress 1
		.amdhsa_shared_vgpr_count 0
		.amdhsa_exception_fp_ieee_invalid_op 0
		.amdhsa_exception_fp_denorm_src 0
		.amdhsa_exception_fp_ieee_div_zero 0
		.amdhsa_exception_fp_ieee_overflow 0
		.amdhsa_exception_fp_ieee_underflow 0
		.amdhsa_exception_fp_ieee_inexact 0
		.amdhsa_exception_int_div_zero 0
	.end_amdhsa_kernel
	.section	.text._ZN12_GLOBAL__N_120softmax_warp_forwardIN3c108BFloat16ES2_fLi9ELb1ELb0ELi64EEEvPT0_PKT_iiiPKbib,"axG",@progbits,_ZN12_GLOBAL__N_120softmax_warp_forwardIN3c108BFloat16ES2_fLi9ELb1ELb0ELi64EEEvPT0_PKT_iiiPKbib,comdat
.Lfunc_end149:
	.size	_ZN12_GLOBAL__N_120softmax_warp_forwardIN3c108BFloat16ES2_fLi9ELb1ELb0ELi64EEEvPT0_PKT_iiiPKbib, .Lfunc_end149-_ZN12_GLOBAL__N_120softmax_warp_forwardIN3c108BFloat16ES2_fLi9ELb1ELb0ELi64EEEvPT0_PKT_iiiPKbib
                                        ; -- End function
	.set _ZN12_GLOBAL__N_120softmax_warp_forwardIN3c108BFloat16ES2_fLi9ELb1ELb0ELi64EEEvPT0_PKT_iiiPKbib.num_vgpr, 41
	.set _ZN12_GLOBAL__N_120softmax_warp_forwardIN3c108BFloat16ES2_fLi9ELb1ELb0ELi64EEEvPT0_PKT_iiiPKbib.num_agpr, 0
	.set _ZN12_GLOBAL__N_120softmax_warp_forwardIN3c108BFloat16ES2_fLi9ELb1ELb0ELi64EEEvPT0_PKT_iiiPKbib.numbered_sgpr, 16
	.set _ZN12_GLOBAL__N_120softmax_warp_forwardIN3c108BFloat16ES2_fLi9ELb1ELb0ELi64EEEvPT0_PKT_iiiPKbib.num_named_barrier, 0
	.set _ZN12_GLOBAL__N_120softmax_warp_forwardIN3c108BFloat16ES2_fLi9ELb1ELb0ELi64EEEvPT0_PKT_iiiPKbib.private_seg_size, 0
	.set _ZN12_GLOBAL__N_120softmax_warp_forwardIN3c108BFloat16ES2_fLi9ELb1ELb0ELi64EEEvPT0_PKT_iiiPKbib.uses_vcc, 1
	.set _ZN12_GLOBAL__N_120softmax_warp_forwardIN3c108BFloat16ES2_fLi9ELb1ELb0ELi64EEEvPT0_PKT_iiiPKbib.uses_flat_scratch, 0
	.set _ZN12_GLOBAL__N_120softmax_warp_forwardIN3c108BFloat16ES2_fLi9ELb1ELb0ELi64EEEvPT0_PKT_iiiPKbib.has_dyn_sized_stack, 0
	.set _ZN12_GLOBAL__N_120softmax_warp_forwardIN3c108BFloat16ES2_fLi9ELb1ELb0ELi64EEEvPT0_PKT_iiiPKbib.has_recursion, 0
	.set _ZN12_GLOBAL__N_120softmax_warp_forwardIN3c108BFloat16ES2_fLi9ELb1ELb0ELi64EEEvPT0_PKT_iiiPKbib.has_indirect_call, 0
	.section	.AMDGPU.csdata,"",@progbits
; Kernel info:
; codeLenInByte = 2480
; TotalNumSgprs: 18
; NumVgprs: 41
; ScratchSize: 0
; MemoryBound: 0
; FloatMode: 240
; IeeeMode: 1
; LDSByteSize: 0 bytes/workgroup (compile time only)
; SGPRBlocks: 0
; VGPRBlocks: 5
; NumSGPRsForWavesPerEU: 18
; NumVGPRsForWavesPerEU: 41
; Occupancy: 16
; WaveLimiterHint : 0
; COMPUTE_PGM_RSRC2:SCRATCH_EN: 0
; COMPUTE_PGM_RSRC2:USER_SGPR: 6
; COMPUTE_PGM_RSRC2:TRAP_HANDLER: 0
; COMPUTE_PGM_RSRC2:TGID_X_EN: 1
; COMPUTE_PGM_RSRC2:TGID_Y_EN: 0
; COMPUTE_PGM_RSRC2:TGID_Z_EN: 0
; COMPUTE_PGM_RSRC2:TIDIG_COMP_CNT: 1
	.section	.text._ZN12_GLOBAL__N_120softmax_warp_forwardIN3c108BFloat16ES2_fLi9ELb1ELb0ELi32EEEvPT0_PKT_iiiPKbib,"axG",@progbits,_ZN12_GLOBAL__N_120softmax_warp_forwardIN3c108BFloat16ES2_fLi9ELb1ELb0ELi32EEEvPT0_PKT_iiiPKbib,comdat
	.globl	_ZN12_GLOBAL__N_120softmax_warp_forwardIN3c108BFloat16ES2_fLi9ELb1ELb0ELi32EEEvPT0_PKT_iiiPKbib ; -- Begin function _ZN12_GLOBAL__N_120softmax_warp_forwardIN3c108BFloat16ES2_fLi9ELb1ELb0ELi32EEEvPT0_PKT_iiiPKbib
	.p2align	8
	.type	_ZN12_GLOBAL__N_120softmax_warp_forwardIN3c108BFloat16ES2_fLi9ELb1ELb0ELi32EEEvPT0_PKT_iiiPKbib,@function
_ZN12_GLOBAL__N_120softmax_warp_forwardIN3c108BFloat16ES2_fLi9ELb1ELb0ELi32EEEvPT0_PKT_iiiPKbib: ; @_ZN12_GLOBAL__N_120softmax_warp_forwardIN3c108BFloat16ES2_fLi9ELb1ELb0ELi32EEEvPT0_PKT_iiiPKbib
; %bb.0:
	s_clause 0x1
	s_load_dword s0, s[4:5], 0x3c
	s_load_dwordx8 s[16:23], s[4:5], 0x0
	v_mov_b32_e32 v6, 0xff800000
	v_mov_b32_e32 v10, 0xff800000
	s_waitcnt lgkmcnt(0)
	s_lshr_b32 s0, s0, 16
	v_cmp_gt_i32_e32 vcc_lo, s22, v0
	v_mad_u64_u32 v[1:2], null, s6, s0, v[1:2]
	v_mad_u64_u32 v[2:3], null, v1, s21, v[0:1]
	v_sub_nc_u32_e32 v5, s20, v1
	v_cmp_lt_i32_e64 s15, 0, v5
	v_ashrrev_i32_e32 v3, 31, v2
	s_and_b32 s1, s15, vcc_lo
	v_lshlrev_b64 v[1:2], 1, v[2:3]
	v_add_co_u32 v3, s0, s18, v1
	v_add_co_ci_u32_e64 v4, null, s19, v2, s0
	s_and_saveexec_b32 s0, s1
	s_cbranch_execz .LBB150_2
; %bb.1:
	global_load_ushort v7, v[3:4], off
	s_waitcnt vmcnt(0)
	v_lshlrev_b32_e32 v10, 16, v7
.LBB150_2:
	s_or_b32 exec_lo, exec_lo, s0
	v_add_nc_u32_e32 v7, 32, v0
	v_cmp_gt_i32_e64 s0, s22, v7
	s_and_b32 s2, s15, s0
	s_and_saveexec_b32 s1, s2
	s_cbranch_execz .LBB150_4
; %bb.3:
	global_load_ushort v6, v[3:4], off offset:64
	s_waitcnt vmcnt(0)
	v_lshlrev_b32_e32 v6, 16, v6
.LBB150_4:
	s_or_b32 exec_lo, exec_lo, s1
	v_add_nc_u32_e32 v7, 64, v0
	v_mov_b32_e32 v12, 0xff800000
	v_cmp_gt_i32_e64 s1, s22, v7
	v_mov_b32_e32 v7, 0xff800000
	s_and_b32 s3, s15, s1
	s_and_saveexec_b32 s2, s3
	s_cbranch_execz .LBB150_6
; %bb.5:
	global_load_ushort v8, v[3:4], off offset:128
	s_waitcnt vmcnt(0)
	v_lshlrev_b32_e32 v12, 16, v8
.LBB150_6:
	s_or_b32 exec_lo, exec_lo, s2
	v_add_nc_u32_e32 v8, 0x60, v0
	v_cmp_gt_i32_e64 s2, s22, v8
	s_and_b32 s4, s15, s2
	s_and_saveexec_b32 s3, s4
	s_cbranch_execz .LBB150_8
; %bb.7:
	global_load_ushort v7, v[3:4], off offset:192
	s_waitcnt vmcnt(0)
	v_lshlrev_b32_e32 v7, 16, v7
.LBB150_8:
	s_or_b32 exec_lo, exec_lo, s3
	v_add_nc_u32_e32 v8, 0x80, v0
	v_mov_b32_e32 v14, 0xff800000
	v_cmp_gt_i32_e64 s3, s22, v8
	v_mov_b32_e32 v8, 0xff800000
	s_and_b32 s5, s15, s3
	s_and_saveexec_b32 s4, s5
	s_cbranch_execz .LBB150_10
; %bb.9:
	global_load_ushort v9, v[3:4], off offset:256
	s_waitcnt vmcnt(0)
	v_lshlrev_b32_e32 v14, 16, v9
.LBB150_10:
	s_or_b32 exec_lo, exec_lo, s4
	v_add_nc_u32_e32 v9, 0xa0, v0
	v_cmp_gt_i32_e64 s4, s22, v9
	s_and_b32 s6, s15, s4
	s_and_saveexec_b32 s5, s6
	s_cbranch_execz .LBB150_12
; %bb.11:
	global_load_ushort v8, v[3:4], off offset:320
	s_waitcnt vmcnt(0)
	v_lshlrev_b32_e32 v8, 16, v8
.LBB150_12:
	s_or_b32 exec_lo, exec_lo, s5
	v_add_nc_u32_e32 v9, 0xc0, v0
	v_mov_b32_e32 v11, 0xff800000
	v_mov_b32_e32 v17, 0xff800000
	v_cmp_gt_i32_e64 s5, s22, v9
	s_and_b32 s7, s15, s5
	s_and_saveexec_b32 s6, s7
	s_cbranch_execz .LBB150_14
; %bb.13:
	global_load_ushort v9, v[3:4], off offset:384
	s_waitcnt vmcnt(0)
	v_lshlrev_b32_e32 v17, 16, v9
.LBB150_14:
	s_or_b32 exec_lo, exec_lo, s6
	v_add_nc_u32_e32 v9, 0xe0, v0
	v_cmp_gt_i32_e64 s6, s22, v9
	s_and_b32 s8, s15, s6
	s_and_saveexec_b32 s7, s8
	s_cbranch_execz .LBB150_16
; %bb.15:
	global_load_ushort v9, v[3:4], off offset:448
	s_waitcnt vmcnt(0)
	v_lshlrev_b32_e32 v11, 16, v9
.LBB150_16:
	s_or_b32 exec_lo, exec_lo, s7
	v_add_nc_u32_e32 v9, 0x100, v0
	v_mov_b32_e32 v13, 0xff800000
	v_mov_b32_e32 v19, 0xff800000
	v_cmp_gt_i32_e64 s7, s22, v9
	s_and_b32 s9, s15, s7
	s_and_saveexec_b32 s8, s9
	s_cbranch_execz .LBB150_18
; %bb.17:
	global_load_ushort v9, v[3:4], off offset:512
	s_waitcnt vmcnt(0)
	v_lshlrev_b32_e32 v19, 16, v9
.LBB150_18:
	s_or_b32 exec_lo, exec_lo, s8
	v_add_nc_u32_e32 v9, 0x120, v0
	v_cmp_gt_i32_e64 s8, s22, v9
	s_and_b32 s10, s15, s8
	s_and_saveexec_b32 s9, s10
	s_cbranch_execz .LBB150_20
; %bb.19:
	global_load_ushort v9, v[3:4], off offset:576
	s_waitcnt vmcnt(0)
	v_lshlrev_b32_e32 v13, 16, v9
.LBB150_20:
	s_or_b32 exec_lo, exec_lo, s9
	v_add_nc_u32_e32 v9, 0x140, v0
	v_mov_b32_e32 v15, 0xff800000
	v_mov_b32_e32 v24, 0xff800000
	v_cmp_gt_i32_e64 s9, s22, v9
	s_and_b32 s11, s15, s9
	s_and_saveexec_b32 s10, s11
	s_cbranch_execz .LBB150_22
; %bb.21:
	global_load_ushort v9, v[3:4], off offset:640
	s_waitcnt vmcnt(0)
	v_lshlrev_b32_e32 v24, 16, v9
.LBB150_22:
	s_or_b32 exec_lo, exec_lo, s10
	v_add_nc_u32_e32 v9, 0x160, v0
	v_cmp_gt_i32_e64 s10, s22, v9
	s_and_b32 s12, s15, s10
	s_and_saveexec_b32 s11, s12
	s_cbranch_execz .LBB150_24
; %bb.23:
	global_load_ushort v9, v[3:4], off offset:704
	s_waitcnt vmcnt(0)
	v_lshlrev_b32_e32 v15, 16, v9
.LBB150_24:
	s_or_b32 exec_lo, exec_lo, s11
	v_add_nc_u32_e32 v9, 0x180, v0
	v_mov_b32_e32 v18, 0xff800000
	v_mov_b32_e32 v25, 0xff800000
	v_cmp_gt_i32_e64 s11, s22, v9
	s_and_b32 s13, s15, s11
	s_and_saveexec_b32 s12, s13
	s_cbranch_execz .LBB150_26
; %bb.25:
	global_load_ushort v9, v[3:4], off offset:768
	s_waitcnt vmcnt(0)
	v_lshlrev_b32_e32 v25, 16, v9
.LBB150_26:
	s_or_b32 exec_lo, exec_lo, s12
	v_add_nc_u32_e32 v9, 0x1a0, v0
	v_cmp_gt_i32_e64 s12, s22, v9
	s_and_b32 s14, s15, s12
	s_and_saveexec_b32 s13, s14
	s_cbranch_execz .LBB150_28
; %bb.27:
	global_load_ushort v9, v[3:4], off offset:832
	s_waitcnt vmcnt(0)
	v_lshlrev_b32_e32 v18, 16, v9
.LBB150_28:
	s_or_b32 exec_lo, exec_lo, s13
	v_add_nc_u32_e32 v9, 0x1c0, v0
	v_mov_b32_e32 v20, 0xff800000
	v_mov_b32_e32 v26, 0xff800000
	v_cmp_gt_i32_e64 s13, s22, v9
	s_and_b32 s18, s15, s13
	s_and_saveexec_b32 s14, s18
	s_cbranch_execz .LBB150_30
; %bb.29:
	global_load_ushort v9, v[3:4], off offset:896
	s_waitcnt vmcnt(0)
	v_lshlrev_b32_e32 v26, 16, v9
.LBB150_30:
	s_or_b32 exec_lo, exec_lo, s14
	v_add_nc_u32_e32 v0, 0x1e0, v0
	v_cmp_gt_i32_e64 s14, s22, v0
	s_and_b32 s18, s15, s14
	s_and_saveexec_b32 s15, s18
	s_cbranch_execz .LBB150_32
; %bb.31:
	global_load_ushort v0, v[3:4], off offset:960
	s_waitcnt vmcnt(0)
	v_lshlrev_b32_e32 v20, 16, v0
.LBB150_32:
	s_or_b32 exec_lo, exec_lo, s15
	v_cmp_gt_f32_e64 s15, v10, v6
	v_mbcnt_lo_u32_b32 v3, -1, 0
	s_mov_b32 s18, exec_lo
	v_cndmask_b32_e64 v0, v6, v10, s15
	v_xor_b32_e32 v4, 16, v3
	v_xor_b32_e32 v16, 8, v3
	;; [unrolled: 1-line block ×4, first 2 shown]
	v_cmp_gt_f32_e64 s15, v0, v12
	v_xor_b32_e32 v23, 1, v3
	v_cndmask_b32_e64 v0, v12, v0, s15
	v_cmp_gt_f32_e64 s15, v0, v7
	v_cndmask_b32_e64 v0, v7, v0, s15
	v_cmp_gt_f32_e64 s15, v0, v14
	;; [unrolled: 2-line block ×11, first 2 shown]
	v_cndmask_b32_e64 v0, v18, v0, s15
	v_cmp_gt_i32_e64 s15, 32, v4
	v_cndmask_b32_e64 v4, v3, v4, s15
	v_cmp_gt_f32_e64 s15, v0, v26
	v_lshlrev_b32_e32 v9, 2, v4
	v_cndmask_b32_e64 v0, v26, v0, s15
	v_cmp_gt_f32_e64 s15, v0, v20
	v_cndmask_b32_e64 v0, v20, v0, s15
	v_cmp_gt_i32_e64 s15, 32, v16
	ds_bpermute_b32 v4, v9, v0
	v_cndmask_b32_e64 v16, v3, v16, s15
	v_lshlrev_b32_e32 v16, 2, v16
	s_waitcnt lgkmcnt(0)
	v_cmp_lt_f32_e64 s15, v0, v4
	v_cndmask_b32_e64 v0, v0, v4, s15
	v_cmp_gt_i32_e64 s15, 32, v21
	ds_bpermute_b32 v4, v16, v0
	v_cndmask_b32_e64 v21, v3, v21, s15
	v_lshlrev_b32_e32 v21, 2, v21
	s_waitcnt lgkmcnt(0)
	v_cmp_lt_f32_e64 s15, v0, v4
	;; [unrolled: 7-line block ×4, first 2 shown]
	v_cndmask_b32_e64 v0, v0, v4, s15
	ds_bpermute_b32 v3, v23, v0
	s_waitcnt lgkmcnt(0)
	v_cmp_lt_f32_e64 s15, v0, v3
	v_cndmask_b32_e64 v27, v0, v3, s15
	v_sub_f32_e32 v0, v10, v27
	v_sub_f32_e32 v3, v6, v27
	;; [unrolled: 1-line block ×5, first 2 shown]
	v_mul_f32_e32 v24, 0x3fb8aa3b, v0
	v_sub_f32_e32 v4, v12, v27
	v_sub_f32_e32 v10, v17, v27
	v_sub_f32_e32 v17, v25, v27
	v_mul_f32_e32 v25, 0x3fb8aa3b, v3
	v_fma_f32 v40, 0x3fb8aa3b, v0, -v24
	v_rndne_f32_e32 v41, v24
	v_sub_f32_e32 v12, v19, v27
	v_sub_f32_e32 v19, v26, v27
	v_mul_f32_e32 v26, 0x3fb8aa3b, v4
	v_fma_f32 v42, 0x3fb8aa3b, v3, -v25
	v_rndne_f32_e32 v43, v25
	v_fmac_f32_e32 v40, 0x32a5705f, v0
	v_sub_f32_e32 v24, v24, v41
	v_fma_f32 v44, 0x3fb8aa3b, v4, -v26
	v_rndne_f32_e32 v45, v26
	v_fmac_f32_e32 v42, 0x32a5705f, v3
	v_sub_f32_e32 v25, v25, v43
	v_add_f32_e32 v24, v24, v40
	v_fmac_f32_e32 v44, 0x32a5705f, v4
	v_sub_f32_e32 v26, v26, v45
	v_sub_f32_e32 v8, v8, v27
	v_add_f32_e32 v25, v25, v42
	v_exp_f32_e32 v24, v24
	v_sub_f32_e32 v11, v11, v27
	v_sub_f32_e32 v13, v13, v27
	;; [unrolled: 1-line block ×5, first 2 shown]
	v_mul_f32_e32 v27, 0x3fb8aa3b, v6
	v_add_f32_e32 v26, v26, v44
	v_cvt_i32_f32_e32 v41, v41
	v_exp_f32_e32 v25, v25
	v_cvt_i32_f32_e32 v43, v43
	v_fma_f32 v46, 0x3fb8aa3b, v6, -v27
	v_rndne_f32_e32 v47, v27
	v_exp_f32_e32 v26, v26
	v_ldexp_f32 v24, v24, v41
	v_cmp_ngt_f32_e64 s15, 0xc2ce8ed0, v0
	v_mul_f32_e32 v28, 0x3fb8aa3b, v7
	v_fmac_f32_e32 v46, 0x32a5705f, v6
	v_sub_f32_e32 v27, v27, v47
	v_cvt_i32_f32_e32 v45, v45
	v_ldexp_f32 v25, v25, v43
	v_cndmask_b32_e64 v24, 0, v24, s15
	v_cmp_ngt_f32_e64 s15, 0xc2ce8ed0, v3
	v_fma_f32 v48, 0x3fb8aa3b, v7, -v28
	v_rndne_f32_e32 v49, v28
	v_add_f32_e32 v27, v27, v46
	v_ldexp_f32 v26, v26, v45
	v_cndmask_b32_e64 v25, 0, v25, s15
	v_cmp_ngt_f32_e64 s15, 0xc2ce8ed0, v4
	v_mul_f32_e32 v29, 0x3fb8aa3b, v8
	v_fmac_f32_e32 v48, 0x32a5705f, v7
	v_sub_f32_e32 v28, v28, v49
	v_exp_f32_e32 v27, v27
	v_cndmask_b32_e64 v26, 0, v26, s15
	v_cmp_nlt_f32_e64 s15, 0x42b17218, v0
	v_fma_f32 v50, 0x3fb8aa3b, v8, -v29
	v_rndne_f32_e32 v51, v29
	v_add_f32_e32 v28, v28, v48
	v_cvt_i32_f32_e32 v47, v47
	v_cndmask_b32_e64 v24, 0x7f800000, v24, s15
	v_cmp_nlt_f32_e64 s15, 0x42b17218, v3
	v_mul_f32_e32 v30, 0x3fb8aa3b, v10
	v_fmac_f32_e32 v50, 0x32a5705f, v8
	v_sub_f32_e32 v29, v29, v51
	v_exp_f32_e32 v28, v28
	v_ldexp_f32 v27, v27, v47
	v_cndmask_b32_e64 v25, 0x7f800000, v25, s15
	v_cmp_ngt_f32_e64 s15, 0xc2ce8ed0, v6
	v_fma_f32 v52, 0x3fb8aa3b, v10, -v30
	v_rndne_f32_e32 v53, v30
	v_add_f32_e32 v29, v29, v50
	v_cvt_i32_f32_e32 v49, v49
	v_cndmask_b32_e64 v27, 0, v27, s15
	v_cmp_nlt_f32_e64 s15, 0x42b17218, v4
	v_mul_f32_e32 v31, 0x3fb8aa3b, v11
	v_fmac_f32_e32 v52, 0x32a5705f, v10
	v_sub_f32_e32 v30, v30, v53
	v_exp_f32_e32 v29, v29
	v_ldexp_f32 v28, v28, v49
	v_cndmask_b32_e64 v26, 0x7f800000, v26, s15
	v_cmp_ngt_f32_e64 s15, 0xc2ce8ed0, v7
	v_fma_f32 v54, 0x3fb8aa3b, v11, -v31
	v_rndne_f32_e32 v55, v31
	v_add_f32_e32 v30, v30, v52
	v_cvt_i32_f32_e32 v51, v51
	v_add_f32_e32 v24, v24, v25
	v_cndmask_b32_e64 v25, 0, v28, s15
	v_cmp_nlt_f32_e64 s15, 0x42b17218, v6
	v_mul_f32_e32 v32, 0x3fb8aa3b, v12
	v_fmac_f32_e32 v54, 0x32a5705f, v11
	v_sub_f32_e32 v31, v31, v55
	v_exp_f32_e32 v30, v30
	v_ldexp_f32 v29, v29, v51
	v_cndmask_b32_e64 v27, 0x7f800000, v27, s15
	v_cmp_ngt_f32_e64 s15, 0xc2ce8ed0, v8
	v_fma_f32 v56, 0x3fb8aa3b, v12, -v32
	v_rndne_f32_e32 v57, v32
	v_add_f32_e32 v31, v31, v54
	v_cvt_i32_f32_e32 v53, v53
	v_add_f32_e32 v24, v24, v26
	;; [unrolled: 14-line block ×4, first 2 shown]
	v_cndmask_b32_e64 v25, 0, v31, s15
	v_cmp_nlt_f32_e64 s15, 0x42b17218, v10
	v_mul_f32_e32 v35, 0x3fb8aa3b, v15
	v_fmac_f32_e32 v60, 0x32a5705f, v14
	v_sub_f32_e32 v34, v34, v61
	v_exp_f32_e32 v33, v33
	v_ldexp_f32 v32, v32, v57
	v_cndmask_b32_e64 v27, 0x7f800000, v27, s15
	v_cmp_ngt_f32_e64 s15, 0xc2ce8ed0, v12
	v_fma_f32 v40, 0x3fb8aa3b, v15, -v35
	v_rndne_f32_e32 v42, v35
	v_cvt_i32_f32_e32 v59, v59
	v_add_f32_e32 v34, v34, v60
	v_add_f32_e32 v24, v24, v26
	v_cndmask_b32_e64 v26, 0, v32, s15
	v_cmp_nlt_f32_e64 s15, 0x42b17218, v11
	v_mul_f32_e32 v36, 0x3fb8aa3b, v17
	v_fmac_f32_e32 v40, 0x32a5705f, v15
	v_sub_f32_e32 v35, v35, v42
	v_exp_f32_e32 v34, v34
	v_ldexp_f32 v33, v33, v59
	v_cndmask_b32_e64 v25, 0x7f800000, v25, s15
	v_cmp_ngt_f32_e64 s15, 0xc2ce8ed0, v13
	v_fma_f32 v44, 0x3fb8aa3b, v17, -v36
	v_rndne_f32_e32 v46, v36
	v_cvt_i32_f32_e32 v61, v61
	v_add_f32_e32 v35, v35, v40
	v_add_f32_e32 v24, v24, v27
	;; [unrolled: 14-line block ×4, first 2 shown]
	v_cndmask_b32_e64 v26, 0, v35, s15
	v_cmp_nlt_f32_e64 s15, 0x42b17218, v14
	v_fmac_f32_e32 v52, 0x32a5705f, v19
	v_sub_f32_e32 v38, v38, v54
	v_exp_f32_e32 v37, v37
	v_ldexp_f32 v36, v36, v46
	v_cndmask_b32_e64 v25, 0x7f800000, v25, s15
	v_cmp_ngt_f32_e64 s15, 0xc2ce8ed0, v17
	v_mul_f32_e32 v39, 0x3fb8aa3b, v20
	v_cvt_i32_f32_e32 v50, v50
	v_add_f32_e32 v38, v38, v52
	v_add_f32_e32 v24, v24, v27
	v_cndmask_b32_e64 v27, 0, v36, s15
	v_cmp_nlt_f32_e64 s15, 0x42b17218, v15
	v_fma_f32 v56, 0x3fb8aa3b, v20, -v39
	v_rndne_f32_e32 v58, v39
	v_exp_f32_e32 v38, v38
	v_ldexp_f32 v37, v37, v50
	v_cndmask_b32_e64 v26, 0x7f800000, v26, s15
	v_cmp_ngt_f32_e64 s15, 0xc2ce8ed0, v18
	v_cvt_i32_f32_e32 v54, v54
	v_fmac_f32_e32 v56, 0x32a5705f, v20
	v_sub_f32_e32 v39, v39, v58
	v_add_f32_e32 v24, v24, v25
	v_cndmask_b32_e64 v25, 0, v37, s15
	v_cmp_nlt_f32_e64 s15, 0x42b17218, v17
	v_ldexp_f32 v38, v38, v54
	v_add_f32_e32 v39, v39, v56
	v_add_f32_e32 v24, v24, v26
	v_cvt_i32_f32_e32 v58, v58
	v_cndmask_b32_e64 v27, 0x7f800000, v27, s15
	v_cmp_ngt_f32_e64 s15, 0xc2ce8ed0, v19
	v_exp_f32_e32 v39, v39
	v_add_f32_e32 v24, v24, v27
	v_cndmask_b32_e64 v26, 0, v38, s15
	v_cmp_nlt_f32_e64 s15, 0x42b17218, v18
	v_cndmask_b32_e64 v25, 0x7f800000, v25, s15
	v_cmp_nlt_f32_e64 s15, 0x42b17218, v19
	v_ldexp_f32 v27, v39, v58
	v_add_f32_e32 v24, v24, v25
	v_cndmask_b32_e64 v26, 0x7f800000, v26, s15
	v_cmp_ngt_f32_e64 s15, 0xc2ce8ed0, v20
	v_add_f32_e32 v24, v24, v26
	v_cndmask_b32_e64 v25, 0, v27, s15
	v_cmp_nlt_f32_e64 s15, 0x42b17218, v20
	v_cndmask_b32_e64 v25, 0x7f800000, v25, s15
	v_add_f32_e32 v24, v24, v25
	ds_bpermute_b32 v9, v9, v24
	s_waitcnt lgkmcnt(0)
	v_add_f32_e32 v9, v24, v9
	ds_bpermute_b32 v16, v16, v9
	s_waitcnt lgkmcnt(0)
	;; [unrolled: 3-line block ×4, first 2 shown]
	v_add_f32_e32 v9, v9, v16
	ds_bpermute_b32 v16, v23, v9
	v_cmpx_lt_i32_e32 0, v5
	s_cbranch_execz .LBB150_50
; %bb.33:
	s_and_b32 exec_lo, exec_lo, vcc_lo
	s_cbranch_execz .LBB150_50
; %bb.34:
	s_waitcnt lgkmcnt(0)
	v_add_f32_e32 v5, v9, v16
	v_cmp_gt_f32_e32 vcc_lo, 0x800000, v5
	v_cndmask_b32_e64 v9, 0, 32, vcc_lo
	v_cndmask_b32_e64 v16, 0, 0x41b17218, vcc_lo
	v_ldexp_f32 v5, v5, v9
	v_log_f32_e32 v5, v5
	v_mul_f32_e32 v9, 0x3f317217, v5
	v_cmp_gt_f32_e64 vcc_lo, 0x7f800000, |v5|
	v_fma_f32 v9, 0x3f317217, v5, -v9
	v_fmamk_f32 v9, v5, 0x3377d1cf, v9
	v_fmac_f32_e32 v9, 0x3f317217, v5
	v_cndmask_b32_e32 v5, v5, v9, vcc_lo
	v_mov_b32_e32 v9, 0x7fc0
	v_sub_f32_e32 v5, v5, v16
	v_sub_f32_e32 v0, v0, v5
	v_bfe_u32 v16, v0, 16, 1
	v_cmp_o_f32_e32 vcc_lo, v0, v0
	v_add3_u32 v16, v0, v16, 0x7fff
	v_add_co_u32 v0, s15, s16, v1
	v_add_co_ci_u32_e64 v1, null, s17, v2, s15
	v_cndmask_b32_sdwa v2, v9, v16, vcc_lo dst_sel:DWORD dst_unused:UNUSED_PAD src0_sel:DWORD src1_sel:WORD_1
	global_store_short v[0:1], v2, off
	s_and_b32 exec_lo, exec_lo, s0
	s_cbranch_execz .LBB150_50
; %bb.35:
	v_sub_f32_e32 v2, v3, v5
	v_bfe_u32 v3, v2, 16, 1
	v_cmp_o_f32_e32 vcc_lo, v2, v2
	v_add3_u32 v2, v2, v3, 0x7fff
	v_cndmask_b32_sdwa v2, v9, v2, vcc_lo dst_sel:DWORD dst_unused:UNUSED_PAD src0_sel:DWORD src1_sel:WORD_1
	global_store_short v[0:1], v2, off offset:64
	s_and_b32 exec_lo, exec_lo, s1
	s_cbranch_execz .LBB150_50
; %bb.36:
	v_sub_f32_e32 v2, v4, v5
	v_bfe_u32 v3, v2, 16, 1
	v_cmp_o_f32_e32 vcc_lo, v2, v2
	v_add3_u32 v3, v2, v3, 0x7fff
	v_mov_b32_e32 v2, 0x7fc0
	v_cndmask_b32_sdwa v3, v2, v3, vcc_lo dst_sel:DWORD dst_unused:UNUSED_PAD src0_sel:DWORD src1_sel:WORD_1
	global_store_short v[0:1], v3, off offset:128
	s_and_b32 exec_lo, exec_lo, s2
	s_cbranch_execz .LBB150_50
; %bb.37:
	v_sub_f32_e32 v3, v6, v5
	v_bfe_u32 v4, v3, 16, 1
	v_cmp_o_f32_e32 vcc_lo, v3, v3
	v_add3_u32 v3, v3, v4, 0x7fff
	v_cndmask_b32_sdwa v2, v2, v3, vcc_lo dst_sel:DWORD dst_unused:UNUSED_PAD src0_sel:DWORD src1_sel:WORD_1
	global_store_short v[0:1], v2, off offset:192
	s_and_b32 exec_lo, exec_lo, s3
	s_cbranch_execz .LBB150_50
; %bb.38:
	v_sub_f32_e32 v2, v7, v5
	v_bfe_u32 v3, v2, 16, 1
	v_cmp_o_f32_e32 vcc_lo, v2, v2
	v_add3_u32 v3, v2, v3, 0x7fff
	v_mov_b32_e32 v2, 0x7fc0
	v_cndmask_b32_sdwa v3, v2, v3, vcc_lo dst_sel:DWORD dst_unused:UNUSED_PAD src0_sel:DWORD src1_sel:WORD_1
	global_store_short v[0:1], v3, off offset:256
	;; [unrolled: 19-line block ×7, first 2 shown]
	s_and_b32 exec_lo, exec_lo, s14
	s_cbranch_execz .LBB150_50
; %bb.49:
	v_sub_f32_e32 v3, v20, v5
	v_bfe_u32 v4, v3, 16, 1
	v_cmp_o_f32_e32 vcc_lo, v3, v3
	v_add3_u32 v3, v3, v4, 0x7fff
	v_cndmask_b32_sdwa v2, v2, v3, vcc_lo dst_sel:DWORD dst_unused:UNUSED_PAD src0_sel:DWORD src1_sel:WORD_1
	global_store_short v[0:1], v2, off offset:960
.LBB150_50:
	s_endpgm
	.section	.rodata,"a",@progbits
	.p2align	6, 0x0
	.amdhsa_kernel _ZN12_GLOBAL__N_120softmax_warp_forwardIN3c108BFloat16ES2_fLi9ELb1ELb0ELi32EEEvPT0_PKT_iiiPKbib
		.amdhsa_group_segment_fixed_size 0
		.amdhsa_private_segment_fixed_size 0
		.amdhsa_kernarg_size 304
		.amdhsa_user_sgpr_count 6
		.amdhsa_user_sgpr_private_segment_buffer 1
		.amdhsa_user_sgpr_dispatch_ptr 0
		.amdhsa_user_sgpr_queue_ptr 0
		.amdhsa_user_sgpr_kernarg_segment_ptr 1
		.amdhsa_user_sgpr_dispatch_id 0
		.amdhsa_user_sgpr_flat_scratch_init 0
		.amdhsa_user_sgpr_private_segment_size 0
		.amdhsa_wavefront_size32 1
		.amdhsa_uses_dynamic_stack 0
		.amdhsa_system_sgpr_private_segment_wavefront_offset 0
		.amdhsa_system_sgpr_workgroup_id_x 1
		.amdhsa_system_sgpr_workgroup_id_y 0
		.amdhsa_system_sgpr_workgroup_id_z 0
		.amdhsa_system_sgpr_workgroup_info 0
		.amdhsa_system_vgpr_workitem_id 1
		.amdhsa_next_free_vgpr 62
		.amdhsa_next_free_sgpr 24
		.amdhsa_reserve_vcc 1
		.amdhsa_reserve_flat_scratch 0
		.amdhsa_float_round_mode_32 0
		.amdhsa_float_round_mode_16_64 0
		.amdhsa_float_denorm_mode_32 3
		.amdhsa_float_denorm_mode_16_64 3
		.amdhsa_dx10_clamp 1
		.amdhsa_ieee_mode 1
		.amdhsa_fp16_overflow 0
		.amdhsa_workgroup_processor_mode 1
		.amdhsa_memory_ordered 1
		.amdhsa_forward_progress 1
		.amdhsa_shared_vgpr_count 0
		.amdhsa_exception_fp_ieee_invalid_op 0
		.amdhsa_exception_fp_denorm_src 0
		.amdhsa_exception_fp_ieee_div_zero 0
		.amdhsa_exception_fp_ieee_overflow 0
		.amdhsa_exception_fp_ieee_underflow 0
		.amdhsa_exception_fp_ieee_inexact 0
		.amdhsa_exception_int_div_zero 0
	.end_amdhsa_kernel
	.section	.text._ZN12_GLOBAL__N_120softmax_warp_forwardIN3c108BFloat16ES2_fLi9ELb1ELb0ELi32EEEvPT0_PKT_iiiPKbib,"axG",@progbits,_ZN12_GLOBAL__N_120softmax_warp_forwardIN3c108BFloat16ES2_fLi9ELb1ELb0ELi32EEEvPT0_PKT_iiiPKbib,comdat
.Lfunc_end150:
	.size	_ZN12_GLOBAL__N_120softmax_warp_forwardIN3c108BFloat16ES2_fLi9ELb1ELb0ELi32EEEvPT0_PKT_iiiPKbib, .Lfunc_end150-_ZN12_GLOBAL__N_120softmax_warp_forwardIN3c108BFloat16ES2_fLi9ELb1ELb0ELi32EEEvPT0_PKT_iiiPKbib
                                        ; -- End function
	.set _ZN12_GLOBAL__N_120softmax_warp_forwardIN3c108BFloat16ES2_fLi9ELb1ELb0ELi32EEEvPT0_PKT_iiiPKbib.num_vgpr, 62
	.set _ZN12_GLOBAL__N_120softmax_warp_forwardIN3c108BFloat16ES2_fLi9ELb1ELb0ELi32EEEvPT0_PKT_iiiPKbib.num_agpr, 0
	.set _ZN12_GLOBAL__N_120softmax_warp_forwardIN3c108BFloat16ES2_fLi9ELb1ELb0ELi32EEEvPT0_PKT_iiiPKbib.numbered_sgpr, 24
	.set _ZN12_GLOBAL__N_120softmax_warp_forwardIN3c108BFloat16ES2_fLi9ELb1ELb0ELi32EEEvPT0_PKT_iiiPKbib.num_named_barrier, 0
	.set _ZN12_GLOBAL__N_120softmax_warp_forwardIN3c108BFloat16ES2_fLi9ELb1ELb0ELi32EEEvPT0_PKT_iiiPKbib.private_seg_size, 0
	.set _ZN12_GLOBAL__N_120softmax_warp_forwardIN3c108BFloat16ES2_fLi9ELb1ELb0ELi32EEEvPT0_PKT_iiiPKbib.uses_vcc, 1
	.set _ZN12_GLOBAL__N_120softmax_warp_forwardIN3c108BFloat16ES2_fLi9ELb1ELb0ELi32EEEvPT0_PKT_iiiPKbib.uses_flat_scratch, 0
	.set _ZN12_GLOBAL__N_120softmax_warp_forwardIN3c108BFloat16ES2_fLi9ELb1ELb0ELi32EEEvPT0_PKT_iiiPKbib.has_dyn_sized_stack, 0
	.set _ZN12_GLOBAL__N_120softmax_warp_forwardIN3c108BFloat16ES2_fLi9ELb1ELb0ELi32EEEvPT0_PKT_iiiPKbib.has_recursion, 0
	.set _ZN12_GLOBAL__N_120softmax_warp_forwardIN3c108BFloat16ES2_fLi9ELb1ELb0ELi32EEEvPT0_PKT_iiiPKbib.has_indirect_call, 0
	.section	.AMDGPU.csdata,"",@progbits
; Kernel info:
; codeLenInByte = 4296
; TotalNumSgprs: 26
; NumVgprs: 62
; ScratchSize: 0
; MemoryBound: 0
; FloatMode: 240
; IeeeMode: 1
; LDSByteSize: 0 bytes/workgroup (compile time only)
; SGPRBlocks: 0
; VGPRBlocks: 7
; NumSGPRsForWavesPerEU: 26
; NumVGPRsForWavesPerEU: 62
; Occupancy: 16
; WaveLimiterHint : 0
; COMPUTE_PGM_RSRC2:SCRATCH_EN: 0
; COMPUTE_PGM_RSRC2:USER_SGPR: 6
; COMPUTE_PGM_RSRC2:TRAP_HANDLER: 0
; COMPUTE_PGM_RSRC2:TGID_X_EN: 1
; COMPUTE_PGM_RSRC2:TGID_Y_EN: 0
; COMPUTE_PGM_RSRC2:TGID_Z_EN: 0
; COMPUTE_PGM_RSRC2:TIDIG_COMP_CNT: 1
	.section	.text._ZN12_GLOBAL__N_120softmax_warp_forwardIN3c108BFloat16ES2_fLi10ELb1ELb0ELi64EEEvPT0_PKT_iiiPKbib,"axG",@progbits,_ZN12_GLOBAL__N_120softmax_warp_forwardIN3c108BFloat16ES2_fLi10ELb1ELb0ELi64EEEvPT0_PKT_iiiPKbib,comdat
	.globl	_ZN12_GLOBAL__N_120softmax_warp_forwardIN3c108BFloat16ES2_fLi10ELb1ELb0ELi64EEEvPT0_PKT_iiiPKbib ; -- Begin function _ZN12_GLOBAL__N_120softmax_warp_forwardIN3c108BFloat16ES2_fLi10ELb1ELb0ELi64EEEvPT0_PKT_iiiPKbib
	.p2align	8
	.type	_ZN12_GLOBAL__N_120softmax_warp_forwardIN3c108BFloat16ES2_fLi10ELb1ELb0ELi64EEEvPT0_PKT_iiiPKbib,@function
_ZN12_GLOBAL__N_120softmax_warp_forwardIN3c108BFloat16ES2_fLi10ELb1ELb0ELi64EEEvPT0_PKT_iiiPKbib: ; @_ZN12_GLOBAL__N_120softmax_warp_forwardIN3c108BFloat16ES2_fLi10ELb1ELb0ELi64EEEvPT0_PKT_iiiPKbib
; %bb.0:
	s_clause 0x1
	s_load_dword s0, s[4:5], 0x3c
	s_load_dwordx8 s[16:23], s[4:5], 0x0
	v_mov_b32_e32 v6, 0xff800000
	v_mov_b32_e32 v7, 0xff800000
	s_waitcnt lgkmcnt(0)
	s_lshr_b32 s0, s0, 16
	v_cmp_gt_i32_e32 vcc_lo, s22, v0
	v_mad_u64_u32 v[1:2], null, s6, s0, v[1:2]
	v_mad_u64_u32 v[2:3], null, v1, s21, v[0:1]
	v_sub_nc_u32_e32 v5, s20, v1
	v_cmp_lt_i32_e64 s15, 0, v5
	v_ashrrev_i32_e32 v3, 31, v2
	s_and_b32 s1, s15, vcc_lo
	v_lshlrev_b64 v[1:2], 1, v[2:3]
	v_add_co_u32 v3, s0, s18, v1
	v_add_co_ci_u32_e64 v4, null, s19, v2, s0
	s_and_saveexec_b32 s0, s1
	s_cbranch_execz .LBB151_2
; %bb.1:
	global_load_ushort v7, v[3:4], off
	s_waitcnt vmcnt(0)
	v_lshlrev_b32_e32 v7, 16, v7
.LBB151_2:
	s_or_b32 exec_lo, exec_lo, s0
	v_add_nc_u32_e32 v8, 64, v0
	v_cmp_gt_i32_e64 s0, s22, v8
	s_and_b32 s2, s15, s0
	s_and_saveexec_b32 s1, s2
	s_cbranch_execz .LBB151_4
; %bb.3:
	global_load_ushort v6, v[3:4], off offset:128
	s_waitcnt vmcnt(0)
	v_lshlrev_b32_e32 v6, 16, v6
.LBB151_4:
	s_or_b32 exec_lo, exec_lo, s1
	v_add_nc_u32_e32 v8, 0x80, v0
	v_mov_b32_e32 v11, 0xff800000
	v_cmp_gt_i32_e64 s1, s22, v8
	v_mov_b32_e32 v8, 0xff800000
	s_and_b32 s3, s15, s1
	s_and_saveexec_b32 s2, s3
	s_cbranch_execz .LBB151_6
; %bb.5:
	global_load_ushort v9, v[3:4], off offset:256
	s_waitcnt vmcnt(0)
	v_lshlrev_b32_e32 v11, 16, v9
.LBB151_6:
	s_or_b32 exec_lo, exec_lo, s2
	v_add_nc_u32_e32 v9, 0xc0, v0
	v_cmp_gt_i32_e64 s2, s22, v9
	s_and_b32 s4, s15, s2
	s_and_saveexec_b32 s3, s4
	s_cbranch_execz .LBB151_8
; %bb.7:
	global_load_ushort v8, v[3:4], off offset:384
	s_waitcnt vmcnt(0)
	v_lshlrev_b32_e32 v8, 16, v8
.LBB151_8:
	s_or_b32 exec_lo, exec_lo, s3
	v_add_nc_u32_e32 v9, 0x100, v0
	v_mov_b32_e32 v13, 0xff800000
	v_cmp_gt_i32_e64 s3, s22, v9
	v_mov_b32_e32 v9, 0xff800000
	s_and_b32 s5, s15, s3
	s_and_saveexec_b32 s4, s5
	s_cbranch_execz .LBB151_10
; %bb.9:
	global_load_ushort v10, v[3:4], off offset:512
	s_waitcnt vmcnt(0)
	v_lshlrev_b32_e32 v13, 16, v10
.LBB151_10:
	s_or_b32 exec_lo, exec_lo, s4
	v_add_nc_u32_e32 v10, 0x140, v0
	v_cmp_gt_i32_e64 s4, s22, v10
	s_and_b32 s6, s15, s4
	s_and_saveexec_b32 s5, s6
	s_cbranch_execz .LBB151_12
; %bb.11:
	global_load_ushort v9, v[3:4], off offset:640
	s_waitcnt vmcnt(0)
	v_lshlrev_b32_e32 v9, 16, v9
.LBB151_12:
	s_or_b32 exec_lo, exec_lo, s5
	v_add_nc_u32_e32 v10, 0x180, v0
	v_mov_b32_e32 v12, 0xff800000
	v_mov_b32_e32 v15, 0xff800000
	v_cmp_gt_i32_e64 s5, s22, v10
	s_and_b32 s7, s15, s5
	s_and_saveexec_b32 s6, s7
	s_cbranch_execz .LBB151_14
; %bb.13:
	global_load_ushort v10, v[3:4], off offset:768
	s_waitcnt vmcnt(0)
	v_lshlrev_b32_e32 v15, 16, v10
.LBB151_14:
	s_or_b32 exec_lo, exec_lo, s6
	v_add_nc_u32_e32 v10, 0x1c0, v0
	v_cmp_gt_i32_e64 s6, s22, v10
	s_and_b32 s8, s15, s6
	s_and_saveexec_b32 s7, s8
	s_cbranch_execz .LBB151_16
; %bb.15:
	global_load_ushort v10, v[3:4], off offset:896
	s_waitcnt vmcnt(0)
	v_lshlrev_b32_e32 v12, 16, v10
.LBB151_16:
	s_or_b32 exec_lo, exec_lo, s7
	v_add_nc_u32_e32 v10, 0x200, v0
	v_mov_b32_e32 v14, 0xff800000
	v_mov_b32_e32 v18, 0xff800000
	v_cmp_gt_i32_e64 s7, s22, v10
	s_and_b32 s9, s15, s7
	s_and_saveexec_b32 s8, s9
	s_cbranch_execz .LBB151_18
; %bb.17:
	global_load_ushort v10, v[3:4], off offset:1024
	s_waitcnt vmcnt(0)
	v_lshlrev_b32_e32 v18, 16, v10
.LBB151_18:
	s_or_b32 exec_lo, exec_lo, s8
	v_add_nc_u32_e32 v10, 0x240, v0
	v_cmp_gt_i32_e64 s8, s22, v10
	s_and_b32 s10, s15, s8
	s_and_saveexec_b32 s9, s10
	s_cbranch_execz .LBB151_20
; %bb.19:
	global_load_ushort v10, v[3:4], off offset:1152
	s_waitcnt vmcnt(0)
	v_lshlrev_b32_e32 v14, 16, v10
.LBB151_20:
	s_or_b32 exec_lo, exec_lo, s9
	v_add_nc_u32_e32 v10, 0x280, v0
	v_mov_b32_e32 v16, 0xff800000
	v_mov_b32_e32 v20, 0xff800000
	v_cmp_gt_i32_e64 s9, s22, v10
	s_and_b32 s11, s15, s9
	s_and_saveexec_b32 s10, s11
	s_cbranch_execz .LBB151_22
; %bb.21:
	global_load_ushort v10, v[3:4], off offset:1280
	s_waitcnt vmcnt(0)
	v_lshlrev_b32_e32 v20, 16, v10
.LBB151_22:
	s_or_b32 exec_lo, exec_lo, s10
	v_add_nc_u32_e32 v10, 0x2c0, v0
	v_cmp_gt_i32_e64 s10, s22, v10
	s_and_b32 s12, s15, s10
	s_and_saveexec_b32 s11, s12
	s_cbranch_execz .LBB151_24
; %bb.23:
	global_load_ushort v10, v[3:4], off offset:1408
	s_waitcnt vmcnt(0)
	v_lshlrev_b32_e32 v16, 16, v10
.LBB151_24:
	s_or_b32 exec_lo, exec_lo, s11
	v_add_nc_u32_e32 v10, 0x300, v0
	v_mov_b32_e32 v19, 0xff800000
	v_mov_b32_e32 v25, 0xff800000
	v_cmp_gt_i32_e64 s11, s22, v10
	s_and_b32 s13, s15, s11
	s_and_saveexec_b32 s12, s13
	s_cbranch_execz .LBB151_26
; %bb.25:
	global_load_ushort v10, v[3:4], off offset:1536
	s_waitcnt vmcnt(0)
	v_lshlrev_b32_e32 v25, 16, v10
.LBB151_26:
	s_or_b32 exec_lo, exec_lo, s12
	v_add_nc_u32_e32 v10, 0x340, v0
	v_cmp_gt_i32_e64 s12, s22, v10
	s_and_b32 s14, s15, s12
	s_and_saveexec_b32 s13, s14
	s_cbranch_execz .LBB151_28
; %bb.27:
	global_load_ushort v10, v[3:4], off offset:1664
	s_waitcnt vmcnt(0)
	v_lshlrev_b32_e32 v19, 16, v10
.LBB151_28:
	s_or_b32 exec_lo, exec_lo, s13
	v_add_nc_u32_e32 v10, 0x380, v0
	v_mov_b32_e32 v21, 0xff800000
	v_mov_b32_e32 v26, 0xff800000
	v_cmp_gt_i32_e64 s13, s22, v10
	s_and_b32 s18, s15, s13
	s_and_saveexec_b32 s14, s18
	s_cbranch_execz .LBB151_30
; %bb.29:
	global_load_ushort v10, v[3:4], off offset:1792
	s_waitcnt vmcnt(0)
	v_lshlrev_b32_e32 v26, 16, v10
.LBB151_30:
	s_or_b32 exec_lo, exec_lo, s14
	v_add_nc_u32_e32 v0, 0x3c0, v0
	v_cmp_gt_i32_e64 s14, s22, v0
	s_and_b32 s18, s15, s14
	s_and_saveexec_b32 s15, s18
	s_cbranch_execz .LBB151_32
; %bb.31:
	global_load_ushort v0, v[3:4], off offset:1920
	s_waitcnt vmcnt(0)
	v_lshlrev_b32_e32 v21, 16, v0
.LBB151_32:
	s_or_b32 exec_lo, exec_lo, s15
	v_cmp_gt_f32_e64 s15, v7, v6
	v_mbcnt_lo_u32_b32 v3, -1, 0
	s_mov_b32 s18, exec_lo
	v_cndmask_b32_e64 v0, v6, v7, s15
	v_or_b32_e32 v4, 32, v3
	v_cmp_gt_f32_e64 s15, v0, v11
	v_cndmask_b32_e64 v0, v11, v0, s15
	v_cmp_gt_f32_e64 s15, v0, v8
	v_cndmask_b32_e64 v0, v8, v0, s15
	v_cmp_gt_f32_e64 s15, v0, v13
	v_cndmask_b32_e64 v0, v13, v0, s15
	v_cmp_gt_f32_e64 s15, v0, v9
	v_cndmask_b32_e64 v0, v9, v0, s15
	v_cmp_gt_f32_e64 s15, v0, v15
	v_cndmask_b32_e64 v0, v15, v0, s15
	v_cmp_gt_f32_e64 s15, v0, v12
	v_cndmask_b32_e64 v0, v12, v0, s15
	v_cmp_gt_f32_e64 s15, v0, v18
	v_cndmask_b32_e64 v0, v18, v0, s15
	v_cmp_gt_f32_e64 s15, v0, v14
	v_cndmask_b32_e64 v0, v14, v0, s15
	v_cmp_gt_f32_e64 s15, v0, v20
	v_cndmask_b32_e64 v0, v20, v0, s15
	v_cmp_gt_f32_e64 s15, v0, v16
	v_cndmask_b32_e64 v0, v16, v0, s15
	v_cmp_gt_f32_e64 s15, v0, v25
	v_cndmask_b32_e64 v0, v25, v0, s15
	v_cmp_gt_f32_e64 s15, v0, v19
	v_cndmask_b32_e64 v0, v19, v0, s15
	v_cmp_gt_i32_e64 s15, 64, v4
	v_cndmask_b32_e64 v4, v3, v4, s15
	v_cmp_gt_f32_e64 s15, v0, v26
	v_cndmask_b32_e64 v10, v26, v0, s15
	v_lshlrev_b32_e32 v0, 2, v4
	v_cmp_gt_f32_e64 s15, v10, v21
	v_cndmask_b32_e64 v4, v21, v10, s15
	v_xor_b32_e32 v10, 16, v3
	ds_bpermute_b32 v17, v0, v4
	v_cmp_gt_i32_e64 s15, 64, v10
	v_cndmask_b32_e64 v10, v3, v10, s15
	v_lshlrev_b32_e32 v10, 2, v10
	s_waitcnt lgkmcnt(0)
	v_cmp_lt_f32_e64 s15, v4, v17
	v_cndmask_b32_e64 v4, v4, v17, s15
	v_xor_b32_e32 v17, 8, v3
	ds_bpermute_b32 v22, v10, v4
	v_cmp_gt_i32_e64 s15, 64, v17
	v_cndmask_b32_e64 v17, v3, v17, s15
	v_lshlrev_b32_e32 v17, 2, v17
	s_waitcnt lgkmcnt(0)
	v_cmp_lt_f32_e64 s15, v4, v22
	;; [unrolled: 8-line block ×5, first 2 shown]
	v_cndmask_b32_e64 v3, v4, v27, s15
	ds_bpermute_b32 v4, v24, v3
	s_waitcnt lgkmcnt(0)
	v_cmp_lt_f32_e64 s15, v3, v4
	v_cndmask_b32_e64 v27, v3, v4, s15
	v_sub_f32_e32 v7, v7, v27
	v_sub_f32_e32 v3, v6, v27
	;; [unrolled: 1-line block ×6, first 2 shown]
	v_mul_f32_e32 v25, 0x3fb8aa3b, v7
	v_sub_f32_e32 v4, v11, v27
	v_sub_f32_e32 v11, v15, v27
	;; [unrolled: 1-line block ×4, first 2 shown]
	v_mul_f32_e32 v26, 0x3fb8aa3b, v3
	v_fma_f32 v41, 0x3fb8aa3b, v7, -v25
	v_rndne_f32_e32 v42, v25
	v_sub_f32_e32 v9, v9, v27
	v_sub_f32_e32 v12, v12, v27
	;; [unrolled: 1-line block ×6, first 2 shown]
	v_mul_f32_e32 v27, 0x3fb8aa3b, v4
	v_fma_f32 v43, 0x3fb8aa3b, v3, -v26
	v_rndne_f32_e32 v44, v26
	v_fmac_f32_e32 v41, 0x32a5705f, v7
	v_sub_f32_e32 v25, v25, v42
	v_fma_f32 v45, 0x3fb8aa3b, v4, -v27
	v_rndne_f32_e32 v46, v27
	v_fmac_f32_e32 v43, 0x32a5705f, v3
	v_sub_f32_e32 v26, v26, v44
	v_add_f32_e32 v25, v25, v41
	v_fmac_f32_e32 v45, 0x32a5705f, v4
	v_sub_f32_e32 v27, v27, v46
	v_mul_f32_e32 v28, 0x3fb8aa3b, v6
	v_add_f32_e32 v26, v26, v43
	v_exp_f32_e32 v25, v25
	v_cvt_i32_f32_e32 v42, v42
	v_add_f32_e32 v27, v27, v45
	v_fma_f32 v47, 0x3fb8aa3b, v6, -v28
	v_exp_f32_e32 v26, v26
	v_rndne_f32_e32 v48, v28
	v_cvt_i32_f32_e32 v44, v44
	v_exp_f32_e32 v27, v27
	v_cmp_ngt_f32_e64 s15, 0xc2ce8ed0, v7
	v_mul_f32_e32 v29, 0x3fb8aa3b, v8
	v_ldexp_f32 v25, v25, v42
	v_fmac_f32_e32 v47, 0x32a5705f, v6
	v_sub_f32_e32 v28, v28, v48
	v_cvt_i32_f32_e32 v46, v46
	v_ldexp_f32 v26, v26, v44
	v_cndmask_b32_e64 v25, 0, v25, s15
	v_cmp_ngt_f32_e64 s15, 0xc2ce8ed0, v3
	v_fma_f32 v49, 0x3fb8aa3b, v8, -v29
	v_rndne_f32_e32 v50, v29
	v_add_f32_e32 v28, v28, v47
	v_ldexp_f32 v27, v27, v46
	v_cndmask_b32_e64 v26, 0, v26, s15
	v_cmp_ngt_f32_e64 s15, 0xc2ce8ed0, v4
	v_mul_f32_e32 v30, 0x3fb8aa3b, v9
	v_fmac_f32_e32 v49, 0x32a5705f, v8
	v_sub_f32_e32 v29, v29, v50
	v_exp_f32_e32 v28, v28
	v_cndmask_b32_e64 v27, 0, v27, s15
	v_cmp_nlt_f32_e64 s15, 0x42b17218, v7
	v_fma_f32 v51, 0x3fb8aa3b, v9, -v30
	v_rndne_f32_e32 v52, v30
	v_add_f32_e32 v29, v29, v49
	v_cvt_i32_f32_e32 v48, v48
	v_cndmask_b32_e64 v25, 0x7f800000, v25, s15
	v_cmp_nlt_f32_e64 s15, 0x42b17218, v3
	v_mul_f32_e32 v31, 0x3fb8aa3b, v11
	v_fmac_f32_e32 v51, 0x32a5705f, v9
	v_sub_f32_e32 v30, v30, v52
	v_exp_f32_e32 v29, v29
	v_ldexp_f32 v28, v28, v48
	v_cndmask_b32_e64 v26, 0x7f800000, v26, s15
	v_cmp_ngt_f32_e64 s15, 0xc2ce8ed0, v6
	v_fma_f32 v53, 0x3fb8aa3b, v11, -v31
	v_rndne_f32_e32 v54, v31
	v_add_f32_e32 v30, v30, v51
	v_cvt_i32_f32_e32 v50, v50
	v_cndmask_b32_e64 v28, 0, v28, s15
	v_cmp_nlt_f32_e64 s15, 0x42b17218, v4
	v_mul_f32_e32 v32, 0x3fb8aa3b, v12
	v_fmac_f32_e32 v53, 0x32a5705f, v11
	v_sub_f32_e32 v31, v31, v54
	v_exp_f32_e32 v30, v30
	v_ldexp_f32 v29, v29, v50
	v_cndmask_b32_e64 v27, 0x7f800000, v27, s15
	v_cmp_ngt_f32_e64 s15, 0xc2ce8ed0, v8
	v_fma_f32 v55, 0x3fb8aa3b, v12, -v32
	v_rndne_f32_e32 v56, v32
	v_add_f32_e32 v31, v31, v53
	v_cvt_i32_f32_e32 v52, v52
	v_add_f32_e32 v25, v25, v26
	v_cndmask_b32_e64 v26, 0, v29, s15
	v_cmp_nlt_f32_e64 s15, 0x42b17218, v6
	v_mul_f32_e32 v33, 0x3fb8aa3b, v13
	v_fmac_f32_e32 v55, 0x32a5705f, v12
	v_sub_f32_e32 v32, v32, v56
	v_exp_f32_e32 v31, v31
	v_ldexp_f32 v30, v30, v52
	v_cndmask_b32_e64 v28, 0x7f800000, v28, s15
	v_cmp_ngt_f32_e64 s15, 0xc2ce8ed0, v9
	v_fma_f32 v57, 0x3fb8aa3b, v13, -v33
	v_rndne_f32_e32 v58, v33
	v_add_f32_e32 v32, v32, v55
	v_cvt_i32_f32_e32 v54, v54
	v_add_f32_e32 v25, v25, v27
	;; [unrolled: 14-line block ×5, first 2 shown]
	v_cndmask_b32_e64 v27, 0, v33, s15
	v_cmp_nlt_f32_e64 s15, 0x42b17218, v12
	v_mul_f32_e32 v37, 0x3fb8aa3b, v18
	v_fmac_f32_e32 v43, 0x32a5705f, v16
	v_sub_f32_e32 v36, v36, v45
	v_exp_f32_e32 v35, v35
	v_ldexp_f32 v34, v34, v60
	v_cndmask_b32_e64 v26, 0x7f800000, v26, s15
	v_cmp_ngt_f32_e64 s15, 0xc2ce8ed0, v14
	v_fma_f32 v47, 0x3fb8aa3b, v18, -v37
	v_rndne_f32_e32 v49, v37
	v_cvt_i32_f32_e32 v41, v41
	v_add_f32_e32 v36, v36, v43
	v_add_f32_e32 v25, v25, v28
	v_cndmask_b32_e64 v28, 0, v34, s15
	v_cmp_nlt_f32_e64 s15, 0x42b17218, v13
	v_mul_f32_e32 v38, 0x3fb8aa3b, v19
	v_fmac_f32_e32 v47, 0x32a5705f, v18
	v_sub_f32_e32 v37, v37, v49
	v_exp_f32_e32 v36, v36
	v_ldexp_f32 v35, v35, v41
	v_cndmask_b32_e64 v27, 0x7f800000, v27, s15
	v_cmp_ngt_f32_e64 s15, 0xc2ce8ed0, v15
	v_fma_f32 v51, 0x3fb8aa3b, v19, -v38
	v_rndne_f32_e32 v53, v38
	v_cvt_i32_f32_e32 v45, v45
	v_add_f32_e32 v37, v37, v47
	v_add_f32_e32 v25, v25, v26
	;; [unrolled: 14-line block ×3, first 2 shown]
	v_cndmask_b32_e64 v27, 0, v36, s15
	v_cmp_nlt_f32_e64 s15, 0x42b17218, v15
	v_fmac_f32_e32 v55, 0x32a5705f, v20
	v_sub_f32_e32 v39, v39, v57
	v_exp_f32_e32 v38, v38
	v_ldexp_f32 v37, v37, v49
	v_cndmask_b32_e64 v26, 0x7f800000, v26, s15
	v_cmp_ngt_f32_e64 s15, 0xc2ce8ed0, v18
	v_mul_f32_e32 v40, 0x3fb8aa3b, v21
	v_cvt_i32_f32_e32 v53, v53
	v_add_f32_e32 v39, v39, v55
	v_add_f32_e32 v25, v25, v28
	v_cndmask_b32_e64 v28, 0, v37, s15
	v_cmp_nlt_f32_e64 s15, 0x42b17218, v16
	v_fma_f32 v59, 0x3fb8aa3b, v21, -v40
	v_rndne_f32_e32 v61, v40
	v_exp_f32_e32 v39, v39
	v_ldexp_f32 v38, v38, v53
	v_cndmask_b32_e64 v27, 0x7f800000, v27, s15
	v_cmp_ngt_f32_e64 s15, 0xc2ce8ed0, v19
	v_cvt_i32_f32_e32 v57, v57
	v_fmac_f32_e32 v59, 0x32a5705f, v21
	v_sub_f32_e32 v40, v40, v61
	v_add_f32_e32 v25, v25, v26
	v_cndmask_b32_e64 v26, 0, v38, s15
	v_cmp_nlt_f32_e64 s15, 0x42b17218, v18
	v_ldexp_f32 v39, v39, v57
	v_add_f32_e32 v40, v40, v59
	v_add_f32_e32 v25, v25, v27
	v_cvt_i32_f32_e32 v61, v61
	v_cndmask_b32_e64 v28, 0x7f800000, v28, s15
	v_cmp_ngt_f32_e64 s15, 0xc2ce8ed0, v20
	v_exp_f32_e32 v40, v40
	v_add_f32_e32 v25, v25, v28
	v_cndmask_b32_e64 v27, 0, v39, s15
	v_cmp_nlt_f32_e64 s15, 0x42b17218, v19
	v_cndmask_b32_e64 v26, 0x7f800000, v26, s15
	v_cmp_nlt_f32_e64 s15, 0x42b17218, v20
	v_ldexp_f32 v28, v40, v61
	v_add_f32_e32 v25, v25, v26
	v_cndmask_b32_e64 v27, 0x7f800000, v27, s15
	v_cmp_ngt_f32_e64 s15, 0xc2ce8ed0, v21
	v_add_f32_e32 v25, v25, v27
	v_cndmask_b32_e64 v26, 0, v28, s15
	v_cmp_nlt_f32_e64 s15, 0x42b17218, v21
	v_cndmask_b32_e64 v26, 0x7f800000, v26, s15
	v_add_f32_e32 v25, v25, v26
	ds_bpermute_b32 v0, v0, v25
	s_waitcnt lgkmcnt(0)
	v_add_f32_e32 v0, v25, v0
	ds_bpermute_b32 v10, v10, v0
	s_waitcnt lgkmcnt(0)
	;; [unrolled: 3-line block ×5, first 2 shown]
	v_add_f32_e32 v0, v0, v10
	ds_bpermute_b32 v10, v24, v0
	v_cmpx_lt_i32_e32 0, v5
	s_cbranch_execz .LBB151_50
; %bb.33:
	s_and_b32 exec_lo, exec_lo, vcc_lo
	s_cbranch_execz .LBB151_50
; %bb.34:
	s_waitcnt lgkmcnt(0)
	v_add_f32_e32 v0, v0, v10
	v_cmp_gt_f32_e32 vcc_lo, 0x800000, v0
	v_cndmask_b32_e64 v5, 0, 32, vcc_lo
	v_cndmask_b32_e64 v10, 0, 0x41b17218, vcc_lo
	v_ldexp_f32 v0, v0, v5
	v_log_f32_e32 v0, v0
	v_mul_f32_e32 v5, 0x3f317217, v0
	v_cmp_gt_f32_e64 vcc_lo, 0x7f800000, |v0|
	v_fma_f32 v5, 0x3f317217, v0, -v5
	v_fmamk_f32 v5, v0, 0x3377d1cf, v5
	v_fmac_f32_e32 v5, 0x3f317217, v0
	v_cndmask_b32_e32 v0, v0, v5, vcc_lo
	v_sub_f32_e32 v5, v0, v10
	v_sub_f32_e32 v0, v7, v5
	v_mov_b32_e32 v7, 0x7fc0
	v_bfe_u32 v10, v0, 16, 1
	v_cmp_o_f32_e32 vcc_lo, v0, v0
	v_add3_u32 v10, v0, v10, 0x7fff
	v_add_co_u32 v0, s15, s16, v1
	v_add_co_ci_u32_e64 v1, null, s17, v2, s15
	v_cndmask_b32_sdwa v2, v7, v10, vcc_lo dst_sel:DWORD dst_unused:UNUSED_PAD src0_sel:DWORD src1_sel:WORD_1
	global_store_short v[0:1], v2, off
	s_and_b32 exec_lo, exec_lo, s0
	s_cbranch_execz .LBB151_50
; %bb.35:
	v_sub_f32_e32 v2, v3, v5
	v_bfe_u32 v3, v2, 16, 1
	v_cmp_o_f32_e32 vcc_lo, v2, v2
	v_add3_u32 v2, v2, v3, 0x7fff
	v_cndmask_b32_sdwa v2, v7, v2, vcc_lo dst_sel:DWORD dst_unused:UNUSED_PAD src0_sel:DWORD src1_sel:WORD_1
	global_store_short v[0:1], v2, off offset:128
	s_and_b32 exec_lo, exec_lo, s1
	s_cbranch_execz .LBB151_50
; %bb.36:
	v_sub_f32_e32 v2, v4, v5
	v_bfe_u32 v3, v2, 16, 1
	v_cmp_o_f32_e32 vcc_lo, v2, v2
	v_add3_u32 v3, v2, v3, 0x7fff
	v_mov_b32_e32 v2, 0x7fc0
	v_cndmask_b32_sdwa v3, v2, v3, vcc_lo dst_sel:DWORD dst_unused:UNUSED_PAD src0_sel:DWORD src1_sel:WORD_1
	global_store_short v[0:1], v3, off offset:256
	s_and_b32 exec_lo, exec_lo, s2
	s_cbranch_execz .LBB151_50
; %bb.37:
	v_sub_f32_e32 v3, v6, v5
	v_bfe_u32 v4, v3, 16, 1
	v_cmp_o_f32_e32 vcc_lo, v3, v3
	v_add3_u32 v3, v3, v4, 0x7fff
	v_cndmask_b32_sdwa v2, v2, v3, vcc_lo dst_sel:DWORD dst_unused:UNUSED_PAD src0_sel:DWORD src1_sel:WORD_1
	global_store_short v[0:1], v2, off offset:384
	s_and_b32 exec_lo, exec_lo, s3
	s_cbranch_execz .LBB151_50
; %bb.38:
	v_sub_f32_e32 v2, v8, v5
	v_bfe_u32 v3, v2, 16, 1
	v_cmp_o_f32_e32 vcc_lo, v2, v2
	v_add3_u32 v3, v2, v3, 0x7fff
	v_mov_b32_e32 v2, 0x7fc0
	v_cndmask_b32_sdwa v3, v2, v3, vcc_lo dst_sel:DWORD dst_unused:UNUSED_PAD src0_sel:DWORD src1_sel:WORD_1
	global_store_short v[0:1], v3, off offset:512
	;; [unrolled: 19-line block ×7, first 2 shown]
	s_and_b32 exec_lo, exec_lo, s14
	s_cbranch_execz .LBB151_50
; %bb.49:
	v_sub_f32_e32 v3, v21, v5
	v_bfe_u32 v4, v3, 16, 1
	v_cmp_o_f32_e32 vcc_lo, v3, v3
	v_add3_u32 v3, v3, v4, 0x7fff
	v_cndmask_b32_sdwa v2, v2, v3, vcc_lo dst_sel:DWORD dst_unused:UNUSED_PAD src0_sel:DWORD src1_sel:WORD_1
	global_store_short v[0:1], v2, off offset:1920
.LBB151_50:
	s_endpgm
	.section	.rodata,"a",@progbits
	.p2align	6, 0x0
	.amdhsa_kernel _ZN12_GLOBAL__N_120softmax_warp_forwardIN3c108BFloat16ES2_fLi10ELb1ELb0ELi64EEEvPT0_PKT_iiiPKbib
		.amdhsa_group_segment_fixed_size 0
		.amdhsa_private_segment_fixed_size 0
		.amdhsa_kernarg_size 304
		.amdhsa_user_sgpr_count 6
		.amdhsa_user_sgpr_private_segment_buffer 1
		.amdhsa_user_sgpr_dispatch_ptr 0
		.amdhsa_user_sgpr_queue_ptr 0
		.amdhsa_user_sgpr_kernarg_segment_ptr 1
		.amdhsa_user_sgpr_dispatch_id 0
		.amdhsa_user_sgpr_flat_scratch_init 0
		.amdhsa_user_sgpr_private_segment_size 0
		.amdhsa_wavefront_size32 1
		.amdhsa_uses_dynamic_stack 0
		.amdhsa_system_sgpr_private_segment_wavefront_offset 0
		.amdhsa_system_sgpr_workgroup_id_x 1
		.amdhsa_system_sgpr_workgroup_id_y 0
		.amdhsa_system_sgpr_workgroup_id_z 0
		.amdhsa_system_sgpr_workgroup_info 0
		.amdhsa_system_vgpr_workitem_id 1
		.amdhsa_next_free_vgpr 62
		.amdhsa_next_free_sgpr 24
		.amdhsa_reserve_vcc 1
		.amdhsa_reserve_flat_scratch 0
		.amdhsa_float_round_mode_32 0
		.amdhsa_float_round_mode_16_64 0
		.amdhsa_float_denorm_mode_32 3
		.amdhsa_float_denorm_mode_16_64 3
		.amdhsa_dx10_clamp 1
		.amdhsa_ieee_mode 1
		.amdhsa_fp16_overflow 0
		.amdhsa_workgroup_processor_mode 1
		.amdhsa_memory_ordered 1
		.amdhsa_forward_progress 1
		.amdhsa_shared_vgpr_count 0
		.amdhsa_exception_fp_ieee_invalid_op 0
		.amdhsa_exception_fp_denorm_src 0
		.amdhsa_exception_fp_ieee_div_zero 0
		.amdhsa_exception_fp_ieee_overflow 0
		.amdhsa_exception_fp_ieee_underflow 0
		.amdhsa_exception_fp_ieee_inexact 0
		.amdhsa_exception_int_div_zero 0
	.end_amdhsa_kernel
	.section	.text._ZN12_GLOBAL__N_120softmax_warp_forwardIN3c108BFloat16ES2_fLi10ELb1ELb0ELi64EEEvPT0_PKT_iiiPKbib,"axG",@progbits,_ZN12_GLOBAL__N_120softmax_warp_forwardIN3c108BFloat16ES2_fLi10ELb1ELb0ELi64EEEvPT0_PKT_iiiPKbib,comdat
.Lfunc_end151:
	.size	_ZN12_GLOBAL__N_120softmax_warp_forwardIN3c108BFloat16ES2_fLi10ELb1ELb0ELi64EEEvPT0_PKT_iiiPKbib, .Lfunc_end151-_ZN12_GLOBAL__N_120softmax_warp_forwardIN3c108BFloat16ES2_fLi10ELb1ELb0ELi64EEEvPT0_PKT_iiiPKbib
                                        ; -- End function
	.set _ZN12_GLOBAL__N_120softmax_warp_forwardIN3c108BFloat16ES2_fLi10ELb1ELb0ELi64EEEvPT0_PKT_iiiPKbib.num_vgpr, 62
	.set _ZN12_GLOBAL__N_120softmax_warp_forwardIN3c108BFloat16ES2_fLi10ELb1ELb0ELi64EEEvPT0_PKT_iiiPKbib.num_agpr, 0
	.set _ZN12_GLOBAL__N_120softmax_warp_forwardIN3c108BFloat16ES2_fLi10ELb1ELb0ELi64EEEvPT0_PKT_iiiPKbib.numbered_sgpr, 24
	.set _ZN12_GLOBAL__N_120softmax_warp_forwardIN3c108BFloat16ES2_fLi10ELb1ELb0ELi64EEEvPT0_PKT_iiiPKbib.num_named_barrier, 0
	.set _ZN12_GLOBAL__N_120softmax_warp_forwardIN3c108BFloat16ES2_fLi10ELb1ELb0ELi64EEEvPT0_PKT_iiiPKbib.private_seg_size, 0
	.set _ZN12_GLOBAL__N_120softmax_warp_forwardIN3c108BFloat16ES2_fLi10ELb1ELb0ELi64EEEvPT0_PKT_iiiPKbib.uses_vcc, 1
	.set _ZN12_GLOBAL__N_120softmax_warp_forwardIN3c108BFloat16ES2_fLi10ELb1ELb0ELi64EEEvPT0_PKT_iiiPKbib.uses_flat_scratch, 0
	.set _ZN12_GLOBAL__N_120softmax_warp_forwardIN3c108BFloat16ES2_fLi10ELb1ELb0ELi64EEEvPT0_PKT_iiiPKbib.has_dyn_sized_stack, 0
	.set _ZN12_GLOBAL__N_120softmax_warp_forwardIN3c108BFloat16ES2_fLi10ELb1ELb0ELi64EEEvPT0_PKT_iiiPKbib.has_recursion, 0
	.set _ZN12_GLOBAL__N_120softmax_warp_forwardIN3c108BFloat16ES2_fLi10ELb1ELb0ELi64EEEvPT0_PKT_iiiPKbib.has_indirect_call, 0
	.section	.AMDGPU.csdata,"",@progbits
; Kernel info:
; codeLenInByte = 4368
; TotalNumSgprs: 26
; NumVgprs: 62
; ScratchSize: 0
; MemoryBound: 0
; FloatMode: 240
; IeeeMode: 1
; LDSByteSize: 0 bytes/workgroup (compile time only)
; SGPRBlocks: 0
; VGPRBlocks: 7
; NumSGPRsForWavesPerEU: 26
; NumVGPRsForWavesPerEU: 62
; Occupancy: 16
; WaveLimiterHint : 0
; COMPUTE_PGM_RSRC2:SCRATCH_EN: 0
; COMPUTE_PGM_RSRC2:USER_SGPR: 6
; COMPUTE_PGM_RSRC2:TRAP_HANDLER: 0
; COMPUTE_PGM_RSRC2:TGID_X_EN: 1
; COMPUTE_PGM_RSRC2:TGID_Y_EN: 0
; COMPUTE_PGM_RSRC2:TGID_Z_EN: 0
; COMPUTE_PGM_RSRC2:TIDIG_COMP_CNT: 1
	.section	.text._ZN12_GLOBAL__N_120softmax_warp_forwardIN3c108BFloat16ES2_fLi10ELb1ELb0ELi32EEEvPT0_PKT_iiiPKbib,"axG",@progbits,_ZN12_GLOBAL__N_120softmax_warp_forwardIN3c108BFloat16ES2_fLi10ELb1ELb0ELi32EEEvPT0_PKT_iiiPKbib,comdat
	.globl	_ZN12_GLOBAL__N_120softmax_warp_forwardIN3c108BFloat16ES2_fLi10ELb1ELb0ELi32EEEvPT0_PKT_iiiPKbib ; -- Begin function _ZN12_GLOBAL__N_120softmax_warp_forwardIN3c108BFloat16ES2_fLi10ELb1ELb0ELi32EEEvPT0_PKT_iiiPKbib
	.p2align	8
	.type	_ZN12_GLOBAL__N_120softmax_warp_forwardIN3c108BFloat16ES2_fLi10ELb1ELb0ELi32EEEvPT0_PKT_iiiPKbib,@function
_ZN12_GLOBAL__N_120softmax_warp_forwardIN3c108BFloat16ES2_fLi10ELb1ELb0ELi32EEEvPT0_PKT_iiiPKbib: ; @_ZN12_GLOBAL__N_120softmax_warp_forwardIN3c108BFloat16ES2_fLi10ELb1ELb0ELi32EEEvPT0_PKT_iiiPKbib
; %bb.0:
	s_clause 0x1
	s_load_dword s0, s[4:5], 0x3c
	s_load_dwordx8 s[36:43], s[4:5], 0x0
	v_mov_b32_e32 v10, 0xff800000
	v_mov_b32_e32 v41, 0xff800000
	s_waitcnt lgkmcnt(0)
	s_lshr_b32 s0, s0, 16
	v_cmp_gt_i32_e32 vcc_lo, s42, v0
	v_mad_u64_u32 v[1:2], null, s6, s0, v[1:2]
	v_mad_u64_u32 v[2:3], null, v1, s41, v[0:1]
	v_sub_nc_u32_e32 v5, s40, v1
	v_cmp_lt_i32_e64 s31, 0, v5
	v_ashrrev_i32_e32 v3, 31, v2
	s_and_b32 s1, s31, vcc_lo
	v_lshlrev_b64 v[1:2], 1, v[2:3]
	v_add_co_u32 v3, s0, s38, v1
	v_add_co_ci_u32_e64 v4, null, s39, v2, s0
	s_and_saveexec_b32 s0, s1
	s_cbranch_execz .LBB152_2
; %bb.1:
	global_load_ushort v6, v[3:4], off
	s_waitcnt vmcnt(0)
	v_lshlrev_b32_e32 v41, 16, v6
.LBB152_2:
	s_or_b32 exec_lo, exec_lo, s0
	v_add_nc_u32_e32 v6, 32, v0
	v_cmp_gt_i32_e64 s0, s42, v6
	s_and_b32 s2, s31, s0
	s_and_saveexec_b32 s1, s2
	s_cbranch_execz .LBB152_4
; %bb.3:
	global_load_ushort v6, v[3:4], off offset:64
	s_waitcnt vmcnt(0)
	v_lshlrev_b32_e32 v10, 16, v6
.LBB152_4:
	s_or_b32 exec_lo, exec_lo, s1
	v_add_nc_u32_e32 v6, 64, v0
	v_mov_b32_e32 v16, 0xff800000
	v_mov_b32_e32 v14, 0xff800000
	v_cmp_gt_i32_e64 s1, s42, v6
	s_and_b32 s3, s31, s1
	s_and_saveexec_b32 s2, s3
	s_cbranch_execz .LBB152_6
; %bb.5:
	global_load_ushort v6, v[3:4], off offset:128
	s_waitcnt vmcnt(0)
	v_lshlrev_b32_e32 v14, 16, v6
.LBB152_6:
	s_or_b32 exec_lo, exec_lo, s2
	v_add_nc_u32_e32 v6, 0x60, v0
	v_cmp_gt_i32_e64 s2, s42, v6
	s_and_b32 s4, s31, s2
	s_and_saveexec_b32 s3, s4
	s_cbranch_execz .LBB152_8
; %bb.7:
	global_load_ushort v6, v[3:4], off offset:192
	s_waitcnt vmcnt(0)
	v_lshlrev_b32_e32 v16, 16, v6
.LBB152_8:
	s_or_b32 exec_lo, exec_lo, s3
	v_add_nc_u32_e32 v6, 0x80, v0
	v_mov_b32_e32 v20, 0xff800000
	v_mov_b32_e32 v19, 0xff800000
	v_cmp_gt_i32_e64 s3, s42, v6
	s_and_b32 s5, s31, s3
	s_and_saveexec_b32 s4, s5
	s_cbranch_execz .LBB152_10
; %bb.9:
	global_load_ushort v6, v[3:4], off offset:256
	s_waitcnt vmcnt(0)
	v_lshlrev_b32_e32 v19, 16, v6
.LBB152_10:
	;; [unrolled: 24-line block ×14, first 2 shown]
	s_or_b32 exec_lo, exec_lo, s28
	v_add_nc_u32_e32 v6, 0x3a0, v0
	v_cmp_gt_i32_e64 s28, s42, v6
	s_and_b32 s30, s31, s28
	s_and_saveexec_b32 s29, s30
	s_cbranch_execz .LBB152_60
; %bb.59:
	global_load_ushort v6, v[3:4], off offset:1856
	s_waitcnt vmcnt(0)
	v_lshlrev_b32_e32 v7, 16, v6
.LBB152_60:
	s_or_b32 exec_lo, exec_lo, s29
	v_add_nc_u32_e32 v6, 0x3c0, v0
	v_mov_b32_e32 v8, 0xff800000
	v_cmp_gt_i32_e64 s29, s42, v6
	v_mov_b32_e32 v6, 0xff800000
	s_and_b32 s33, s31, s29
	s_and_saveexec_b32 s30, s33
	s_cbranch_execz .LBB152_62
; %bb.61:
	global_load_ushort v8, v[3:4], off offset:1920
	s_waitcnt vmcnt(0)
	v_lshlrev_b32_e32 v8, 16, v8
.LBB152_62:
	s_or_b32 exec_lo, exec_lo, s30
	v_add_nc_u32_e32 v0, 0x3e0, v0
	v_cmp_gt_i32_e64 s30, s42, v0
	s_and_b32 s33, s31, s30
	s_and_saveexec_b32 s31, s33
	s_cbranch_execz .LBB152_64
; %bb.63:
	global_load_ushort v0, v[3:4], off offset:1984
	s_waitcnt vmcnt(0)
	v_lshlrev_b32_e32 v6, 16, v0
.LBB152_64:
	s_or_b32 exec_lo, exec_lo, s31
	v_cmp_gt_f32_e64 s31, v41, v10
	v_mbcnt_lo_u32_b32 v15, -1, 0
	s_mov_b32 s33, exec_lo
	v_cndmask_b32_e64 v0, v10, v41, s31
	v_cmp_gt_f32_e64 s31, v0, v14
	v_cndmask_b32_e64 v0, v14, v0, s31
	v_cmp_gt_f32_e64 s31, v0, v16
	v_cndmask_b32_e64 v0, v16, v0, s31
	v_cmp_gt_f32_e64 s31, v0, v19
	v_cndmask_b32_e64 v0, v19, v0, s31
	v_cmp_gt_f32_e64 s31, v0, v20
	v_cndmask_b32_e64 v0, v20, v0, s31
	v_cmp_gt_f32_e64 s31, v0, v21
	v_cndmask_b32_e64 v0, v21, v0, s31
	v_cmp_gt_f32_e64 s31, v0, v25
	v_cndmask_b32_e64 v0, v25, v0, s31
	v_cmp_gt_f32_e64 s31, v0, v26
	v_cndmask_b32_e64 v0, v26, v0, s31
	v_cmp_gt_f32_e64 s31, v0, v27
	v_cndmask_b32_e64 v0, v27, v0, s31
	v_cmp_gt_f32_e64 s31, v0, v28
	v_cndmask_b32_e64 v0, v28, v0, s31
	v_cmp_gt_f32_e64 s31, v0, v29
	v_cndmask_b32_e64 v0, v29, v0, s31
	v_cmp_gt_f32_e64 s31, v0, v32
	v_cndmask_b32_e64 v0, v32, v0, s31
	v_cmp_gt_f32_e64 s31, v0, v33
	v_cndmask_b32_e64 v0, v33, v0, s31
	v_cmp_gt_f32_e64 s31, v0, v34
	v_cndmask_b32_e64 v0, v34, v0, s31
	v_cmp_gt_f32_e64 s31, v0, v35
	v_cndmask_b32_e64 v0, v35, v0, s31
	v_cmp_gt_f32_e64 s31, v0, v36
	v_cndmask_b32_e64 v0, v36, v0, s31
	v_cmp_gt_f32_e64 s31, v0, v37
	v_cndmask_b32_e64 v0, v37, v0, s31
	v_cmp_gt_f32_e64 s31, v0, v38
	v_cndmask_b32_e64 v0, v38, v0, s31
	v_cmp_gt_f32_e64 s31, v0, v39
	v_cndmask_b32_e64 v0, v39, v0, s31
	v_cmp_gt_f32_e64 s31, v0, v40
	v_cndmask_b32_e64 v0, v40, v0, s31
	v_cmp_gt_f32_e64 s31, v0, v30
	v_cndmask_b32_e64 v0, v30, v0, s31
	v_cmp_gt_f32_e64 s31, v0, v31
	v_cndmask_b32_e64 v0, v31, v0, s31
	v_cmp_gt_f32_e64 s31, v0, v24
	v_cndmask_b32_e64 v0, v24, v0, s31
	v_cmp_gt_f32_e64 s31, v0, v22
	v_cndmask_b32_e64 v0, v22, v0, s31
	v_cmp_gt_f32_e64 s31, v0, v18
	v_cndmask_b32_e64 v0, v18, v0, s31
	v_cmp_gt_f32_e64 s31, v0, v17
	v_cndmask_b32_e64 v0, v17, v0, s31
	v_cmp_gt_f32_e64 s31, v0, v12
	v_cndmask_b32_e64 v0, v12, v0, s31
	v_cmp_gt_f32_e64 s31, v0, v9
	v_cndmask_b32_e64 v0, v9, v0, s31
	v_cmp_gt_f32_e64 s31, v0, v7
	v_cndmask_b32_e64 v0, v7, v0, s31
	v_cmp_gt_f32_e64 s31, v0, v8
	v_cndmask_b32_e64 v0, v8, v0, s31
	v_cmp_gt_f32_e64 s31, v0, v6
	v_cndmask_b32_e64 v3, v6, v0, s31
	v_xor_b32_e32 v0, 16, v15
	v_cmp_gt_i32_e64 s31, 32, v0
	v_cndmask_b32_e64 v0, v15, v0, s31
	v_lshlrev_b32_e32 v0, 2, v0
	ds_bpermute_b32 v4, v0, v3
	s_waitcnt lgkmcnt(0)
	v_cmp_lt_f32_e64 s31, v3, v4
	v_cndmask_b32_e64 v3, v3, v4, s31
	v_xor_b32_e32 v4, 8, v15
	v_cmp_gt_i32_e64 s31, 32, v4
	v_cndmask_b32_e64 v4, v15, v4, s31
	v_lshlrev_b32_e32 v4, 2, v4
	ds_bpermute_b32 v11, v4, v3
	s_waitcnt lgkmcnt(0)
	v_cmp_lt_f32_e64 s31, v3, v11
	;; [unrolled: 8-line block ×5, first 2 shown]
	v_cndmask_b32_e64 v23, v3, v23, s31
	v_sub_f32_e32 v3, v41, v23
	v_sub_f32_e32 v10, v10, v23
	;; [unrolled: 1-line block ×5, first 2 shown]
	v_mul_f32_e32 v41, 0x3fb8aa3b, v3
	v_cmp_ngt_f32_e64 s31, 0xc2ce8ed0, v3
	v_sub_f32_e32 v20, v20, v23
	v_sub_f32_e32 v21, v21, v23
	v_sub_f32_e32 v25, v25, v23
	v_fma_f32 v42, 0x3fb8aa3b, v3, -v41
	v_rndne_f32_e32 v43, v41
	v_sub_f32_e32 v26, v26, v23
	v_sub_f32_e32 v27, v27, v23
	;; [unrolled: 1-line block ×3, first 2 shown]
	v_fmac_f32_e32 v42, 0x32a5705f, v3
	v_sub_f32_e32 v41, v41, v43
	v_sub_f32_e32 v29, v29, v23
	;; [unrolled: 1-line block ×5, first 2 shown]
	v_add_f32_e32 v41, v41, v42
	v_cvt_i32_f32_e32 v42, v43
	v_sub_f32_e32 v35, v35, v23
	v_sub_f32_e32 v36, v36, v23
	;; [unrolled: 1-line block ×3, first 2 shown]
	v_exp_f32_e32 v41, v41
	v_sub_f32_e32 v38, v38, v23
	v_sub_f32_e32 v39, v39, v23
	;; [unrolled: 1-line block ×9, first 2 shown]
	v_ldexp_f32 v41, v41, v42
	v_mul_f32_e32 v42, 0x3fb8aa3b, v10
	v_sub_f32_e32 v12, v12, v23
	v_sub_f32_e32 v9, v9, v23
	;; [unrolled: 1-line block ×3, first 2 shown]
	v_cndmask_b32_e64 v41, 0, v41, s31
	v_fma_f32 v43, 0x3fb8aa3b, v10, -v42
	v_rndne_f32_e32 v44, v42
	v_cmp_nlt_f32_e64 s31, 0x42b17218, v3
	v_sub_f32_e32 v8, v8, v23
	v_sub_f32_e32 v6, v6, v23
	v_fmac_f32_e32 v43, 0x32a5705f, v10
	v_sub_f32_e32 v42, v42, v44
	v_cndmask_b32_e64 v41, 0x7f800000, v41, s31
	v_cmp_ngt_f32_e64 s31, 0xc2ce8ed0, v10
	v_mul_f32_e32 v23, 0x3fb8aa3b, v6
	v_add_f32_e32 v42, v42, v43
	v_cvt_i32_f32_e32 v43, v44
	v_exp_f32_e32 v42, v42
	v_ldexp_f32 v42, v42, v43
	v_cndmask_b32_e64 v42, 0, v42, s31
	v_cmp_nlt_f32_e64 s31, 0x42b17218, v10
	v_cndmask_b32_e64 v42, 0x7f800000, v42, s31
	v_cmp_ngt_f32_e64 s31, 0xc2ce8ed0, v14
	v_add_f32_e32 v41, v41, v42
	v_mul_f32_e32 v42, 0x3fb8aa3b, v14
	v_fma_f32 v43, 0x3fb8aa3b, v14, -v42
	v_rndne_f32_e32 v44, v42
	v_fmac_f32_e32 v43, 0x32a5705f, v14
	v_sub_f32_e32 v42, v42, v44
	v_add_f32_e32 v42, v42, v43
	v_cvt_i32_f32_e32 v43, v44
	v_exp_f32_e32 v42, v42
	v_ldexp_f32 v42, v42, v43
	v_cndmask_b32_e64 v42, 0, v42, s31
	v_cmp_nlt_f32_e64 s31, 0x42b17218, v14
	v_cndmask_b32_e64 v42, 0x7f800000, v42, s31
	v_cmp_ngt_f32_e64 s31, 0xc2ce8ed0, v16
	v_add_f32_e32 v41, v41, v42
	v_mul_f32_e32 v42, 0x3fb8aa3b, v16
	v_fma_f32 v43, 0x3fb8aa3b, v16, -v42
	v_rndne_f32_e32 v44, v42
	v_fmac_f32_e32 v43, 0x32a5705f, v16
	v_sub_f32_e32 v42, v42, v44
	;; [unrolled: 14-line block ×29, first 2 shown]
	v_add_f32_e32 v42, v42, v43
	v_cvt_i32_f32_e32 v43, v44
	v_exp_f32_e32 v42, v42
	v_ldexp_f32 v42, v42, v43
	v_rndne_f32_e32 v43, v23
	v_cndmask_b32_e64 v42, 0, v42, s31
	v_cmp_nlt_f32_e64 s31, 0x42b17218, v8
	v_cndmask_b32_e64 v42, 0x7f800000, v42, s31
	v_cmp_ngt_f32_e64 s31, 0xc2ce8ed0, v6
	v_add_f32_e32 v41, v41, v42
	v_fma_f32 v42, 0x3fb8aa3b, v6, -v23
	v_sub_f32_e32 v23, v23, v43
	v_fmac_f32_e32 v42, 0x32a5705f, v6
	v_add_f32_e32 v23, v23, v42
	v_cvt_i32_f32_e32 v42, v43
	v_exp_f32_e32 v23, v23
	v_ldexp_f32 v23, v23, v42
	v_cndmask_b32_e64 v23, 0, v23, s31
	v_cmp_nlt_f32_e64 s31, 0x42b17218, v6
	v_cndmask_b32_e64 v23, 0x7f800000, v23, s31
	v_add_f32_e32 v23, v41, v23
	ds_bpermute_b32 v0, v0, v23
	s_waitcnt lgkmcnt(0)
	v_add_f32_e32 v0, v23, v0
	ds_bpermute_b32 v4, v4, v0
	s_waitcnt lgkmcnt(0)
	;; [unrolled: 3-line block ×4, first 2 shown]
	v_add_f32_e32 v0, v0, v4
	ds_bpermute_b32 v4, v15, v0
	v_cmpx_lt_i32_e32 0, v5
	s_cbranch_execz .LBB152_98
; %bb.65:
	s_and_b32 exec_lo, exec_lo, vcc_lo
	s_cbranch_execz .LBB152_98
; %bb.66:
	s_waitcnt lgkmcnt(0)
	v_add_f32_e32 v0, v0, v4
	v_cmp_gt_f32_e32 vcc_lo, 0x800000, v0
	v_cndmask_b32_e64 v4, 0, 32, vcc_lo
	v_cndmask_b32_e64 v5, 0, 0x41b17218, vcc_lo
	v_ldexp_f32 v0, v0, v4
	v_log_f32_e32 v0, v0
	v_mul_f32_e32 v4, 0x3f317217, v0
	v_cmp_gt_f32_e64 vcc_lo, 0x7f800000, |v0|
	v_fma_f32 v4, 0x3f317217, v0, -v4
	v_fmamk_f32 v4, v0, 0x3377d1cf, v4
	v_fmac_f32_e32 v4, 0x3f317217, v0
	v_cndmask_b32_e32 v0, v0, v4, vcc_lo
	v_sub_f32_e32 v4, v0, v5
	v_sub_f32_e32 v0, v3, v4
	v_mov_b32_e32 v3, 0x7fc0
	v_bfe_u32 v5, v0, 16, 1
	v_cmp_o_f32_e32 vcc_lo, v0, v0
	v_add3_u32 v5, v0, v5, 0x7fff
	v_add_co_u32 v0, s31, s36, v1
	v_add_co_ci_u32_e64 v1, null, s37, v2, s31
	v_cndmask_b32_sdwa v2, v3, v5, vcc_lo dst_sel:DWORD dst_unused:UNUSED_PAD src0_sel:DWORD src1_sel:WORD_1
	global_store_short v[0:1], v2, off
	s_and_b32 exec_lo, exec_lo, s0
	s_cbranch_execz .LBB152_98
; %bb.67:
	v_sub_f32_e32 v2, v10, v4
	v_bfe_u32 v5, v2, 16, 1
	v_cmp_o_f32_e32 vcc_lo, v2, v2
	v_add3_u32 v2, v2, v5, 0x7fff
	v_cndmask_b32_sdwa v2, v3, v2, vcc_lo dst_sel:DWORD dst_unused:UNUSED_PAD src0_sel:DWORD src1_sel:WORD_1
	global_store_short v[0:1], v2, off offset:64
	s_and_b32 exec_lo, exec_lo, s1
	s_cbranch_execz .LBB152_98
; %bb.68:
	v_sub_f32_e32 v2, v14, v4
	v_bfe_u32 v3, v2, 16, 1
	v_cmp_o_f32_e32 vcc_lo, v2, v2
	v_add3_u32 v3, v2, v3, 0x7fff
	v_mov_b32_e32 v2, 0x7fc0
	v_cndmask_b32_sdwa v3, v2, v3, vcc_lo dst_sel:DWORD dst_unused:UNUSED_PAD src0_sel:DWORD src1_sel:WORD_1
	global_store_short v[0:1], v3, off offset:128
	s_and_b32 exec_lo, exec_lo, s2
	s_cbranch_execz .LBB152_98
; %bb.69:
	v_sub_f32_e32 v3, v16, v4
	v_bfe_u32 v5, v3, 16, 1
	v_cmp_o_f32_e32 vcc_lo, v3, v3
	v_add3_u32 v3, v3, v5, 0x7fff
	v_cndmask_b32_sdwa v2, v2, v3, vcc_lo dst_sel:DWORD dst_unused:UNUSED_PAD src0_sel:DWORD src1_sel:WORD_1
	global_store_short v[0:1], v2, off offset:192
	s_and_b32 exec_lo, exec_lo, s3
	s_cbranch_execz .LBB152_98
; %bb.70:
	v_sub_f32_e32 v2, v19, v4
	v_bfe_u32 v3, v2, 16, 1
	v_cmp_o_f32_e32 vcc_lo, v2, v2
	v_add3_u32 v3, v2, v3, 0x7fff
	v_mov_b32_e32 v2, 0x7fc0
	v_cndmask_b32_sdwa v3, v2, v3, vcc_lo dst_sel:DWORD dst_unused:UNUSED_PAD src0_sel:DWORD src1_sel:WORD_1
	global_store_short v[0:1], v3, off offset:256
	;; [unrolled: 19-line block ×15, first 2 shown]
	s_and_b32 exec_lo, exec_lo, s30
	s_cbranch_execz .LBB152_98
; %bb.97:
	v_sub_f32_e32 v3, v6, v4
	v_bfe_u32 v4, v3, 16, 1
	v_cmp_o_f32_e32 vcc_lo, v3, v3
	v_add3_u32 v3, v3, v4, 0x7fff
	v_cndmask_b32_sdwa v2, v2, v3, vcc_lo dst_sel:DWORD dst_unused:UNUSED_PAD src0_sel:DWORD src1_sel:WORD_1
	global_store_short v[0:1], v2, off offset:1984
.LBB152_98:
	s_endpgm
	.section	.rodata,"a",@progbits
	.p2align	6, 0x0
	.amdhsa_kernel _ZN12_GLOBAL__N_120softmax_warp_forwardIN3c108BFloat16ES2_fLi10ELb1ELb0ELi32EEEvPT0_PKT_iiiPKbib
		.amdhsa_group_segment_fixed_size 0
		.amdhsa_private_segment_fixed_size 0
		.amdhsa_kernarg_size 304
		.amdhsa_user_sgpr_count 6
		.amdhsa_user_sgpr_private_segment_buffer 1
		.amdhsa_user_sgpr_dispatch_ptr 0
		.amdhsa_user_sgpr_queue_ptr 0
		.amdhsa_user_sgpr_kernarg_segment_ptr 1
		.amdhsa_user_sgpr_dispatch_id 0
		.amdhsa_user_sgpr_flat_scratch_init 0
		.amdhsa_user_sgpr_private_segment_size 0
		.amdhsa_wavefront_size32 1
		.amdhsa_uses_dynamic_stack 0
		.amdhsa_system_sgpr_private_segment_wavefront_offset 0
		.amdhsa_system_sgpr_workgroup_id_x 1
		.amdhsa_system_sgpr_workgroup_id_y 0
		.amdhsa_system_sgpr_workgroup_id_z 0
		.amdhsa_system_sgpr_workgroup_info 0
		.amdhsa_system_vgpr_workitem_id 1
		.amdhsa_next_free_vgpr 45
		.amdhsa_next_free_sgpr 44
		.amdhsa_reserve_vcc 1
		.amdhsa_reserve_flat_scratch 0
		.amdhsa_float_round_mode_32 0
		.amdhsa_float_round_mode_16_64 0
		.amdhsa_float_denorm_mode_32 3
		.amdhsa_float_denorm_mode_16_64 3
		.amdhsa_dx10_clamp 1
		.amdhsa_ieee_mode 1
		.amdhsa_fp16_overflow 0
		.amdhsa_workgroup_processor_mode 1
		.amdhsa_memory_ordered 1
		.amdhsa_forward_progress 1
		.amdhsa_shared_vgpr_count 0
		.amdhsa_exception_fp_ieee_invalid_op 0
		.amdhsa_exception_fp_denorm_src 0
		.amdhsa_exception_fp_ieee_div_zero 0
		.amdhsa_exception_fp_ieee_overflow 0
		.amdhsa_exception_fp_ieee_underflow 0
		.amdhsa_exception_fp_ieee_inexact 0
		.amdhsa_exception_int_div_zero 0
	.end_amdhsa_kernel
	.section	.text._ZN12_GLOBAL__N_120softmax_warp_forwardIN3c108BFloat16ES2_fLi10ELb1ELb0ELi32EEEvPT0_PKT_iiiPKbib,"axG",@progbits,_ZN12_GLOBAL__N_120softmax_warp_forwardIN3c108BFloat16ES2_fLi10ELb1ELb0ELi32EEEvPT0_PKT_iiiPKbib,comdat
.Lfunc_end152:
	.size	_ZN12_GLOBAL__N_120softmax_warp_forwardIN3c108BFloat16ES2_fLi10ELb1ELb0ELi32EEEvPT0_PKT_iiiPKbib, .Lfunc_end152-_ZN12_GLOBAL__N_120softmax_warp_forwardIN3c108BFloat16ES2_fLi10ELb1ELb0ELi32EEEvPT0_PKT_iiiPKbib
                                        ; -- End function
	.set _ZN12_GLOBAL__N_120softmax_warp_forwardIN3c108BFloat16ES2_fLi10ELb1ELb0ELi32EEEvPT0_PKT_iiiPKbib.num_vgpr, 45
	.set _ZN12_GLOBAL__N_120softmax_warp_forwardIN3c108BFloat16ES2_fLi10ELb1ELb0ELi32EEEvPT0_PKT_iiiPKbib.num_agpr, 0
	.set _ZN12_GLOBAL__N_120softmax_warp_forwardIN3c108BFloat16ES2_fLi10ELb1ELb0ELi32EEEvPT0_PKT_iiiPKbib.numbered_sgpr, 44
	.set _ZN12_GLOBAL__N_120softmax_warp_forwardIN3c108BFloat16ES2_fLi10ELb1ELb0ELi32EEEvPT0_PKT_iiiPKbib.num_named_barrier, 0
	.set _ZN12_GLOBAL__N_120softmax_warp_forwardIN3c108BFloat16ES2_fLi10ELb1ELb0ELi32EEEvPT0_PKT_iiiPKbib.private_seg_size, 0
	.set _ZN12_GLOBAL__N_120softmax_warp_forwardIN3c108BFloat16ES2_fLi10ELb1ELb0ELi32EEEvPT0_PKT_iiiPKbib.uses_vcc, 1
	.set _ZN12_GLOBAL__N_120softmax_warp_forwardIN3c108BFloat16ES2_fLi10ELb1ELb0ELi32EEEvPT0_PKT_iiiPKbib.uses_flat_scratch, 0
	.set _ZN12_GLOBAL__N_120softmax_warp_forwardIN3c108BFloat16ES2_fLi10ELb1ELb0ELi32EEEvPT0_PKT_iiiPKbib.has_dyn_sized_stack, 0
	.set _ZN12_GLOBAL__N_120softmax_warp_forwardIN3c108BFloat16ES2_fLi10ELb1ELb0ELi32EEEvPT0_PKT_iiiPKbib.has_recursion, 0
	.set _ZN12_GLOBAL__N_120softmax_warp_forwardIN3c108BFloat16ES2_fLi10ELb1ELb0ELi32EEEvPT0_PKT_iiiPKbib.has_indirect_call, 0
	.section	.AMDGPU.csdata,"",@progbits
; Kernel info:
; codeLenInByte = 8072
; TotalNumSgprs: 46
; NumVgprs: 45
; ScratchSize: 0
; MemoryBound: 0
; FloatMode: 240
; IeeeMode: 1
; LDSByteSize: 0 bytes/workgroup (compile time only)
; SGPRBlocks: 0
; VGPRBlocks: 5
; NumSGPRsForWavesPerEU: 46
; NumVGPRsForWavesPerEU: 45
; Occupancy: 16
; WaveLimiterHint : 0
; COMPUTE_PGM_RSRC2:SCRATCH_EN: 0
; COMPUTE_PGM_RSRC2:USER_SGPR: 6
; COMPUTE_PGM_RSRC2:TRAP_HANDLER: 0
; COMPUTE_PGM_RSRC2:TGID_X_EN: 1
; COMPUTE_PGM_RSRC2:TGID_Y_EN: 0
; COMPUTE_PGM_RSRC2:TGID_Z_EN: 0
; COMPUTE_PGM_RSRC2:TIDIG_COMP_CNT: 1
	.section	.text._ZN12_GLOBAL__N_120softmax_warp_forwardIN3c108BFloat16ES2_fLi11ELb1ELb0ELi64EEEvPT0_PKT_iiiPKbib,"axG",@progbits,_ZN12_GLOBAL__N_120softmax_warp_forwardIN3c108BFloat16ES2_fLi11ELb1ELb0ELi64EEEvPT0_PKT_iiiPKbib,comdat
	.globl	_ZN12_GLOBAL__N_120softmax_warp_forwardIN3c108BFloat16ES2_fLi11ELb1ELb0ELi64EEEvPT0_PKT_iiiPKbib ; -- Begin function _ZN12_GLOBAL__N_120softmax_warp_forwardIN3c108BFloat16ES2_fLi11ELb1ELb0ELi64EEEvPT0_PKT_iiiPKbib
	.p2align	8
	.type	_ZN12_GLOBAL__N_120softmax_warp_forwardIN3c108BFloat16ES2_fLi11ELb1ELb0ELi64EEEvPT0_PKT_iiiPKbib,@function
_ZN12_GLOBAL__N_120softmax_warp_forwardIN3c108BFloat16ES2_fLi11ELb1ELb0ELi64EEEvPT0_PKT_iiiPKbib: ; @_ZN12_GLOBAL__N_120softmax_warp_forwardIN3c108BFloat16ES2_fLi11ELb1ELb0ELi64EEEvPT0_PKT_iiiPKbib
; %bb.0:
	s_clause 0x1
	s_load_dword s0, s[4:5], 0x3c
	s_load_dwordx8 s[36:43], s[4:5], 0x0
	v_mov_b32_e32 v12, 0xff800000
	v_mov_b32_e32 v42, 0xff800000
	s_waitcnt lgkmcnt(0)
	s_lshr_b32 s0, s0, 16
	v_cmp_gt_i32_e32 vcc_lo, s42, v0
	v_mad_u64_u32 v[1:2], null, s6, s0, v[1:2]
	v_mad_u64_u32 v[2:3], null, v1, s41, v[0:1]
	v_sub_nc_u32_e32 v5, s40, v1
	v_cmp_lt_i32_e64 s31, 0, v5
	v_ashrrev_i32_e32 v3, 31, v2
	s_and_b32 s1, s31, vcc_lo
	v_lshlrev_b64 v[1:2], 1, v[2:3]
	v_add_co_u32 v3, s0, s38, v1
	v_add_co_ci_u32_e64 v4, null, s39, v2, s0
	s_and_saveexec_b32 s0, s1
	s_cbranch_execz .LBB153_2
; %bb.1:
	global_load_ushort v6, v[3:4], off
	s_waitcnt vmcnt(0)
	v_lshlrev_b32_e32 v42, 16, v6
.LBB153_2:
	s_or_b32 exec_lo, exec_lo, s0
	v_add_nc_u32_e32 v6, 64, v0
	v_cmp_gt_i32_e64 s0, s42, v6
	s_and_b32 s2, s31, s0
	s_and_saveexec_b32 s1, s2
	s_cbranch_execz .LBB153_4
; %bb.3:
	global_load_ushort v6, v[3:4], off offset:128
	s_waitcnt vmcnt(0)
	v_lshlrev_b32_e32 v12, 16, v6
.LBB153_4:
	s_or_b32 exec_lo, exec_lo, s1
	v_add_nc_u32_e32 v6, 0x80, v0
	v_mov_b32_e32 v19, 0xff800000
	v_mov_b32_e32 v17, 0xff800000
	v_cmp_gt_i32_e64 s1, s42, v6
	s_and_b32 s3, s31, s1
	s_and_saveexec_b32 s2, s3
	s_cbranch_execz .LBB153_6
; %bb.5:
	global_load_ushort v6, v[3:4], off offset:256
	s_waitcnt vmcnt(0)
	v_lshlrev_b32_e32 v17, 16, v6
.LBB153_6:
	s_or_b32 exec_lo, exec_lo, s2
	v_add_nc_u32_e32 v6, 0xc0, v0
	v_cmp_gt_i32_e64 s2, s42, v6
	s_and_b32 s4, s31, s2
	s_and_saveexec_b32 s3, s4
	s_cbranch_execz .LBB153_8
; %bb.7:
	global_load_ushort v6, v[3:4], off offset:384
	s_waitcnt vmcnt(0)
	v_lshlrev_b32_e32 v19, 16, v6
.LBB153_8:
	s_or_b32 exec_lo, exec_lo, s3
	v_add_nc_u32_e32 v6, 0x100, v0
	v_mov_b32_e32 v21, 0xff800000
	v_mov_b32_e32 v20, 0xff800000
	v_cmp_gt_i32_e64 s3, s42, v6
	s_and_b32 s5, s31, s3
	s_and_saveexec_b32 s4, s5
	s_cbranch_execz .LBB153_10
; %bb.9:
	global_load_ushort v6, v[3:4], off offset:512
	s_waitcnt vmcnt(0)
	v_lshlrev_b32_e32 v20, 16, v6
.LBB153_10:
	;; [unrolled: 24-line block ×7, first 2 shown]
	s_or_b32 exec_lo, exec_lo, s14
	v_add_nc_u32_e32 v6, 0x3c0, v0
	v_cmp_gt_i32_e64 s14, s42, v6
	s_and_b32 s16, s31, s14
	s_and_saveexec_b32 s15, s16
	s_cbranch_execz .LBB153_32
; %bb.31:
	global_load_ushort v6, v[3:4], off offset:1920
	s_waitcnt vmcnt(0)
	v_lshlrev_b32_e32 v36, 16, v6
.LBB153_32:
	s_or_b32 exec_lo, exec_lo, s15
	v_or_b32_e32 v6, 0x400, v0
	v_mov_b32_e32 v37, 0xff800000
	v_mov_b32_e32 v39, 0xff800000
	v_cmp_gt_i32_e64 s15, s42, v6
	s_and_b32 s16, s31, s15
	s_and_saveexec_b32 s17, s16
	s_cbranch_execz .LBB153_34
; %bb.33:
	v_add_co_u32 v6, s16, 0x800, v3
	v_add_co_ci_u32_e64 v7, null, 0, v4, s16
	global_load_ushort v6, v[6:7], off
	s_waitcnt vmcnt(0)
	v_lshlrev_b32_e32 v39, 16, v6
.LBB153_34:
	s_or_b32 exec_lo, exec_lo, s17
	v_add_nc_u32_e32 v6, 0x440, v0
	v_cmp_gt_i32_e64 s16, s42, v6
	s_and_b32 s17, s31, s16
	s_and_saveexec_b32 s18, s17
	s_cbranch_execz .LBB153_36
; %bb.35:
	v_add_co_u32 v6, s17, 0x800, v3
	v_add_co_ci_u32_e64 v7, null, 0, v4, s17
	global_load_ushort v6, v[6:7], off offset:128
	s_waitcnt vmcnt(0)
	v_lshlrev_b32_e32 v37, 16, v6
.LBB153_36:
	s_or_b32 exec_lo, exec_lo, s18
	v_add_nc_u32_e32 v6, 0x480, v0
	v_mov_b32_e32 v35, 0xff800000
	v_mov_b32_e32 v41, 0xff800000
	v_cmp_gt_i32_e64 s17, s42, v6
	s_and_b32 s18, s31, s17
	s_and_saveexec_b32 s19, s18
	s_cbranch_execz .LBB153_38
; %bb.37:
	v_add_co_u32 v6, s18, 0x800, v3
	v_add_co_ci_u32_e64 v7, null, 0, v4, s18
	global_load_ushort v6, v[6:7], off offset:256
	s_waitcnt vmcnt(0)
	v_lshlrev_b32_e32 v41, 16, v6
.LBB153_38:
	s_or_b32 exec_lo, exec_lo, s19
	v_add_nc_u32_e32 v6, 0x4c0, v0
	v_cmp_gt_i32_e64 s18, s42, v6
	s_and_b32 s19, s31, s18
	s_and_saveexec_b32 s20, s19
	s_cbranch_execz .LBB153_40
; %bb.39:
	v_add_co_u32 v6, s19, 0x800, v3
	v_add_co_ci_u32_e64 v7, null, 0, v4, s19
	global_load_ushort v6, v[6:7], off offset:384
	s_waitcnt vmcnt(0)
	v_lshlrev_b32_e32 v35, 16, v6
.LBB153_40:
	s_or_b32 exec_lo, exec_lo, s20
	v_add_nc_u32_e32 v6, 0x500, v0
	v_mov_b32_e32 v33, 0xff800000
	v_mov_b32_e32 v40, 0xff800000
	v_cmp_gt_i32_e64 s19, s42, v6
	s_and_b32 s20, s31, s19
	s_and_saveexec_b32 s21, s20
	s_cbranch_execz .LBB153_42
; %bb.41:
	v_add_co_u32 v6, s20, 0x800, v3
	v_add_co_ci_u32_e64 v7, null, 0, v4, s20
	global_load_ushort v6, v[6:7], off offset:512
	s_waitcnt vmcnt(0)
	v_lshlrev_b32_e32 v40, 16, v6
.LBB153_42:
	s_or_b32 exec_lo, exec_lo, s21
	v_add_nc_u32_e32 v6, 0x540, v0
	v_cmp_gt_i32_e64 s20, s42, v6
	s_and_b32 s21, s31, s20
	s_and_saveexec_b32 s22, s21
	s_cbranch_execz .LBB153_44
; %bb.43:
	v_add_co_u32 v6, s21, 0x800, v3
	v_add_co_ci_u32_e64 v7, null, 0, v4, s21
	global_load_ushort v6, v[6:7], off offset:640
	s_waitcnt vmcnt(0)
	v_lshlrev_b32_e32 v33, 16, v6
.LBB153_44:
	s_or_b32 exec_lo, exec_lo, s22
	v_add_nc_u32_e32 v6, 0x580, v0
	v_mov_b32_e32 v26, 0xff800000
	v_mov_b32_e32 v38, 0xff800000
	v_cmp_gt_i32_e64 s21, s42, v6
	s_and_b32 s22, s31, s21
	s_and_saveexec_b32 s23, s22
	s_cbranch_execz .LBB153_46
; %bb.45:
	v_add_co_u32 v6, s22, 0x800, v3
	v_add_co_ci_u32_e64 v7, null, 0, v4, s22
	global_load_ushort v6, v[6:7], off offset:768
	s_waitcnt vmcnt(0)
	v_lshlrev_b32_e32 v38, 16, v6
.LBB153_46:
	s_or_b32 exec_lo, exec_lo, s23
	v_add_nc_u32_e32 v6, 0x5c0, v0
	v_cmp_gt_i32_e64 s22, s42, v6
	s_and_b32 s23, s31, s22
	s_and_saveexec_b32 s24, s23
	s_cbranch_execz .LBB153_48
; %bb.47:
	v_add_co_u32 v6, s23, 0x800, v3
	v_add_co_ci_u32_e64 v7, null, 0, v4, s23
	global_load_ushort v6, v[6:7], off offset:896
	s_waitcnt vmcnt(0)
	v_lshlrev_b32_e32 v26, 16, v6
.LBB153_48:
	s_or_b32 exec_lo, exec_lo, s24
	v_add_nc_u32_e32 v6, 0x600, v0
	v_mov_b32_e32 v14, 0xff800000
	v_mov_b32_e32 v27, 0xff800000
	v_cmp_gt_i32_e64 s23, s42, v6
	s_and_b32 s24, s31, s23
	s_and_saveexec_b32 s25, s24
	s_cbranch_execz .LBB153_50
; %bb.49:
	v_add_co_u32 v6, s24, 0x800, v3
	v_add_co_ci_u32_e64 v7, null, 0, v4, s24
	global_load_ushort v6, v[6:7], off offset:1024
	s_waitcnt vmcnt(0)
	v_lshlrev_b32_e32 v27, 16, v6
.LBB153_50:
	s_or_b32 exec_lo, exec_lo, s25
	v_add_nc_u32_e32 v6, 0x640, v0
	v_cmp_gt_i32_e64 s24, s42, v6
	s_and_b32 s25, s31, s24
	s_and_saveexec_b32 s26, s25
	s_cbranch_execz .LBB153_52
; %bb.51:
	v_add_co_u32 v6, s25, 0x800, v3
	v_add_co_ci_u32_e64 v7, null, 0, v4, s25
	global_load_ushort v6, v[6:7], off offset:1152
	s_waitcnt vmcnt(0)
	v_lshlrev_b32_e32 v14, 16, v6
.LBB153_52:
	s_or_b32 exec_lo, exec_lo, s26
	v_add_nc_u32_e32 v6, 0x680, v0
	v_mov_b32_e32 v10, 0xff800000
	v_mov_b32_e32 v16, 0xff800000
	v_cmp_gt_i32_e64 s25, s42, v6
	s_and_b32 s26, s31, s25
	s_and_saveexec_b32 s27, s26
	s_cbranch_execz .LBB153_54
; %bb.53:
	v_add_co_u32 v6, s26, 0x800, v3
	v_add_co_ci_u32_e64 v7, null, 0, v4, s26
	global_load_ushort v6, v[6:7], off offset:1280
	s_waitcnt vmcnt(0)
	v_lshlrev_b32_e32 v16, 16, v6
.LBB153_54:
	s_or_b32 exec_lo, exec_lo, s27
	v_add_nc_u32_e32 v6, 0x6c0, v0
	v_cmp_gt_i32_e64 s26, s42, v6
	s_and_b32 s27, s31, s26
	s_and_saveexec_b32 s28, s27
	s_cbranch_execz .LBB153_56
; %bb.55:
	v_add_co_u32 v6, s27, 0x800, v3
	v_add_co_ci_u32_e64 v7, null, 0, v4, s27
	global_load_ushort v6, v[6:7], off offset:1408
	s_waitcnt vmcnt(0)
	v_lshlrev_b32_e32 v10, 16, v6
.LBB153_56:
	s_or_b32 exec_lo, exec_lo, s28
	v_add_nc_u32_e32 v6, 0x700, v0
	v_mov_b32_e32 v7, 0xff800000
	v_mov_b32_e32 v9, 0xff800000
	v_cmp_gt_i32_e64 s27, s42, v6
	s_and_b32 s28, s31, s27
	s_and_saveexec_b32 s29, s28
	s_cbranch_execz .LBB153_58
; %bb.57:
	v_add_co_u32 v8, s28, 0x800, v3
	v_add_co_ci_u32_e64 v9, null, 0, v4, s28
	global_load_ushort v6, v[8:9], off offset:1536
	s_waitcnt vmcnt(0)
	v_lshlrev_b32_e32 v9, 16, v6
.LBB153_58:
	s_or_b32 exec_lo, exec_lo, s29
	v_add_nc_u32_e32 v6, 0x740, v0
	v_cmp_gt_i32_e64 s28, s42, v6
	s_and_b32 s29, s31, s28
	s_and_saveexec_b32 s30, s29
	s_cbranch_execz .LBB153_60
; %bb.59:
	v_add_co_u32 v6, s29, 0x800, v3
	v_add_co_ci_u32_e64 v7, null, 0, v4, s29
	global_load_ushort v6, v[6:7], off offset:1664
	s_waitcnt vmcnt(0)
	v_lshlrev_b32_e32 v7, 16, v6
.LBB153_60:
	s_or_b32 exec_lo, exec_lo, s30
	v_add_nc_u32_e32 v6, 0x780, v0
	v_mov_b32_e32 v8, 0xff800000
	v_cmp_gt_i32_e64 s29, s42, v6
	v_mov_b32_e32 v6, 0xff800000
	s_and_b32 s30, s31, s29
	s_and_saveexec_b32 s33, s30
	s_cbranch_execz .LBB153_62
; %bb.61:
	v_add_co_u32 v43, s30, 0x800, v3
	v_add_co_ci_u32_e64 v44, null, 0, v4, s30
	global_load_ushort v8, v[43:44], off offset:1792
	s_waitcnt vmcnt(0)
	v_lshlrev_b32_e32 v8, 16, v8
.LBB153_62:
	s_or_b32 exec_lo, exec_lo, s33
	v_add_nc_u32_e32 v0, 0x7c0, v0
	v_cmp_gt_i32_e64 s30, s42, v0
	s_and_b32 s31, s31, s30
	s_and_saveexec_b32 s33, s31
	s_cbranch_execz .LBB153_64
; %bb.63:
	v_add_co_u32 v3, s31, 0x800, v3
	v_add_co_ci_u32_e64 v4, null, 0, v4, s31
	global_load_ushort v0, v[3:4], off offset:1920
	s_waitcnt vmcnt(0)
	v_lshlrev_b32_e32 v6, 16, v0
.LBB153_64:
	s_or_b32 exec_lo, exec_lo, s33
	v_cmp_gt_f32_e64 s31, v42, v12
	v_mbcnt_lo_u32_b32 v4, -1, 0
	s_mov_b32 s33, exec_lo
	v_cndmask_b32_e64 v0, v12, v42, s31
	v_cmp_gt_f32_e64 s31, v0, v17
	v_cndmask_b32_e64 v0, v17, v0, s31
	v_cmp_gt_f32_e64 s31, v0, v19
	v_cndmask_b32_e64 v0, v19, v0, s31
	v_cmp_gt_f32_e64 s31, v0, v20
	v_cndmask_b32_e64 v0, v20, v0, s31
	v_cmp_gt_f32_e64 s31, v0, v21
	v_cndmask_b32_e64 v0, v21, v0, s31
	v_cmp_gt_f32_e64 s31, v0, v22
	v_cndmask_b32_e64 v0, v22, v0, s31
	v_cmp_gt_f32_e64 s31, v0, v24
	v_cndmask_b32_e64 v0, v24, v0, s31
	v_cmp_gt_f32_e64 s31, v0, v25
	v_cndmask_b32_e64 v0, v25, v0, s31
	v_cmp_gt_f32_e64 s31, v0, v28
	v_cndmask_b32_e64 v0, v28, v0, s31
	v_cmp_gt_f32_e64 s31, v0, v29
	v_cndmask_b32_e64 v0, v29, v0, s31
	v_cmp_gt_f32_e64 s31, v0, v30
	v_cndmask_b32_e64 v0, v30, v0, s31
	v_cmp_gt_f32_e64 s31, v0, v31
	v_cndmask_b32_e64 v0, v31, v0, s31
	v_cmp_gt_f32_e64 s31, v0, v32
	v_cndmask_b32_e64 v0, v32, v0, s31
	v_cmp_gt_f32_e64 s31, v0, v34
	v_cndmask_b32_e64 v0, v34, v0, s31
	v_cmp_gt_f32_e64 s31, v0, v36
	v_cndmask_b32_e64 v0, v36, v0, s31
	v_cmp_gt_f32_e64 s31, v0, v39
	v_cndmask_b32_e64 v0, v39, v0, s31
	v_cmp_gt_f32_e64 s31, v0, v37
	v_cndmask_b32_e64 v0, v37, v0, s31
	v_cmp_gt_f32_e64 s31, v0, v41
	v_cndmask_b32_e64 v0, v41, v0, s31
	v_cmp_gt_f32_e64 s31, v0, v35
	v_cndmask_b32_e64 v0, v35, v0, s31
	v_cmp_gt_f32_e64 s31, v0, v40
	v_cndmask_b32_e64 v0, v40, v0, s31
	v_cmp_gt_f32_e64 s31, v0, v33
	v_cndmask_b32_e64 v0, v33, v0, s31
	v_cmp_gt_f32_e64 s31, v0, v38
	v_cndmask_b32_e64 v0, v38, v0, s31
	v_cmp_gt_f32_e64 s31, v0, v26
	v_cndmask_b32_e64 v0, v26, v0, s31
	v_cmp_gt_f32_e64 s31, v0, v27
	v_cndmask_b32_e64 v0, v27, v0, s31
	v_cmp_gt_f32_e64 s31, v0, v14
	v_cndmask_b32_e64 v0, v14, v0, s31
	v_cmp_gt_f32_e64 s31, v0, v16
	v_cndmask_b32_e64 v0, v16, v0, s31
	v_cmp_gt_f32_e64 s31, v0, v10
	v_cndmask_b32_e64 v0, v10, v0, s31
	v_cmp_gt_f32_e64 s31, v0, v9
	v_cndmask_b32_e64 v0, v9, v0, s31
	v_cmp_gt_f32_e64 s31, v0, v7
	v_cndmask_b32_e64 v0, v7, v0, s31
	v_cmp_gt_f32_e64 s31, v0, v8
	v_cndmask_b32_e64 v0, v8, v0, s31
	v_cmp_gt_f32_e64 s31, v0, v6
	v_cndmask_b32_e64 v3, v6, v0, s31
	v_or_b32_e32 v0, 32, v4
	v_cmp_gt_i32_e64 s31, 64, v0
	v_cndmask_b32_e64 v0, v4, v0, s31
	v_lshlrev_b32_e32 v0, 2, v0
	ds_bpermute_b32 v11, v0, v3
	s_waitcnt lgkmcnt(0)
	v_cmp_lt_f32_e64 s31, v3, v11
	v_cndmask_b32_e64 v11, v3, v11, s31
	v_xor_b32_e32 v3, 16, v4
	v_cmp_gt_i32_e64 s31, 64, v3
	v_cndmask_b32_e64 v3, v4, v3, s31
	v_lshlrev_b32_e32 v3, 2, v3
	ds_bpermute_b32 v13, v3, v11
	s_waitcnt lgkmcnt(0)
	v_cmp_lt_f32_e64 s31, v11, v13
	v_cndmask_b32_e64 v13, v11, v13, s31
	v_xor_b32_e32 v11, 8, v4
	;; [unrolled: 8-line block ×5, first 2 shown]
	v_cmp_gt_i32_e64 s31, 64, v18
	v_cndmask_b32_e64 v4, v4, v18, s31
	v_lshlrev_b32_e32 v18, 2, v4
	ds_bpermute_b32 v4, v18, v23
	s_waitcnt lgkmcnt(0)
	v_cmp_lt_f32_e64 s31, v23, v4
	v_cndmask_b32_e64 v23, v23, v4, s31
	v_sub_f32_e32 v4, v42, v23
	v_sub_f32_e32 v12, v12, v23
	;; [unrolled: 1-line block ×5, first 2 shown]
	v_mul_f32_e32 v42, 0x3fb8aa3b, v4
	v_cmp_ngt_f32_e64 s31, 0xc2ce8ed0, v4
	v_sub_f32_e32 v21, v21, v23
	v_sub_f32_e32 v22, v22, v23
	;; [unrolled: 1-line block ×3, first 2 shown]
	v_fma_f32 v43, 0x3fb8aa3b, v4, -v42
	v_rndne_f32_e32 v44, v42
	v_sub_f32_e32 v25, v25, v23
	v_sub_f32_e32 v28, v28, v23
	;; [unrolled: 1-line block ×3, first 2 shown]
	v_fmac_f32_e32 v43, 0x32a5705f, v4
	v_sub_f32_e32 v42, v42, v44
	v_sub_f32_e32 v30, v30, v23
	;; [unrolled: 1-line block ×5, first 2 shown]
	v_add_f32_e32 v42, v42, v43
	v_cvt_i32_f32_e32 v43, v44
	v_sub_f32_e32 v36, v36, v23
	v_sub_f32_e32 v39, v39, v23
	v_sub_f32_e32 v37, v37, v23
	v_exp_f32_e32 v42, v42
	v_sub_f32_e32 v41, v41, v23
	v_sub_f32_e32 v35, v35, v23
	;; [unrolled: 1-line block ×9, first 2 shown]
	v_ldexp_f32 v42, v42, v43
	v_mul_f32_e32 v43, 0x3fb8aa3b, v12
	v_sub_f32_e32 v10, v10, v23
	v_sub_f32_e32 v9, v9, v23
	;; [unrolled: 1-line block ×3, first 2 shown]
	v_cndmask_b32_e64 v42, 0, v42, s31
	v_fma_f32 v44, 0x3fb8aa3b, v12, -v43
	v_rndne_f32_e32 v45, v43
	v_cmp_nlt_f32_e64 s31, 0x42b17218, v4
	v_sub_f32_e32 v8, v8, v23
	v_sub_f32_e32 v6, v6, v23
	v_fmac_f32_e32 v44, 0x32a5705f, v12
	v_sub_f32_e32 v43, v43, v45
	v_cndmask_b32_e64 v42, 0x7f800000, v42, s31
	v_cmp_ngt_f32_e64 s31, 0xc2ce8ed0, v12
	v_mul_f32_e32 v23, 0x3fb8aa3b, v6
	v_add_f32_e32 v43, v43, v44
	v_cvt_i32_f32_e32 v44, v45
	v_exp_f32_e32 v43, v43
	v_ldexp_f32 v43, v43, v44
	v_cndmask_b32_e64 v43, 0, v43, s31
	v_cmp_nlt_f32_e64 s31, 0x42b17218, v12
	v_cndmask_b32_e64 v43, 0x7f800000, v43, s31
	v_cmp_ngt_f32_e64 s31, 0xc2ce8ed0, v17
	v_add_f32_e32 v42, v42, v43
	v_mul_f32_e32 v43, 0x3fb8aa3b, v17
	v_fma_f32 v44, 0x3fb8aa3b, v17, -v43
	v_rndne_f32_e32 v45, v43
	v_fmac_f32_e32 v44, 0x32a5705f, v17
	v_sub_f32_e32 v43, v43, v45
	v_add_f32_e32 v43, v43, v44
	v_cvt_i32_f32_e32 v44, v45
	v_exp_f32_e32 v43, v43
	v_ldexp_f32 v43, v43, v44
	v_cndmask_b32_e64 v43, 0, v43, s31
	v_cmp_nlt_f32_e64 s31, 0x42b17218, v17
	v_cndmask_b32_e64 v43, 0x7f800000, v43, s31
	v_cmp_ngt_f32_e64 s31, 0xc2ce8ed0, v19
	v_add_f32_e32 v42, v42, v43
	v_mul_f32_e32 v43, 0x3fb8aa3b, v19
	v_fma_f32 v44, 0x3fb8aa3b, v19, -v43
	v_rndne_f32_e32 v45, v43
	v_fmac_f32_e32 v44, 0x32a5705f, v19
	v_sub_f32_e32 v43, v43, v45
	;; [unrolled: 14-line block ×29, first 2 shown]
	v_add_f32_e32 v43, v43, v44
	v_cvt_i32_f32_e32 v44, v45
	v_exp_f32_e32 v43, v43
	v_ldexp_f32 v43, v43, v44
	v_rndne_f32_e32 v44, v23
	v_cndmask_b32_e64 v43, 0, v43, s31
	v_cmp_nlt_f32_e64 s31, 0x42b17218, v8
	v_cndmask_b32_e64 v43, 0x7f800000, v43, s31
	v_cmp_ngt_f32_e64 s31, 0xc2ce8ed0, v6
	v_add_f32_e32 v42, v42, v43
	v_fma_f32 v43, 0x3fb8aa3b, v6, -v23
	v_sub_f32_e32 v23, v23, v44
	v_fmac_f32_e32 v43, 0x32a5705f, v6
	v_add_f32_e32 v23, v23, v43
	v_cvt_i32_f32_e32 v43, v44
	v_exp_f32_e32 v23, v23
	v_ldexp_f32 v23, v23, v43
	v_cndmask_b32_e64 v23, 0, v23, s31
	v_cmp_nlt_f32_e64 s31, 0x42b17218, v6
	v_cndmask_b32_e64 v23, 0x7f800000, v23, s31
	v_add_f32_e32 v23, v42, v23
	ds_bpermute_b32 v0, v0, v23
	s_waitcnt lgkmcnt(0)
	v_add_f32_e32 v0, v23, v0
	ds_bpermute_b32 v3, v3, v0
	s_waitcnt lgkmcnt(0)
	;; [unrolled: 3-line block ×5, first 2 shown]
	v_add_f32_e32 v0, v0, v3
	ds_bpermute_b32 v3, v18, v0
	v_cmpx_lt_i32_e32 0, v5
	s_cbranch_execz .LBB153_98
; %bb.65:
	s_and_b32 exec_lo, exec_lo, vcc_lo
	s_cbranch_execz .LBB153_98
; %bb.66:
	s_waitcnt lgkmcnt(0)
	v_add_f32_e32 v0, v0, v3
	v_cmp_gt_f32_e32 vcc_lo, 0x800000, v0
	v_cndmask_b32_e64 v3, 0, 32, vcc_lo
	v_cndmask_b32_e64 v5, 0, 0x41b17218, vcc_lo
	v_ldexp_f32 v0, v0, v3
	v_log_f32_e32 v0, v0
	v_mul_f32_e32 v3, 0x3f317217, v0
	v_cmp_gt_f32_e64 vcc_lo, 0x7f800000, |v0|
	v_fma_f32 v3, 0x3f317217, v0, -v3
	v_fmamk_f32 v3, v0, 0x3377d1cf, v3
	v_fmac_f32_e32 v3, 0x3f317217, v0
	v_cndmask_b32_e32 v0, v0, v3, vcc_lo
	v_sub_f32_e32 v3, v0, v5
	v_sub_f32_e32 v0, v4, v3
	v_mov_b32_e32 v4, 0x7fc0
	v_bfe_u32 v5, v0, 16, 1
	v_cmp_o_f32_e32 vcc_lo, v0, v0
	v_add3_u32 v5, v0, v5, 0x7fff
	v_add_co_u32 v0, s31, s36, v1
	v_add_co_ci_u32_e64 v1, null, s37, v2, s31
	v_cndmask_b32_sdwa v2, v4, v5, vcc_lo dst_sel:DWORD dst_unused:UNUSED_PAD src0_sel:DWORD src1_sel:WORD_1
	global_store_short v[0:1], v2, off
	s_and_b32 exec_lo, exec_lo, s0
	s_cbranch_execz .LBB153_98
; %bb.67:
	v_sub_f32_e32 v2, v12, v3
	v_bfe_u32 v5, v2, 16, 1
	v_cmp_o_f32_e32 vcc_lo, v2, v2
	v_add3_u32 v2, v2, v5, 0x7fff
	v_cndmask_b32_sdwa v2, v4, v2, vcc_lo dst_sel:DWORD dst_unused:UNUSED_PAD src0_sel:DWORD src1_sel:WORD_1
	global_store_short v[0:1], v2, off offset:128
	s_and_b32 exec_lo, exec_lo, s1
	s_cbranch_execz .LBB153_98
; %bb.68:
	v_sub_f32_e32 v2, v17, v3
	v_bfe_u32 v4, v2, 16, 1
	v_cmp_o_f32_e32 vcc_lo, v2, v2
	v_add3_u32 v4, v2, v4, 0x7fff
	v_mov_b32_e32 v2, 0x7fc0
	v_cndmask_b32_sdwa v4, v2, v4, vcc_lo dst_sel:DWORD dst_unused:UNUSED_PAD src0_sel:DWORD src1_sel:WORD_1
	global_store_short v[0:1], v4, off offset:256
	s_and_b32 exec_lo, exec_lo, s2
	s_cbranch_execz .LBB153_98
; %bb.69:
	v_sub_f32_e32 v4, v19, v3
	v_bfe_u32 v5, v4, 16, 1
	v_cmp_o_f32_e32 vcc_lo, v4, v4
	v_add3_u32 v4, v4, v5, 0x7fff
	v_cndmask_b32_sdwa v2, v2, v4, vcc_lo dst_sel:DWORD dst_unused:UNUSED_PAD src0_sel:DWORD src1_sel:WORD_1
	global_store_short v[0:1], v2, off offset:384
	s_and_b32 exec_lo, exec_lo, s3
	s_cbranch_execz .LBB153_98
; %bb.70:
	v_sub_f32_e32 v2, v20, v3
	v_bfe_u32 v4, v2, 16, 1
	v_cmp_o_f32_e32 vcc_lo, v2, v2
	v_add3_u32 v4, v2, v4, 0x7fff
	v_mov_b32_e32 v2, 0x7fc0
	v_cndmask_b32_sdwa v4, v2, v4, vcc_lo dst_sel:DWORD dst_unused:UNUSED_PAD src0_sel:DWORD src1_sel:WORD_1
	global_store_short v[0:1], v4, off offset:512
	;; [unrolled: 19-line block ×7, first 2 shown]
	s_and_b32 exec_lo, exec_lo, s14
	s_cbranch_execz .LBB153_98
; %bb.81:
	v_sub_f32_e32 v4, v36, v3
	v_bfe_u32 v5, v4, 16, 1
	v_cmp_o_f32_e32 vcc_lo, v4, v4
	v_add3_u32 v4, v4, v5, 0x7fff
	v_cndmask_b32_sdwa v2, v2, v4, vcc_lo dst_sel:DWORD dst_unused:UNUSED_PAD src0_sel:DWORD src1_sel:WORD_1
	global_store_short v[0:1], v2, off offset:1920
	s_and_b32 exec_lo, exec_lo, s15
	s_cbranch_execz .LBB153_98
; %bb.82:
	v_sub_f32_e32 v4, v39, v3
	v_mov_b32_e32 v2, 0x7fc0
	v_bfe_u32 v5, v4, 16, 1
	v_cmp_o_f32_e32 vcc_lo, v4, v4
	v_add3_u32 v4, v4, v5, 0x7fff
	v_cndmask_b32_sdwa v4, v2, v4, vcc_lo dst_sel:DWORD dst_unused:UNUSED_PAD src0_sel:DWORD src1_sel:WORD_1
	v_add_co_u32 v0, vcc_lo, 0x800, v0
	v_add_co_ci_u32_e64 v1, null, 0, v1, vcc_lo
	global_store_short v[0:1], v4, off
	s_and_b32 exec_lo, exec_lo, s16
	s_cbranch_execz .LBB153_98
; %bb.83:
	v_sub_f32_e32 v4, v37, v3
	v_bfe_u32 v5, v4, 16, 1
	v_cmp_o_f32_e32 vcc_lo, v4, v4
	v_add3_u32 v4, v4, v5, 0x7fff
	v_cndmask_b32_sdwa v2, v2, v4, vcc_lo dst_sel:DWORD dst_unused:UNUSED_PAD src0_sel:DWORD src1_sel:WORD_1
	global_store_short v[0:1], v2, off offset:128
	s_and_b32 exec_lo, exec_lo, s17
	s_cbranch_execz .LBB153_98
; %bb.84:
	v_sub_f32_e32 v2, v41, v3
	v_bfe_u32 v4, v2, 16, 1
	v_cmp_o_f32_e32 vcc_lo, v2, v2
	v_add3_u32 v4, v2, v4, 0x7fff
	v_mov_b32_e32 v2, 0x7fc0
	v_cndmask_b32_sdwa v4, v2, v4, vcc_lo dst_sel:DWORD dst_unused:UNUSED_PAD src0_sel:DWORD src1_sel:WORD_1
	global_store_short v[0:1], v4, off offset:256
	s_and_b32 exec_lo, exec_lo, s18
	s_cbranch_execz .LBB153_98
; %bb.85:
	v_sub_f32_e32 v4, v35, v3
	v_bfe_u32 v5, v4, 16, 1
	v_cmp_o_f32_e32 vcc_lo, v4, v4
	v_add3_u32 v4, v4, v5, 0x7fff
	v_cndmask_b32_sdwa v2, v2, v4, vcc_lo dst_sel:DWORD dst_unused:UNUSED_PAD src0_sel:DWORD src1_sel:WORD_1
	global_store_short v[0:1], v2, off offset:384
	s_and_b32 exec_lo, exec_lo, s19
	s_cbranch_execz .LBB153_98
; %bb.86:
	v_sub_f32_e32 v2, v40, v3
	v_bfe_u32 v4, v2, 16, 1
	v_cmp_o_f32_e32 vcc_lo, v2, v2
	v_add3_u32 v4, v2, v4, 0x7fff
	v_mov_b32_e32 v2, 0x7fc0
	v_cndmask_b32_sdwa v4, v2, v4, vcc_lo dst_sel:DWORD dst_unused:UNUSED_PAD src0_sel:DWORD src1_sel:WORD_1
	global_store_short v[0:1], v4, off offset:512
	;; [unrolled: 19-line block ×7, first 2 shown]
	s_and_b32 exec_lo, exec_lo, s30
	s_cbranch_execz .LBB153_98
; %bb.97:
	v_sub_f32_e32 v3, v6, v3
	v_bfe_u32 v4, v3, 16, 1
	v_cmp_o_f32_e32 vcc_lo, v3, v3
	v_add3_u32 v3, v3, v4, 0x7fff
	v_cndmask_b32_sdwa v2, v2, v3, vcc_lo dst_sel:DWORD dst_unused:UNUSED_PAD src0_sel:DWORD src1_sel:WORD_1
	global_store_short v[0:1], v2, off offset:1920
.LBB153_98:
	s_endpgm
	.section	.rodata,"a",@progbits
	.p2align	6, 0x0
	.amdhsa_kernel _ZN12_GLOBAL__N_120softmax_warp_forwardIN3c108BFloat16ES2_fLi11ELb1ELb0ELi64EEEvPT0_PKT_iiiPKbib
		.amdhsa_group_segment_fixed_size 0
		.amdhsa_private_segment_fixed_size 0
		.amdhsa_kernarg_size 304
		.amdhsa_user_sgpr_count 6
		.amdhsa_user_sgpr_private_segment_buffer 1
		.amdhsa_user_sgpr_dispatch_ptr 0
		.amdhsa_user_sgpr_queue_ptr 0
		.amdhsa_user_sgpr_kernarg_segment_ptr 1
		.amdhsa_user_sgpr_dispatch_id 0
		.amdhsa_user_sgpr_flat_scratch_init 0
		.amdhsa_user_sgpr_private_segment_size 0
		.amdhsa_wavefront_size32 1
		.amdhsa_uses_dynamic_stack 0
		.amdhsa_system_sgpr_private_segment_wavefront_offset 0
		.amdhsa_system_sgpr_workgroup_id_x 1
		.amdhsa_system_sgpr_workgroup_id_y 0
		.amdhsa_system_sgpr_workgroup_id_z 0
		.amdhsa_system_sgpr_workgroup_info 0
		.amdhsa_system_vgpr_workitem_id 1
		.amdhsa_next_free_vgpr 46
		.amdhsa_next_free_sgpr 44
		.amdhsa_reserve_vcc 1
		.amdhsa_reserve_flat_scratch 0
		.amdhsa_float_round_mode_32 0
		.amdhsa_float_round_mode_16_64 0
		.amdhsa_float_denorm_mode_32 3
		.amdhsa_float_denorm_mode_16_64 3
		.amdhsa_dx10_clamp 1
		.amdhsa_ieee_mode 1
		.amdhsa_fp16_overflow 0
		.amdhsa_workgroup_processor_mode 1
		.amdhsa_memory_ordered 1
		.amdhsa_forward_progress 1
		.amdhsa_shared_vgpr_count 0
		.amdhsa_exception_fp_ieee_invalid_op 0
		.amdhsa_exception_fp_denorm_src 0
		.amdhsa_exception_fp_ieee_div_zero 0
		.amdhsa_exception_fp_ieee_overflow 0
		.amdhsa_exception_fp_ieee_underflow 0
		.amdhsa_exception_fp_ieee_inexact 0
		.amdhsa_exception_int_div_zero 0
	.end_amdhsa_kernel
	.section	.text._ZN12_GLOBAL__N_120softmax_warp_forwardIN3c108BFloat16ES2_fLi11ELb1ELb0ELi64EEEvPT0_PKT_iiiPKbib,"axG",@progbits,_ZN12_GLOBAL__N_120softmax_warp_forwardIN3c108BFloat16ES2_fLi11ELb1ELb0ELi64EEEvPT0_PKT_iiiPKbib,comdat
.Lfunc_end153:
	.size	_ZN12_GLOBAL__N_120softmax_warp_forwardIN3c108BFloat16ES2_fLi11ELb1ELb0ELi64EEEvPT0_PKT_iiiPKbib, .Lfunc_end153-_ZN12_GLOBAL__N_120softmax_warp_forwardIN3c108BFloat16ES2_fLi11ELb1ELb0ELi64EEEvPT0_PKT_iiiPKbib
                                        ; -- End function
	.set _ZN12_GLOBAL__N_120softmax_warp_forwardIN3c108BFloat16ES2_fLi11ELb1ELb0ELi64EEEvPT0_PKT_iiiPKbib.num_vgpr, 46
	.set _ZN12_GLOBAL__N_120softmax_warp_forwardIN3c108BFloat16ES2_fLi11ELb1ELb0ELi64EEEvPT0_PKT_iiiPKbib.num_agpr, 0
	.set _ZN12_GLOBAL__N_120softmax_warp_forwardIN3c108BFloat16ES2_fLi11ELb1ELb0ELi64EEEvPT0_PKT_iiiPKbib.numbered_sgpr, 44
	.set _ZN12_GLOBAL__N_120softmax_warp_forwardIN3c108BFloat16ES2_fLi11ELb1ELb0ELi64EEEvPT0_PKT_iiiPKbib.num_named_barrier, 0
	.set _ZN12_GLOBAL__N_120softmax_warp_forwardIN3c108BFloat16ES2_fLi11ELb1ELb0ELi64EEEvPT0_PKT_iiiPKbib.private_seg_size, 0
	.set _ZN12_GLOBAL__N_120softmax_warp_forwardIN3c108BFloat16ES2_fLi11ELb1ELb0ELi64EEEvPT0_PKT_iiiPKbib.uses_vcc, 1
	.set _ZN12_GLOBAL__N_120softmax_warp_forwardIN3c108BFloat16ES2_fLi11ELb1ELb0ELi64EEEvPT0_PKT_iiiPKbib.uses_flat_scratch, 0
	.set _ZN12_GLOBAL__N_120softmax_warp_forwardIN3c108BFloat16ES2_fLi11ELb1ELb0ELi64EEEvPT0_PKT_iiiPKbib.has_dyn_sized_stack, 0
	.set _ZN12_GLOBAL__N_120softmax_warp_forwardIN3c108BFloat16ES2_fLi11ELb1ELb0ELi64EEEvPT0_PKT_iiiPKbib.has_recursion, 0
	.set _ZN12_GLOBAL__N_120softmax_warp_forwardIN3c108BFloat16ES2_fLi11ELb1ELb0ELi64EEEvPT0_PKT_iiiPKbib.has_indirect_call, 0
	.section	.AMDGPU.csdata,"",@progbits
; Kernel info:
; codeLenInByte = 8484
; TotalNumSgprs: 46
; NumVgprs: 46
; ScratchSize: 0
; MemoryBound: 0
; FloatMode: 240
; IeeeMode: 1
; LDSByteSize: 0 bytes/workgroup (compile time only)
; SGPRBlocks: 0
; VGPRBlocks: 5
; NumSGPRsForWavesPerEU: 46
; NumVGPRsForWavesPerEU: 46
; Occupancy: 16
; WaveLimiterHint : 0
; COMPUTE_PGM_RSRC2:SCRATCH_EN: 0
; COMPUTE_PGM_RSRC2:USER_SGPR: 6
; COMPUTE_PGM_RSRC2:TRAP_HANDLER: 0
; COMPUTE_PGM_RSRC2:TGID_X_EN: 1
; COMPUTE_PGM_RSRC2:TGID_Y_EN: 0
; COMPUTE_PGM_RSRC2:TGID_Z_EN: 0
; COMPUTE_PGM_RSRC2:TIDIG_COMP_CNT: 1
	.section	.text._ZN12_GLOBAL__N_120softmax_warp_forwardIN3c108BFloat16ES2_fLi11ELb1ELb0ELi32EEEvPT0_PKT_iiiPKbib,"axG",@progbits,_ZN12_GLOBAL__N_120softmax_warp_forwardIN3c108BFloat16ES2_fLi11ELb1ELb0ELi32EEEvPT0_PKT_iiiPKbib,comdat
	.globl	_ZN12_GLOBAL__N_120softmax_warp_forwardIN3c108BFloat16ES2_fLi11ELb1ELb0ELi32EEEvPT0_PKT_iiiPKbib ; -- Begin function _ZN12_GLOBAL__N_120softmax_warp_forwardIN3c108BFloat16ES2_fLi11ELb1ELb0ELi32EEEvPT0_PKT_iiiPKbib
	.p2align	8
	.type	_ZN12_GLOBAL__N_120softmax_warp_forwardIN3c108BFloat16ES2_fLi11ELb1ELb0ELi32EEEvPT0_PKT_iiiPKbib,@function
_ZN12_GLOBAL__N_120softmax_warp_forwardIN3c108BFloat16ES2_fLi11ELb1ELb0ELi32EEEvPT0_PKT_iiiPKbib: ; @_ZN12_GLOBAL__N_120softmax_warp_forwardIN3c108BFloat16ES2_fLi11ELb1ELb0ELi32EEEvPT0_PKT_iiiPKbib
; %bb.0:
	s_clause 0x1
	s_load_dword s0, s[4:5], 0x3c
	s_load_dwordx8 s[68:75], s[4:5], 0x0
	v_mov_b32_e32 v8, 0xff800000
	v_mov_b32_e32 v7, 0xff800000
	s_waitcnt lgkmcnt(0)
	s_lshr_b32 s0, s0, 16
	v_cmp_gt_i32_e32 vcc_lo, s74, v0
	v_mad_u64_u32 v[1:2], null, s6, s0, v[1:2]
	v_mad_u64_u32 v[2:3], null, v1, s73, v[0:1]
	v_sub_nc_u32_e32 v5, s72, v1
	v_cmp_lt_i32_e64 s64, 0, v5
	v_ashrrev_i32_e32 v3, 31, v2
	s_and_b32 s1, s64, vcc_lo
	v_lshlrev_b64 v[1:2], 1, v[2:3]
	v_add_co_u32 v3, s0, s70, v1
	v_add_co_ci_u32_e64 v4, null, s71, v2, s0
	s_and_saveexec_b32 s0, s1
	s_cbranch_execz .LBB154_2
; %bb.1:
	global_load_ushort v6, v[3:4], off
	s_waitcnt vmcnt(0)
	v_lshlrev_b32_e32 v7, 16, v6
.LBB154_2:
	s_or_b32 exec_lo, exec_lo, s0
	v_add_nc_u32_e32 v6, 32, v0
	v_cmp_gt_i32_e64 s0, s74, v6
	s_and_b32 s2, s64, s0
	s_and_saveexec_b32 s1, s2
	s_cbranch_execz .LBB154_4
; %bb.3:
	global_load_ushort v6, v[3:4], off offset:64
	s_waitcnt vmcnt(0)
	v_lshlrev_b32_e32 v8, 16, v6
.LBB154_4:
	s_or_b32 exec_lo, exec_lo, s1
	v_add_nc_u32_e32 v6, 64, v0
	v_mov_b32_e32 v11, 0xff800000
	v_mov_b32_e32 v10, 0xff800000
	v_cmp_gt_i32_e64 s1, s74, v6
	s_and_b32 s3, s64, s1
	s_and_saveexec_b32 s2, s3
	s_cbranch_execz .LBB154_6
; %bb.5:
	global_load_ushort v6, v[3:4], off offset:128
	s_waitcnt vmcnt(0)
	v_lshlrev_b32_e32 v10, 16, v6
.LBB154_6:
	s_or_b32 exec_lo, exec_lo, s2
	v_add_nc_u32_e32 v6, 0x60, v0
	v_cmp_gt_i32_e64 s2, s74, v6
	s_and_b32 s4, s64, s2
	s_and_saveexec_b32 s3, s4
	s_cbranch_execz .LBB154_8
; %bb.7:
	global_load_ushort v6, v[3:4], off offset:192
	s_waitcnt vmcnt(0)
	v_lshlrev_b32_e32 v11, 16, v6
.LBB154_8:
	s_or_b32 exec_lo, exec_lo, s3
	v_add_nc_u32_e32 v6, 0x80, v0
	v_mov_b32_e32 v13, 0xff800000
	v_mov_b32_e32 v12, 0xff800000
	v_cmp_gt_i32_e64 s3, s74, v6
	s_and_b32 s5, s64, s3
	s_and_saveexec_b32 s4, s5
	s_cbranch_execz .LBB154_10
; %bb.9:
	global_load_ushort v6, v[3:4], off offset:256
	s_waitcnt vmcnt(0)
	v_lshlrev_b32_e32 v12, 16, v6
.LBB154_10:
	;; [unrolled: 24-line block ×15, first 2 shown]
	s_or_b32 exec_lo, exec_lo, s30
	v_add_nc_u32_e32 v6, 0x3e0, v0
	v_cmp_gt_i32_e64 s30, s74, v6
	s_and_b32 s33, s64, s30
	s_and_saveexec_b32 s31, s33
	s_cbranch_execz .LBB154_64
; %bb.63:
	global_load_ushort v6, v[3:4], off offset:1984
	s_waitcnt vmcnt(0)
	v_lshlrev_b32_e32 v63, 16, v6
.LBB154_64:
	s_or_b32 exec_lo, exec_lo, s31
	v_or_b32_e32 v6, 0x400, v0
	v_mov_b32_e32 v71, 0xff800000
	v_mov_b32_e32 v72, 0xff800000
	v_cmp_gt_i32_e64 s31, s74, v6
	s_and_b32 s33, s64, s31
	s_and_saveexec_b32 s34, s33
	s_cbranch_execz .LBB154_66
; %bb.65:
	v_add_co_u32 v17, s33, 0x800, v3
	v_add_co_ci_u32_e64 v18, null, 0, v4, s33
	global_load_ushort v6, v[17:18], off
	s_waitcnt vmcnt(0)
	v_lshlrev_b32_e32 v72, 16, v6
.LBB154_66:
	s_or_b32 exec_lo, exec_lo, s34
	v_add_nc_u32_e32 v6, 0x420, v0
	v_cmp_gt_i32_e64 s33, s74, v6
	s_and_b32 s34, s64, s33
	s_and_saveexec_b32 s35, s34
	s_cbranch_execz .LBB154_68
; %bb.67:
	v_add_co_u32 v17, s34, 0x800, v3
	v_add_co_ci_u32_e64 v18, null, 0, v4, s34
	global_load_ushort v6, v[17:18], off offset:64
	s_waitcnt vmcnt(0)
	v_lshlrev_b32_e32 v71, 16, v6
.LBB154_68:
	s_or_b32 exec_lo, exec_lo, s35
	v_add_nc_u32_e32 v6, 0x440, v0
	v_mov_b32_e32 v69, 0xff800000
	v_mov_b32_e32 v70, 0xff800000
	v_cmp_gt_i32_e64 s34, s74, v6
	s_and_b32 s35, s64, s34
	s_and_saveexec_b32 s36, s35
	s_cbranch_execz .LBB154_70
; %bb.69:
	v_add_co_u32 v17, s35, 0x800, v3
	v_add_co_ci_u32_e64 v18, null, 0, v4, s35
	global_load_ushort v6, v[17:18], off offset:128
	s_waitcnt vmcnt(0)
	v_lshlrev_b32_e32 v70, 16, v6
.LBB154_70:
	s_or_b32 exec_lo, exec_lo, s36
	v_add_nc_u32_e32 v6, 0x460, v0
	v_cmp_gt_i32_e64 s35, s74, v6
	s_and_b32 s36, s64, s35
	s_and_saveexec_b32 s37, s36
	s_cbranch_execz .LBB154_72
; %bb.71:
	v_add_co_u32 v17, s36, 0x800, v3
	v_add_co_ci_u32_e64 v18, null, 0, v4, s36
	global_load_ushort v6, v[17:18], off offset:192
	s_waitcnt vmcnt(0)
	v_lshlrev_b32_e32 v69, 16, v6
.LBB154_72:
	s_or_b32 exec_lo, exec_lo, s37
	v_add_nc_u32_e32 v6, 0x480, v0
	v_mov_b32_e32 v67, 0xff800000
	v_mov_b32_e32 v68, 0xff800000
	v_cmp_gt_i32_e64 s36, s74, v6
	s_and_b32 s37, s64, s36
	s_and_saveexec_b32 s38, s37
	s_cbranch_execz .LBB154_74
; %bb.73:
	v_add_co_u32 v17, s37, 0x800, v3
	v_add_co_ci_u32_e64 v18, null, 0, v4, s37
	global_load_ushort v6, v[17:18], off offset:256
	s_waitcnt vmcnt(0)
	v_lshlrev_b32_e32 v68, 16, v6
.LBB154_74:
	;; [unrolled: 28-line block ×15, first 2 shown]
	s_or_b32 exec_lo, exec_lo, s65
	v_add_nc_u32_e32 v0, 0x7e0, v0
	v_cmp_gt_i32_e64 s63, s74, v0
	s_and_b32 s64, s64, s63
	s_and_saveexec_b32 s65, s64
	s_cbranch_execz .LBB154_128
; %bb.127:
	v_add_co_u32 v3, s64, 0x800, v3
	v_add_co_ci_u32_e64 v4, null, 0, v4, s64
	global_load_ushort v0, v[3:4], off offset:1984
	s_waitcnt vmcnt(0)
	v_lshlrev_b32_e32 v14, 16, v0
.LBB154_128:
	s_or_b32 exec_lo, exec_lo, s65
	v_cmp_gt_f32_e64 s64, v7, v8
	v_mbcnt_lo_u32_b32 v9, -1, 0
	s_mov_b32 s65, exec_lo
	v_cndmask_b32_e64 v0, v8, v7, s64
	v_cmp_gt_f32_e64 s64, v0, v10
	v_cndmask_b32_e64 v0, v10, v0, s64
	v_cmp_gt_f32_e64 s64, v0, v11
	;; [unrolled: 2-line block ×62, first 2 shown]
	v_cndmask_b32_e64 v3, v14, v0, s64
	v_xor_b32_e32 v0, 16, v9
	v_cmp_gt_i32_e64 s64, 32, v0
	v_cndmask_b32_e64 v0, v9, v0, s64
	v_lshlrev_b32_e32 v0, 2, v0
	ds_bpermute_b32 v4, v0, v3
	s_waitcnt lgkmcnt(0)
	v_cmp_lt_f32_e64 s64, v3, v4
	v_cndmask_b32_e64 v4, v3, v4, s64
	v_xor_b32_e32 v3, 8, v9
	v_cmp_gt_i32_e64 s64, 32, v3
	v_cndmask_b32_e64 v3, v9, v3, s64
	v_lshlrev_b32_e32 v3, 2, v3
	ds_bpermute_b32 v6, v3, v4
	s_waitcnt lgkmcnt(0)
	v_cmp_lt_f32_e64 s64, v4, v6
	;; [unrolled: 8-line block ×5, first 2 shown]
	v_cndmask_b32_e64 v65, v65, v73, s64
	v_sub_f32_e32 v7, v7, v65
	v_sub_f32_e32 v8, v8, v65
	;; [unrolled: 1-line block ×5, first 2 shown]
	v_mul_f32_e32 v73, 0x3fb8aa3b, v7
	v_cmp_ngt_f32_e64 s64, 0xc2ce8ed0, v7
	v_sub_f32_e32 v13, v13, v65
	v_sub_f32_e32 v15, v15, v65
	;; [unrolled: 1-line block ×3, first 2 shown]
	v_fma_f32 v74, 0x3fb8aa3b, v7, -v73
	v_rndne_f32_e32 v75, v73
	v_sub_f32_e32 v19, v19, v65
	v_sub_f32_e32 v20, v20, v65
	;; [unrolled: 1-line block ×3, first 2 shown]
	v_fmac_f32_e32 v74, 0x32a5705f, v7
	v_sub_f32_e32 v73, v73, v75
	v_sub_f32_e32 v24, v24, v65
	;; [unrolled: 1-line block ×5, first 2 shown]
	v_add_f32_e32 v73, v73, v74
	v_cvt_i32_f32_e32 v74, v75
	v_sub_f32_e32 v32, v32, v65
	v_sub_f32_e32 v34, v34, v65
	v_sub_f32_e32 v36, v36, v65
	v_exp_f32_e32 v73, v73
	v_sub_f32_e32 v37, v37, v65
	v_sub_f32_e32 v40, v40, v65
	;; [unrolled: 1-line block ×9, first 2 shown]
	v_ldexp_f32 v73, v73, v74
	v_mul_f32_e32 v74, 0x3fb8aa3b, v8
	v_sub_f32_e32 v56, v56, v65
	v_sub_f32_e32 v57, v57, v65
	;; [unrolled: 1-line block ×3, first 2 shown]
	v_cndmask_b32_e64 v73, 0, v73, s64
	v_fma_f32 v75, 0x3fb8aa3b, v8, -v74
	v_rndne_f32_e32 v76, v74
	v_cmp_nlt_f32_e64 s64, 0x42b17218, v7
	v_sub_f32_e32 v61, v61, v65
	v_sub_f32_e32 v63, v63, v65
	v_fmac_f32_e32 v75, 0x32a5705f, v8
	v_sub_f32_e32 v74, v74, v76
	v_cndmask_b32_e64 v73, 0x7f800000, v73, s64
	v_cmp_ngt_f32_e64 s64, 0xc2ce8ed0, v8
	v_sub_f32_e32 v72, v72, v65
	v_sub_f32_e32 v71, v71, v65
	v_add_f32_e32 v74, v74, v75
	v_cvt_i32_f32_e32 v75, v76
	v_sub_f32_e32 v70, v70, v65
	v_sub_f32_e32 v69, v69, v65
	;; [unrolled: 1-line block ×3, first 2 shown]
	v_exp_f32_e32 v74, v74
	v_sub_f32_e32 v67, v67, v65
	v_sub_f32_e32 v66, v66, v65
	;; [unrolled: 1-line block ×9, first 2 shown]
	v_ldexp_f32 v74, v74, v75
	v_sub_f32_e32 v50, v50, v65
	v_sub_f32_e32 v47, v47, v65
	;; [unrolled: 1-line block ×4, first 2 shown]
	v_cndmask_b32_e64 v74, 0, v74, s64
	v_cmp_nlt_f32_e64 s64, 0x42b17218, v8
	v_sub_f32_e32 v42, v42, v65
	v_sub_f32_e32 v39, v39, v65
	;; [unrolled: 1-line block ×4, first 2 shown]
	v_cndmask_b32_e64 v74, 0x7f800000, v74, s64
	v_cmp_ngt_f32_e64 s64, 0xc2ce8ed0, v10
	v_sub_f32_e32 v33, v33, v65
	v_sub_f32_e32 v31, v31, v65
	;; [unrolled: 1-line block ×3, first 2 shown]
	v_add_f32_e32 v73, v73, v74
	v_mul_f32_e32 v74, 0x3fb8aa3b, v10
	v_sub_f32_e32 v27, v27, v65
	v_sub_f32_e32 v25, v25, v65
	;; [unrolled: 1-line block ×4, first 2 shown]
	v_fma_f32 v75, 0x3fb8aa3b, v10, -v74
	v_rndne_f32_e32 v76, v74
	v_sub_f32_e32 v18, v18, v65
	v_sub_f32_e32 v17, v17, v65
	v_sub_f32_e32 v14, v14, v65
	v_fmac_f32_e32 v75, 0x32a5705f, v10
	v_sub_f32_e32 v74, v74, v76
	v_mul_f32_e32 v65, 0x3fb8aa3b, v14
	v_add_f32_e32 v74, v74, v75
	v_cvt_i32_f32_e32 v75, v76
	v_exp_f32_e32 v74, v74
	v_ldexp_f32 v74, v74, v75
	v_cndmask_b32_e64 v74, 0, v74, s64
	v_cmp_nlt_f32_e64 s64, 0x42b17218, v10
	v_cndmask_b32_e64 v74, 0x7f800000, v74, s64
	v_cmp_ngt_f32_e64 s64, 0xc2ce8ed0, v11
	v_add_f32_e32 v73, v73, v74
	v_mul_f32_e32 v74, 0x3fb8aa3b, v11
	v_fma_f32 v75, 0x3fb8aa3b, v11, -v74
	v_rndne_f32_e32 v76, v74
	v_fmac_f32_e32 v75, 0x32a5705f, v11
	v_sub_f32_e32 v74, v74, v76
	v_add_f32_e32 v74, v74, v75
	v_cvt_i32_f32_e32 v75, v76
	v_exp_f32_e32 v74, v74
	v_ldexp_f32 v74, v74, v75
	v_cndmask_b32_e64 v74, 0, v74, s64
	v_cmp_nlt_f32_e64 s64, 0x42b17218, v11
	v_cndmask_b32_e64 v74, 0x7f800000, v74, s64
	v_cmp_ngt_f32_e64 s64, 0xc2ce8ed0, v12
	v_add_f32_e32 v73, v73, v74
	v_mul_f32_e32 v74, 0x3fb8aa3b, v12
	v_fma_f32 v75, 0x3fb8aa3b, v12, -v74
	v_rndne_f32_e32 v76, v74
	v_fmac_f32_e32 v75, 0x32a5705f, v12
	v_sub_f32_e32 v74, v74, v76
	;; [unrolled: 14-line block ×60, first 2 shown]
	v_add_f32_e32 v74, v74, v75
	v_cvt_i32_f32_e32 v75, v76
	v_exp_f32_e32 v74, v74
	v_ldexp_f32 v74, v74, v75
	v_rndne_f32_e32 v75, v65
	v_cndmask_b32_e64 v74, 0, v74, s64
	v_cmp_nlt_f32_e64 s64, 0x42b17218, v17
	v_cndmask_b32_e64 v74, 0x7f800000, v74, s64
	v_cmp_ngt_f32_e64 s64, 0xc2ce8ed0, v14
	v_add_f32_e32 v73, v73, v74
	v_fma_f32 v74, 0x3fb8aa3b, v14, -v65
	v_sub_f32_e32 v65, v65, v75
	v_fmac_f32_e32 v74, 0x32a5705f, v14
	v_add_f32_e32 v65, v65, v74
	v_cvt_i32_f32_e32 v74, v75
	v_exp_f32_e32 v65, v65
	v_ldexp_f32 v65, v65, v74
	v_cndmask_b32_e64 v65, 0, v65, s64
	v_cmp_nlt_f32_e64 s64, 0x42b17218, v14
	v_cndmask_b32_e64 v65, 0x7f800000, v65, s64
	v_add_f32_e32 v65, v73, v65
	ds_bpermute_b32 v0, v0, v65
	s_waitcnt lgkmcnt(0)
	v_add_f32_e32 v0, v65, v0
	ds_bpermute_b32 v3, v3, v0
	s_waitcnt lgkmcnt(0)
	;; [unrolled: 3-line block ×4, first 2 shown]
	v_add_f32_e32 v0, v0, v3
	ds_bpermute_b32 v3, v9, v0
	v_cmpx_lt_i32_e32 0, v5
	s_cbranch_execz .LBB154_194
; %bb.129:
	s_and_b32 exec_lo, exec_lo, vcc_lo
	s_cbranch_execz .LBB154_194
; %bb.130:
	s_waitcnt lgkmcnt(0)
	v_add_f32_e32 v0, v0, v3
	v_cmp_gt_f32_e32 vcc_lo, 0x800000, v0
	v_cndmask_b32_e64 v3, 0, 32, vcc_lo
	v_cndmask_b32_e64 v4, 0, 0x41b17218, vcc_lo
	v_ldexp_f32 v0, v0, v3
	v_log_f32_e32 v0, v0
	v_mul_f32_e32 v3, 0x3f317217, v0
	v_cmp_gt_f32_e64 vcc_lo, 0x7f800000, |v0|
	v_fma_f32 v3, 0x3f317217, v0, -v3
	v_fmamk_f32 v3, v0, 0x3377d1cf, v3
	v_fmac_f32_e32 v3, 0x3f317217, v0
	v_cndmask_b32_e32 v0, v0, v3, vcc_lo
	v_sub_f32_e32 v3, v0, v4
	v_mov_b32_e32 v4, 0x7fc0
	v_sub_f32_e32 v0, v7, v3
	v_bfe_u32 v5, v0, 16, 1
	v_cmp_o_f32_e32 vcc_lo, v0, v0
	v_add3_u32 v5, v0, v5, 0x7fff
	v_add_co_u32 v0, s64, s68, v1
	v_add_co_ci_u32_e64 v1, null, s69, v2, s64
	v_cndmask_b32_sdwa v2, v4, v5, vcc_lo dst_sel:DWORD dst_unused:UNUSED_PAD src0_sel:DWORD src1_sel:WORD_1
	global_store_short v[0:1], v2, off
	s_and_b32 exec_lo, exec_lo, s0
	s_cbranch_execz .LBB154_194
; %bb.131:
	v_sub_f32_e32 v2, v8, v3
	v_bfe_u32 v5, v2, 16, 1
	v_cmp_o_f32_e32 vcc_lo, v2, v2
	v_add3_u32 v2, v2, v5, 0x7fff
	v_cndmask_b32_sdwa v2, v4, v2, vcc_lo dst_sel:DWORD dst_unused:UNUSED_PAD src0_sel:DWORD src1_sel:WORD_1
	global_store_short v[0:1], v2, off offset:64
	s_and_b32 exec_lo, exec_lo, s1
	s_cbranch_execz .LBB154_194
; %bb.132:
	v_sub_f32_e32 v2, v10, v3
	v_bfe_u32 v4, v2, 16, 1
	v_cmp_o_f32_e32 vcc_lo, v2, v2
	v_add3_u32 v4, v2, v4, 0x7fff
	v_mov_b32_e32 v2, 0x7fc0
	v_cndmask_b32_sdwa v4, v2, v4, vcc_lo dst_sel:DWORD dst_unused:UNUSED_PAD src0_sel:DWORD src1_sel:WORD_1
	global_store_short v[0:1], v4, off offset:128
	s_and_b32 exec_lo, exec_lo, s2
	s_cbranch_execz .LBB154_194
; %bb.133:
	v_sub_f32_e32 v4, v11, v3
	v_bfe_u32 v5, v4, 16, 1
	v_cmp_o_f32_e32 vcc_lo, v4, v4
	v_add3_u32 v4, v4, v5, 0x7fff
	v_cndmask_b32_sdwa v2, v2, v4, vcc_lo dst_sel:DWORD dst_unused:UNUSED_PAD src0_sel:DWORD src1_sel:WORD_1
	global_store_short v[0:1], v2, off offset:192
	s_and_b32 exec_lo, exec_lo, s3
	s_cbranch_execz .LBB154_194
; %bb.134:
	v_sub_f32_e32 v2, v12, v3
	v_bfe_u32 v4, v2, 16, 1
	v_cmp_o_f32_e32 vcc_lo, v2, v2
	v_add3_u32 v4, v2, v4, 0x7fff
	v_mov_b32_e32 v2, 0x7fc0
	v_cndmask_b32_sdwa v4, v2, v4, vcc_lo dst_sel:DWORD dst_unused:UNUSED_PAD src0_sel:DWORD src1_sel:WORD_1
	global_store_short v[0:1], v4, off offset:256
	;; [unrolled: 19-line block ×15, first 2 shown]
	s_and_b32 exec_lo, exec_lo, s30
	s_cbranch_execz .LBB154_194
; %bb.161:
	v_sub_f32_e32 v4, v63, v3
	v_bfe_u32 v5, v4, 16, 1
	v_cmp_o_f32_e32 vcc_lo, v4, v4
	v_add3_u32 v4, v4, v5, 0x7fff
	v_cndmask_b32_sdwa v2, v2, v4, vcc_lo dst_sel:DWORD dst_unused:UNUSED_PAD src0_sel:DWORD src1_sel:WORD_1
	global_store_short v[0:1], v2, off offset:1984
	s_and_b32 exec_lo, exec_lo, s31
	s_cbranch_execz .LBB154_194
; %bb.162:
	v_sub_f32_e32 v4, v72, v3
	v_mov_b32_e32 v2, 0x7fc0
	v_bfe_u32 v5, v4, 16, 1
	v_cmp_o_f32_e32 vcc_lo, v4, v4
	v_add3_u32 v4, v4, v5, 0x7fff
	v_cndmask_b32_sdwa v4, v2, v4, vcc_lo dst_sel:DWORD dst_unused:UNUSED_PAD src0_sel:DWORD src1_sel:WORD_1
	v_add_co_u32 v0, vcc_lo, 0x800, v0
	v_add_co_ci_u32_e64 v1, null, 0, v1, vcc_lo
	global_store_short v[0:1], v4, off
	s_and_b32 exec_lo, exec_lo, s33
	s_cbranch_execz .LBB154_194
; %bb.163:
	v_sub_f32_e32 v4, v71, v3
	v_bfe_u32 v5, v4, 16, 1
	v_cmp_o_f32_e32 vcc_lo, v4, v4
	v_add3_u32 v4, v4, v5, 0x7fff
	v_cndmask_b32_sdwa v2, v2, v4, vcc_lo dst_sel:DWORD dst_unused:UNUSED_PAD src0_sel:DWORD src1_sel:WORD_1
	global_store_short v[0:1], v2, off offset:64
	s_and_b32 exec_lo, exec_lo, s34
	s_cbranch_execz .LBB154_194
; %bb.164:
	v_sub_f32_e32 v2, v70, v3
	v_bfe_u32 v4, v2, 16, 1
	v_cmp_o_f32_e32 vcc_lo, v2, v2
	v_add3_u32 v4, v2, v4, 0x7fff
	v_mov_b32_e32 v2, 0x7fc0
	v_cndmask_b32_sdwa v4, v2, v4, vcc_lo dst_sel:DWORD dst_unused:UNUSED_PAD src0_sel:DWORD src1_sel:WORD_1
	global_store_short v[0:1], v4, off offset:128
	s_and_b32 exec_lo, exec_lo, s35
	s_cbranch_execz .LBB154_194
; %bb.165:
	v_sub_f32_e32 v4, v69, v3
	v_bfe_u32 v5, v4, 16, 1
	v_cmp_o_f32_e32 vcc_lo, v4, v4
	v_add3_u32 v4, v4, v5, 0x7fff
	v_cndmask_b32_sdwa v2, v2, v4, vcc_lo dst_sel:DWORD dst_unused:UNUSED_PAD src0_sel:DWORD src1_sel:WORD_1
	global_store_short v[0:1], v2, off offset:192
	s_and_b32 exec_lo, exec_lo, s36
	s_cbranch_execz .LBB154_194
; %bb.166:
	v_sub_f32_e32 v2, v68, v3
	v_bfe_u32 v4, v2, 16, 1
	v_cmp_o_f32_e32 vcc_lo, v2, v2
	v_add3_u32 v4, v2, v4, 0x7fff
	v_mov_b32_e32 v2, 0x7fc0
	v_cndmask_b32_sdwa v4, v2, v4, vcc_lo dst_sel:DWORD dst_unused:UNUSED_PAD src0_sel:DWORD src1_sel:WORD_1
	global_store_short v[0:1], v4, off offset:256
	;; [unrolled: 19-line block ×15, first 2 shown]
	s_and_b32 exec_lo, exec_lo, s63
	s_cbranch_execz .LBB154_194
; %bb.193:
	v_sub_f32_e32 v3, v14, v3
	v_bfe_u32 v4, v3, 16, 1
	v_cmp_o_f32_e32 vcc_lo, v3, v3
	v_add3_u32 v3, v3, v4, 0x7fff
	v_cndmask_b32_sdwa v2, v2, v3, vcc_lo dst_sel:DWORD dst_unused:UNUSED_PAD src0_sel:DWORD src1_sel:WORD_1
	global_store_short v[0:1], v2, off offset:1984
.LBB154_194:
	s_endpgm
	.section	.rodata,"a",@progbits
	.p2align	6, 0x0
	.amdhsa_kernel _ZN12_GLOBAL__N_120softmax_warp_forwardIN3c108BFloat16ES2_fLi11ELb1ELb0ELi32EEEvPT0_PKT_iiiPKbib
		.amdhsa_group_segment_fixed_size 0
		.amdhsa_private_segment_fixed_size 0
		.amdhsa_kernarg_size 304
		.amdhsa_user_sgpr_count 6
		.amdhsa_user_sgpr_private_segment_buffer 1
		.amdhsa_user_sgpr_dispatch_ptr 0
		.amdhsa_user_sgpr_queue_ptr 0
		.amdhsa_user_sgpr_kernarg_segment_ptr 1
		.amdhsa_user_sgpr_dispatch_id 0
		.amdhsa_user_sgpr_flat_scratch_init 0
		.amdhsa_user_sgpr_private_segment_size 0
		.amdhsa_wavefront_size32 1
		.amdhsa_uses_dynamic_stack 0
		.amdhsa_system_sgpr_private_segment_wavefront_offset 0
		.amdhsa_system_sgpr_workgroup_id_x 1
		.amdhsa_system_sgpr_workgroup_id_y 0
		.amdhsa_system_sgpr_workgroup_id_z 0
		.amdhsa_system_sgpr_workgroup_info 0
		.amdhsa_system_vgpr_workitem_id 1
		.amdhsa_next_free_vgpr 77
		.amdhsa_next_free_sgpr 76
		.amdhsa_reserve_vcc 1
		.amdhsa_reserve_flat_scratch 0
		.amdhsa_float_round_mode_32 0
		.amdhsa_float_round_mode_16_64 0
		.amdhsa_float_denorm_mode_32 3
		.amdhsa_float_denorm_mode_16_64 3
		.amdhsa_dx10_clamp 1
		.amdhsa_ieee_mode 1
		.amdhsa_fp16_overflow 0
		.amdhsa_workgroup_processor_mode 1
		.amdhsa_memory_ordered 1
		.amdhsa_forward_progress 1
		.amdhsa_shared_vgpr_count 0
		.amdhsa_exception_fp_ieee_invalid_op 0
		.amdhsa_exception_fp_denorm_src 0
		.amdhsa_exception_fp_ieee_div_zero 0
		.amdhsa_exception_fp_ieee_overflow 0
		.amdhsa_exception_fp_ieee_underflow 0
		.amdhsa_exception_fp_ieee_inexact 0
		.amdhsa_exception_int_div_zero 0
	.end_amdhsa_kernel
	.section	.text._ZN12_GLOBAL__N_120softmax_warp_forwardIN3c108BFloat16ES2_fLi11ELb1ELb0ELi32EEEvPT0_PKT_iiiPKbib,"axG",@progbits,_ZN12_GLOBAL__N_120softmax_warp_forwardIN3c108BFloat16ES2_fLi11ELb1ELb0ELi32EEEvPT0_PKT_iiiPKbib,comdat
.Lfunc_end154:
	.size	_ZN12_GLOBAL__N_120softmax_warp_forwardIN3c108BFloat16ES2_fLi11ELb1ELb0ELi32EEEvPT0_PKT_iiiPKbib, .Lfunc_end154-_ZN12_GLOBAL__N_120softmax_warp_forwardIN3c108BFloat16ES2_fLi11ELb1ELb0ELi32EEEvPT0_PKT_iiiPKbib
                                        ; -- End function
	.set _ZN12_GLOBAL__N_120softmax_warp_forwardIN3c108BFloat16ES2_fLi11ELb1ELb0ELi32EEEvPT0_PKT_iiiPKbib.num_vgpr, 77
	.set _ZN12_GLOBAL__N_120softmax_warp_forwardIN3c108BFloat16ES2_fLi11ELb1ELb0ELi32EEEvPT0_PKT_iiiPKbib.num_agpr, 0
	.set _ZN12_GLOBAL__N_120softmax_warp_forwardIN3c108BFloat16ES2_fLi11ELb1ELb0ELi32EEEvPT0_PKT_iiiPKbib.numbered_sgpr, 76
	.set _ZN12_GLOBAL__N_120softmax_warp_forwardIN3c108BFloat16ES2_fLi11ELb1ELb0ELi32EEEvPT0_PKT_iiiPKbib.num_named_barrier, 0
	.set _ZN12_GLOBAL__N_120softmax_warp_forwardIN3c108BFloat16ES2_fLi11ELb1ELb0ELi32EEEvPT0_PKT_iiiPKbib.private_seg_size, 0
	.set _ZN12_GLOBAL__N_120softmax_warp_forwardIN3c108BFloat16ES2_fLi11ELb1ELb0ELi32EEEvPT0_PKT_iiiPKbib.uses_vcc, 1
	.set _ZN12_GLOBAL__N_120softmax_warp_forwardIN3c108BFloat16ES2_fLi11ELb1ELb0ELi32EEEvPT0_PKT_iiiPKbib.uses_flat_scratch, 0
	.set _ZN12_GLOBAL__N_120softmax_warp_forwardIN3c108BFloat16ES2_fLi11ELb1ELb0ELi32EEEvPT0_PKT_iiiPKbib.has_dyn_sized_stack, 0
	.set _ZN12_GLOBAL__N_120softmax_warp_forwardIN3c108BFloat16ES2_fLi11ELb1ELb0ELi32EEEvPT0_PKT_iiiPKbib.has_recursion, 0
	.set _ZN12_GLOBAL__N_120softmax_warp_forwardIN3c108BFloat16ES2_fLi11ELb1ELb0ELi32EEEvPT0_PKT_iiiPKbib.has_indirect_call, 0
	.section	.AMDGPU.csdata,"",@progbits
; Kernel info:
; codeLenInByte = 16284
; TotalNumSgprs: 78
; NumVgprs: 77
; ScratchSize: 0
; MemoryBound: 0
; FloatMode: 240
; IeeeMode: 1
; LDSByteSize: 0 bytes/workgroup (compile time only)
; SGPRBlocks: 0
; VGPRBlocks: 9
; NumSGPRsForWavesPerEU: 78
; NumVGPRsForWavesPerEU: 77
; Occupancy: 12
; WaveLimiterHint : 0
; COMPUTE_PGM_RSRC2:SCRATCH_EN: 0
; COMPUTE_PGM_RSRC2:USER_SGPR: 6
; COMPUTE_PGM_RSRC2:TRAP_HANDLER: 0
; COMPUTE_PGM_RSRC2:TGID_X_EN: 1
; COMPUTE_PGM_RSRC2:TGID_Y_EN: 0
; COMPUTE_PGM_RSRC2:TGID_Z_EN: 0
; COMPUTE_PGM_RSRC2:TIDIG_COMP_CNT: 1
	.section	.text._ZN2at6native12_GLOBAL__N_122cunn_SoftMaxForwardRegIN3c108BFloat16EfS4_NS1_25LogSoftMaxForwardEpilogueElLi1EEEvPT1_PKT_T3_,"axG",@progbits,_ZN2at6native12_GLOBAL__N_122cunn_SoftMaxForwardRegIN3c108BFloat16EfS4_NS1_25LogSoftMaxForwardEpilogueElLi1EEEvPT1_PKT_T3_,comdat
	.globl	_ZN2at6native12_GLOBAL__N_122cunn_SoftMaxForwardRegIN3c108BFloat16EfS4_NS1_25LogSoftMaxForwardEpilogueElLi1EEEvPT1_PKT_T3_ ; -- Begin function _ZN2at6native12_GLOBAL__N_122cunn_SoftMaxForwardRegIN3c108BFloat16EfS4_NS1_25LogSoftMaxForwardEpilogueElLi1EEEvPT1_PKT_T3_
	.p2align	8
	.type	_ZN2at6native12_GLOBAL__N_122cunn_SoftMaxForwardRegIN3c108BFloat16EfS4_NS1_25LogSoftMaxForwardEpilogueElLi1EEEvPT1_PKT_T3_,@function
_ZN2at6native12_GLOBAL__N_122cunn_SoftMaxForwardRegIN3c108BFloat16EfS4_NS1_25LogSoftMaxForwardEpilogueElLi1EEEvPT1_PKT_T3_: ; @_ZN2at6native12_GLOBAL__N_122cunn_SoftMaxForwardRegIN3c108BFloat16EfS4_NS1_25LogSoftMaxForwardEpilogueElLi1EEEvPT1_PKT_T3_
; %bb.0:
	s_clause 0x1
	s_load_dwordx2 s[0:1], s[4:5], 0x10
	s_load_dwordx4 s[8:11], s[4:5], 0x0
	v_mov_b32_e32 v1, 0
	v_mov_b32_e32 v5, 0xff7fffff
	v_lshlrev_b32_e32 v2, 1, v0
	s_waitcnt lgkmcnt(0)
	v_cmp_gt_i64_e32 vcc_lo, s[0:1], v[0:1]
	s_mul_i32 s2, s1, s6
	s_mul_hi_u32 s3, s0, s6
	s_mul_i32 s6, s0, s6
	s_add_i32 s7, s3, s2
	s_and_saveexec_b32 s0, vcc_lo
	s_cbranch_execz .LBB155_2
; %bb.1:
	s_lshl_b64 s[2:3], s[6:7], 1
	s_add_u32 s2, s10, s2
	s_addc_u32 s3, s11, s3
	global_load_ushort v1, v2, s[2:3]
	s_waitcnt vmcnt(0)
	v_lshlrev_b32_e32 v1, 16, v1
	v_max_f32_e32 v3, v1, v1
	v_max_f32_e32 v5, 0xff7fffff, v3
.LBB155_2:
	s_or_b32 exec_lo, exec_lo, s0
	v_mbcnt_lo_u32_b32 v7, -1, 0
	s_barrier
	buffer_gl0_inv
	v_lshl_or_b32 v3, v7, 2, 64
	v_cmp_gt_u32_e64 s0, 24, v7
	ds_bpermute_b32 v6, v3, v5
	v_cndmask_b32_e64 v4, 0, 8, s0
	v_add_lshl_u32 v4, v4, v7, 2
	s_waitcnt lgkmcnt(0)
	v_cmp_lt_f32_e64 s0, v5, v6
	v_cndmask_b32_e64 v6, v5, v6, s0
	v_cmp_gt_u32_e64 s0, 28, v7
	ds_bpermute_b32 v8, v4, v6
	v_cndmask_b32_e64 v5, 0, 4, s0
	v_add_lshl_u32 v5, v5, v7, 2
	s_waitcnt lgkmcnt(0)
	v_cmp_lt_f32_e64 s0, v6, v8
	v_cndmask_b32_e64 v8, v6, v8, s0
	;; [unrolled: 7-line block ×3, first 2 shown]
	v_cmp_ne_u32_e64 s0, 31, v7
	ds_bpermute_b32 v9, v6, v8
	v_add_co_ci_u32_e64 v7, null, 0, v7, s0
	v_lshlrev_b32_e32 v7, 2, v7
	s_waitcnt lgkmcnt(0)
	v_cmp_lt_f32_e64 s0, v8, v9
	v_cndmask_b32_e64 v10, v8, v9, s0
	v_and_b32_e32 v9, 31, v0
	v_lshrrev_b32_e32 v8, 3, v0
	ds_bpermute_b32 v11, v7, v10
	v_cmp_eq_u32_e64 s0, 0, v9
	s_and_saveexec_b32 s1, s0
	s_xor_b32 s2, exec_lo, s1
	s_cbranch_execz .LBB155_4
; %bb.3:
	s_waitcnt lgkmcnt(0)
	v_cmp_lt_f32_e64 s1, v10, v11
	v_add_nc_u32_e32 v12, 0, v8
	v_cndmask_b32_e64 v10, v10, v11, s1
	ds_write_b32 v12, v10
.LBB155_4:
	s_or_b32 exec_lo, exec_lo, s2
	s_waitcnt lgkmcnt(0)
	s_barrier
	buffer_gl0_inv
	s_load_dword s1, s[4:5], 0x24
	v_mov_b32_e32 v10, 0xff7fffff
	v_lshl_add_u32 v9, v9, 2, 0
	s_waitcnt lgkmcnt(0)
	s_bfe_u32 s1, s1, 0xb0005
	v_cmp_gt_u32_e64 s1, s1, v0
	s_and_saveexec_b32 s2, s1
	s_cbranch_execnz .LBB155_17
; %bb.5:
	s_or_b32 exec_lo, exec_lo, s2
	v_cmp_gt_u32_e64 s2, 32, v0
	s_and_saveexec_b32 s4, s2
	s_cbranch_execnz .LBB155_18
.LBB155_6:
	s_or_b32 exec_lo, exec_lo, s4
	v_cmp_eq_u32_e64 s3, 0, v0
	s_and_saveexec_b32 s4, s3
	s_cbranch_execz .LBB155_8
.LBB155_7:
	v_mov_b32_e32 v0, 0
	s_waitcnt lgkmcnt(0)
	ds_write_b32 v0, v10
.LBB155_8:
	s_or_b32 exec_lo, exec_lo, s4
	s_waitcnt lgkmcnt(0)
	v_mov_b32_e32 v10, 0
	s_barrier
	buffer_gl0_inv
	ds_read_b32 v0, v10
	s_waitcnt lgkmcnt(0)
	s_barrier
	buffer_gl0_inv
	v_sub_f32_e32 v0, v1, v0
	v_mul_f32_e32 v1, 0x3fb8aa3b, v0
	v_cmp_ngt_f32_e64 s4, 0xc2ce8ed0, v0
	v_fma_f32 v11, 0x3fb8aa3b, v0, -v1
	v_rndne_f32_e32 v12, v1
	v_fmamk_f32 v11, v0, 0x32a5705f, v11
	v_sub_f32_e32 v1, v1, v12
	v_add_f32_e32 v1, v1, v11
	v_cvt_i32_f32_e32 v11, v12
	v_exp_f32_e32 v1, v1
	v_ldexp_f32 v1, v1, v11
	v_cndmask_b32_e64 v1, 0, v1, s4
	v_cmp_nlt_f32_e64 s4, 0x42b17218, v0
	v_cndmask_b32_e64 v1, 0x7f800000, v1, s4
	v_cndmask_b32_e32 v1, 0, v1, vcc_lo
	ds_bpermute_b32 v11, v3, v1
	s_waitcnt lgkmcnt(0)
	v_add_f32_e32 v1, v1, v11
	ds_bpermute_b32 v11, v4, v1
	s_waitcnt lgkmcnt(0)
	v_add_f32_e32 v1, v1, v11
	;; [unrolled: 3-line block ×4, first 2 shown]
	ds_bpermute_b32 v11, v7, v1
	s_and_saveexec_b32 s4, s0
	s_cbranch_execz .LBB155_10
; %bb.9:
	v_add_nc_u32_e32 v8, 0, v8
	s_waitcnt lgkmcnt(0)
	v_add_f32_e32 v1, v1, v11
	ds_write_b32 v8, v1
.LBB155_10:
	s_or_b32 exec_lo, exec_lo, s4
	s_waitcnt lgkmcnt(0)
	s_barrier
	buffer_gl0_inv
	s_and_saveexec_b32 s0, s1
	s_cbranch_execnz .LBB155_19
; %bb.11:
	s_or_b32 exec_lo, exec_lo, s0
	s_and_saveexec_b32 s0, s2
	s_cbranch_execnz .LBB155_20
.LBB155_12:
	s_or_b32 exec_lo, exec_lo, s0
	s_and_saveexec_b32 s0, s3
	s_cbranch_execz .LBB155_14
.LBB155_13:
	v_mov_b32_e32 v1, 0
	s_waitcnt lgkmcnt(0)
	ds_write_b32 v1, v10
.LBB155_14:
	s_or_b32 exec_lo, exec_lo, s0
	s_waitcnt lgkmcnt(0)
	s_barrier
	buffer_gl0_inv
	s_and_saveexec_b32 s0, vcc_lo
	s_cbranch_execz .LBB155_16
; %bb.15:
	v_mov_b32_e32 v1, 0
	s_lshl_b64 s[0:1], s[6:7], 1
	s_add_u32 s0, s8, s0
	s_addc_u32 s1, s9, s1
	ds_read_b32 v1, v1
	s_waitcnt lgkmcnt(0)
	v_cmp_gt_f32_e32 vcc_lo, 0x800000, v1
	s_and_b32 s2, vcc_lo, exec_lo
	s_cselect_b32 s2, 32, 0
	v_cndmask_b32_e64 v3, 0, 0x41b17218, vcc_lo
	v_ldexp_f32 v1, v1, s2
	v_log_f32_e32 v1, v1
	v_mul_f32_e32 v4, 0x3f317217, v1
	v_cmp_gt_f32_e64 vcc_lo, 0x7f800000, |v1|
	v_fma_f32 v4, 0x3f317217, v1, -v4
	v_fmamk_f32 v4, v1, 0x3377d1cf, v4
	v_fmac_f32_e32 v4, 0x3f317217, v1
	v_cndmask_b32_e32 v1, v1, v4, vcc_lo
	v_sub_f32_e32 v1, v1, v3
	v_sub_f32_e32 v0, v0, v1
	v_bfe_u32 v1, v0, 16, 1
	v_cmp_o_f32_e32 vcc_lo, v0, v0
	v_add3_u32 v0, v0, v1, 0x7fff
	v_mov_b32_e32 v1, 0x7fc0
	v_cndmask_b32_sdwa v0, v1, v0, vcc_lo dst_sel:DWORD dst_unused:UNUSED_PAD src0_sel:DWORD src1_sel:WORD_1
	global_store_short v2, v0, s[0:1]
.LBB155_16:
	s_endpgm
.LBB155_17:
	ds_read_b32 v10, v9
	s_or_b32 exec_lo, exec_lo, s2
	v_cmp_gt_u32_e64 s2, 32, v0
	s_and_saveexec_b32 s4, s2
	s_cbranch_execz .LBB155_6
.LBB155_18:
	s_waitcnt lgkmcnt(0)
	ds_bpermute_b32 v11, v3, v10
	s_waitcnt lgkmcnt(0)
	v_cmp_lt_f32_e64 s3, v10, v11
	v_cndmask_b32_e64 v10, v10, v11, s3
	ds_bpermute_b32 v11, v4, v10
	s_waitcnt lgkmcnt(0)
	v_cmp_lt_f32_e64 s3, v10, v11
	v_cndmask_b32_e64 v10, v10, v11, s3
	;; [unrolled: 4-line block ×5, first 2 shown]
	s_or_b32 exec_lo, exec_lo, s4
	v_cmp_eq_u32_e64 s3, 0, v0
	s_and_saveexec_b32 s4, s3
	s_cbranch_execnz .LBB155_7
	s_branch .LBB155_8
.LBB155_19:
	ds_read_b32 v10, v9
	s_or_b32 exec_lo, exec_lo, s0
	s_and_saveexec_b32 s0, s2
	s_cbranch_execz .LBB155_12
.LBB155_20:
	s_waitcnt lgkmcnt(0)
	ds_bpermute_b32 v1, v3, v10
	s_waitcnt lgkmcnt(0)
	v_add_f32_e32 v1, v10, v1
	ds_bpermute_b32 v3, v4, v1
	s_waitcnt lgkmcnt(0)
	v_add_f32_e32 v1, v1, v3
	ds_bpermute_b32 v3, v5, v1
	s_waitcnt lgkmcnt(0)
	v_add_f32_e32 v1, v1, v3
	ds_bpermute_b32 v3, v6, v1
	s_waitcnt lgkmcnt(0)
	v_add_f32_e32 v1, v1, v3
	ds_bpermute_b32 v3, v7, v1
	s_waitcnt lgkmcnt(0)
	v_add_f32_e32 v10, v1, v3
	s_or_b32 exec_lo, exec_lo, s0
	s_and_saveexec_b32 s0, s3
	s_cbranch_execnz .LBB155_13
	s_branch .LBB155_14
	.section	.rodata,"a",@progbits
	.p2align	6, 0x0
	.amdhsa_kernel _ZN2at6native12_GLOBAL__N_122cunn_SoftMaxForwardRegIN3c108BFloat16EfS4_NS1_25LogSoftMaxForwardEpilogueElLi1EEEvPT1_PKT_T3_
		.amdhsa_group_segment_fixed_size 0
		.amdhsa_private_segment_fixed_size 0
		.amdhsa_kernarg_size 280
		.amdhsa_user_sgpr_count 6
		.amdhsa_user_sgpr_private_segment_buffer 1
		.amdhsa_user_sgpr_dispatch_ptr 0
		.amdhsa_user_sgpr_queue_ptr 0
		.amdhsa_user_sgpr_kernarg_segment_ptr 1
		.amdhsa_user_sgpr_dispatch_id 0
		.amdhsa_user_sgpr_flat_scratch_init 0
		.amdhsa_user_sgpr_private_segment_size 0
		.amdhsa_wavefront_size32 1
		.amdhsa_uses_dynamic_stack 0
		.amdhsa_system_sgpr_private_segment_wavefront_offset 0
		.amdhsa_system_sgpr_workgroup_id_x 1
		.amdhsa_system_sgpr_workgroup_id_y 0
		.amdhsa_system_sgpr_workgroup_id_z 0
		.amdhsa_system_sgpr_workgroup_info 0
		.amdhsa_system_vgpr_workitem_id 0
		.amdhsa_next_free_vgpr 13
		.amdhsa_next_free_sgpr 12
		.amdhsa_reserve_vcc 1
		.amdhsa_reserve_flat_scratch 0
		.amdhsa_float_round_mode_32 0
		.amdhsa_float_round_mode_16_64 0
		.amdhsa_float_denorm_mode_32 3
		.amdhsa_float_denorm_mode_16_64 3
		.amdhsa_dx10_clamp 1
		.amdhsa_ieee_mode 1
		.amdhsa_fp16_overflow 0
		.amdhsa_workgroup_processor_mode 1
		.amdhsa_memory_ordered 1
		.amdhsa_forward_progress 1
		.amdhsa_shared_vgpr_count 0
		.amdhsa_exception_fp_ieee_invalid_op 0
		.amdhsa_exception_fp_denorm_src 0
		.amdhsa_exception_fp_ieee_div_zero 0
		.amdhsa_exception_fp_ieee_overflow 0
		.amdhsa_exception_fp_ieee_underflow 0
		.amdhsa_exception_fp_ieee_inexact 0
		.amdhsa_exception_int_div_zero 0
	.end_amdhsa_kernel
	.section	.text._ZN2at6native12_GLOBAL__N_122cunn_SoftMaxForwardRegIN3c108BFloat16EfS4_NS1_25LogSoftMaxForwardEpilogueElLi1EEEvPT1_PKT_T3_,"axG",@progbits,_ZN2at6native12_GLOBAL__N_122cunn_SoftMaxForwardRegIN3c108BFloat16EfS4_NS1_25LogSoftMaxForwardEpilogueElLi1EEEvPT1_PKT_T3_,comdat
.Lfunc_end155:
	.size	_ZN2at6native12_GLOBAL__N_122cunn_SoftMaxForwardRegIN3c108BFloat16EfS4_NS1_25LogSoftMaxForwardEpilogueElLi1EEEvPT1_PKT_T3_, .Lfunc_end155-_ZN2at6native12_GLOBAL__N_122cunn_SoftMaxForwardRegIN3c108BFloat16EfS4_NS1_25LogSoftMaxForwardEpilogueElLi1EEEvPT1_PKT_T3_
                                        ; -- End function
	.set _ZN2at6native12_GLOBAL__N_122cunn_SoftMaxForwardRegIN3c108BFloat16EfS4_NS1_25LogSoftMaxForwardEpilogueElLi1EEEvPT1_PKT_T3_.num_vgpr, 13
	.set _ZN2at6native12_GLOBAL__N_122cunn_SoftMaxForwardRegIN3c108BFloat16EfS4_NS1_25LogSoftMaxForwardEpilogueElLi1EEEvPT1_PKT_T3_.num_agpr, 0
	.set _ZN2at6native12_GLOBAL__N_122cunn_SoftMaxForwardRegIN3c108BFloat16EfS4_NS1_25LogSoftMaxForwardEpilogueElLi1EEEvPT1_PKT_T3_.numbered_sgpr, 12
	.set _ZN2at6native12_GLOBAL__N_122cunn_SoftMaxForwardRegIN3c108BFloat16EfS4_NS1_25LogSoftMaxForwardEpilogueElLi1EEEvPT1_PKT_T3_.num_named_barrier, 0
	.set _ZN2at6native12_GLOBAL__N_122cunn_SoftMaxForwardRegIN3c108BFloat16EfS4_NS1_25LogSoftMaxForwardEpilogueElLi1EEEvPT1_PKT_T3_.private_seg_size, 0
	.set _ZN2at6native12_GLOBAL__N_122cunn_SoftMaxForwardRegIN3c108BFloat16EfS4_NS1_25LogSoftMaxForwardEpilogueElLi1EEEvPT1_PKT_T3_.uses_vcc, 1
	.set _ZN2at6native12_GLOBAL__N_122cunn_SoftMaxForwardRegIN3c108BFloat16EfS4_NS1_25LogSoftMaxForwardEpilogueElLi1EEEvPT1_PKT_T3_.uses_flat_scratch, 0
	.set _ZN2at6native12_GLOBAL__N_122cunn_SoftMaxForwardRegIN3c108BFloat16EfS4_NS1_25LogSoftMaxForwardEpilogueElLi1EEEvPT1_PKT_T3_.has_dyn_sized_stack, 0
	.set _ZN2at6native12_GLOBAL__N_122cunn_SoftMaxForwardRegIN3c108BFloat16EfS4_NS1_25LogSoftMaxForwardEpilogueElLi1EEEvPT1_PKT_T3_.has_recursion, 0
	.set _ZN2at6native12_GLOBAL__N_122cunn_SoftMaxForwardRegIN3c108BFloat16EfS4_NS1_25LogSoftMaxForwardEpilogueElLi1EEEvPT1_PKT_T3_.has_indirect_call, 0
	.section	.AMDGPU.csdata,"",@progbits
; Kernel info:
; codeLenInByte = 1388
; TotalNumSgprs: 14
; NumVgprs: 13
; ScratchSize: 0
; MemoryBound: 0
; FloatMode: 240
; IeeeMode: 1
; LDSByteSize: 0 bytes/workgroup (compile time only)
; SGPRBlocks: 0
; VGPRBlocks: 1
; NumSGPRsForWavesPerEU: 14
; NumVGPRsForWavesPerEU: 13
; Occupancy: 16
; WaveLimiterHint : 0
; COMPUTE_PGM_RSRC2:SCRATCH_EN: 0
; COMPUTE_PGM_RSRC2:USER_SGPR: 6
; COMPUTE_PGM_RSRC2:TRAP_HANDLER: 0
; COMPUTE_PGM_RSRC2:TGID_X_EN: 1
; COMPUTE_PGM_RSRC2:TGID_Y_EN: 0
; COMPUTE_PGM_RSRC2:TGID_Z_EN: 0
; COMPUTE_PGM_RSRC2:TIDIG_COMP_CNT: 0
	.section	.text._ZN2at6native12_GLOBAL__N_122cunn_SoftMaxForwardRegIN3c108BFloat16EfS4_NS1_25LogSoftMaxForwardEpilogueElLi2EEEvPT1_PKT_T3_,"axG",@progbits,_ZN2at6native12_GLOBAL__N_122cunn_SoftMaxForwardRegIN3c108BFloat16EfS4_NS1_25LogSoftMaxForwardEpilogueElLi2EEEvPT1_PKT_T3_,comdat
	.globl	_ZN2at6native12_GLOBAL__N_122cunn_SoftMaxForwardRegIN3c108BFloat16EfS4_NS1_25LogSoftMaxForwardEpilogueElLi2EEEvPT1_PKT_T3_ ; -- Begin function _ZN2at6native12_GLOBAL__N_122cunn_SoftMaxForwardRegIN3c108BFloat16EfS4_NS1_25LogSoftMaxForwardEpilogueElLi2EEEvPT1_PKT_T3_
	.p2align	8
	.type	_ZN2at6native12_GLOBAL__N_122cunn_SoftMaxForwardRegIN3c108BFloat16EfS4_NS1_25LogSoftMaxForwardEpilogueElLi2EEEvPT1_PKT_T3_,@function
_ZN2at6native12_GLOBAL__N_122cunn_SoftMaxForwardRegIN3c108BFloat16EfS4_NS1_25LogSoftMaxForwardEpilogueElLi2EEEvPT1_PKT_T3_: ; @_ZN2at6native12_GLOBAL__N_122cunn_SoftMaxForwardRegIN3c108BFloat16EfS4_NS1_25LogSoftMaxForwardEpilogueElLi2EEEvPT1_PKT_T3_
; %bb.0:
	s_clause 0x2
	s_load_dwordx2 s[0:1], s[4:5], 0x10
	s_load_dwordx4 s[8:11], s[4:5], 0x0
	s_load_dword s4, s[4:5], 0x24
	v_mov_b32_e32 v1, 0
	v_mov_b32_e32 v6, 0xff7fffff
	v_lshlrev_b32_e32 v2, 1, v0
	v_mov_b32_e32 v9, v1
	s_waitcnt lgkmcnt(0)
	s_mul_i32 s3, s1, s6
	s_mul_hi_u32 s5, s0, s6
	s_mul_i32 s2, s0, s6
	s_add_i32 s3, s5, s3
	v_cmp_gt_i64_e32 vcc_lo, s[0:1], v[0:1]
	s_lshl_b64 s[6:7], s[2:3], 1
	s_add_u32 s2, s10, s6
	s_addc_u32 s3, s11, s7
	s_and_saveexec_b32 s5, vcc_lo
	s_cbranch_execz .LBB156_2
; %bb.1:
	global_load_ushort v3, v2, s[2:3]
	s_waitcnt vmcnt(0)
	v_lshlrev_b32_e32 v9, 16, v3
	v_max_f32_e32 v3, v9, v9
	v_max_f32_e32 v6, 0xff7fffff, v3
.LBB156_2:
	s_or_b32 exec_lo, exec_lo, s5
	s_and_b32 s4, 0xffff, s4
	v_mov_b32_e32 v4, v1
	v_add_nc_u32_e32 v3, s4, v0
	v_cmp_gt_i64_e64 s0, s[0:1], v[3:4]
	v_lshlrev_b32_e32 v3, 1, v3
	s_and_saveexec_b32 s1, s0
	s_cbranch_execz .LBB156_4
; %bb.3:
	global_load_ushort v1, v3, s[2:3]
	v_max_f32_e32 v5, v6, v6
	s_waitcnt vmcnt(0)
	v_lshlrev_b32_e32 v1, 16, v1
	v_max_f32_e32 v4, v1, v1
	v_max_f32_e32 v6, v5, v4
.LBB156_4:
	s_or_b32 exec_lo, exec_lo, s1
	v_mbcnt_lo_u32_b32 v8, -1, 0
	s_barrier
	buffer_gl0_inv
	v_lshl_or_b32 v4, v8, 2, 64
	v_cmp_gt_u32_e64 s1, 24, v8
	ds_bpermute_b32 v7, v4, v6
	v_cndmask_b32_e64 v5, 0, 8, s1
	v_add_lshl_u32 v5, v5, v8, 2
	s_waitcnt lgkmcnt(0)
	v_cmp_lt_f32_e64 s1, v6, v7
	v_cndmask_b32_e64 v7, v6, v7, s1
	v_cmp_gt_u32_e64 s1, 28, v8
	ds_bpermute_b32 v10, v5, v7
	v_cndmask_b32_e64 v6, 0, 4, s1
	v_add_lshl_u32 v6, v6, v8, 2
	s_waitcnt lgkmcnt(0)
	v_cmp_lt_f32_e64 s1, v7, v10
	v_cndmask_b32_e64 v10, v7, v10, s1
	;; [unrolled: 7-line block ×3, first 2 shown]
	v_cmp_ne_u32_e64 s1, 31, v8
	ds_bpermute_b32 v11, v7, v10
	v_add_co_ci_u32_e64 v8, null, 0, v8, s1
	v_lshlrev_b32_e32 v8, 2, v8
	s_waitcnt lgkmcnt(0)
	v_cmp_lt_f32_e64 s1, v10, v11
	v_cndmask_b32_e64 v12, v10, v11, s1
	v_and_b32_e32 v11, 31, v0
	v_lshrrev_b32_e32 v10, 3, v0
	ds_bpermute_b32 v13, v8, v12
	v_cmp_eq_u32_e64 s1, 0, v11
	s_and_saveexec_b32 s2, s1
	s_xor_b32 s3, exec_lo, s2
	s_cbranch_execz .LBB156_6
; %bb.5:
	s_waitcnt lgkmcnt(0)
	v_cmp_lt_f32_e64 s2, v12, v13
	v_add_nc_u32_e32 v14, 0, v10
	v_cndmask_b32_e64 v12, v12, v13, s2
	ds_write_b32 v14, v12
.LBB156_6:
	s_or_b32 exec_lo, exec_lo, s3
	s_lshr_b32 s2, s4, 5
	v_mov_b32_e32 v12, 0xff7fffff
	v_cmp_gt_u32_e64 s2, s2, v0
	v_lshl_add_u32 v11, v11, 2, 0
	s_waitcnt lgkmcnt(0)
	s_barrier
	buffer_gl0_inv
	s_and_saveexec_b32 s3, s2
	s_cbranch_execnz .LBB156_19
; %bb.7:
	s_or_b32 exec_lo, exec_lo, s3
	v_cmp_gt_u32_e64 s3, 32, v0
	s_and_saveexec_b32 s5, s3
	s_cbranch_execnz .LBB156_20
.LBB156_8:
	s_or_b32 exec_lo, exec_lo, s5
	v_cmp_eq_u32_e64 s4, 0, v0
	s_and_saveexec_b32 s5, s4
	s_cbranch_execz .LBB156_10
.LBB156_9:
	v_mov_b32_e32 v0, 0
	s_waitcnt lgkmcnt(0)
	ds_write_b32 v0, v12
.LBB156_10:
	s_or_b32 exec_lo, exec_lo, s5
	s_waitcnt lgkmcnt(0)
	v_mov_b32_e32 v12, 0
	s_barrier
	buffer_gl0_inv
	ds_read_b32 v0, v12
	s_waitcnt lgkmcnt(0)
	s_barrier
	buffer_gl0_inv
	v_sub_f32_e32 v9, v9, v0
	v_sub_f32_e32 v0, v1, v0
	v_mul_f32_e32 v13, 0x3fb8aa3b, v9
	v_mul_f32_e32 v15, 0x3fb8aa3b, v0
	v_cmp_ngt_f32_e64 s5, 0xc2ce8ed0, v9
	v_fma_f32 v1, 0x3fb8aa3b, v9, -v13
	v_rndne_f32_e32 v14, v13
	v_fma_f32 v16, 0x3fb8aa3b, v0, -v15
	v_rndne_f32_e32 v17, v15
	v_fmac_f32_e32 v1, 0x32a5705f, v9
	v_sub_f32_e32 v13, v13, v14
	v_fmac_f32_e32 v16, 0x32a5705f, v0
	v_cvt_i32_f32_e32 v14, v14
	v_add_f32_e32 v1, v13, v1
	v_sub_f32_e32 v13, v15, v17
	v_exp_f32_e32 v1, v1
	v_add_f32_e32 v13, v13, v16
	v_exp_f32_e32 v13, v13
	v_ldexp_f32 v1, v1, v14
	v_cvt_i32_f32_e32 v14, v17
	v_cndmask_b32_e64 v1, 0, v1, s5
	v_cmp_nlt_f32_e64 s5, 0x42b17218, v9
	v_ldexp_f32 v13, v13, v14
	v_cndmask_b32_e64 v1, 0x7f800000, v1, s5
	v_cmp_ngt_f32_e64 s5, 0xc2ce8ed0, v0
	v_cndmask_b32_e32 v1, 0, v1, vcc_lo
	v_cndmask_b32_e64 v13, 0, v13, s5
	v_cmp_nlt_f32_e64 s5, 0x42b17218, v0
	v_cndmask_b32_e64 v13, 0x7f800000, v13, s5
	v_add_f32_e32 v13, v1, v13
	v_cndmask_b32_e64 v1, v1, v13, s0
	ds_bpermute_b32 v13, v4, v1
	s_waitcnt lgkmcnt(0)
	v_add_f32_e32 v1, v1, v13
	ds_bpermute_b32 v13, v5, v1
	s_waitcnt lgkmcnt(0)
	v_add_f32_e32 v1, v1, v13
	ds_bpermute_b32 v13, v6, v1
	s_waitcnt lgkmcnt(0)
	v_add_f32_e32 v1, v1, v13
	ds_bpermute_b32 v13, v7, v1
	s_waitcnt lgkmcnt(0)
	v_add_f32_e32 v1, v1, v13
	ds_bpermute_b32 v13, v8, v1
	s_and_saveexec_b32 s5, s1
	s_cbranch_execz .LBB156_12
; %bb.11:
	v_add_nc_u32_e32 v10, 0, v10
	s_waitcnt lgkmcnt(0)
	v_add_f32_e32 v1, v1, v13
	ds_write_b32 v10, v1
.LBB156_12:
	s_or_b32 exec_lo, exec_lo, s5
	s_waitcnt lgkmcnt(0)
	s_barrier
	buffer_gl0_inv
	s_and_saveexec_b32 s1, s2
	s_cbranch_execnz .LBB156_21
; %bb.13:
	s_or_b32 exec_lo, exec_lo, s1
	s_and_saveexec_b32 s1, s3
	s_cbranch_execnz .LBB156_22
.LBB156_14:
	s_or_b32 exec_lo, exec_lo, s1
	s_and_saveexec_b32 s1, s4
	s_cbranch_execz .LBB156_16
.LBB156_15:
	v_mov_b32_e32 v1, 0
	s_waitcnt lgkmcnt(0)
	ds_write_b32 v1, v12
.LBB156_16:
	s_or_b32 exec_lo, exec_lo, s1
	v_mov_b32_e32 v1, 0
	s_waitcnt lgkmcnt(0)
	s_barrier
	buffer_gl0_inv
	s_add_u32 s2, s8, s6
	ds_read_b32 v1, v1
	s_addc_u32 s3, s9, s7
	s_waitcnt lgkmcnt(0)
	v_cmp_gt_f32_e64 s1, 0x800000, v1
	v_cndmask_b32_e64 v4, 0, 0x41b17218, s1
	s_and_b32 s1, s1, exec_lo
	s_cselect_b32 s1, 32, 0
	v_ldexp_f32 v1, v1, s1
	v_log_f32_e32 v1, v1
	v_mul_f32_e32 v5, 0x3f317217, v1
	v_cmp_gt_f32_e64 s1, 0x7f800000, |v1|
	v_fma_f32 v5, 0x3f317217, v1, -v5
	v_fmamk_f32 v5, v1, 0x3377d1cf, v5
	v_fmac_f32_e32 v5, 0x3f317217, v1
	v_cndmask_b32_e64 v1, v1, v5, s1
	v_sub_f32_e32 v1, v1, v4
	s_and_saveexec_b32 s1, vcc_lo
	s_cbranch_execnz .LBB156_23
; %bb.17:
	s_or_b32 exec_lo, exec_lo, s1
	s_and_saveexec_b32 s1, s0
	s_cbranch_execnz .LBB156_24
.LBB156_18:
	s_endpgm
.LBB156_19:
	ds_read_b32 v12, v11
	s_or_b32 exec_lo, exec_lo, s3
	v_cmp_gt_u32_e64 s3, 32, v0
	s_and_saveexec_b32 s5, s3
	s_cbranch_execz .LBB156_8
.LBB156_20:
	s_waitcnt lgkmcnt(0)
	ds_bpermute_b32 v13, v4, v12
	s_waitcnt lgkmcnt(0)
	v_cmp_lt_f32_e64 s4, v12, v13
	v_cndmask_b32_e64 v12, v12, v13, s4
	ds_bpermute_b32 v13, v5, v12
	s_waitcnt lgkmcnt(0)
	v_cmp_lt_f32_e64 s4, v12, v13
	v_cndmask_b32_e64 v12, v12, v13, s4
	;; [unrolled: 4-line block ×5, first 2 shown]
	s_or_b32 exec_lo, exec_lo, s5
	v_cmp_eq_u32_e64 s4, 0, v0
	s_and_saveexec_b32 s5, s4
	s_cbranch_execnz .LBB156_9
	s_branch .LBB156_10
.LBB156_21:
	ds_read_b32 v12, v11
	s_or_b32 exec_lo, exec_lo, s1
	s_and_saveexec_b32 s1, s3
	s_cbranch_execz .LBB156_14
.LBB156_22:
	s_waitcnt lgkmcnt(0)
	ds_bpermute_b32 v1, v4, v12
	s_waitcnt lgkmcnt(0)
	v_add_f32_e32 v1, v12, v1
	ds_bpermute_b32 v4, v5, v1
	s_waitcnt lgkmcnt(0)
	v_add_f32_e32 v1, v1, v4
	;; [unrolled: 3-line block ×5, first 2 shown]
	s_or_b32 exec_lo, exec_lo, s1
	s_and_saveexec_b32 s1, s4
	s_cbranch_execnz .LBB156_15
	s_branch .LBB156_16
.LBB156_23:
	v_sub_f32_e32 v4, v9, v1
	v_bfe_u32 v5, v4, 16, 1
	v_cmp_o_f32_e32 vcc_lo, v4, v4
	v_add3_u32 v4, v4, v5, 0x7fff
	v_mov_b32_e32 v5, 0x7fc0
	v_cndmask_b32_sdwa v4, v5, v4, vcc_lo dst_sel:DWORD dst_unused:UNUSED_PAD src0_sel:DWORD src1_sel:WORD_1
	global_store_short v2, v4, s[2:3]
	s_or_b32 exec_lo, exec_lo, s1
	s_and_saveexec_b32 s1, s0
	s_cbranch_execz .LBB156_18
.LBB156_24:
	v_sub_f32_e32 v0, v0, v1
	v_bfe_u32 v1, v0, 16, 1
	v_cmp_o_f32_e32 vcc_lo, v0, v0
	v_add3_u32 v0, v0, v1, 0x7fff
	v_mov_b32_e32 v1, 0x7fc0
	v_cndmask_b32_sdwa v0, v1, v0, vcc_lo dst_sel:DWORD dst_unused:UNUSED_PAD src0_sel:DWORD src1_sel:WORD_1
	global_store_short v3, v0, s[2:3]
	s_endpgm
	.section	.rodata,"a",@progbits
	.p2align	6, 0x0
	.amdhsa_kernel _ZN2at6native12_GLOBAL__N_122cunn_SoftMaxForwardRegIN3c108BFloat16EfS4_NS1_25LogSoftMaxForwardEpilogueElLi2EEEvPT1_PKT_T3_
		.amdhsa_group_segment_fixed_size 0
		.amdhsa_private_segment_fixed_size 0
		.amdhsa_kernarg_size 280
		.amdhsa_user_sgpr_count 6
		.amdhsa_user_sgpr_private_segment_buffer 1
		.amdhsa_user_sgpr_dispatch_ptr 0
		.amdhsa_user_sgpr_queue_ptr 0
		.amdhsa_user_sgpr_kernarg_segment_ptr 1
		.amdhsa_user_sgpr_dispatch_id 0
		.amdhsa_user_sgpr_flat_scratch_init 0
		.amdhsa_user_sgpr_private_segment_size 0
		.amdhsa_wavefront_size32 1
		.amdhsa_uses_dynamic_stack 0
		.amdhsa_system_sgpr_private_segment_wavefront_offset 0
		.amdhsa_system_sgpr_workgroup_id_x 1
		.amdhsa_system_sgpr_workgroup_id_y 0
		.amdhsa_system_sgpr_workgroup_id_z 0
		.amdhsa_system_sgpr_workgroup_info 0
		.amdhsa_system_vgpr_workitem_id 0
		.amdhsa_next_free_vgpr 18
		.amdhsa_next_free_sgpr 12
		.amdhsa_reserve_vcc 1
		.amdhsa_reserve_flat_scratch 0
		.amdhsa_float_round_mode_32 0
		.amdhsa_float_round_mode_16_64 0
		.amdhsa_float_denorm_mode_32 3
		.amdhsa_float_denorm_mode_16_64 3
		.amdhsa_dx10_clamp 1
		.amdhsa_ieee_mode 1
		.amdhsa_fp16_overflow 0
		.amdhsa_workgroup_processor_mode 1
		.amdhsa_memory_ordered 1
		.amdhsa_forward_progress 1
		.amdhsa_shared_vgpr_count 0
		.amdhsa_exception_fp_ieee_invalid_op 0
		.amdhsa_exception_fp_denorm_src 0
		.amdhsa_exception_fp_ieee_div_zero 0
		.amdhsa_exception_fp_ieee_overflow 0
		.amdhsa_exception_fp_ieee_underflow 0
		.amdhsa_exception_fp_ieee_inexact 0
		.amdhsa_exception_int_div_zero 0
	.end_amdhsa_kernel
	.section	.text._ZN2at6native12_GLOBAL__N_122cunn_SoftMaxForwardRegIN3c108BFloat16EfS4_NS1_25LogSoftMaxForwardEpilogueElLi2EEEvPT1_PKT_T3_,"axG",@progbits,_ZN2at6native12_GLOBAL__N_122cunn_SoftMaxForwardRegIN3c108BFloat16EfS4_NS1_25LogSoftMaxForwardEpilogueElLi2EEEvPT1_PKT_T3_,comdat
.Lfunc_end156:
	.size	_ZN2at6native12_GLOBAL__N_122cunn_SoftMaxForwardRegIN3c108BFloat16EfS4_NS1_25LogSoftMaxForwardEpilogueElLi2EEEvPT1_PKT_T3_, .Lfunc_end156-_ZN2at6native12_GLOBAL__N_122cunn_SoftMaxForwardRegIN3c108BFloat16EfS4_NS1_25LogSoftMaxForwardEpilogueElLi2EEEvPT1_PKT_T3_
                                        ; -- End function
	.set _ZN2at6native12_GLOBAL__N_122cunn_SoftMaxForwardRegIN3c108BFloat16EfS4_NS1_25LogSoftMaxForwardEpilogueElLi2EEEvPT1_PKT_T3_.num_vgpr, 18
	.set _ZN2at6native12_GLOBAL__N_122cunn_SoftMaxForwardRegIN3c108BFloat16EfS4_NS1_25LogSoftMaxForwardEpilogueElLi2EEEvPT1_PKT_T3_.num_agpr, 0
	.set _ZN2at6native12_GLOBAL__N_122cunn_SoftMaxForwardRegIN3c108BFloat16EfS4_NS1_25LogSoftMaxForwardEpilogueElLi2EEEvPT1_PKT_T3_.numbered_sgpr, 12
	.set _ZN2at6native12_GLOBAL__N_122cunn_SoftMaxForwardRegIN3c108BFloat16EfS4_NS1_25LogSoftMaxForwardEpilogueElLi2EEEvPT1_PKT_T3_.num_named_barrier, 0
	.set _ZN2at6native12_GLOBAL__N_122cunn_SoftMaxForwardRegIN3c108BFloat16EfS4_NS1_25LogSoftMaxForwardEpilogueElLi2EEEvPT1_PKT_T3_.private_seg_size, 0
	.set _ZN2at6native12_GLOBAL__N_122cunn_SoftMaxForwardRegIN3c108BFloat16EfS4_NS1_25LogSoftMaxForwardEpilogueElLi2EEEvPT1_PKT_T3_.uses_vcc, 1
	.set _ZN2at6native12_GLOBAL__N_122cunn_SoftMaxForwardRegIN3c108BFloat16EfS4_NS1_25LogSoftMaxForwardEpilogueElLi2EEEvPT1_PKT_T3_.uses_flat_scratch, 0
	.set _ZN2at6native12_GLOBAL__N_122cunn_SoftMaxForwardRegIN3c108BFloat16EfS4_NS1_25LogSoftMaxForwardEpilogueElLi2EEEvPT1_PKT_T3_.has_dyn_sized_stack, 0
	.set _ZN2at6native12_GLOBAL__N_122cunn_SoftMaxForwardRegIN3c108BFloat16EfS4_NS1_25LogSoftMaxForwardEpilogueElLi2EEEvPT1_PKT_T3_.has_recursion, 0
	.set _ZN2at6native12_GLOBAL__N_122cunn_SoftMaxForwardRegIN3c108BFloat16EfS4_NS1_25LogSoftMaxForwardEpilogueElLi2EEEvPT1_PKT_T3_.has_indirect_call, 0
	.section	.AMDGPU.csdata,"",@progbits
; Kernel info:
; codeLenInByte = 1652
; TotalNumSgprs: 14
; NumVgprs: 18
; ScratchSize: 0
; MemoryBound: 0
; FloatMode: 240
; IeeeMode: 1
; LDSByteSize: 0 bytes/workgroup (compile time only)
; SGPRBlocks: 0
; VGPRBlocks: 2
; NumSGPRsForWavesPerEU: 14
; NumVGPRsForWavesPerEU: 18
; Occupancy: 16
; WaveLimiterHint : 0
; COMPUTE_PGM_RSRC2:SCRATCH_EN: 0
; COMPUTE_PGM_RSRC2:USER_SGPR: 6
; COMPUTE_PGM_RSRC2:TRAP_HANDLER: 0
; COMPUTE_PGM_RSRC2:TGID_X_EN: 1
; COMPUTE_PGM_RSRC2:TGID_Y_EN: 0
; COMPUTE_PGM_RSRC2:TGID_Z_EN: 0
; COMPUTE_PGM_RSRC2:TIDIG_COMP_CNT: 0
	.section	.text._ZN2at6native12_GLOBAL__N_122cunn_SoftMaxForwardRegIN3c108BFloat16EfS4_NS1_25LogSoftMaxForwardEpilogueElLi3EEEvPT1_PKT_T3_,"axG",@progbits,_ZN2at6native12_GLOBAL__N_122cunn_SoftMaxForwardRegIN3c108BFloat16EfS4_NS1_25LogSoftMaxForwardEpilogueElLi3EEEvPT1_PKT_T3_,comdat
	.globl	_ZN2at6native12_GLOBAL__N_122cunn_SoftMaxForwardRegIN3c108BFloat16EfS4_NS1_25LogSoftMaxForwardEpilogueElLi3EEEvPT1_PKT_T3_ ; -- Begin function _ZN2at6native12_GLOBAL__N_122cunn_SoftMaxForwardRegIN3c108BFloat16EfS4_NS1_25LogSoftMaxForwardEpilogueElLi3EEEvPT1_PKT_T3_
	.p2align	8
	.type	_ZN2at6native12_GLOBAL__N_122cunn_SoftMaxForwardRegIN3c108BFloat16EfS4_NS1_25LogSoftMaxForwardEpilogueElLi3EEEvPT1_PKT_T3_,@function
_ZN2at6native12_GLOBAL__N_122cunn_SoftMaxForwardRegIN3c108BFloat16EfS4_NS1_25LogSoftMaxForwardEpilogueElLi3EEEvPT1_PKT_T3_: ; @_ZN2at6native12_GLOBAL__N_122cunn_SoftMaxForwardRegIN3c108BFloat16EfS4_NS1_25LogSoftMaxForwardEpilogueElLi3EEEvPT1_PKT_T3_
; %bb.0:
	s_clause 0x2
	s_load_dwordx2 s[2:3], s[4:5], 0x10
	s_load_dwordx4 s[8:11], s[4:5], 0x0
	s_load_dword s0, s[4:5], 0x24
	v_mov_b32_e32 v2, 0
	v_mov_b32_e32 v8, 0xff7fffff
	v_lshlrev_b32_e32 v5, 1, v0
	v_mov_b32_e32 v11, 0
	v_mov_b32_e32 v1, v2
	s_waitcnt lgkmcnt(0)
	s_mul_i32 s1, s3, s6
	s_mul_hi_u32 s5, s2, s6
	s_mul_i32 s4, s2, s6
	s_add_i32 s5, s5, s1
	v_cmp_gt_i64_e32 vcc_lo, s[2:3], v[0:1]
	s_lshl_b64 s[12:13], s[4:5], 1
	s_add_u32 s4, s10, s12
	s_addc_u32 s5, s11, s13
	s_and_saveexec_b32 s1, vcc_lo
	s_cbranch_execz .LBB157_2
; %bb.1:
	global_load_ushort v1, v5, s[4:5]
	s_waitcnt vmcnt(0)
	v_lshlrev_b32_e32 v11, 16, v1
	v_max_f32_e32 v1, v11, v11
	v_max_f32_e32 v8, 0xff7fffff, v1
.LBB157_2:
	s_or_b32 exec_lo, exec_lo, s1
	s_and_b32 s6, 0xffff, s0
	v_add_nc_u32_e32 v1, s6, v0
	v_cmp_gt_i64_e64 s0, s[2:3], v[1:2]
	v_lshlrev_b32_e32 v6, 1, v1
	s_and_saveexec_b32 s1, s0
	s_cbranch_execz .LBB157_4
; %bb.3:
	global_load_ushort v2, v6, s[4:5]
	v_max_f32_e32 v4, v8, v8
	s_waitcnt vmcnt(0)
	v_lshlrev_b32_e32 v2, 16, v2
	v_max_f32_e32 v3, v2, v2
	v_max_f32_e32 v8, v4, v3
.LBB157_4:
	s_or_b32 exec_lo, exec_lo, s1
	v_add_nc_u32_e32 v3, s6, v1
	v_mov_b32_e32 v4, 0
	v_lshlrev_b32_e32 v1, 1, v3
	v_cmp_gt_i64_e64 s1, s[2:3], v[3:4]
	s_and_saveexec_b32 s2, s1
	s_cbranch_execz .LBB157_6
; %bb.5:
	global_load_ushort v3, v1, s[4:5]
	v_max_f32_e32 v7, v8, v8
	s_waitcnt vmcnt(0)
	v_lshlrev_b32_e32 v4, 16, v3
	v_max_f32_e32 v3, v4, v4
	v_max_f32_e32 v8, v7, v3
.LBB157_6:
	s_or_b32 exec_lo, exec_lo, s2
	v_mbcnt_lo_u32_b32 v10, -1, 0
	s_barrier
	buffer_gl0_inv
	v_lshl_or_b32 v3, v10, 2, 64
	v_cmp_gt_u32_e64 s2, 24, v10
	ds_bpermute_b32 v9, v3, v8
	v_cndmask_b32_e64 v7, 0, 8, s2
	v_add_lshl_u32 v7, v7, v10, 2
	s_waitcnt lgkmcnt(0)
	v_cmp_lt_f32_e64 s2, v8, v9
	v_cndmask_b32_e64 v9, v8, v9, s2
	v_cmp_gt_u32_e64 s2, 28, v10
	ds_bpermute_b32 v12, v7, v9
	v_cndmask_b32_e64 v8, 0, 4, s2
	v_add_lshl_u32 v8, v8, v10, 2
	s_waitcnt lgkmcnt(0)
	v_cmp_lt_f32_e64 s2, v9, v12
	v_cndmask_b32_e64 v12, v9, v12, s2
	;; [unrolled: 7-line block ×3, first 2 shown]
	v_cmp_ne_u32_e64 s2, 31, v10
	ds_bpermute_b32 v13, v9, v12
	v_add_co_ci_u32_e64 v10, null, 0, v10, s2
	v_lshlrev_b32_e32 v10, 2, v10
	s_waitcnt lgkmcnt(0)
	v_cmp_lt_f32_e64 s2, v12, v13
	v_cndmask_b32_e64 v14, v12, v13, s2
	v_and_b32_e32 v13, 31, v0
	v_lshrrev_b32_e32 v12, 3, v0
	ds_bpermute_b32 v15, v10, v14
	v_cmp_eq_u32_e64 s2, 0, v13
	s_and_saveexec_b32 s3, s2
	s_xor_b32 s4, exec_lo, s3
	s_cbranch_execz .LBB157_8
; %bb.7:
	s_waitcnt lgkmcnt(0)
	v_cmp_lt_f32_e64 s3, v14, v15
	v_add_nc_u32_e32 v16, 0, v12
	v_cndmask_b32_e64 v14, v14, v15, s3
	ds_write_b32 v16, v14
.LBB157_8:
	s_or_b32 exec_lo, exec_lo, s4
	s_lshr_b32 s3, s6, 5
	v_mov_b32_e32 v14, 0xff7fffff
	v_cmp_gt_u32_e64 s3, s3, v0
	v_lshl_add_u32 v13, v13, 2, 0
	s_waitcnt lgkmcnt(0)
	s_barrier
	buffer_gl0_inv
	s_and_saveexec_b32 s4, s3
	s_cbranch_execnz .LBB157_22
; %bb.9:
	s_or_b32 exec_lo, exec_lo, s4
	v_cmp_gt_u32_e64 s4, 32, v0
	s_and_saveexec_b32 s6, s4
	s_cbranch_execnz .LBB157_23
.LBB157_10:
	s_or_b32 exec_lo, exec_lo, s6
	v_cmp_eq_u32_e64 s5, 0, v0
	s_and_saveexec_b32 s6, s5
	s_cbranch_execz .LBB157_12
.LBB157_11:
	v_mov_b32_e32 v0, 0
	s_waitcnt lgkmcnt(0)
	ds_write_b32 v0, v14
.LBB157_12:
	s_or_b32 exec_lo, exec_lo, s6
	s_waitcnt lgkmcnt(0)
	v_mov_b32_e32 v14, 0
	s_barrier
	buffer_gl0_inv
	ds_read_b32 v15, v14
	s_waitcnt lgkmcnt(0)
	s_barrier
	buffer_gl0_inv
	v_sub_f32_e32 v11, v11, v15
	v_sub_f32_e32 v0, v2, v15
	;; [unrolled: 1-line block ×3, first 2 shown]
	v_mul_f32_e32 v16, 0x3fb8aa3b, v11
	v_mul_f32_e32 v17, 0x3fb8aa3b, v0
	;; [unrolled: 1-line block ×3, first 2 shown]
	v_cmp_ngt_f32_e64 s6, 0xc2ce8ed0, v11
	v_fma_f32 v18, 0x3fb8aa3b, v11, -v16
	v_rndne_f32_e32 v19, v16
	v_fma_f32 v4, 0x3fb8aa3b, v0, -v17
	v_rndne_f32_e32 v15, v17
	v_fmac_f32_e32 v18, 0x32a5705f, v11
	v_sub_f32_e32 v16, v16, v19
	v_fmac_f32_e32 v4, 0x32a5705f, v0
	v_sub_f32_e32 v17, v17, v15
	v_cvt_i32_f32_e32 v19, v19
	v_cvt_i32_f32_e32 v15, v15
	v_add_f32_e32 v16, v16, v18
	v_rndne_f32_e32 v18, v20
	v_add_f32_e32 v4, v17, v4
	v_fma_f32 v17, 0x3fb8aa3b, v2, -v20
	v_exp_f32_e32 v16, v16
	v_sub_f32_e32 v20, v20, v18
	v_exp_f32_e32 v4, v4
	v_fmac_f32_e32 v17, 0x32a5705f, v2
	v_add_f32_e32 v17, v20, v17
	v_ldexp_f32 v16, v16, v19
	v_ldexp_f32 v4, v4, v15
	v_cndmask_b32_e64 v15, 0, v16, s6
	v_cmp_ngt_f32_e64 s6, 0xc2ce8ed0, v0
	v_exp_f32_e32 v16, v17
	v_cvt_i32_f32_e32 v17, v18
	v_cndmask_b32_e64 v4, 0, v4, s6
	v_cmp_nlt_f32_e64 s6, 0x42b17218, v11
	v_cndmask_b32_e64 v15, 0x7f800000, v15, s6
	v_cmp_nlt_f32_e64 s6, 0x42b17218, v0
	v_ldexp_f32 v16, v16, v17
	v_cndmask_b32_e32 v15, 0, v15, vcc_lo
	v_cndmask_b32_e64 v4, 0x7f800000, v4, s6
	v_cmp_ngt_f32_e64 s6, 0xc2ce8ed0, v2
	v_add_f32_e32 v4, v15, v4
	v_cndmask_b32_e64 v16, 0, v16, s6
	v_cmp_nlt_f32_e64 s6, 0x42b17218, v2
	v_cndmask_b32_e64 v4, v15, v4, s0
	v_cndmask_b32_e64 v15, 0x7f800000, v16, s6
	v_add_f32_e32 v15, v4, v15
	v_cndmask_b32_e64 v4, v4, v15, s1
	ds_bpermute_b32 v15, v3, v4
	s_waitcnt lgkmcnt(0)
	v_add_f32_e32 v4, v4, v15
	ds_bpermute_b32 v15, v7, v4
	s_waitcnt lgkmcnt(0)
	v_add_f32_e32 v4, v4, v15
	;; [unrolled: 3-line block ×4, first 2 shown]
	ds_bpermute_b32 v15, v10, v4
	s_and_saveexec_b32 s6, s2
	s_cbranch_execz .LBB157_14
; %bb.13:
	v_add_nc_u32_e32 v12, 0, v12
	s_waitcnt lgkmcnt(0)
	v_add_f32_e32 v4, v4, v15
	ds_write_b32 v12, v4
.LBB157_14:
	s_or_b32 exec_lo, exec_lo, s6
	s_waitcnt lgkmcnt(0)
	s_barrier
	buffer_gl0_inv
	s_and_saveexec_b32 s2, s3
	s_cbranch_execnz .LBB157_24
; %bb.15:
	s_or_b32 exec_lo, exec_lo, s2
	s_and_saveexec_b32 s2, s4
	s_cbranch_execnz .LBB157_25
.LBB157_16:
	s_or_b32 exec_lo, exec_lo, s2
	s_and_saveexec_b32 s2, s5
	s_cbranch_execz .LBB157_18
.LBB157_17:
	v_mov_b32_e32 v3, 0
	s_waitcnt lgkmcnt(0)
	ds_write_b32 v3, v14
.LBB157_18:
	s_or_b32 exec_lo, exec_lo, s2
	v_mov_b32_e32 v3, 0
	s_waitcnt lgkmcnt(0)
	s_barrier
	buffer_gl0_inv
	s_add_u32 s4, s8, s12
	ds_read_b32 v3, v3
	s_addc_u32 s5, s9, s13
	s_waitcnt lgkmcnt(0)
	v_cmp_gt_f32_e64 s2, 0x800000, v3
	v_cndmask_b32_e64 v4, 0, 0x41b17218, s2
	s_and_b32 s2, s2, exec_lo
	s_cselect_b32 s2, 32, 0
	v_ldexp_f32 v3, v3, s2
	v_log_f32_e32 v3, v3
	v_mul_f32_e32 v7, 0x3f317217, v3
	v_cmp_gt_f32_e64 s2, 0x7f800000, |v3|
	v_fma_f32 v7, 0x3f317217, v3, -v7
	v_fmamk_f32 v7, v3, 0x3377d1cf, v7
	v_fmac_f32_e32 v7, 0x3f317217, v3
	v_cndmask_b32_e64 v3, v3, v7, s2
	v_sub_f32_e32 v3, v3, v4
	s_and_saveexec_b32 s2, vcc_lo
	s_cbranch_execnz .LBB157_26
; %bb.19:
	s_or_b32 exec_lo, exec_lo, s2
	s_and_saveexec_b32 s2, s0
	s_cbranch_execnz .LBB157_27
.LBB157_20:
	s_or_b32 exec_lo, exec_lo, s2
	s_and_saveexec_b32 s0, s1
	s_cbranch_execnz .LBB157_28
.LBB157_21:
	s_endpgm
.LBB157_22:
	ds_read_b32 v14, v13
	s_or_b32 exec_lo, exec_lo, s4
	v_cmp_gt_u32_e64 s4, 32, v0
	s_and_saveexec_b32 s6, s4
	s_cbranch_execz .LBB157_10
.LBB157_23:
	s_waitcnt lgkmcnt(0)
	ds_bpermute_b32 v15, v3, v14
	s_waitcnt lgkmcnt(0)
	v_cmp_lt_f32_e64 s5, v14, v15
	v_cndmask_b32_e64 v14, v14, v15, s5
	ds_bpermute_b32 v15, v7, v14
	s_waitcnt lgkmcnt(0)
	v_cmp_lt_f32_e64 s5, v14, v15
	v_cndmask_b32_e64 v14, v14, v15, s5
	;; [unrolled: 4-line block ×5, first 2 shown]
	s_or_b32 exec_lo, exec_lo, s6
	v_cmp_eq_u32_e64 s5, 0, v0
	s_and_saveexec_b32 s6, s5
	s_cbranch_execnz .LBB157_11
	s_branch .LBB157_12
.LBB157_24:
	ds_read_b32 v14, v13
	s_or_b32 exec_lo, exec_lo, s2
	s_and_saveexec_b32 s2, s4
	s_cbranch_execz .LBB157_16
.LBB157_25:
	s_waitcnt lgkmcnt(0)
	ds_bpermute_b32 v3, v3, v14
	s_waitcnt lgkmcnt(0)
	v_add_f32_e32 v3, v14, v3
	ds_bpermute_b32 v4, v7, v3
	s_waitcnt lgkmcnt(0)
	v_add_f32_e32 v3, v3, v4
	;; [unrolled: 3-line block ×5, first 2 shown]
	s_or_b32 exec_lo, exec_lo, s2
	s_and_saveexec_b32 s2, s5
	s_cbranch_execnz .LBB157_17
	s_branch .LBB157_18
.LBB157_26:
	v_sub_f32_e32 v4, v11, v3
	v_bfe_u32 v7, v4, 16, 1
	v_cmp_o_f32_e32 vcc_lo, v4, v4
	v_add3_u32 v4, v4, v7, 0x7fff
	v_mov_b32_e32 v7, 0x7fc0
	v_cndmask_b32_sdwa v4, v7, v4, vcc_lo dst_sel:DWORD dst_unused:UNUSED_PAD src0_sel:DWORD src1_sel:WORD_1
	global_store_short v5, v4, s[4:5]
	s_or_b32 exec_lo, exec_lo, s2
	s_and_saveexec_b32 s2, s0
	s_cbranch_execz .LBB157_20
.LBB157_27:
	v_sub_f32_e32 v0, v0, v3
	v_bfe_u32 v4, v0, 16, 1
	v_cmp_o_f32_e32 vcc_lo, v0, v0
	v_add3_u32 v0, v0, v4, 0x7fff
	v_mov_b32_e32 v4, 0x7fc0
	v_cndmask_b32_sdwa v0, v4, v0, vcc_lo dst_sel:DWORD dst_unused:UNUSED_PAD src0_sel:DWORD src1_sel:WORD_1
	global_store_short v6, v0, s[4:5]
	s_or_b32 exec_lo, exec_lo, s2
	s_and_saveexec_b32 s0, s1
	s_cbranch_execz .LBB157_21
.LBB157_28:
	v_sub_f32_e32 v0, v2, v3
	v_bfe_u32 v2, v0, 16, 1
	v_cmp_o_f32_e32 vcc_lo, v0, v0
	v_add3_u32 v0, v0, v2, 0x7fff
	v_mov_b32_e32 v2, 0x7fc0
	v_cndmask_b32_sdwa v0, v2, v0, vcc_lo dst_sel:DWORD dst_unused:UNUSED_PAD src0_sel:DWORD src1_sel:WORD_1
	global_store_short v1, v0, s[4:5]
	s_endpgm
	.section	.rodata,"a",@progbits
	.p2align	6, 0x0
	.amdhsa_kernel _ZN2at6native12_GLOBAL__N_122cunn_SoftMaxForwardRegIN3c108BFloat16EfS4_NS1_25LogSoftMaxForwardEpilogueElLi3EEEvPT1_PKT_T3_
		.amdhsa_group_segment_fixed_size 0
		.amdhsa_private_segment_fixed_size 0
		.amdhsa_kernarg_size 280
		.amdhsa_user_sgpr_count 6
		.amdhsa_user_sgpr_private_segment_buffer 1
		.amdhsa_user_sgpr_dispatch_ptr 0
		.amdhsa_user_sgpr_queue_ptr 0
		.amdhsa_user_sgpr_kernarg_segment_ptr 1
		.amdhsa_user_sgpr_dispatch_id 0
		.amdhsa_user_sgpr_flat_scratch_init 0
		.amdhsa_user_sgpr_private_segment_size 0
		.amdhsa_wavefront_size32 1
		.amdhsa_uses_dynamic_stack 0
		.amdhsa_system_sgpr_private_segment_wavefront_offset 0
		.amdhsa_system_sgpr_workgroup_id_x 1
		.amdhsa_system_sgpr_workgroup_id_y 0
		.amdhsa_system_sgpr_workgroup_id_z 0
		.amdhsa_system_sgpr_workgroup_info 0
		.amdhsa_system_vgpr_workitem_id 0
		.amdhsa_next_free_vgpr 21
		.amdhsa_next_free_sgpr 14
		.amdhsa_reserve_vcc 1
		.amdhsa_reserve_flat_scratch 0
		.amdhsa_float_round_mode_32 0
		.amdhsa_float_round_mode_16_64 0
		.amdhsa_float_denorm_mode_32 3
		.amdhsa_float_denorm_mode_16_64 3
		.amdhsa_dx10_clamp 1
		.amdhsa_ieee_mode 1
		.amdhsa_fp16_overflow 0
		.amdhsa_workgroup_processor_mode 1
		.amdhsa_memory_ordered 1
		.amdhsa_forward_progress 1
		.amdhsa_shared_vgpr_count 0
		.amdhsa_exception_fp_ieee_invalid_op 0
		.amdhsa_exception_fp_denorm_src 0
		.amdhsa_exception_fp_ieee_div_zero 0
		.amdhsa_exception_fp_ieee_overflow 0
		.amdhsa_exception_fp_ieee_underflow 0
		.amdhsa_exception_fp_ieee_inexact 0
		.amdhsa_exception_int_div_zero 0
	.end_amdhsa_kernel
	.section	.text._ZN2at6native12_GLOBAL__N_122cunn_SoftMaxForwardRegIN3c108BFloat16EfS4_NS1_25LogSoftMaxForwardEpilogueElLi3EEEvPT1_PKT_T3_,"axG",@progbits,_ZN2at6native12_GLOBAL__N_122cunn_SoftMaxForwardRegIN3c108BFloat16EfS4_NS1_25LogSoftMaxForwardEpilogueElLi3EEEvPT1_PKT_T3_,comdat
.Lfunc_end157:
	.size	_ZN2at6native12_GLOBAL__N_122cunn_SoftMaxForwardRegIN3c108BFloat16EfS4_NS1_25LogSoftMaxForwardEpilogueElLi3EEEvPT1_PKT_T3_, .Lfunc_end157-_ZN2at6native12_GLOBAL__N_122cunn_SoftMaxForwardRegIN3c108BFloat16EfS4_NS1_25LogSoftMaxForwardEpilogueElLi3EEEvPT1_PKT_T3_
                                        ; -- End function
	.set _ZN2at6native12_GLOBAL__N_122cunn_SoftMaxForwardRegIN3c108BFloat16EfS4_NS1_25LogSoftMaxForwardEpilogueElLi3EEEvPT1_PKT_T3_.num_vgpr, 21
	.set _ZN2at6native12_GLOBAL__N_122cunn_SoftMaxForwardRegIN3c108BFloat16EfS4_NS1_25LogSoftMaxForwardEpilogueElLi3EEEvPT1_PKT_T3_.num_agpr, 0
	.set _ZN2at6native12_GLOBAL__N_122cunn_SoftMaxForwardRegIN3c108BFloat16EfS4_NS1_25LogSoftMaxForwardEpilogueElLi3EEEvPT1_PKT_T3_.numbered_sgpr, 14
	.set _ZN2at6native12_GLOBAL__N_122cunn_SoftMaxForwardRegIN3c108BFloat16EfS4_NS1_25LogSoftMaxForwardEpilogueElLi3EEEvPT1_PKT_T3_.num_named_barrier, 0
	.set _ZN2at6native12_GLOBAL__N_122cunn_SoftMaxForwardRegIN3c108BFloat16EfS4_NS1_25LogSoftMaxForwardEpilogueElLi3EEEvPT1_PKT_T3_.private_seg_size, 0
	.set _ZN2at6native12_GLOBAL__N_122cunn_SoftMaxForwardRegIN3c108BFloat16EfS4_NS1_25LogSoftMaxForwardEpilogueElLi3EEEvPT1_PKT_T3_.uses_vcc, 1
	.set _ZN2at6native12_GLOBAL__N_122cunn_SoftMaxForwardRegIN3c108BFloat16EfS4_NS1_25LogSoftMaxForwardEpilogueElLi3EEEvPT1_PKT_T3_.uses_flat_scratch, 0
	.set _ZN2at6native12_GLOBAL__N_122cunn_SoftMaxForwardRegIN3c108BFloat16EfS4_NS1_25LogSoftMaxForwardEpilogueElLi3EEEvPT1_PKT_T3_.has_dyn_sized_stack, 0
	.set _ZN2at6native12_GLOBAL__N_122cunn_SoftMaxForwardRegIN3c108BFloat16EfS4_NS1_25LogSoftMaxForwardEpilogueElLi3EEEvPT1_PKT_T3_.has_recursion, 0
	.set _ZN2at6native12_GLOBAL__N_122cunn_SoftMaxForwardRegIN3c108BFloat16EfS4_NS1_25LogSoftMaxForwardEpilogueElLi3EEEvPT1_PKT_T3_.has_indirect_call, 0
	.section	.AMDGPU.csdata,"",@progbits
; Kernel info:
; codeLenInByte = 1904
; TotalNumSgprs: 16
; NumVgprs: 21
; ScratchSize: 0
; MemoryBound: 0
; FloatMode: 240
; IeeeMode: 1
; LDSByteSize: 0 bytes/workgroup (compile time only)
; SGPRBlocks: 0
; VGPRBlocks: 2
; NumSGPRsForWavesPerEU: 16
; NumVGPRsForWavesPerEU: 21
; Occupancy: 16
; WaveLimiterHint : 0
; COMPUTE_PGM_RSRC2:SCRATCH_EN: 0
; COMPUTE_PGM_RSRC2:USER_SGPR: 6
; COMPUTE_PGM_RSRC2:TRAP_HANDLER: 0
; COMPUTE_PGM_RSRC2:TGID_X_EN: 1
; COMPUTE_PGM_RSRC2:TGID_Y_EN: 0
; COMPUTE_PGM_RSRC2:TGID_Z_EN: 0
; COMPUTE_PGM_RSRC2:TIDIG_COMP_CNT: 0
	.section	.text._ZN2at6native12_GLOBAL__N_122cunn_SoftMaxForwardRegIN3c108BFloat16EfS4_NS1_25LogSoftMaxForwardEpilogueElLi4EEEvPT1_PKT_T3_,"axG",@progbits,_ZN2at6native12_GLOBAL__N_122cunn_SoftMaxForwardRegIN3c108BFloat16EfS4_NS1_25LogSoftMaxForwardEpilogueElLi4EEEvPT1_PKT_T3_,comdat
	.globl	_ZN2at6native12_GLOBAL__N_122cunn_SoftMaxForwardRegIN3c108BFloat16EfS4_NS1_25LogSoftMaxForwardEpilogueElLi4EEEvPT1_PKT_T3_ ; -- Begin function _ZN2at6native12_GLOBAL__N_122cunn_SoftMaxForwardRegIN3c108BFloat16EfS4_NS1_25LogSoftMaxForwardEpilogueElLi4EEEvPT1_PKT_T3_
	.p2align	8
	.type	_ZN2at6native12_GLOBAL__N_122cunn_SoftMaxForwardRegIN3c108BFloat16EfS4_NS1_25LogSoftMaxForwardEpilogueElLi4EEEvPT1_PKT_T3_,@function
_ZN2at6native12_GLOBAL__N_122cunn_SoftMaxForwardRegIN3c108BFloat16EfS4_NS1_25LogSoftMaxForwardEpilogueElLi4EEEvPT1_PKT_T3_: ; @_ZN2at6native12_GLOBAL__N_122cunn_SoftMaxForwardRegIN3c108BFloat16EfS4_NS1_25LogSoftMaxForwardEpilogueElLi4EEEvPT1_PKT_T3_
; %bb.0:
	s_clause 0x2
	s_load_dwordx2 s[2:3], s[4:5], 0x10
	s_load_dwordx4 s[8:11], s[4:5], 0x0
	s_load_dword s0, s[4:5], 0x24
	v_mov_b32_e32 v2, 0
	v_mov_b32_e32 v9, 0xff7fffff
	v_lshlrev_b32_e32 v5, 1, v0
	v_mov_b32_e32 v12, 0
	v_mov_b32_e32 v1, v2
	s_waitcnt lgkmcnt(0)
	s_mul_i32 s1, s3, s6
	s_mul_hi_u32 s5, s2, s6
	s_mul_i32 s4, s2, s6
	s_add_i32 s5, s5, s1
	v_cmp_gt_i64_e32 vcc_lo, s[2:3], v[0:1]
	s_lshl_b64 s[12:13], s[4:5], 1
	s_add_u32 s4, s10, s12
	s_addc_u32 s5, s11, s13
	s_and_saveexec_b32 s1, vcc_lo
	s_cbranch_execz .LBB158_2
; %bb.1:
	global_load_ushort v1, v5, s[4:5]
	s_waitcnt vmcnt(0)
	v_lshlrev_b32_e32 v12, 16, v1
	v_max_f32_e32 v1, v12, v12
	v_max_f32_e32 v9, 0xff7fffff, v1
.LBB158_2:
	s_or_b32 exec_lo, exec_lo, s1
	s_and_b32 s6, 0xffff, s0
	v_add_nc_u32_e32 v1, s6, v0
	v_cmp_gt_i64_e64 s0, s[2:3], v[1:2]
	v_lshlrev_b32_e32 v6, 1, v1
	s_and_saveexec_b32 s1, s0
	s_cbranch_execz .LBB158_4
; %bb.3:
	global_load_ushort v2, v6, s[4:5]
	v_max_f32_e32 v4, v9, v9
	s_waitcnt vmcnt(0)
	v_lshlrev_b32_e32 v2, 16, v2
	v_max_f32_e32 v3, v2, v2
	v_max_f32_e32 v9, v4, v3
.LBB158_4:
	s_or_b32 exec_lo, exec_lo, s1
	v_add_nc_u32_e32 v3, s6, v1
	v_mov_b32_e32 v4, 0
	v_lshlrev_b32_e32 v1, 1, v3
	v_cmp_gt_i64_e64 s1, s[2:3], v[3:4]
	v_mov_b32_e32 v15, v4
	s_and_saveexec_b32 s7, s1
	s_cbranch_execz .LBB158_6
; %bb.5:
	global_load_ushort v7, v1, s[4:5]
	v_max_f32_e32 v8, v9, v9
	s_waitcnt vmcnt(0)
	v_lshlrev_b32_e32 v15, 16, v7
	v_max_f32_e32 v7, v15, v15
	v_max_f32_e32 v9, v8, v7
.LBB158_6:
	s_or_b32 exec_lo, exec_lo, s7
	v_add_nc_u32_e32 v3, s6, v3
	v_cmp_gt_i64_e64 s2, s[2:3], v[3:4]
	v_lshlrev_b32_e32 v3, 1, v3
	s_and_saveexec_b32 s3, s2
	s_cbranch_execz .LBB158_8
; %bb.7:
	global_load_ushort v4, v3, s[4:5]
	v_max_f32_e32 v8, v9, v9
	s_waitcnt vmcnt(0)
	v_lshlrev_b32_e32 v4, 16, v4
	v_max_f32_e32 v7, v4, v4
	v_max_f32_e32 v9, v8, v7
.LBB158_8:
	s_or_b32 exec_lo, exec_lo, s3
	v_mbcnt_lo_u32_b32 v11, -1, 0
	s_barrier
	buffer_gl0_inv
	v_lshl_or_b32 v7, v11, 2, 64
	v_cmp_gt_u32_e64 s3, 24, v11
	ds_bpermute_b32 v10, v7, v9
	v_cndmask_b32_e64 v8, 0, 8, s3
	v_add_lshl_u32 v8, v8, v11, 2
	s_waitcnt lgkmcnt(0)
	v_cmp_lt_f32_e64 s3, v9, v10
	v_cndmask_b32_e64 v10, v9, v10, s3
	v_cmp_gt_u32_e64 s3, 28, v11
	ds_bpermute_b32 v13, v8, v10
	v_cndmask_b32_e64 v9, 0, 4, s3
	v_add_lshl_u32 v9, v9, v11, 2
	s_waitcnt lgkmcnt(0)
	v_cmp_lt_f32_e64 s3, v10, v13
	v_cndmask_b32_e64 v13, v10, v13, s3
	;; [unrolled: 7-line block ×3, first 2 shown]
	v_cmp_ne_u32_e64 s3, 31, v11
	ds_bpermute_b32 v14, v10, v13
	v_add_co_ci_u32_e64 v11, null, 0, v11, s3
	v_lshlrev_b32_e32 v11, 2, v11
	s_waitcnt lgkmcnt(0)
	v_cmp_lt_f32_e64 s3, v13, v14
	v_cndmask_b32_e64 v16, v13, v14, s3
	v_and_b32_e32 v14, 31, v0
	v_lshrrev_b32_e32 v13, 3, v0
	ds_bpermute_b32 v17, v11, v16
	v_cmp_eq_u32_e64 s3, 0, v14
	s_and_saveexec_b32 s4, s3
	s_xor_b32 s5, exec_lo, s4
	s_cbranch_execz .LBB158_10
; %bb.9:
	s_waitcnt lgkmcnt(0)
	v_cmp_lt_f32_e64 s4, v16, v17
	v_add_nc_u32_e32 v18, 0, v13
	v_cndmask_b32_e64 v16, v16, v17, s4
	ds_write_b32 v18, v16
.LBB158_10:
	s_or_b32 exec_lo, exec_lo, s5
	s_lshr_b32 s4, s6, 5
	v_mov_b32_e32 v16, 0xff7fffff
	v_cmp_gt_u32_e64 s4, s4, v0
	v_lshl_add_u32 v14, v14, 2, 0
	s_waitcnt lgkmcnt(0)
	s_barrier
	buffer_gl0_inv
	s_and_saveexec_b32 s5, s4
	s_cbranch_execnz .LBB158_25
; %bb.11:
	s_or_b32 exec_lo, exec_lo, s5
	v_cmp_gt_u32_e64 s5, 32, v0
	s_and_saveexec_b32 s7, s5
	s_cbranch_execnz .LBB158_26
.LBB158_12:
	s_or_b32 exec_lo, exec_lo, s7
	v_cmp_eq_u32_e64 s6, 0, v0
	s_and_saveexec_b32 s7, s6
	s_cbranch_execz .LBB158_14
.LBB158_13:
	v_mov_b32_e32 v0, 0
	s_waitcnt lgkmcnt(0)
	ds_write_b32 v0, v16
.LBB158_14:
	s_or_b32 exec_lo, exec_lo, s7
	s_waitcnt lgkmcnt(0)
	v_mov_b32_e32 v16, 0
	s_barrier
	buffer_gl0_inv
	ds_read_b32 v17, v16
	s_waitcnt lgkmcnt(0)
	s_barrier
	buffer_gl0_inv
	v_sub_f32_e32 v12, v12, v17
	v_sub_f32_e32 v0, v2, v17
	v_sub_f32_e32 v2, v15, v17
	v_sub_f32_e32 v4, v4, v17
	v_mul_f32_e32 v18, 0x3fb8aa3b, v12
	v_mul_f32_e32 v19, 0x3fb8aa3b, v0
	;; [unrolled: 1-line block ×3, first 2 shown]
	v_cmp_ngt_f32_e64 s7, 0xc2ce8ed0, v12
	v_fma_f32 v20, 0x3fb8aa3b, v12, -v18
	v_rndne_f32_e32 v21, v18
	v_fma_f32 v15, 0x3fb8aa3b, v0, -v19
	v_rndne_f32_e32 v22, v19
	v_fmac_f32_e32 v20, 0x32a5705f, v12
	v_sub_f32_e32 v18, v18, v21
	v_fmac_f32_e32 v15, 0x32a5705f, v0
	v_sub_f32_e32 v19, v19, v22
	v_cvt_i32_f32_e32 v21, v21
	v_cvt_i32_f32_e32 v22, v22
	v_add_f32_e32 v17, v18, v20
	v_fma_f32 v18, 0x3fb8aa3b, v2, -v23
	v_add_f32_e32 v15, v19, v15
	v_rndne_f32_e32 v20, v23
	v_mul_f32_e32 v19, 0x3fb8aa3b, v4
	v_exp_f32_e32 v17, v17
	v_fmac_f32_e32 v18, 0x32a5705f, v2
	v_exp_f32_e32 v15, v15
	v_sub_f32_e32 v23, v23, v20
	v_fma_f32 v24, 0x3fb8aa3b, v4, -v19
	v_rndne_f32_e32 v25, v19
	v_cvt_i32_f32_e32 v20, v20
	v_add_f32_e32 v18, v23, v18
	v_fmac_f32_e32 v24, 0x32a5705f, v4
	v_ldexp_f32 v17, v17, v21
	v_sub_f32_e32 v19, v19, v25
	v_ldexp_f32 v15, v15, v22
	v_exp_f32_e32 v18, v18
	v_cndmask_b32_e64 v17, 0, v17, s7
	v_cmp_ngt_f32_e64 s7, 0xc2ce8ed0, v0
	v_add_f32_e32 v19, v19, v24
	v_cndmask_b32_e64 v15, 0, v15, s7
	v_cmp_nlt_f32_e64 s7, 0x42b17218, v12
	v_ldexp_f32 v18, v18, v20
	v_exp_f32_e32 v19, v19
	v_cvt_i32_f32_e32 v20, v25
	v_cndmask_b32_e64 v17, 0x7f800000, v17, s7
	v_cmp_nlt_f32_e64 s7, 0x42b17218, v0
	v_cndmask_b32_e32 v17, 0, v17, vcc_lo
	v_cndmask_b32_e64 v15, 0x7f800000, v15, s7
	v_cmp_ngt_f32_e64 s7, 0xc2ce8ed0, v2
	v_add_f32_e32 v15, v17, v15
	v_cndmask_b32_e64 v18, 0, v18, s7
	v_cmp_nlt_f32_e64 s7, 0x42b17218, v2
	v_cndmask_b32_e64 v15, v17, v15, s0
	v_ldexp_f32 v17, v19, v20
	v_cndmask_b32_e64 v18, 0x7f800000, v18, s7
	v_cmp_ngt_f32_e64 s7, 0xc2ce8ed0, v4
	v_add_f32_e32 v18, v15, v18
	v_cndmask_b32_e64 v17, 0, v17, s7
	v_cmp_nlt_f32_e64 s7, 0x42b17218, v4
	v_cndmask_b32_e64 v15, v15, v18, s1
	v_cndmask_b32_e64 v17, 0x7f800000, v17, s7
	v_add_f32_e32 v17, v15, v17
	v_cndmask_b32_e64 v15, v15, v17, s2
	ds_bpermute_b32 v17, v7, v15
	s_waitcnt lgkmcnt(0)
	v_add_f32_e32 v15, v15, v17
	ds_bpermute_b32 v17, v8, v15
	s_waitcnt lgkmcnt(0)
	v_add_f32_e32 v15, v15, v17
	;; [unrolled: 3-line block ×4, first 2 shown]
	ds_bpermute_b32 v17, v11, v15
	s_and_saveexec_b32 s7, s3
	s_cbranch_execz .LBB158_16
; %bb.15:
	v_add_nc_u32_e32 v13, 0, v13
	s_waitcnt lgkmcnt(0)
	v_add_f32_e32 v15, v15, v17
	ds_write_b32 v13, v15
.LBB158_16:
	s_or_b32 exec_lo, exec_lo, s7
	s_waitcnt lgkmcnt(0)
	s_barrier
	buffer_gl0_inv
	s_and_saveexec_b32 s3, s4
	s_cbranch_execnz .LBB158_27
; %bb.17:
	s_or_b32 exec_lo, exec_lo, s3
	s_and_saveexec_b32 s3, s5
	s_cbranch_execnz .LBB158_28
.LBB158_18:
	s_or_b32 exec_lo, exec_lo, s3
	s_and_saveexec_b32 s3, s6
	s_cbranch_execz .LBB158_20
.LBB158_19:
	v_mov_b32_e32 v7, 0
	s_waitcnt lgkmcnt(0)
	ds_write_b32 v7, v16
.LBB158_20:
	s_or_b32 exec_lo, exec_lo, s3
	v_mov_b32_e32 v7, 0
	s_waitcnt lgkmcnt(0)
	s_barrier
	buffer_gl0_inv
	s_add_u32 s4, s8, s12
	ds_read_b32 v7, v7
	s_addc_u32 s5, s9, s13
	s_waitcnt lgkmcnt(0)
	v_cmp_gt_f32_e64 s3, 0x800000, v7
	v_cndmask_b32_e64 v8, 0, 0x41b17218, s3
	s_and_b32 s3, s3, exec_lo
	s_cselect_b32 s3, 32, 0
	v_ldexp_f32 v7, v7, s3
	v_log_f32_e32 v7, v7
	v_mul_f32_e32 v9, 0x3f317217, v7
	v_cmp_gt_f32_e64 s3, 0x7f800000, |v7|
	v_fma_f32 v9, 0x3f317217, v7, -v9
	v_fmamk_f32 v9, v7, 0x3377d1cf, v9
	v_fmac_f32_e32 v9, 0x3f317217, v7
	v_cndmask_b32_e64 v7, v7, v9, s3
	v_sub_f32_e32 v7, v7, v8
	s_and_saveexec_b32 s3, vcc_lo
	s_cbranch_execnz .LBB158_29
; %bb.21:
	s_or_b32 exec_lo, exec_lo, s3
	s_and_saveexec_b32 s3, s0
	s_cbranch_execnz .LBB158_30
.LBB158_22:
	s_or_b32 exec_lo, exec_lo, s3
	s_and_saveexec_b32 s0, s1
	s_cbranch_execnz .LBB158_31
.LBB158_23:
	s_or_b32 exec_lo, exec_lo, s0
	s_and_saveexec_b32 s0, s2
	s_cbranch_execnz .LBB158_32
.LBB158_24:
	s_endpgm
.LBB158_25:
	ds_read_b32 v16, v14
	s_or_b32 exec_lo, exec_lo, s5
	v_cmp_gt_u32_e64 s5, 32, v0
	s_and_saveexec_b32 s7, s5
	s_cbranch_execz .LBB158_12
.LBB158_26:
	s_waitcnt lgkmcnt(0)
	ds_bpermute_b32 v17, v7, v16
	s_waitcnt lgkmcnt(0)
	v_cmp_lt_f32_e64 s6, v16, v17
	v_cndmask_b32_e64 v16, v16, v17, s6
	ds_bpermute_b32 v17, v8, v16
	s_waitcnt lgkmcnt(0)
	v_cmp_lt_f32_e64 s6, v16, v17
	v_cndmask_b32_e64 v16, v16, v17, s6
	;; [unrolled: 4-line block ×5, first 2 shown]
	s_or_b32 exec_lo, exec_lo, s7
	v_cmp_eq_u32_e64 s6, 0, v0
	s_and_saveexec_b32 s7, s6
	s_cbranch_execnz .LBB158_13
	s_branch .LBB158_14
.LBB158_27:
	ds_read_b32 v16, v14
	s_or_b32 exec_lo, exec_lo, s3
	s_and_saveexec_b32 s3, s5
	s_cbranch_execz .LBB158_18
.LBB158_28:
	s_waitcnt lgkmcnt(0)
	ds_bpermute_b32 v7, v7, v16
	s_waitcnt lgkmcnt(0)
	v_add_f32_e32 v7, v16, v7
	ds_bpermute_b32 v8, v8, v7
	s_waitcnt lgkmcnt(0)
	v_add_f32_e32 v7, v7, v8
	ds_bpermute_b32 v8, v9, v7
	s_waitcnt lgkmcnt(0)
	v_add_f32_e32 v7, v7, v8
	ds_bpermute_b32 v8, v10, v7
	s_waitcnt lgkmcnt(0)
	v_add_f32_e32 v7, v7, v8
	ds_bpermute_b32 v8, v11, v7
	s_waitcnt lgkmcnt(0)
	v_add_f32_e32 v16, v7, v8
	s_or_b32 exec_lo, exec_lo, s3
	s_and_saveexec_b32 s3, s6
	s_cbranch_execnz .LBB158_19
	s_branch .LBB158_20
.LBB158_29:
	v_sub_f32_e32 v8, v12, v7
	v_bfe_u32 v9, v8, 16, 1
	v_cmp_o_f32_e32 vcc_lo, v8, v8
	v_add3_u32 v8, v8, v9, 0x7fff
	v_mov_b32_e32 v9, 0x7fc0
	v_cndmask_b32_sdwa v8, v9, v8, vcc_lo dst_sel:DWORD dst_unused:UNUSED_PAD src0_sel:DWORD src1_sel:WORD_1
	global_store_short v5, v8, s[4:5]
	s_or_b32 exec_lo, exec_lo, s3
	s_and_saveexec_b32 s3, s0
	s_cbranch_execz .LBB158_22
.LBB158_30:
	v_sub_f32_e32 v0, v0, v7
	v_bfe_u32 v5, v0, 16, 1
	v_cmp_o_f32_e32 vcc_lo, v0, v0
	v_add3_u32 v0, v0, v5, 0x7fff
	v_mov_b32_e32 v5, 0x7fc0
	v_cndmask_b32_sdwa v0, v5, v0, vcc_lo dst_sel:DWORD dst_unused:UNUSED_PAD src0_sel:DWORD src1_sel:WORD_1
	global_store_short v6, v0, s[4:5]
	s_or_b32 exec_lo, exec_lo, s3
	s_and_saveexec_b32 s0, s1
	s_cbranch_execz .LBB158_23
.LBB158_31:
	v_sub_f32_e32 v0, v2, v7
	v_bfe_u32 v2, v0, 16, 1
	v_cmp_o_f32_e32 vcc_lo, v0, v0
	v_add3_u32 v0, v0, v2, 0x7fff
	v_mov_b32_e32 v2, 0x7fc0
	v_cndmask_b32_sdwa v0, v2, v0, vcc_lo dst_sel:DWORD dst_unused:UNUSED_PAD src0_sel:DWORD src1_sel:WORD_1
	global_store_short v1, v0, s[4:5]
	s_or_b32 exec_lo, exec_lo, s0
	s_and_saveexec_b32 s0, s2
	s_cbranch_execz .LBB158_24
.LBB158_32:
	v_sub_f32_e32 v0, v4, v7
	v_bfe_u32 v1, v0, 16, 1
	v_cmp_o_f32_e32 vcc_lo, v0, v0
	v_add3_u32 v0, v0, v1, 0x7fff
	v_mov_b32_e32 v1, 0x7fc0
	v_cndmask_b32_sdwa v0, v1, v0, vcc_lo dst_sel:DWORD dst_unused:UNUSED_PAD src0_sel:DWORD src1_sel:WORD_1
	global_store_short v3, v0, s[4:5]
	s_endpgm
	.section	.rodata,"a",@progbits
	.p2align	6, 0x0
	.amdhsa_kernel _ZN2at6native12_GLOBAL__N_122cunn_SoftMaxForwardRegIN3c108BFloat16EfS4_NS1_25LogSoftMaxForwardEpilogueElLi4EEEvPT1_PKT_T3_
		.amdhsa_group_segment_fixed_size 0
		.amdhsa_private_segment_fixed_size 0
		.amdhsa_kernarg_size 280
		.amdhsa_user_sgpr_count 6
		.amdhsa_user_sgpr_private_segment_buffer 1
		.amdhsa_user_sgpr_dispatch_ptr 0
		.amdhsa_user_sgpr_queue_ptr 0
		.amdhsa_user_sgpr_kernarg_segment_ptr 1
		.amdhsa_user_sgpr_dispatch_id 0
		.amdhsa_user_sgpr_flat_scratch_init 0
		.amdhsa_user_sgpr_private_segment_size 0
		.amdhsa_wavefront_size32 1
		.amdhsa_uses_dynamic_stack 0
		.amdhsa_system_sgpr_private_segment_wavefront_offset 0
		.amdhsa_system_sgpr_workgroup_id_x 1
		.amdhsa_system_sgpr_workgroup_id_y 0
		.amdhsa_system_sgpr_workgroup_id_z 0
		.amdhsa_system_sgpr_workgroup_info 0
		.amdhsa_system_vgpr_workitem_id 0
		.amdhsa_next_free_vgpr 26
		.amdhsa_next_free_sgpr 14
		.amdhsa_reserve_vcc 1
		.amdhsa_reserve_flat_scratch 0
		.amdhsa_float_round_mode_32 0
		.amdhsa_float_round_mode_16_64 0
		.amdhsa_float_denorm_mode_32 3
		.amdhsa_float_denorm_mode_16_64 3
		.amdhsa_dx10_clamp 1
		.amdhsa_ieee_mode 1
		.amdhsa_fp16_overflow 0
		.amdhsa_workgroup_processor_mode 1
		.amdhsa_memory_ordered 1
		.amdhsa_forward_progress 1
		.amdhsa_shared_vgpr_count 0
		.amdhsa_exception_fp_ieee_invalid_op 0
		.amdhsa_exception_fp_denorm_src 0
		.amdhsa_exception_fp_ieee_div_zero 0
		.amdhsa_exception_fp_ieee_overflow 0
		.amdhsa_exception_fp_ieee_underflow 0
		.amdhsa_exception_fp_ieee_inexact 0
		.amdhsa_exception_int_div_zero 0
	.end_amdhsa_kernel
	.section	.text._ZN2at6native12_GLOBAL__N_122cunn_SoftMaxForwardRegIN3c108BFloat16EfS4_NS1_25LogSoftMaxForwardEpilogueElLi4EEEvPT1_PKT_T3_,"axG",@progbits,_ZN2at6native12_GLOBAL__N_122cunn_SoftMaxForwardRegIN3c108BFloat16EfS4_NS1_25LogSoftMaxForwardEpilogueElLi4EEEvPT1_PKT_T3_,comdat
.Lfunc_end158:
	.size	_ZN2at6native12_GLOBAL__N_122cunn_SoftMaxForwardRegIN3c108BFloat16EfS4_NS1_25LogSoftMaxForwardEpilogueElLi4EEEvPT1_PKT_T3_, .Lfunc_end158-_ZN2at6native12_GLOBAL__N_122cunn_SoftMaxForwardRegIN3c108BFloat16EfS4_NS1_25LogSoftMaxForwardEpilogueElLi4EEEvPT1_PKT_T3_
                                        ; -- End function
	.set _ZN2at6native12_GLOBAL__N_122cunn_SoftMaxForwardRegIN3c108BFloat16EfS4_NS1_25LogSoftMaxForwardEpilogueElLi4EEEvPT1_PKT_T3_.num_vgpr, 26
	.set _ZN2at6native12_GLOBAL__N_122cunn_SoftMaxForwardRegIN3c108BFloat16EfS4_NS1_25LogSoftMaxForwardEpilogueElLi4EEEvPT1_PKT_T3_.num_agpr, 0
	.set _ZN2at6native12_GLOBAL__N_122cunn_SoftMaxForwardRegIN3c108BFloat16EfS4_NS1_25LogSoftMaxForwardEpilogueElLi4EEEvPT1_PKT_T3_.numbered_sgpr, 14
	.set _ZN2at6native12_GLOBAL__N_122cunn_SoftMaxForwardRegIN3c108BFloat16EfS4_NS1_25LogSoftMaxForwardEpilogueElLi4EEEvPT1_PKT_T3_.num_named_barrier, 0
	.set _ZN2at6native12_GLOBAL__N_122cunn_SoftMaxForwardRegIN3c108BFloat16EfS4_NS1_25LogSoftMaxForwardEpilogueElLi4EEEvPT1_PKT_T3_.private_seg_size, 0
	.set _ZN2at6native12_GLOBAL__N_122cunn_SoftMaxForwardRegIN3c108BFloat16EfS4_NS1_25LogSoftMaxForwardEpilogueElLi4EEEvPT1_PKT_T3_.uses_vcc, 1
	.set _ZN2at6native12_GLOBAL__N_122cunn_SoftMaxForwardRegIN3c108BFloat16EfS4_NS1_25LogSoftMaxForwardEpilogueElLi4EEEvPT1_PKT_T3_.uses_flat_scratch, 0
	.set _ZN2at6native12_GLOBAL__N_122cunn_SoftMaxForwardRegIN3c108BFloat16EfS4_NS1_25LogSoftMaxForwardEpilogueElLi4EEEvPT1_PKT_T3_.has_dyn_sized_stack, 0
	.set _ZN2at6native12_GLOBAL__N_122cunn_SoftMaxForwardRegIN3c108BFloat16EfS4_NS1_25LogSoftMaxForwardEpilogueElLi4EEEvPT1_PKT_T3_.has_recursion, 0
	.set _ZN2at6native12_GLOBAL__N_122cunn_SoftMaxForwardRegIN3c108BFloat16EfS4_NS1_25LogSoftMaxForwardEpilogueElLi4EEEvPT1_PKT_T3_.has_indirect_call, 0
	.section	.AMDGPU.csdata,"",@progbits
; Kernel info:
; codeLenInByte = 2156
; TotalNumSgprs: 16
; NumVgprs: 26
; ScratchSize: 0
; MemoryBound: 0
; FloatMode: 240
; IeeeMode: 1
; LDSByteSize: 0 bytes/workgroup (compile time only)
; SGPRBlocks: 0
; VGPRBlocks: 3
; NumSGPRsForWavesPerEU: 16
; NumVGPRsForWavesPerEU: 26
; Occupancy: 16
; WaveLimiterHint : 0
; COMPUTE_PGM_RSRC2:SCRATCH_EN: 0
; COMPUTE_PGM_RSRC2:USER_SGPR: 6
; COMPUTE_PGM_RSRC2:TRAP_HANDLER: 0
; COMPUTE_PGM_RSRC2:TGID_X_EN: 1
; COMPUTE_PGM_RSRC2:TGID_Y_EN: 0
; COMPUTE_PGM_RSRC2:TGID_Z_EN: 0
; COMPUTE_PGM_RSRC2:TIDIG_COMP_CNT: 0
	.section	.text._ZN2at6native12_GLOBAL__N_122cunn_SoftMaxForwardRegIN3c108BFloat16EfS4_NS1_25LogSoftMaxForwardEpilogueElLi5EEEvPT1_PKT_T3_,"axG",@progbits,_ZN2at6native12_GLOBAL__N_122cunn_SoftMaxForwardRegIN3c108BFloat16EfS4_NS1_25LogSoftMaxForwardEpilogueElLi5EEEvPT1_PKT_T3_,comdat
	.globl	_ZN2at6native12_GLOBAL__N_122cunn_SoftMaxForwardRegIN3c108BFloat16EfS4_NS1_25LogSoftMaxForwardEpilogueElLi5EEEvPT1_PKT_T3_ ; -- Begin function _ZN2at6native12_GLOBAL__N_122cunn_SoftMaxForwardRegIN3c108BFloat16EfS4_NS1_25LogSoftMaxForwardEpilogueElLi5EEEvPT1_PKT_T3_
	.p2align	8
	.type	_ZN2at6native12_GLOBAL__N_122cunn_SoftMaxForwardRegIN3c108BFloat16EfS4_NS1_25LogSoftMaxForwardEpilogueElLi5EEEvPT1_PKT_T3_,@function
_ZN2at6native12_GLOBAL__N_122cunn_SoftMaxForwardRegIN3c108BFloat16EfS4_NS1_25LogSoftMaxForwardEpilogueElLi5EEEvPT1_PKT_T3_: ; @_ZN2at6native12_GLOBAL__N_122cunn_SoftMaxForwardRegIN3c108BFloat16EfS4_NS1_25LogSoftMaxForwardEpilogueElLi5EEEvPT1_PKT_T3_
; %bb.0:
	s_clause 0x2
	s_load_dwordx2 s[8:9], s[4:5], 0x10
	s_load_dwordx4 s[12:15], s[4:5], 0x0
	s_load_dword s0, s[4:5], 0x24
	v_mov_b32_e32 v2, 0
	v_mov_b32_e32 v11, 0xff7fffff
	v_lshlrev_b32_e32 v7, 1, v0
	v_mov_b32_e32 v14, 0
	v_mov_b32_e32 v1, v2
	s_waitcnt lgkmcnt(0)
	s_mul_i32 s1, s9, s6
	s_mul_hi_u32 s3, s8, s6
	s_mul_i32 s2, s8, s6
	s_add_i32 s3, s3, s1
	v_cmp_gt_i64_e32 vcc_lo, s[8:9], v[0:1]
	s_lshl_b64 s[10:11], s[2:3], 1
	s_add_u32 s4, s14, s10
	s_addc_u32 s5, s15, s11
	s_and_saveexec_b32 s1, vcc_lo
	s_cbranch_execz .LBB159_2
; %bb.1:
	global_load_ushort v1, v7, s[4:5]
	s_waitcnt vmcnt(0)
	v_lshlrev_b32_e32 v14, 16, v1
	v_max_f32_e32 v1, v14, v14
	v_max_f32_e32 v11, 0xff7fffff, v1
.LBB159_2:
	s_or_b32 exec_lo, exec_lo, s1
	s_and_b32 s6, 0xffff, s0
	v_add_nc_u32_e32 v1, s6, v0
	v_cmp_gt_i64_e64 s0, s[8:9], v[1:2]
	v_lshlrev_b32_e32 v8, 1, v1
	s_and_saveexec_b32 s1, s0
	s_cbranch_execz .LBB159_4
; %bb.3:
	global_load_ushort v2, v8, s[4:5]
	v_max_f32_e32 v4, v11, v11
	s_waitcnt vmcnt(0)
	v_lshlrev_b32_e32 v2, 16, v2
	v_max_f32_e32 v3, v2, v2
	v_max_f32_e32 v11, v4, v3
.LBB159_4:
	s_or_b32 exec_lo, exec_lo, s1
	v_add_nc_u32_e32 v3, s6, v1
	v_mov_b32_e32 v4, 0
	v_lshlrev_b32_e32 v1, 1, v3
	v_cmp_gt_i64_e64 s1, s[8:9], v[3:4]
	v_mov_b32_e32 v19, v4
	s_and_saveexec_b32 s2, s1
	s_cbranch_execz .LBB159_6
; %bb.5:
	global_load_ushort v5, v1, s[4:5]
	v_max_f32_e32 v6, v11, v11
	s_waitcnt vmcnt(0)
	v_lshlrev_b32_e32 v19, 16, v5
	v_max_f32_e32 v5, v19, v19
	v_max_f32_e32 v11, v6, v5
.LBB159_6:
	s_or_b32 exec_lo, exec_lo, s2
	v_add_nc_u32_e32 v3, s6, v3
	v_cmp_gt_i64_e64 s2, s[8:9], v[3:4]
	v_lshlrev_b32_e32 v9, 1, v3
	s_and_saveexec_b32 s3, s2
	s_cbranch_execz .LBB159_8
; %bb.7:
	global_load_ushort v4, v9, s[4:5]
	v_max_f32_e32 v6, v11, v11
	s_waitcnt vmcnt(0)
	v_lshlrev_b32_e32 v4, 16, v4
	v_max_f32_e32 v5, v4, v4
	v_max_f32_e32 v11, v6, v5
.LBB159_8:
	s_or_b32 exec_lo, exec_lo, s3
	v_add_nc_u32_e32 v5, s6, v3
	v_mov_b32_e32 v6, 0
	v_lshlrev_b32_e32 v3, 1, v5
	v_cmp_gt_i64_e64 s3, s[8:9], v[5:6]
	s_and_saveexec_b32 s7, s3
	s_cbranch_execz .LBB159_10
; %bb.9:
	global_load_ushort v5, v3, s[4:5]
	v_max_f32_e32 v10, v11, v11
	s_waitcnt vmcnt(0)
	v_lshlrev_b32_e32 v6, 16, v5
	v_max_f32_e32 v5, v6, v6
	v_max_f32_e32 v11, v10, v5
.LBB159_10:
	s_or_b32 exec_lo, exec_lo, s7
	v_mbcnt_lo_u32_b32 v13, -1, 0
	v_lshrrev_b32_e32 v17, 3, v0
	s_barrier
	buffer_gl0_inv
	v_lshl_or_b32 v5, v13, 2, 64
	v_cmp_gt_u32_e64 s4, 24, v13
	ds_bpermute_b32 v12, v5, v11
	v_cndmask_b32_e64 v10, 0, 8, s4
	v_add_lshl_u32 v10, v10, v13, 2
	s_waitcnt lgkmcnt(0)
	v_cmp_lt_f32_e64 s4, v11, v12
	v_cndmask_b32_e64 v12, v11, v12, s4
	v_cmp_gt_u32_e64 s4, 28, v13
	ds_bpermute_b32 v15, v10, v12
	v_cndmask_b32_e64 v11, 0, 4, s4
	v_add_lshl_u32 v11, v11, v13, 2
	s_waitcnt lgkmcnt(0)
	v_cmp_lt_f32_e64 s4, v12, v15
	v_cndmask_b32_e64 v15, v12, v15, s4
	v_cmp_gt_u32_e64 s4, 30, v13
	ds_bpermute_b32 v16, v11, v15
	v_cndmask_b32_e64 v12, 0, 2, s4
	v_add_lshl_u32 v12, v12, v13, 2
	s_waitcnt lgkmcnt(0)
	v_cmp_lt_f32_e64 s4, v15, v16
	v_cndmask_b32_e64 v15, v15, v16, s4
	v_cmp_ne_u32_e64 s4, 31, v13
	ds_bpermute_b32 v16, v12, v15
	v_add_co_ci_u32_e64 v13, null, 0, v13, s4
	v_lshlrev_b32_e32 v13, 2, v13
	s_waitcnt lgkmcnt(0)
	v_cmp_lt_f32_e64 s4, v15, v16
	v_cndmask_b32_e64 v15, v15, v16, s4
	v_and_b32_e32 v16, 31, v0
	ds_bpermute_b32 v18, v13, v15
	v_cmp_eq_u32_e64 s4, 0, v16
	s_and_saveexec_b32 s5, s4
	s_xor_b32 s7, exec_lo, s5
	s_cbranch_execz .LBB159_12
; %bb.11:
	s_waitcnt lgkmcnt(0)
	v_cmp_lt_f32_e64 s5, v15, v18
	v_add_nc_u32_e32 v20, 0, v17
	v_cndmask_b32_e64 v15, v15, v18, s5
	ds_write_b32 v20, v15
.LBB159_12:
	s_or_b32 exec_lo, exec_lo, s7
	s_lshr_b32 s5, s6, 5
	v_mov_b32_e32 v15, 0xff7fffff
	v_cmp_gt_u32_e64 s5, s5, v0
	s_waitcnt lgkmcnt(0)
	v_lshl_add_u32 v18, v16, 2, 0
	s_barrier
	buffer_gl0_inv
	s_and_saveexec_b32 s6, s5
	s_cbranch_execnz .LBB159_28
; %bb.13:
	s_or_b32 exec_lo, exec_lo, s6
	v_cmp_gt_u32_e64 s6, 32, v0
	s_and_saveexec_b32 s8, s6
	s_cbranch_execnz .LBB159_29
.LBB159_14:
	s_or_b32 exec_lo, exec_lo, s8
	v_cmp_eq_u32_e64 s7, 0, v0
	s_and_saveexec_b32 s8, s7
	s_cbranch_execz .LBB159_16
.LBB159_15:
	v_mov_b32_e32 v0, 0
	s_waitcnt lgkmcnt(0)
	ds_write_b32 v0, v15
.LBB159_16:
	s_or_b32 exec_lo, exec_lo, s8
	v_mov_b32_e32 v20, 0
	s_waitcnt lgkmcnt(0)
	s_barrier
	buffer_gl0_inv
	ds_read_b32 v0, v20
	s_waitcnt lgkmcnt(0)
	s_barrier
	buffer_gl0_inv
	v_sub_f32_e32 v16, v14, v0
	v_sub_f32_e32 v15, v2, v0
	;; [unrolled: 1-line block ×5, first 2 shown]
	v_mul_f32_e32 v4, 0x3fb8aa3b, v16
	v_mul_f32_e32 v6, 0x3fb8aa3b, v15
	;; [unrolled: 1-line block ×4, first 2 shown]
	v_cmp_ngt_f32_e64 s8, 0xc2ce8ed0, v16
	v_fma_f32 v23, 0x3fb8aa3b, v16, -v4
	v_rndne_f32_e32 v24, v4
	v_fma_f32 v25, 0x3fb8aa3b, v15, -v6
	v_rndne_f32_e32 v26, v6
	v_fma_f32 v27, 0x3fb8aa3b, v14, -v19
	v_fmac_f32_e32 v23, 0x32a5705f, v16
	v_sub_f32_e32 v4, v4, v24
	v_fmac_f32_e32 v25, 0x32a5705f, v15
	v_sub_f32_e32 v6, v6, v26
	v_rndne_f32_e32 v28, v19
	v_cvt_i32_f32_e32 v24, v24
	v_add_f32_e32 v4, v4, v23
	v_fmac_f32_e32 v27, 0x32a5705f, v14
	v_add_f32_e32 v6, v6, v25
	v_sub_f32_e32 v19, v19, v28
	v_cvt_i32_f32_e32 v26, v26
	v_exp_f32_e32 v4, v4
	v_fma_f32 v29, 0x3fb8aa3b, v2, -v21
	v_exp_f32_e32 v6, v6
	v_rndne_f32_e32 v23, v21
	v_add_f32_e32 v19, v19, v27
	v_mul_f32_e32 v22, 0x3fb8aa3b, v0
	v_fmac_f32_e32 v29, 0x32a5705f, v2
	v_cvt_i32_f32_e32 v28, v28
	v_sub_f32_e32 v21, v21, v23
	v_exp_f32_e32 v19, v19
	v_ldexp_f32 v4, v4, v24
	v_fma_f32 v30, 0x3fb8aa3b, v0, -v22
	v_ldexp_f32 v6, v6, v26
	v_rndne_f32_e32 v25, v22
	v_add_f32_e32 v21, v21, v29
	v_cndmask_b32_e64 v4, 0, v4, s8
	v_cmp_ngt_f32_e64 s8, 0xc2ce8ed0, v15
	v_fmac_f32_e32 v30, 0x32a5705f, v0
	v_sub_f32_e32 v22, v22, v25
	v_exp_f32_e32 v21, v21
	v_ldexp_f32 v19, v19, v28
	v_cndmask_b32_e64 v6, 0, v6, s8
	v_cmp_nlt_f32_e64 s8, 0x42b17218, v16
	v_cvt_i32_f32_e32 v23, v23
	v_add_f32_e32 v22, v22, v30
	v_cndmask_b32_e64 v4, 0x7f800000, v4, s8
	v_cmp_nlt_f32_e64 s8, 0x42b17218, v15
	v_ldexp_f32 v21, v21, v23
	v_cndmask_b32_e32 v4, 0, v4, vcc_lo
	v_cndmask_b32_e64 v6, 0x7f800000, v6, s8
	v_cmp_ngt_f32_e64 s8, 0xc2ce8ed0, v14
	v_add_f32_e32 v6, v4, v6
	v_cndmask_b32_e64 v19, 0, v19, s8
	v_cmp_nlt_f32_e64 s8, 0x42b17218, v14
	v_cndmask_b32_e64 v4, v4, v6, s0
	v_exp_f32_e32 v6, v22
	v_cndmask_b32_e64 v19, 0x7f800000, v19, s8
	v_cmp_ngt_f32_e64 s8, 0xc2ce8ed0, v2
	v_cvt_i32_f32_e32 v22, v25
	v_add_f32_e32 v19, v4, v19
	v_cndmask_b32_e64 v21, 0, v21, s8
	v_cmp_nlt_f32_e64 s8, 0x42b17218, v2
	v_ldexp_f32 v6, v6, v22
	v_cndmask_b32_e64 v4, v4, v19, s1
	v_cndmask_b32_e64 v21, 0x7f800000, v21, s8
	v_cmp_ngt_f32_e64 s8, 0xc2ce8ed0, v0
	v_add_f32_e32 v19, v4, v21
	v_cndmask_b32_e64 v6, 0, v6, s8
	v_cmp_nlt_f32_e64 s8, 0x42b17218, v0
	v_cndmask_b32_e64 v4, v4, v19, s2
	v_cndmask_b32_e64 v6, 0x7f800000, v6, s8
	v_add_f32_e32 v6, v4, v6
	v_cndmask_b32_e64 v4, v4, v6, s3
	ds_bpermute_b32 v6, v5, v4
	s_waitcnt lgkmcnt(0)
	v_add_f32_e32 v4, v4, v6
	ds_bpermute_b32 v6, v10, v4
	s_waitcnt lgkmcnt(0)
	v_add_f32_e32 v4, v4, v6
	ds_bpermute_b32 v6, v11, v4
	s_waitcnt lgkmcnt(0)
	v_add_f32_e32 v4, v4, v6
	ds_bpermute_b32 v6, v12, v4
	s_waitcnt lgkmcnt(0)
	v_add_f32_e32 v4, v4, v6
	ds_bpermute_b32 v6, v13, v4
	s_and_saveexec_b32 s8, s4
	s_cbranch_execz .LBB159_18
; %bb.17:
	v_add_nc_u32_e32 v17, 0, v17
	s_waitcnt lgkmcnt(0)
	v_add_f32_e32 v4, v4, v6
	ds_write_b32 v17, v4
.LBB159_18:
	s_or_b32 exec_lo, exec_lo, s8
	s_waitcnt lgkmcnt(0)
	s_barrier
	buffer_gl0_inv
	s_and_saveexec_b32 s4, s5
	s_cbranch_execnz .LBB159_30
; %bb.19:
	s_or_b32 exec_lo, exec_lo, s4
	s_and_saveexec_b32 s4, s6
	s_cbranch_execnz .LBB159_31
.LBB159_20:
	s_or_b32 exec_lo, exec_lo, s4
	s_and_saveexec_b32 s4, s7
	s_cbranch_execz .LBB159_22
.LBB159_21:
	v_mov_b32_e32 v4, 0
	s_waitcnt lgkmcnt(0)
	ds_write_b32 v4, v20
.LBB159_22:
	s_or_b32 exec_lo, exec_lo, s4
	v_mov_b32_e32 v4, 0
	s_waitcnt lgkmcnt(0)
	s_barrier
	buffer_gl0_inv
	s_add_u32 s6, s12, s10
	ds_read_b32 v4, v4
	s_addc_u32 s7, s13, s11
	s_waitcnt lgkmcnt(0)
	v_cmp_gt_f32_e64 s4, 0x800000, v4
	v_cndmask_b32_e64 v5, 0, 0x41b17218, s4
	s_and_b32 s4, s4, exec_lo
	s_cselect_b32 s4, 32, 0
	v_ldexp_f32 v4, v4, s4
	v_log_f32_e32 v4, v4
	v_mul_f32_e32 v6, 0x3f317217, v4
	v_cmp_gt_f32_e64 s4, 0x7f800000, |v4|
	v_fma_f32 v6, 0x3f317217, v4, -v6
	v_fmamk_f32 v6, v4, 0x3377d1cf, v6
	v_fmac_f32_e32 v6, 0x3f317217, v4
	v_cndmask_b32_e64 v4, v4, v6, s4
	v_sub_f32_e32 v4, v4, v5
	s_and_saveexec_b32 s4, vcc_lo
	s_cbranch_execnz .LBB159_32
; %bb.23:
	s_or_b32 exec_lo, exec_lo, s4
	s_and_saveexec_b32 s4, s0
	s_cbranch_execnz .LBB159_33
.LBB159_24:
	s_or_b32 exec_lo, exec_lo, s4
	s_and_saveexec_b32 s0, s1
	s_cbranch_execnz .LBB159_34
.LBB159_25:
	s_or_b32 exec_lo, exec_lo, s0
	s_and_saveexec_b32 s0, s2
	s_cbranch_execnz .LBB159_35
.LBB159_26:
	s_or_b32 exec_lo, exec_lo, s0
	s_and_saveexec_b32 s0, s3
	s_cbranch_execnz .LBB159_36
.LBB159_27:
	s_endpgm
.LBB159_28:
	ds_read_b32 v15, v18
	s_or_b32 exec_lo, exec_lo, s6
	v_cmp_gt_u32_e64 s6, 32, v0
	s_and_saveexec_b32 s8, s6
	s_cbranch_execz .LBB159_14
.LBB159_29:
	s_waitcnt lgkmcnt(0)
	ds_bpermute_b32 v16, v5, v15
	s_waitcnt lgkmcnt(0)
	v_cmp_lt_f32_e64 s7, v15, v16
	v_cndmask_b32_e64 v15, v15, v16, s7
	ds_bpermute_b32 v16, v10, v15
	s_waitcnt lgkmcnt(0)
	v_cmp_lt_f32_e64 s7, v15, v16
	v_cndmask_b32_e64 v15, v15, v16, s7
	;; [unrolled: 4-line block ×5, first 2 shown]
	s_or_b32 exec_lo, exec_lo, s8
	v_cmp_eq_u32_e64 s7, 0, v0
	s_and_saveexec_b32 s8, s7
	s_cbranch_execnz .LBB159_15
	s_branch .LBB159_16
.LBB159_30:
	ds_read_b32 v20, v18
	s_or_b32 exec_lo, exec_lo, s4
	s_and_saveexec_b32 s4, s6
	s_cbranch_execz .LBB159_20
.LBB159_31:
	s_waitcnt lgkmcnt(0)
	ds_bpermute_b32 v4, v5, v20
	s_waitcnt lgkmcnt(0)
	v_add_f32_e32 v4, v20, v4
	ds_bpermute_b32 v5, v10, v4
	s_waitcnt lgkmcnt(0)
	v_add_f32_e32 v4, v4, v5
	;; [unrolled: 3-line block ×5, first 2 shown]
	s_or_b32 exec_lo, exec_lo, s4
	s_and_saveexec_b32 s4, s7
	s_cbranch_execnz .LBB159_21
	s_branch .LBB159_22
.LBB159_32:
	v_sub_f32_e32 v5, v16, v4
	v_bfe_u32 v6, v5, 16, 1
	v_cmp_o_f32_e32 vcc_lo, v5, v5
	v_add3_u32 v5, v5, v6, 0x7fff
	v_mov_b32_e32 v6, 0x7fc0
	v_cndmask_b32_sdwa v5, v6, v5, vcc_lo dst_sel:DWORD dst_unused:UNUSED_PAD src0_sel:DWORD src1_sel:WORD_1
	global_store_short v7, v5, s[6:7]
	s_or_b32 exec_lo, exec_lo, s4
	s_and_saveexec_b32 s4, s0
	s_cbranch_execz .LBB159_24
.LBB159_33:
	v_sub_f32_e32 v5, v15, v4
	v_bfe_u32 v6, v5, 16, 1
	v_cmp_o_f32_e32 vcc_lo, v5, v5
	v_add3_u32 v5, v5, v6, 0x7fff
	v_mov_b32_e32 v6, 0x7fc0
	v_cndmask_b32_sdwa v5, v6, v5, vcc_lo dst_sel:DWORD dst_unused:UNUSED_PAD src0_sel:DWORD src1_sel:WORD_1
	global_store_short v8, v5, s[6:7]
	s_or_b32 exec_lo, exec_lo, s4
	s_and_saveexec_b32 s0, s1
	s_cbranch_execz .LBB159_25
.LBB159_34:
	v_sub_f32_e32 v5, v14, v4
	v_bfe_u32 v6, v5, 16, 1
	v_cmp_o_f32_e32 vcc_lo, v5, v5
	v_add3_u32 v5, v5, v6, 0x7fff
	v_mov_b32_e32 v6, 0x7fc0
	v_cndmask_b32_sdwa v5, v6, v5, vcc_lo dst_sel:DWORD dst_unused:UNUSED_PAD src0_sel:DWORD src1_sel:WORD_1
	global_store_short v1, v5, s[6:7]
	s_or_b32 exec_lo, exec_lo, s0
	s_and_saveexec_b32 s0, s2
	s_cbranch_execz .LBB159_26
.LBB159_35:
	v_sub_f32_e32 v1, v2, v4
	v_bfe_u32 v2, v1, 16, 1
	v_cmp_o_f32_e32 vcc_lo, v1, v1
	v_add3_u32 v1, v1, v2, 0x7fff
	v_mov_b32_e32 v2, 0x7fc0
	v_cndmask_b32_sdwa v1, v2, v1, vcc_lo dst_sel:DWORD dst_unused:UNUSED_PAD src0_sel:DWORD src1_sel:WORD_1
	global_store_short v9, v1, s[6:7]
	s_or_b32 exec_lo, exec_lo, s0
	s_and_saveexec_b32 s0, s3
	s_cbranch_execz .LBB159_27
.LBB159_36:
	v_sub_f32_e32 v0, v0, v4
	v_bfe_u32 v1, v0, 16, 1
	v_cmp_o_f32_e32 vcc_lo, v0, v0
	v_add3_u32 v0, v0, v1, 0x7fff
	v_mov_b32_e32 v1, 0x7fc0
	v_cndmask_b32_sdwa v0, v1, v0, vcc_lo dst_sel:DWORD dst_unused:UNUSED_PAD src0_sel:DWORD src1_sel:WORD_1
	global_store_short v3, v0, s[6:7]
	s_endpgm
	.section	.rodata,"a",@progbits
	.p2align	6, 0x0
	.amdhsa_kernel _ZN2at6native12_GLOBAL__N_122cunn_SoftMaxForwardRegIN3c108BFloat16EfS4_NS1_25LogSoftMaxForwardEpilogueElLi5EEEvPT1_PKT_T3_
		.amdhsa_group_segment_fixed_size 0
		.amdhsa_private_segment_fixed_size 0
		.amdhsa_kernarg_size 280
		.amdhsa_user_sgpr_count 6
		.amdhsa_user_sgpr_private_segment_buffer 1
		.amdhsa_user_sgpr_dispatch_ptr 0
		.amdhsa_user_sgpr_queue_ptr 0
		.amdhsa_user_sgpr_kernarg_segment_ptr 1
		.amdhsa_user_sgpr_dispatch_id 0
		.amdhsa_user_sgpr_flat_scratch_init 0
		.amdhsa_user_sgpr_private_segment_size 0
		.amdhsa_wavefront_size32 1
		.amdhsa_uses_dynamic_stack 0
		.amdhsa_system_sgpr_private_segment_wavefront_offset 0
		.amdhsa_system_sgpr_workgroup_id_x 1
		.amdhsa_system_sgpr_workgroup_id_y 0
		.amdhsa_system_sgpr_workgroup_id_z 0
		.amdhsa_system_sgpr_workgroup_info 0
		.amdhsa_system_vgpr_workitem_id 0
		.amdhsa_next_free_vgpr 31
		.amdhsa_next_free_sgpr 16
		.amdhsa_reserve_vcc 1
		.amdhsa_reserve_flat_scratch 0
		.amdhsa_float_round_mode_32 0
		.amdhsa_float_round_mode_16_64 0
		.amdhsa_float_denorm_mode_32 3
		.amdhsa_float_denorm_mode_16_64 3
		.amdhsa_dx10_clamp 1
		.amdhsa_ieee_mode 1
		.amdhsa_fp16_overflow 0
		.amdhsa_workgroup_processor_mode 1
		.amdhsa_memory_ordered 1
		.amdhsa_forward_progress 1
		.amdhsa_shared_vgpr_count 0
		.amdhsa_exception_fp_ieee_invalid_op 0
		.amdhsa_exception_fp_denorm_src 0
		.amdhsa_exception_fp_ieee_div_zero 0
		.amdhsa_exception_fp_ieee_overflow 0
		.amdhsa_exception_fp_ieee_underflow 0
		.amdhsa_exception_fp_ieee_inexact 0
		.amdhsa_exception_int_div_zero 0
	.end_amdhsa_kernel
	.section	.text._ZN2at6native12_GLOBAL__N_122cunn_SoftMaxForwardRegIN3c108BFloat16EfS4_NS1_25LogSoftMaxForwardEpilogueElLi5EEEvPT1_PKT_T3_,"axG",@progbits,_ZN2at6native12_GLOBAL__N_122cunn_SoftMaxForwardRegIN3c108BFloat16EfS4_NS1_25LogSoftMaxForwardEpilogueElLi5EEEvPT1_PKT_T3_,comdat
.Lfunc_end159:
	.size	_ZN2at6native12_GLOBAL__N_122cunn_SoftMaxForwardRegIN3c108BFloat16EfS4_NS1_25LogSoftMaxForwardEpilogueElLi5EEEvPT1_PKT_T3_, .Lfunc_end159-_ZN2at6native12_GLOBAL__N_122cunn_SoftMaxForwardRegIN3c108BFloat16EfS4_NS1_25LogSoftMaxForwardEpilogueElLi5EEEvPT1_PKT_T3_
                                        ; -- End function
	.set _ZN2at6native12_GLOBAL__N_122cunn_SoftMaxForwardRegIN3c108BFloat16EfS4_NS1_25LogSoftMaxForwardEpilogueElLi5EEEvPT1_PKT_T3_.num_vgpr, 31
	.set _ZN2at6native12_GLOBAL__N_122cunn_SoftMaxForwardRegIN3c108BFloat16EfS4_NS1_25LogSoftMaxForwardEpilogueElLi5EEEvPT1_PKT_T3_.num_agpr, 0
	.set _ZN2at6native12_GLOBAL__N_122cunn_SoftMaxForwardRegIN3c108BFloat16EfS4_NS1_25LogSoftMaxForwardEpilogueElLi5EEEvPT1_PKT_T3_.numbered_sgpr, 16
	.set _ZN2at6native12_GLOBAL__N_122cunn_SoftMaxForwardRegIN3c108BFloat16EfS4_NS1_25LogSoftMaxForwardEpilogueElLi5EEEvPT1_PKT_T3_.num_named_barrier, 0
	.set _ZN2at6native12_GLOBAL__N_122cunn_SoftMaxForwardRegIN3c108BFloat16EfS4_NS1_25LogSoftMaxForwardEpilogueElLi5EEEvPT1_PKT_T3_.private_seg_size, 0
	.set _ZN2at6native12_GLOBAL__N_122cunn_SoftMaxForwardRegIN3c108BFloat16EfS4_NS1_25LogSoftMaxForwardEpilogueElLi5EEEvPT1_PKT_T3_.uses_vcc, 1
	.set _ZN2at6native12_GLOBAL__N_122cunn_SoftMaxForwardRegIN3c108BFloat16EfS4_NS1_25LogSoftMaxForwardEpilogueElLi5EEEvPT1_PKT_T3_.uses_flat_scratch, 0
	.set _ZN2at6native12_GLOBAL__N_122cunn_SoftMaxForwardRegIN3c108BFloat16EfS4_NS1_25LogSoftMaxForwardEpilogueElLi5EEEvPT1_PKT_T3_.has_dyn_sized_stack, 0
	.set _ZN2at6native12_GLOBAL__N_122cunn_SoftMaxForwardRegIN3c108BFloat16EfS4_NS1_25LogSoftMaxForwardEpilogueElLi5EEEvPT1_PKT_T3_.has_recursion, 0
	.set _ZN2at6native12_GLOBAL__N_122cunn_SoftMaxForwardRegIN3c108BFloat16EfS4_NS1_25LogSoftMaxForwardEpilogueElLi5EEEvPT1_PKT_T3_.has_indirect_call, 0
	.section	.AMDGPU.csdata,"",@progbits
; Kernel info:
; codeLenInByte = 2408
; TotalNumSgprs: 18
; NumVgprs: 31
; ScratchSize: 0
; MemoryBound: 0
; FloatMode: 240
; IeeeMode: 1
; LDSByteSize: 0 bytes/workgroup (compile time only)
; SGPRBlocks: 0
; VGPRBlocks: 3
; NumSGPRsForWavesPerEU: 18
; NumVGPRsForWavesPerEU: 31
; Occupancy: 16
; WaveLimiterHint : 0
; COMPUTE_PGM_RSRC2:SCRATCH_EN: 0
; COMPUTE_PGM_RSRC2:USER_SGPR: 6
; COMPUTE_PGM_RSRC2:TRAP_HANDLER: 0
; COMPUTE_PGM_RSRC2:TGID_X_EN: 1
; COMPUTE_PGM_RSRC2:TGID_Y_EN: 0
; COMPUTE_PGM_RSRC2:TGID_Z_EN: 0
; COMPUTE_PGM_RSRC2:TIDIG_COMP_CNT: 0
	.section	.text._ZN2at6native12_GLOBAL__N_122cunn_SoftMaxForwardRegIN3c108BFloat16EfS4_NS1_25LogSoftMaxForwardEpilogueElLi6EEEvPT1_PKT_T3_,"axG",@progbits,_ZN2at6native12_GLOBAL__N_122cunn_SoftMaxForwardRegIN3c108BFloat16EfS4_NS1_25LogSoftMaxForwardEpilogueElLi6EEEvPT1_PKT_T3_,comdat
	.globl	_ZN2at6native12_GLOBAL__N_122cunn_SoftMaxForwardRegIN3c108BFloat16EfS4_NS1_25LogSoftMaxForwardEpilogueElLi6EEEvPT1_PKT_T3_ ; -- Begin function _ZN2at6native12_GLOBAL__N_122cunn_SoftMaxForwardRegIN3c108BFloat16EfS4_NS1_25LogSoftMaxForwardEpilogueElLi6EEEvPT1_PKT_T3_
	.p2align	8
	.type	_ZN2at6native12_GLOBAL__N_122cunn_SoftMaxForwardRegIN3c108BFloat16EfS4_NS1_25LogSoftMaxForwardEpilogueElLi6EEEvPT1_PKT_T3_,@function
_ZN2at6native12_GLOBAL__N_122cunn_SoftMaxForwardRegIN3c108BFloat16EfS4_NS1_25LogSoftMaxForwardEpilogueElLi6EEEvPT1_PKT_T3_: ; @_ZN2at6native12_GLOBAL__N_122cunn_SoftMaxForwardRegIN3c108BFloat16EfS4_NS1_25LogSoftMaxForwardEpilogueElLi6EEEvPT1_PKT_T3_
; %bb.0:
	s_clause 0x2
	s_load_dwordx2 s[8:9], s[4:5], 0x10
	s_load_dwordx4 s[12:15], s[4:5], 0x0
	s_load_dword s0, s[4:5], 0x24
	v_mov_b32_e32 v2, 0
	v_mov_b32_e32 v12, 0xff7fffff
	v_lshlrev_b32_e32 v7, 1, v0
	v_mov_b32_e32 v15, 0
	v_mov_b32_e32 v1, v2
	s_waitcnt lgkmcnt(0)
	s_mul_i32 s1, s9, s6
	s_mul_hi_u32 s3, s8, s6
	s_mul_i32 s2, s8, s6
	s_add_i32 s3, s3, s1
	v_cmp_gt_i64_e32 vcc_lo, s[8:9], v[0:1]
	s_lshl_b64 s[10:11], s[2:3], 1
	s_add_u32 s6, s14, s10
	s_addc_u32 s7, s15, s11
	s_and_saveexec_b32 s1, vcc_lo
	s_cbranch_execz .LBB160_2
; %bb.1:
	global_load_ushort v1, v7, s[6:7]
	s_waitcnt vmcnt(0)
	v_lshlrev_b32_e32 v15, 16, v1
	v_max_f32_e32 v1, v15, v15
	v_max_f32_e32 v12, 0xff7fffff, v1
.LBB160_2:
	s_or_b32 exec_lo, exec_lo, s1
	s_and_b32 s14, 0xffff, s0
	v_add_nc_u32_e32 v1, s14, v0
	v_cmp_gt_i64_e64 s0, s[8:9], v[1:2]
	v_lshlrev_b32_e32 v8, 1, v1
	s_and_saveexec_b32 s1, s0
	s_cbranch_execz .LBB160_4
; %bb.3:
	global_load_ushort v2, v8, s[6:7]
	v_max_f32_e32 v4, v12, v12
	s_waitcnt vmcnt(0)
	v_lshlrev_b32_e32 v2, 16, v2
	v_max_f32_e32 v3, v2, v2
	v_max_f32_e32 v12, v4, v3
.LBB160_4:
	s_or_b32 exec_lo, exec_lo, s1
	v_add_nc_u32_e32 v3, s14, v1
	v_mov_b32_e32 v4, 0
	v_lshlrev_b32_e32 v1, 1, v3
	v_cmp_gt_i64_e64 s1, s[8:9], v[3:4]
	v_mov_b32_e32 v20, v4
	s_and_saveexec_b32 s2, s1
	s_cbranch_execz .LBB160_6
; %bb.5:
	global_load_ushort v5, v1, s[6:7]
	v_max_f32_e32 v6, v12, v12
	s_waitcnt vmcnt(0)
	v_lshlrev_b32_e32 v20, 16, v5
	v_max_f32_e32 v5, v20, v20
	v_max_f32_e32 v12, v6, v5
.LBB160_6:
	s_or_b32 exec_lo, exec_lo, s2
	v_add_nc_u32_e32 v3, s14, v3
	v_cmp_gt_i64_e64 s2, s[8:9], v[3:4]
	v_lshlrev_b32_e32 v9, 1, v3
	s_and_saveexec_b32 s3, s2
	s_cbranch_execz .LBB160_8
; %bb.7:
	global_load_ushort v4, v9, s[6:7]
	v_max_f32_e32 v6, v12, v12
	s_waitcnt vmcnt(0)
	v_lshlrev_b32_e32 v4, 16, v4
	v_max_f32_e32 v5, v4, v4
	v_max_f32_e32 v12, v6, v5
.LBB160_8:
	s_or_b32 exec_lo, exec_lo, s3
	v_add_nc_u32_e32 v5, s14, v3
	v_mov_b32_e32 v6, 0
	v_lshlrev_b32_e32 v3, 1, v5
	v_cmp_gt_i64_e64 s3, s[8:9], v[5:6]
	v_mov_b32_e32 v22, v6
	s_and_saveexec_b32 s4, s3
	s_cbranch_execz .LBB160_10
; %bb.9:
	global_load_ushort v10, v3, s[6:7]
	v_max_f32_e32 v11, v12, v12
	s_waitcnt vmcnt(0)
	v_lshlrev_b32_e32 v22, 16, v10
	v_max_f32_e32 v10, v22, v22
	v_max_f32_e32 v12, v11, v10
.LBB160_10:
	s_or_b32 exec_lo, exec_lo, s4
	v_add_nc_u32_e32 v5, s14, v5
	v_cmp_gt_i64_e64 s4, s[8:9], v[5:6]
	v_lshlrev_b32_e32 v5, 1, v5
	s_and_saveexec_b32 s5, s4
	s_cbranch_execz .LBB160_12
; %bb.11:
	global_load_ushort v6, v5, s[6:7]
	v_max_f32_e32 v11, v12, v12
	s_waitcnt vmcnt(0)
	v_lshlrev_b32_e32 v6, 16, v6
	v_max_f32_e32 v10, v6, v6
	v_max_f32_e32 v12, v11, v10
.LBB160_12:
	s_or_b32 exec_lo, exec_lo, s5
	v_mbcnt_lo_u32_b32 v14, -1, 0
	v_lshrrev_b32_e32 v18, 3, v0
	s_barrier
	buffer_gl0_inv
	v_lshl_or_b32 v10, v14, 2, 64
	v_cmp_gt_u32_e64 s5, 24, v14
	ds_bpermute_b32 v13, v10, v12
	v_cndmask_b32_e64 v11, 0, 8, s5
	v_add_lshl_u32 v11, v11, v14, 2
	s_waitcnt lgkmcnt(0)
	v_cmp_lt_f32_e64 s5, v12, v13
	v_cndmask_b32_e64 v13, v12, v13, s5
	v_cmp_gt_u32_e64 s5, 28, v14
	ds_bpermute_b32 v16, v11, v13
	v_cndmask_b32_e64 v12, 0, 4, s5
	v_add_lshl_u32 v12, v12, v14, 2
	s_waitcnt lgkmcnt(0)
	v_cmp_lt_f32_e64 s5, v13, v16
	v_cndmask_b32_e64 v16, v13, v16, s5
	;; [unrolled: 7-line block ×3, first 2 shown]
	v_cmp_ne_u32_e64 s5, 31, v14
	ds_bpermute_b32 v17, v13, v16
	v_add_co_ci_u32_e64 v14, null, 0, v14, s5
	v_lshlrev_b32_e32 v14, 2, v14
	s_waitcnt lgkmcnt(0)
	v_cmp_lt_f32_e64 s5, v16, v17
	v_cndmask_b32_e64 v16, v16, v17, s5
	v_and_b32_e32 v17, 31, v0
	ds_bpermute_b32 v19, v14, v16
	v_cmp_eq_u32_e64 s5, 0, v17
	s_and_saveexec_b32 s6, s5
	s_xor_b32 s7, exec_lo, s6
	s_cbranch_execz .LBB160_14
; %bb.13:
	s_waitcnt lgkmcnt(0)
	v_cmp_lt_f32_e64 s6, v16, v19
	v_add_nc_u32_e32 v21, 0, v18
	v_cndmask_b32_e64 v16, v16, v19, s6
	ds_write_b32 v21, v16
.LBB160_14:
	s_or_b32 exec_lo, exec_lo, s7
	s_lshr_b32 s6, s14, 5
	v_mov_b32_e32 v16, 0xff7fffff
	v_cmp_gt_u32_e64 s6, s6, v0
	s_waitcnt lgkmcnt(0)
	v_lshl_add_u32 v19, v17, 2, 0
	s_barrier
	buffer_gl0_inv
	s_and_saveexec_b32 s7, s6
	s_cbranch_execnz .LBB160_31
; %bb.15:
	s_or_b32 exec_lo, exec_lo, s7
	v_cmp_gt_u32_e64 s7, 32, v0
	s_and_saveexec_b32 s9, s7
	s_cbranch_execnz .LBB160_32
.LBB160_16:
	s_or_b32 exec_lo, exec_lo, s9
	v_cmp_eq_u32_e64 s8, 0, v0
	s_and_saveexec_b32 s9, s8
	s_cbranch_execz .LBB160_18
.LBB160_17:
	v_mov_b32_e32 v0, 0
	s_waitcnt lgkmcnt(0)
	ds_write_b32 v0, v16
.LBB160_18:
	s_or_b32 exec_lo, exec_lo, s9
	v_mov_b32_e32 v21, 0
	s_waitcnt lgkmcnt(0)
	s_barrier
	buffer_gl0_inv
	ds_read_b32 v0, v21
	s_waitcnt lgkmcnt(0)
	s_barrier
	buffer_gl0_inv
	v_sub_f32_e32 v17, v15, v0
	v_sub_f32_e32 v16, v2, v0
	;; [unrolled: 1-line block ×6, first 2 shown]
	v_mul_f32_e32 v6, 0x3fb8aa3b, v17
	v_mul_f32_e32 v20, 0x3fb8aa3b, v16
	;; [unrolled: 1-line block ×4, first 2 shown]
	v_cmp_ngt_f32_e64 s9, 0xc2ce8ed0, v17
	v_fma_f32 v26, 0x3fb8aa3b, v17, -v6
	v_rndne_f32_e32 v27, v6
	v_fma_f32 v28, 0x3fb8aa3b, v16, -v20
	v_rndne_f32_e32 v29, v20
	v_fma_f32 v30, 0x3fb8aa3b, v15, -v22
	v_fmac_f32_e32 v26, 0x32a5705f, v17
	v_sub_f32_e32 v6, v6, v27
	v_fmac_f32_e32 v28, 0x32a5705f, v16
	v_sub_f32_e32 v20, v20, v29
	v_rndne_f32_e32 v31, v22
	v_cvt_i32_f32_e32 v27, v27
	v_add_f32_e32 v6, v6, v26
	v_fmac_f32_e32 v30, 0x32a5705f, v15
	v_add_f32_e32 v20, v20, v28
	v_cvt_i32_f32_e32 v28, v29
	v_sub_f32_e32 v22, v22, v31
	v_exp_f32_e32 v6, v6
	v_fma_f32 v32, 0x3fb8aa3b, v4, -v23
	v_exp_f32_e32 v20, v20
	v_rndne_f32_e32 v33, v23
	v_add_f32_e32 v22, v22, v30
	v_mul_f32_e32 v24, 0x3fb8aa3b, v2
	v_fmac_f32_e32 v32, 0x32a5705f, v4
	v_cvt_i32_f32_e32 v29, v31
	v_sub_f32_e32 v23, v23, v33
	v_exp_f32_e32 v22, v22
	v_ldexp_f32 v6, v6, v27
	v_fma_f32 v34, 0x3fb8aa3b, v2, -v24
	v_ldexp_f32 v20, v20, v28
	v_rndne_f32_e32 v35, v24
	v_add_f32_e32 v23, v23, v32
	v_cndmask_b32_e64 v6, 0, v6, s9
	v_cmp_ngt_f32_e64 s9, 0xc2ce8ed0, v16
	v_mul_f32_e32 v25, 0x3fb8aa3b, v0
	v_fmac_f32_e32 v34, 0x32a5705f, v2
	v_sub_f32_e32 v24, v24, v35
	v_exp_f32_e32 v23, v23
	v_cndmask_b32_e64 v20, 0, v20, s9
	v_cmp_nlt_f32_e64 s9, 0x42b17218, v17
	v_ldexp_f32 v22, v22, v29
	v_fma_f32 v36, 0x3fb8aa3b, v0, -v25
	v_rndne_f32_e32 v26, v25
	v_cvt_i32_f32_e32 v30, v33
	v_cndmask_b32_e64 v6, 0x7f800000, v6, s9
	v_cmp_nlt_f32_e64 s9, 0x42b17218, v16
	v_add_f32_e32 v24, v24, v34
	v_fmac_f32_e32 v36, 0x32a5705f, v0
	v_ldexp_f32 v23, v23, v30
	v_cndmask_b32_e32 v6, 0, v6, vcc_lo
	v_cndmask_b32_e64 v20, 0x7f800000, v20, s9
	v_cmp_ngt_f32_e64 s9, 0xc2ce8ed0, v15
	v_exp_f32_e32 v24, v24
	v_add_f32_e32 v20, v6, v20
	v_cndmask_b32_e64 v22, 0, v22, s9
	v_cmp_nlt_f32_e64 s9, 0x42b17218, v15
	v_cndmask_b32_e64 v6, v6, v20, s0
	v_sub_f32_e32 v20, v25, v26
	v_cndmask_b32_e64 v22, 0x7f800000, v22, s9
	v_cmp_ngt_f32_e64 s9, 0xc2ce8ed0, v4
	v_cvt_i32_f32_e32 v25, v35
	v_add_f32_e32 v20, v20, v36
	v_add_f32_e32 v22, v6, v22
	v_cndmask_b32_e64 v23, 0, v23, s9
	v_cmp_nlt_f32_e64 s9, 0x42b17218, v4
	v_ldexp_f32 v24, v24, v25
	v_exp_f32_e32 v20, v20
	v_cndmask_b32_e64 v6, v6, v22, s1
	v_cndmask_b32_e64 v23, 0x7f800000, v23, s9
	v_cmp_ngt_f32_e64 s9, 0xc2ce8ed0, v2
	v_add_f32_e32 v23, v6, v23
	v_cndmask_b32_e64 v22, 0, v24, s9
	v_cvt_i32_f32_e32 v24, v26
	v_cmp_nlt_f32_e64 s9, 0x42b17218, v2
	v_cndmask_b32_e64 v6, v6, v23, s2
	v_ldexp_f32 v20, v20, v24
	v_cndmask_b32_e64 v22, 0x7f800000, v22, s9
	v_cmp_ngt_f32_e64 s9, 0xc2ce8ed0, v0
	v_add_f32_e32 v22, v6, v22
	v_cndmask_b32_e64 v20, 0, v20, s9
	v_cmp_nlt_f32_e64 s9, 0x42b17218, v0
	v_cndmask_b32_e64 v6, v6, v22, s3
	v_cndmask_b32_e64 v20, 0x7f800000, v20, s9
	v_add_f32_e32 v20, v6, v20
	v_cndmask_b32_e64 v6, v6, v20, s4
	ds_bpermute_b32 v20, v10, v6
	s_waitcnt lgkmcnt(0)
	v_add_f32_e32 v6, v6, v20
	ds_bpermute_b32 v20, v11, v6
	s_waitcnt lgkmcnt(0)
	v_add_f32_e32 v6, v6, v20
	;; [unrolled: 3-line block ×4, first 2 shown]
	ds_bpermute_b32 v20, v14, v6
	s_and_saveexec_b32 s9, s5
	s_cbranch_execz .LBB160_20
; %bb.19:
	v_add_nc_u32_e32 v18, 0, v18
	s_waitcnt lgkmcnt(0)
	v_add_f32_e32 v6, v6, v20
	ds_write_b32 v18, v6
.LBB160_20:
	s_or_b32 exec_lo, exec_lo, s9
	s_waitcnt lgkmcnt(0)
	s_barrier
	buffer_gl0_inv
	s_and_saveexec_b32 s5, s6
	s_cbranch_execnz .LBB160_33
; %bb.21:
	s_or_b32 exec_lo, exec_lo, s5
	s_and_saveexec_b32 s5, s7
	s_cbranch_execnz .LBB160_34
.LBB160_22:
	s_or_b32 exec_lo, exec_lo, s5
	s_and_saveexec_b32 s5, s8
	s_cbranch_execz .LBB160_24
.LBB160_23:
	v_mov_b32_e32 v6, 0
	s_waitcnt lgkmcnt(0)
	ds_write_b32 v6, v21
.LBB160_24:
	s_or_b32 exec_lo, exec_lo, s5
	v_mov_b32_e32 v6, 0
	s_waitcnt lgkmcnt(0)
	s_barrier
	buffer_gl0_inv
	s_add_u32 s6, s12, s10
	ds_read_b32 v6, v6
	s_addc_u32 s7, s13, s11
	s_waitcnt lgkmcnt(0)
	v_cmp_gt_f32_e64 s5, 0x800000, v6
	v_cndmask_b32_e64 v10, 0, 0x41b17218, s5
	s_and_b32 s5, s5, exec_lo
	s_cselect_b32 s5, 32, 0
	v_ldexp_f32 v6, v6, s5
	v_log_f32_e32 v6, v6
	v_mul_f32_e32 v11, 0x3f317217, v6
	v_cmp_gt_f32_e64 s5, 0x7f800000, |v6|
	v_fma_f32 v11, 0x3f317217, v6, -v11
	v_fmamk_f32 v11, v6, 0x3377d1cf, v11
	v_fmac_f32_e32 v11, 0x3f317217, v6
	v_cndmask_b32_e64 v6, v6, v11, s5
	v_sub_f32_e32 v6, v6, v10
	s_and_saveexec_b32 s5, vcc_lo
	s_cbranch_execnz .LBB160_35
; %bb.25:
	s_or_b32 exec_lo, exec_lo, s5
	s_and_saveexec_b32 s5, s0
	s_cbranch_execnz .LBB160_36
.LBB160_26:
	s_or_b32 exec_lo, exec_lo, s5
	s_and_saveexec_b32 s0, s1
	s_cbranch_execnz .LBB160_37
.LBB160_27:
	s_or_b32 exec_lo, exec_lo, s0
	s_and_saveexec_b32 s0, s2
	s_cbranch_execnz .LBB160_38
.LBB160_28:
	s_or_b32 exec_lo, exec_lo, s0
	s_and_saveexec_b32 s0, s3
	s_cbranch_execnz .LBB160_39
.LBB160_29:
	s_or_b32 exec_lo, exec_lo, s0
	s_and_saveexec_b32 s0, s4
	s_cbranch_execnz .LBB160_40
.LBB160_30:
	s_endpgm
.LBB160_31:
	ds_read_b32 v16, v19
	s_or_b32 exec_lo, exec_lo, s7
	v_cmp_gt_u32_e64 s7, 32, v0
	s_and_saveexec_b32 s9, s7
	s_cbranch_execz .LBB160_16
.LBB160_32:
	s_waitcnt lgkmcnt(0)
	ds_bpermute_b32 v17, v10, v16
	s_waitcnt lgkmcnt(0)
	v_cmp_lt_f32_e64 s8, v16, v17
	v_cndmask_b32_e64 v16, v16, v17, s8
	ds_bpermute_b32 v17, v11, v16
	s_waitcnt lgkmcnt(0)
	v_cmp_lt_f32_e64 s8, v16, v17
	v_cndmask_b32_e64 v16, v16, v17, s8
	;; [unrolled: 4-line block ×5, first 2 shown]
	s_or_b32 exec_lo, exec_lo, s9
	v_cmp_eq_u32_e64 s8, 0, v0
	s_and_saveexec_b32 s9, s8
	s_cbranch_execnz .LBB160_17
	s_branch .LBB160_18
.LBB160_33:
	ds_read_b32 v21, v19
	s_or_b32 exec_lo, exec_lo, s5
	s_and_saveexec_b32 s5, s7
	s_cbranch_execz .LBB160_22
.LBB160_34:
	s_waitcnt lgkmcnt(0)
	ds_bpermute_b32 v6, v10, v21
	s_waitcnt lgkmcnt(0)
	v_add_f32_e32 v6, v21, v6
	ds_bpermute_b32 v10, v11, v6
	s_waitcnt lgkmcnt(0)
	v_add_f32_e32 v6, v6, v10
	;; [unrolled: 3-line block ×5, first 2 shown]
	s_or_b32 exec_lo, exec_lo, s5
	s_and_saveexec_b32 s5, s8
	s_cbranch_execnz .LBB160_23
	s_branch .LBB160_24
.LBB160_35:
	v_sub_f32_e32 v10, v17, v6
	v_bfe_u32 v11, v10, 16, 1
	v_cmp_o_f32_e32 vcc_lo, v10, v10
	v_add3_u32 v10, v10, v11, 0x7fff
	v_mov_b32_e32 v11, 0x7fc0
	v_cndmask_b32_sdwa v10, v11, v10, vcc_lo dst_sel:DWORD dst_unused:UNUSED_PAD src0_sel:DWORD src1_sel:WORD_1
	global_store_short v7, v10, s[6:7]
	s_or_b32 exec_lo, exec_lo, s5
	s_and_saveexec_b32 s5, s0
	s_cbranch_execz .LBB160_26
.LBB160_36:
	v_sub_f32_e32 v7, v16, v6
	v_bfe_u32 v10, v7, 16, 1
	v_cmp_o_f32_e32 vcc_lo, v7, v7
	v_add3_u32 v7, v7, v10, 0x7fff
	v_mov_b32_e32 v10, 0x7fc0
	v_cndmask_b32_sdwa v7, v10, v7, vcc_lo dst_sel:DWORD dst_unused:UNUSED_PAD src0_sel:DWORD src1_sel:WORD_1
	global_store_short v8, v7, s[6:7]
	s_or_b32 exec_lo, exec_lo, s5
	s_and_saveexec_b32 s0, s1
	s_cbranch_execz .LBB160_27
.LBB160_37:
	v_sub_f32_e32 v7, v15, v6
	v_bfe_u32 v8, v7, 16, 1
	v_cmp_o_f32_e32 vcc_lo, v7, v7
	v_add3_u32 v7, v7, v8, 0x7fff
	v_mov_b32_e32 v8, 0x7fc0
	v_cndmask_b32_sdwa v7, v8, v7, vcc_lo dst_sel:DWORD dst_unused:UNUSED_PAD src0_sel:DWORD src1_sel:WORD_1
	global_store_short v1, v7, s[6:7]
	s_or_b32 exec_lo, exec_lo, s0
	s_and_saveexec_b32 s0, s2
	s_cbranch_execz .LBB160_28
.LBB160_38:
	v_sub_f32_e32 v1, v4, v6
	v_bfe_u32 v4, v1, 16, 1
	v_cmp_o_f32_e32 vcc_lo, v1, v1
	v_add3_u32 v1, v1, v4, 0x7fff
	v_mov_b32_e32 v4, 0x7fc0
	v_cndmask_b32_sdwa v1, v4, v1, vcc_lo dst_sel:DWORD dst_unused:UNUSED_PAD src0_sel:DWORD src1_sel:WORD_1
	global_store_short v9, v1, s[6:7]
	s_or_b32 exec_lo, exec_lo, s0
	s_and_saveexec_b32 s0, s3
	s_cbranch_execz .LBB160_29
.LBB160_39:
	v_sub_f32_e32 v1, v2, v6
	v_bfe_u32 v2, v1, 16, 1
	v_cmp_o_f32_e32 vcc_lo, v1, v1
	v_add3_u32 v1, v1, v2, 0x7fff
	v_mov_b32_e32 v2, 0x7fc0
	v_cndmask_b32_sdwa v1, v2, v1, vcc_lo dst_sel:DWORD dst_unused:UNUSED_PAD src0_sel:DWORD src1_sel:WORD_1
	global_store_short v3, v1, s[6:7]
	s_or_b32 exec_lo, exec_lo, s0
	s_and_saveexec_b32 s0, s4
	s_cbranch_execz .LBB160_30
.LBB160_40:
	v_sub_f32_e32 v0, v0, v6
	v_bfe_u32 v1, v0, 16, 1
	v_cmp_o_f32_e32 vcc_lo, v0, v0
	v_add3_u32 v0, v0, v1, 0x7fff
	v_mov_b32_e32 v1, 0x7fc0
	v_cndmask_b32_sdwa v0, v1, v0, vcc_lo dst_sel:DWORD dst_unused:UNUSED_PAD src0_sel:DWORD src1_sel:WORD_1
	global_store_short v5, v0, s[6:7]
	s_endpgm
	.section	.rodata,"a",@progbits
	.p2align	6, 0x0
	.amdhsa_kernel _ZN2at6native12_GLOBAL__N_122cunn_SoftMaxForwardRegIN3c108BFloat16EfS4_NS1_25LogSoftMaxForwardEpilogueElLi6EEEvPT1_PKT_T3_
		.amdhsa_group_segment_fixed_size 0
		.amdhsa_private_segment_fixed_size 0
		.amdhsa_kernarg_size 280
		.amdhsa_user_sgpr_count 6
		.amdhsa_user_sgpr_private_segment_buffer 1
		.amdhsa_user_sgpr_dispatch_ptr 0
		.amdhsa_user_sgpr_queue_ptr 0
		.amdhsa_user_sgpr_kernarg_segment_ptr 1
		.amdhsa_user_sgpr_dispatch_id 0
		.amdhsa_user_sgpr_flat_scratch_init 0
		.amdhsa_user_sgpr_private_segment_size 0
		.amdhsa_wavefront_size32 1
		.amdhsa_uses_dynamic_stack 0
		.amdhsa_system_sgpr_private_segment_wavefront_offset 0
		.amdhsa_system_sgpr_workgroup_id_x 1
		.amdhsa_system_sgpr_workgroup_id_y 0
		.amdhsa_system_sgpr_workgroup_id_z 0
		.amdhsa_system_sgpr_workgroup_info 0
		.amdhsa_system_vgpr_workitem_id 0
		.amdhsa_next_free_vgpr 37
		.amdhsa_next_free_sgpr 16
		.amdhsa_reserve_vcc 1
		.amdhsa_reserve_flat_scratch 0
		.amdhsa_float_round_mode_32 0
		.amdhsa_float_round_mode_16_64 0
		.amdhsa_float_denorm_mode_32 3
		.amdhsa_float_denorm_mode_16_64 3
		.amdhsa_dx10_clamp 1
		.amdhsa_ieee_mode 1
		.amdhsa_fp16_overflow 0
		.amdhsa_workgroup_processor_mode 1
		.amdhsa_memory_ordered 1
		.amdhsa_forward_progress 1
		.amdhsa_shared_vgpr_count 0
		.amdhsa_exception_fp_ieee_invalid_op 0
		.amdhsa_exception_fp_denorm_src 0
		.amdhsa_exception_fp_ieee_div_zero 0
		.amdhsa_exception_fp_ieee_overflow 0
		.amdhsa_exception_fp_ieee_underflow 0
		.amdhsa_exception_fp_ieee_inexact 0
		.amdhsa_exception_int_div_zero 0
	.end_amdhsa_kernel
	.section	.text._ZN2at6native12_GLOBAL__N_122cunn_SoftMaxForwardRegIN3c108BFloat16EfS4_NS1_25LogSoftMaxForwardEpilogueElLi6EEEvPT1_PKT_T3_,"axG",@progbits,_ZN2at6native12_GLOBAL__N_122cunn_SoftMaxForwardRegIN3c108BFloat16EfS4_NS1_25LogSoftMaxForwardEpilogueElLi6EEEvPT1_PKT_T3_,comdat
.Lfunc_end160:
	.size	_ZN2at6native12_GLOBAL__N_122cunn_SoftMaxForwardRegIN3c108BFloat16EfS4_NS1_25LogSoftMaxForwardEpilogueElLi6EEEvPT1_PKT_T3_, .Lfunc_end160-_ZN2at6native12_GLOBAL__N_122cunn_SoftMaxForwardRegIN3c108BFloat16EfS4_NS1_25LogSoftMaxForwardEpilogueElLi6EEEvPT1_PKT_T3_
                                        ; -- End function
	.set _ZN2at6native12_GLOBAL__N_122cunn_SoftMaxForwardRegIN3c108BFloat16EfS4_NS1_25LogSoftMaxForwardEpilogueElLi6EEEvPT1_PKT_T3_.num_vgpr, 37
	.set _ZN2at6native12_GLOBAL__N_122cunn_SoftMaxForwardRegIN3c108BFloat16EfS4_NS1_25LogSoftMaxForwardEpilogueElLi6EEEvPT1_PKT_T3_.num_agpr, 0
	.set _ZN2at6native12_GLOBAL__N_122cunn_SoftMaxForwardRegIN3c108BFloat16EfS4_NS1_25LogSoftMaxForwardEpilogueElLi6EEEvPT1_PKT_T3_.numbered_sgpr, 16
	.set _ZN2at6native12_GLOBAL__N_122cunn_SoftMaxForwardRegIN3c108BFloat16EfS4_NS1_25LogSoftMaxForwardEpilogueElLi6EEEvPT1_PKT_T3_.num_named_barrier, 0
	.set _ZN2at6native12_GLOBAL__N_122cunn_SoftMaxForwardRegIN3c108BFloat16EfS4_NS1_25LogSoftMaxForwardEpilogueElLi6EEEvPT1_PKT_T3_.private_seg_size, 0
	.set _ZN2at6native12_GLOBAL__N_122cunn_SoftMaxForwardRegIN3c108BFloat16EfS4_NS1_25LogSoftMaxForwardEpilogueElLi6EEEvPT1_PKT_T3_.uses_vcc, 1
	.set _ZN2at6native12_GLOBAL__N_122cunn_SoftMaxForwardRegIN3c108BFloat16EfS4_NS1_25LogSoftMaxForwardEpilogueElLi6EEEvPT1_PKT_T3_.uses_flat_scratch, 0
	.set _ZN2at6native12_GLOBAL__N_122cunn_SoftMaxForwardRegIN3c108BFloat16EfS4_NS1_25LogSoftMaxForwardEpilogueElLi6EEEvPT1_PKT_T3_.has_dyn_sized_stack, 0
	.set _ZN2at6native12_GLOBAL__N_122cunn_SoftMaxForwardRegIN3c108BFloat16EfS4_NS1_25LogSoftMaxForwardEpilogueElLi6EEEvPT1_PKT_T3_.has_recursion, 0
	.set _ZN2at6native12_GLOBAL__N_122cunn_SoftMaxForwardRegIN3c108BFloat16EfS4_NS1_25LogSoftMaxForwardEpilogueElLi6EEEvPT1_PKT_T3_.has_indirect_call, 0
	.section	.AMDGPU.csdata,"",@progbits
; Kernel info:
; codeLenInByte = 2660
; TotalNumSgprs: 18
; NumVgprs: 37
; ScratchSize: 0
; MemoryBound: 0
; FloatMode: 240
; IeeeMode: 1
; LDSByteSize: 0 bytes/workgroup (compile time only)
; SGPRBlocks: 0
; VGPRBlocks: 4
; NumSGPRsForWavesPerEU: 18
; NumVGPRsForWavesPerEU: 37
; Occupancy: 16
; WaveLimiterHint : 0
; COMPUTE_PGM_RSRC2:SCRATCH_EN: 0
; COMPUTE_PGM_RSRC2:USER_SGPR: 6
; COMPUTE_PGM_RSRC2:TRAP_HANDLER: 0
; COMPUTE_PGM_RSRC2:TGID_X_EN: 1
; COMPUTE_PGM_RSRC2:TGID_Y_EN: 0
; COMPUTE_PGM_RSRC2:TGID_Z_EN: 0
; COMPUTE_PGM_RSRC2:TIDIG_COMP_CNT: 0
	.section	.text._ZN2at6native12_GLOBAL__N_122cunn_SoftMaxForwardRegIN3c108BFloat16EfS4_NS1_25LogSoftMaxForwardEpilogueElLi7EEEvPT1_PKT_T3_,"axG",@progbits,_ZN2at6native12_GLOBAL__N_122cunn_SoftMaxForwardRegIN3c108BFloat16EfS4_NS1_25LogSoftMaxForwardEpilogueElLi7EEEvPT1_PKT_T3_,comdat
	.globl	_ZN2at6native12_GLOBAL__N_122cunn_SoftMaxForwardRegIN3c108BFloat16EfS4_NS1_25LogSoftMaxForwardEpilogueElLi7EEEvPT1_PKT_T3_ ; -- Begin function _ZN2at6native12_GLOBAL__N_122cunn_SoftMaxForwardRegIN3c108BFloat16EfS4_NS1_25LogSoftMaxForwardEpilogueElLi7EEEvPT1_PKT_T3_
	.p2align	8
	.type	_ZN2at6native12_GLOBAL__N_122cunn_SoftMaxForwardRegIN3c108BFloat16EfS4_NS1_25LogSoftMaxForwardEpilogueElLi7EEEvPT1_PKT_T3_,@function
_ZN2at6native12_GLOBAL__N_122cunn_SoftMaxForwardRegIN3c108BFloat16EfS4_NS1_25LogSoftMaxForwardEpilogueElLi7EEEvPT1_PKT_T3_: ; @_ZN2at6native12_GLOBAL__N_122cunn_SoftMaxForwardRegIN3c108BFloat16EfS4_NS1_25LogSoftMaxForwardEpilogueElLi7EEEvPT1_PKT_T3_
; %bb.0:
	s_clause 0x2
	s_load_dwordx2 s[8:9], s[4:5], 0x10
	s_load_dwordx4 s[12:15], s[4:5], 0x0
	s_load_dword s0, s[4:5], 0x24
	v_mov_b32_e32 v2, 0
	v_mov_b32_e32 v14, 0xff7fffff
	v_lshlrev_b32_e32 v9, 1, v0
	v_mov_b32_e32 v17, 0
	v_mov_b32_e32 v1, v2
	s_waitcnt lgkmcnt(0)
	s_mul_i32 s1, s9, s6
	s_mul_hi_u32 s3, s8, s6
	s_mul_i32 s2, s8, s6
	s_add_i32 s3, s3, s1
	v_cmp_gt_i64_e32 vcc_lo, s[8:9], v[0:1]
	s_lshl_b64 s[16:17], s[2:3], 1
	s_add_u32 s6, s14, s16
	s_addc_u32 s7, s15, s17
	s_and_saveexec_b32 s1, vcc_lo
	s_cbranch_execz .LBB161_2
; %bb.1:
	global_load_ushort v1, v9, s[6:7]
	s_waitcnt vmcnt(0)
	v_lshlrev_b32_e32 v17, 16, v1
	v_max_f32_e32 v1, v17, v17
	v_max_f32_e32 v14, 0xff7fffff, v1
.LBB161_2:
	s_or_b32 exec_lo, exec_lo, s1
	s_and_b32 s10, 0xffff, s0
	v_add_nc_u32_e32 v1, s10, v0
	v_cmp_gt_i64_e64 s0, s[8:9], v[1:2]
	v_lshlrev_b32_e32 v10, 1, v1
	s_and_saveexec_b32 s1, s0
	s_cbranch_execz .LBB161_4
; %bb.3:
	global_load_ushort v2, v10, s[6:7]
	v_max_f32_e32 v4, v14, v14
	s_waitcnt vmcnt(0)
	v_lshlrev_b32_e32 v2, 16, v2
	v_max_f32_e32 v3, v2, v2
	v_max_f32_e32 v14, v4, v3
.LBB161_4:
	s_or_b32 exec_lo, exec_lo, s1
	v_add_nc_u32_e32 v3, s10, v1
	v_mov_b32_e32 v4, 0
	v_lshlrev_b32_e32 v1, 1, v3
	v_cmp_gt_i64_e64 s1, s[8:9], v[3:4]
	v_mov_b32_e32 v18, v4
	s_and_saveexec_b32 s2, s1
	s_cbranch_execz .LBB161_6
; %bb.5:
	global_load_ushort v5, v1, s[6:7]
	v_max_f32_e32 v6, v14, v14
	s_waitcnt vmcnt(0)
	v_lshlrev_b32_e32 v18, 16, v5
	v_max_f32_e32 v5, v18, v18
	v_max_f32_e32 v14, v6, v5
.LBB161_6:
	s_or_b32 exec_lo, exec_lo, s2
	v_add_nc_u32_e32 v3, s10, v3
	v_cmp_gt_i64_e64 s2, s[8:9], v[3:4]
	v_lshlrev_b32_e32 v11, 1, v3
	s_and_saveexec_b32 s3, s2
	s_cbranch_execz .LBB161_8
; %bb.7:
	global_load_ushort v4, v11, s[6:7]
	v_max_f32_e32 v6, v14, v14
	s_waitcnt vmcnt(0)
	v_lshlrev_b32_e32 v4, 16, v4
	v_max_f32_e32 v5, v4, v4
	v_max_f32_e32 v14, v6, v5
.LBB161_8:
	s_or_b32 exec_lo, exec_lo, s3
	v_add_nc_u32_e32 v5, s10, v3
	v_mov_b32_e32 v6, 0
	v_lshlrev_b32_e32 v3, 1, v5
	v_cmp_gt_i64_e64 s3, s[8:9], v[5:6]
	v_mov_b32_e32 v24, v6
	s_and_saveexec_b32 s4, s3
	s_cbranch_execz .LBB161_10
; %bb.9:
	global_load_ushort v7, v3, s[6:7]
	v_max_f32_e32 v8, v14, v14
	s_waitcnt vmcnt(0)
	v_lshlrev_b32_e32 v24, 16, v7
	v_max_f32_e32 v7, v24, v24
	v_max_f32_e32 v14, v8, v7
.LBB161_10:
	s_or_b32 exec_lo, exec_lo, s4
	v_add_nc_u32_e32 v5, s10, v5
	v_cmp_gt_i64_e64 s4, s[8:9], v[5:6]
	v_lshlrev_b32_e32 v12, 1, v5
	s_and_saveexec_b32 s5, s4
	s_cbranch_execz .LBB161_12
; %bb.11:
	global_load_ushort v6, v12, s[6:7]
	v_max_f32_e32 v8, v14, v14
	s_waitcnt vmcnt(0)
	v_lshlrev_b32_e32 v6, 16, v6
	v_max_f32_e32 v7, v6, v6
	v_max_f32_e32 v14, v8, v7
.LBB161_12:
	s_or_b32 exec_lo, exec_lo, s5
	v_add_nc_u32_e32 v7, s10, v5
	v_mov_b32_e32 v8, 0
	v_lshlrev_b32_e32 v5, 1, v7
	v_cmp_gt_i64_e64 s5, s[8:9], v[7:8]
	s_and_saveexec_b32 s8, s5
	s_cbranch_execz .LBB161_14
; %bb.13:
	global_load_ushort v7, v5, s[6:7]
	v_max_f32_e32 v13, v14, v14
	s_waitcnt vmcnt(0)
	v_lshlrev_b32_e32 v8, 16, v7
	v_max_f32_e32 v7, v8, v8
	v_max_f32_e32 v14, v13, v7
.LBB161_14:
	s_or_b32 exec_lo, exec_lo, s8
	v_mbcnt_lo_u32_b32 v16, -1, 0
	v_lshrrev_b32_e32 v21, 3, v0
	s_barrier
	buffer_gl0_inv
	v_lshl_or_b32 v7, v16, 2, 64
	v_cmp_gt_u32_e64 s6, 24, v16
	ds_bpermute_b32 v15, v7, v14
	v_cndmask_b32_e64 v13, 0, 8, s6
	v_add_lshl_u32 v13, v13, v16, 2
	s_waitcnt lgkmcnt(0)
	v_cmp_lt_f32_e64 s6, v14, v15
	v_cndmask_b32_e64 v15, v14, v15, s6
	v_cmp_gt_u32_e64 s6, 28, v16
	ds_bpermute_b32 v19, v13, v15
	v_cndmask_b32_e64 v14, 0, 4, s6
	v_add_lshl_u32 v14, v14, v16, 2
	s_waitcnt lgkmcnt(0)
	v_cmp_lt_f32_e64 s6, v15, v19
	v_cndmask_b32_e64 v19, v15, v19, s6
	;; [unrolled: 7-line block ×3, first 2 shown]
	v_cmp_ne_u32_e64 s6, 31, v16
	ds_bpermute_b32 v20, v15, v19
	v_add_co_ci_u32_e64 v16, null, 0, v16, s6
	v_lshlrev_b32_e32 v16, 2, v16
	s_waitcnt lgkmcnt(0)
	v_cmp_lt_f32_e64 s6, v19, v20
	v_cndmask_b32_e64 v19, v19, v20, s6
	v_and_b32_e32 v20, 31, v0
	ds_bpermute_b32 v22, v16, v19
	v_cmp_eq_u32_e64 s6, 0, v20
	s_and_saveexec_b32 s7, s6
	s_xor_b32 s8, exec_lo, s7
	s_cbranch_execz .LBB161_16
; %bb.15:
	s_waitcnt lgkmcnt(0)
	v_cmp_lt_f32_e64 s7, v19, v22
	v_add_nc_u32_e32 v23, 0, v21
	v_cndmask_b32_e64 v19, v19, v22, s7
	ds_write_b32 v23, v19
.LBB161_16:
	s_or_b32 exec_lo, exec_lo, s8
	s_lshr_b32 s7, s10, 5
	v_mov_b32_e32 v19, 0xff7fffff
	v_cmp_gt_u32_e64 s7, s7, v0
	s_waitcnt lgkmcnt(0)
	v_lshl_add_u32 v22, v20, 2, 0
	s_barrier
	buffer_gl0_inv
	s_and_saveexec_b32 s8, s7
	s_cbranch_execnz .LBB161_34
; %bb.17:
	s_or_b32 exec_lo, exec_lo, s8
	v_cmp_gt_u32_e64 s8, 32, v0
	s_and_saveexec_b32 s10, s8
	s_cbranch_execnz .LBB161_35
.LBB161_18:
	s_or_b32 exec_lo, exec_lo, s10
	v_cmp_eq_u32_e64 s9, 0, v0
	s_and_saveexec_b32 s10, s9
	s_cbranch_execz .LBB161_20
.LBB161_19:
	v_mov_b32_e32 v0, 0
	s_waitcnt lgkmcnt(0)
	ds_write_b32 v0, v19
.LBB161_20:
	s_or_b32 exec_lo, exec_lo, s10
	v_mov_b32_e32 v23, 0
	s_waitcnt lgkmcnt(0)
	s_barrier
	buffer_gl0_inv
	ds_read_b32 v0, v23
	s_waitcnt lgkmcnt(0)
	s_barrier
	buffer_gl0_inv
	v_sub_f32_e32 v20, v17, v0
	v_sub_f32_e32 v19, v2, v0
	;; [unrolled: 1-line block ×5, first 2 shown]
	v_mul_f32_e32 v6, 0x3fb8aa3b, v20
	v_sub_f32_e32 v4, v24, v0
	v_sub_f32_e32 v0, v8, v0
	v_mul_f32_e32 v8, 0x3fb8aa3b, v19
	v_mul_f32_e32 v24, 0x3fb8aa3b, v18
	v_fma_f32 v29, 0x3fb8aa3b, v20, -v6
	v_rndne_f32_e32 v30, v6
	v_mul_f32_e32 v25, 0x3fb8aa3b, v17
	v_fma_f32 v31, 0x3fb8aa3b, v19, -v8
	v_rndne_f32_e32 v32, v8
	v_fmac_f32_e32 v29, 0x32a5705f, v20
	v_sub_f32_e32 v6, v6, v30
	v_fma_f32 v33, 0x3fb8aa3b, v18, -v24
	v_fmac_f32_e32 v31, 0x32a5705f, v19
	v_sub_f32_e32 v8, v8, v32
	v_rndne_f32_e32 v34, v24
	v_add_f32_e32 v6, v6, v29
	v_cvt_i32_f32_e32 v30, v30
	v_cvt_i32_f32_e32 v29, v32
	v_add_f32_e32 v8, v8, v31
	v_fmac_f32_e32 v33, 0x32a5705f, v18
	v_exp_f32_e32 v6, v6
	v_sub_f32_e32 v24, v24, v34
	v_cmp_ngt_f32_e64 s10, 0xc2ce8ed0, v20
	v_exp_f32_e32 v8, v8
	v_fma_f32 v35, 0x3fb8aa3b, v17, -v25
	v_rndne_f32_e32 v36, v25
	v_add_f32_e32 v24, v24, v33
	v_mul_f32_e32 v26, 0x3fb8aa3b, v4
	v_cvt_i32_f32_e32 v31, v34
	v_fmac_f32_e32 v35, 0x32a5705f, v17
	v_ldexp_f32 v6, v6, v30
	v_sub_f32_e32 v25, v25, v36
	v_exp_f32_e32 v24, v24
	v_ldexp_f32 v8, v8, v29
	v_fma_f32 v37, 0x3fb8aa3b, v4, -v26
	v_cndmask_b32_e64 v6, 0, v6, s10
	v_cmp_ngt_f32_e64 s10, 0xc2ce8ed0, v19
	v_rndne_f32_e32 v38, v26
	v_add_f32_e32 v25, v25, v35
	v_mul_f32_e32 v27, 0x3fb8aa3b, v2
	v_fmac_f32_e32 v37, 0x32a5705f, v4
	v_cndmask_b32_e64 v8, 0, v8, s10
	v_cmp_nlt_f32_e64 s10, 0x42b17218, v20
	v_sub_f32_e32 v26, v26, v38
	v_exp_f32_e32 v25, v25
	v_ldexp_f32 v24, v24, v31
	v_fma_f32 v39, 0x3fb8aa3b, v2, -v27
	v_cndmask_b32_e64 v6, 0x7f800000, v6, s10
	v_cmp_nlt_f32_e64 s10, 0x42b17218, v19
	v_rndne_f32_e32 v40, v27
	v_cvt_i32_f32_e32 v32, v36
	v_add_f32_e32 v26, v26, v37
	v_cndmask_b32_e32 v6, 0, v6, vcc_lo
	v_cndmask_b32_e64 v8, 0x7f800000, v8, s10
	v_cmp_ngt_f32_e64 s10, 0xc2ce8ed0, v18
	v_mul_f32_e32 v28, 0x3fb8aa3b, v0
	v_fmac_f32_e32 v39, 0x32a5705f, v2
	v_sub_f32_e32 v27, v27, v40
	v_add_f32_e32 v8, v6, v8
	v_cndmask_b32_e64 v24, 0, v24, s10
	v_cmp_nlt_f32_e64 s10, 0x42b17218, v18
	v_exp_f32_e32 v26, v26
	v_ldexp_f32 v25, v25, v32
	v_cndmask_b32_e64 v6, v6, v8, s0
	v_fma_f32 v41, 0x3fb8aa3b, v0, -v28
	v_cndmask_b32_e64 v24, 0x7f800000, v24, s10
	v_cmp_ngt_f32_e64 s10, 0xc2ce8ed0, v17
	v_rndne_f32_e32 v42, v28
	v_cvt_i32_f32_e32 v33, v38
	v_add_f32_e32 v8, v27, v39
	v_add_f32_e32 v24, v6, v24
	v_cndmask_b32_e64 v25, 0, v25, s10
	v_cmp_nlt_f32_e64 s10, 0x42b17218, v17
	v_fmac_f32_e32 v41, 0x32a5705f, v0
	v_exp_f32_e32 v8, v8
	v_ldexp_f32 v26, v26, v33
	v_cndmask_b32_e64 v6, v6, v24, s1
	v_cndmask_b32_e64 v25, 0x7f800000, v25, s10
	v_sub_f32_e32 v24, v28, v42
	v_cmp_ngt_f32_e64 s10, 0xc2ce8ed0, v4
	v_cvt_i32_f32_e32 v27, v40
	v_add_f32_e32 v25, v6, v25
	v_add_f32_e32 v24, v24, v41
	v_cndmask_b32_e64 v26, 0, v26, s10
	v_cmp_nlt_f32_e64 s10, 0x42b17218, v4
	v_ldexp_f32 v8, v8, v27
	v_cndmask_b32_e64 v6, v6, v25, s2
	v_exp_f32_e32 v24, v24
	v_cndmask_b32_e64 v26, 0x7f800000, v26, s10
	v_cmp_ngt_f32_e64 s10, 0xc2ce8ed0, v2
	v_add_f32_e32 v25, v6, v26
	v_cndmask_b32_e64 v8, 0, v8, s10
	v_cvt_i32_f32_e32 v26, v42
	v_cmp_nlt_f32_e64 s10, 0x42b17218, v2
	v_cndmask_b32_e64 v6, v6, v25, s3
	v_ldexp_f32 v24, v24, v26
	v_cndmask_b32_e64 v8, 0x7f800000, v8, s10
	v_cmp_ngt_f32_e64 s10, 0xc2ce8ed0, v0
	v_add_f32_e32 v8, v6, v8
	v_cndmask_b32_e64 v24, 0, v24, s10
	v_cmp_nlt_f32_e64 s10, 0x42b17218, v0
	v_cndmask_b32_e64 v6, v6, v8, s4
	v_cndmask_b32_e64 v8, 0x7f800000, v24, s10
	v_add_f32_e32 v8, v6, v8
	v_cndmask_b32_e64 v6, v6, v8, s5
	ds_bpermute_b32 v8, v7, v6
	s_waitcnt lgkmcnt(0)
	v_add_f32_e32 v6, v6, v8
	ds_bpermute_b32 v8, v13, v6
	s_waitcnt lgkmcnt(0)
	v_add_f32_e32 v6, v6, v8
	;; [unrolled: 3-line block ×4, first 2 shown]
	ds_bpermute_b32 v8, v16, v6
	s_and_saveexec_b32 s10, s6
	s_cbranch_execz .LBB161_22
; %bb.21:
	v_add_nc_u32_e32 v21, 0, v21
	s_waitcnt lgkmcnt(0)
	v_add_f32_e32 v6, v6, v8
	ds_write_b32 v21, v6
.LBB161_22:
	s_or_b32 exec_lo, exec_lo, s10
	s_waitcnt lgkmcnt(0)
	s_barrier
	buffer_gl0_inv
	s_and_saveexec_b32 s6, s7
	s_cbranch_execnz .LBB161_36
; %bb.23:
	s_or_b32 exec_lo, exec_lo, s6
	s_and_saveexec_b32 s6, s8
	s_cbranch_execnz .LBB161_37
.LBB161_24:
	s_or_b32 exec_lo, exec_lo, s6
	s_and_saveexec_b32 s6, s9
	s_cbranch_execz .LBB161_26
.LBB161_25:
	v_mov_b32_e32 v6, 0
	s_waitcnt lgkmcnt(0)
	ds_write_b32 v6, v23
.LBB161_26:
	s_or_b32 exec_lo, exec_lo, s6
	v_mov_b32_e32 v6, 0
	s_waitcnt lgkmcnt(0)
	s_barrier
	buffer_gl0_inv
	s_add_u32 s8, s12, s16
	ds_read_b32 v6, v6
	s_addc_u32 s9, s13, s17
	s_waitcnt lgkmcnt(0)
	v_cmp_gt_f32_e64 s6, 0x800000, v6
	v_cndmask_b32_e64 v7, 0, 0x41b17218, s6
	s_and_b32 s6, s6, exec_lo
	s_cselect_b32 s6, 32, 0
	v_ldexp_f32 v6, v6, s6
	v_log_f32_e32 v6, v6
	v_mul_f32_e32 v8, 0x3f317217, v6
	v_cmp_gt_f32_e64 s6, 0x7f800000, |v6|
	v_fma_f32 v8, 0x3f317217, v6, -v8
	v_fmamk_f32 v8, v6, 0x3377d1cf, v8
	v_fmac_f32_e32 v8, 0x3f317217, v6
	v_cndmask_b32_e64 v6, v6, v8, s6
	v_sub_f32_e32 v6, v6, v7
	s_and_saveexec_b32 s6, vcc_lo
	s_cbranch_execnz .LBB161_38
; %bb.27:
	s_or_b32 exec_lo, exec_lo, s6
	s_and_saveexec_b32 s6, s0
	s_cbranch_execnz .LBB161_39
.LBB161_28:
	s_or_b32 exec_lo, exec_lo, s6
	s_and_saveexec_b32 s0, s1
	s_cbranch_execnz .LBB161_40
.LBB161_29:
	s_or_b32 exec_lo, exec_lo, s0
	s_and_saveexec_b32 s0, s2
	s_cbranch_execnz .LBB161_41
.LBB161_30:
	s_or_b32 exec_lo, exec_lo, s0
	s_and_saveexec_b32 s0, s3
	s_cbranch_execnz .LBB161_42
.LBB161_31:
	s_or_b32 exec_lo, exec_lo, s0
	s_and_saveexec_b32 s0, s4
	s_cbranch_execnz .LBB161_43
.LBB161_32:
	s_or_b32 exec_lo, exec_lo, s0
	s_and_saveexec_b32 s0, s5
	s_cbranch_execnz .LBB161_44
.LBB161_33:
	s_endpgm
.LBB161_34:
	ds_read_b32 v19, v22
	s_or_b32 exec_lo, exec_lo, s8
	v_cmp_gt_u32_e64 s8, 32, v0
	s_and_saveexec_b32 s10, s8
	s_cbranch_execz .LBB161_18
.LBB161_35:
	s_waitcnt lgkmcnt(0)
	ds_bpermute_b32 v20, v7, v19
	s_waitcnt lgkmcnt(0)
	v_cmp_lt_f32_e64 s9, v19, v20
	v_cndmask_b32_e64 v19, v19, v20, s9
	ds_bpermute_b32 v20, v13, v19
	s_waitcnt lgkmcnt(0)
	v_cmp_lt_f32_e64 s9, v19, v20
	v_cndmask_b32_e64 v19, v19, v20, s9
	ds_bpermute_b32 v20, v14, v19
	s_waitcnt lgkmcnt(0)
	v_cmp_lt_f32_e64 s9, v19, v20
	v_cndmask_b32_e64 v19, v19, v20, s9
	ds_bpermute_b32 v20, v15, v19
	s_waitcnt lgkmcnt(0)
	v_cmp_lt_f32_e64 s9, v19, v20
	v_cndmask_b32_e64 v19, v19, v20, s9
	ds_bpermute_b32 v20, v16, v19
	s_waitcnt lgkmcnt(0)
	v_cmp_lt_f32_e64 s9, v19, v20
	v_cndmask_b32_e64 v19, v19, v20, s9
	s_or_b32 exec_lo, exec_lo, s10
	v_cmp_eq_u32_e64 s9, 0, v0
	s_and_saveexec_b32 s10, s9
	s_cbranch_execnz .LBB161_19
	s_branch .LBB161_20
.LBB161_36:
	ds_read_b32 v23, v22
	s_or_b32 exec_lo, exec_lo, s6
	s_and_saveexec_b32 s6, s8
	s_cbranch_execz .LBB161_24
.LBB161_37:
	s_waitcnt lgkmcnt(0)
	ds_bpermute_b32 v6, v7, v23
	s_waitcnt lgkmcnt(0)
	v_add_f32_e32 v6, v23, v6
	ds_bpermute_b32 v7, v13, v6
	s_waitcnt lgkmcnt(0)
	v_add_f32_e32 v6, v6, v7
	;; [unrolled: 3-line block ×5, first 2 shown]
	s_or_b32 exec_lo, exec_lo, s6
	s_and_saveexec_b32 s6, s9
	s_cbranch_execnz .LBB161_25
	s_branch .LBB161_26
.LBB161_38:
	v_sub_f32_e32 v7, v20, v6
	v_bfe_u32 v8, v7, 16, 1
	v_cmp_o_f32_e32 vcc_lo, v7, v7
	v_add3_u32 v7, v7, v8, 0x7fff
	v_mov_b32_e32 v8, 0x7fc0
	v_cndmask_b32_sdwa v7, v8, v7, vcc_lo dst_sel:DWORD dst_unused:UNUSED_PAD src0_sel:DWORD src1_sel:WORD_1
	global_store_short v9, v7, s[8:9]
	s_or_b32 exec_lo, exec_lo, s6
	s_and_saveexec_b32 s6, s0
	s_cbranch_execz .LBB161_28
.LBB161_39:
	v_sub_f32_e32 v7, v19, v6
	v_bfe_u32 v8, v7, 16, 1
	v_cmp_o_f32_e32 vcc_lo, v7, v7
	v_add3_u32 v7, v7, v8, 0x7fff
	v_mov_b32_e32 v8, 0x7fc0
	v_cndmask_b32_sdwa v7, v8, v7, vcc_lo dst_sel:DWORD dst_unused:UNUSED_PAD src0_sel:DWORD src1_sel:WORD_1
	global_store_short v10, v7, s[8:9]
	s_or_b32 exec_lo, exec_lo, s6
	s_and_saveexec_b32 s0, s1
	s_cbranch_execz .LBB161_29
.LBB161_40:
	v_sub_f32_e32 v7, v18, v6
	v_bfe_u32 v8, v7, 16, 1
	v_cmp_o_f32_e32 vcc_lo, v7, v7
	v_add3_u32 v7, v7, v8, 0x7fff
	v_mov_b32_e32 v8, 0x7fc0
	v_cndmask_b32_sdwa v7, v8, v7, vcc_lo dst_sel:DWORD dst_unused:UNUSED_PAD src0_sel:DWORD src1_sel:WORD_1
	global_store_short v1, v7, s[8:9]
	s_or_b32 exec_lo, exec_lo, s0
	s_and_saveexec_b32 s0, s2
	s_cbranch_execz .LBB161_30
.LBB161_41:
	v_sub_f32_e32 v1, v17, v6
	v_bfe_u32 v7, v1, 16, 1
	v_cmp_o_f32_e32 vcc_lo, v1, v1
	v_add3_u32 v1, v1, v7, 0x7fff
	v_mov_b32_e32 v7, 0x7fc0
	v_cndmask_b32_sdwa v1, v7, v1, vcc_lo dst_sel:DWORD dst_unused:UNUSED_PAD src0_sel:DWORD src1_sel:WORD_1
	global_store_short v11, v1, s[8:9]
	s_or_b32 exec_lo, exec_lo, s0
	s_and_saveexec_b32 s0, s3
	s_cbranch_execz .LBB161_31
.LBB161_42:
	v_sub_f32_e32 v1, v4, v6
	v_bfe_u32 v4, v1, 16, 1
	v_cmp_o_f32_e32 vcc_lo, v1, v1
	v_add3_u32 v1, v1, v4, 0x7fff
	v_mov_b32_e32 v4, 0x7fc0
	v_cndmask_b32_sdwa v1, v4, v1, vcc_lo dst_sel:DWORD dst_unused:UNUSED_PAD src0_sel:DWORD src1_sel:WORD_1
	global_store_short v3, v1, s[8:9]
	s_or_b32 exec_lo, exec_lo, s0
	s_and_saveexec_b32 s0, s4
	s_cbranch_execz .LBB161_32
.LBB161_43:
	v_sub_f32_e32 v1, v2, v6
	v_bfe_u32 v2, v1, 16, 1
	v_cmp_o_f32_e32 vcc_lo, v1, v1
	v_add3_u32 v1, v1, v2, 0x7fff
	v_mov_b32_e32 v2, 0x7fc0
	v_cndmask_b32_sdwa v1, v2, v1, vcc_lo dst_sel:DWORD dst_unused:UNUSED_PAD src0_sel:DWORD src1_sel:WORD_1
	global_store_short v12, v1, s[8:9]
	s_or_b32 exec_lo, exec_lo, s0
	s_and_saveexec_b32 s0, s5
	s_cbranch_execz .LBB161_33
.LBB161_44:
	v_sub_f32_e32 v0, v0, v6
	v_bfe_u32 v1, v0, 16, 1
	v_cmp_o_f32_e32 vcc_lo, v0, v0
	v_add3_u32 v0, v0, v1, 0x7fff
	v_mov_b32_e32 v1, 0x7fc0
	v_cndmask_b32_sdwa v0, v1, v0, vcc_lo dst_sel:DWORD dst_unused:UNUSED_PAD src0_sel:DWORD src1_sel:WORD_1
	global_store_short v5, v0, s[8:9]
	s_endpgm
	.section	.rodata,"a",@progbits
	.p2align	6, 0x0
	.amdhsa_kernel _ZN2at6native12_GLOBAL__N_122cunn_SoftMaxForwardRegIN3c108BFloat16EfS4_NS1_25LogSoftMaxForwardEpilogueElLi7EEEvPT1_PKT_T3_
		.amdhsa_group_segment_fixed_size 0
		.amdhsa_private_segment_fixed_size 0
		.amdhsa_kernarg_size 280
		.amdhsa_user_sgpr_count 6
		.amdhsa_user_sgpr_private_segment_buffer 1
		.amdhsa_user_sgpr_dispatch_ptr 0
		.amdhsa_user_sgpr_queue_ptr 0
		.amdhsa_user_sgpr_kernarg_segment_ptr 1
		.amdhsa_user_sgpr_dispatch_id 0
		.amdhsa_user_sgpr_flat_scratch_init 0
		.amdhsa_user_sgpr_private_segment_size 0
		.amdhsa_wavefront_size32 1
		.amdhsa_uses_dynamic_stack 0
		.amdhsa_system_sgpr_private_segment_wavefront_offset 0
		.amdhsa_system_sgpr_workgroup_id_x 1
		.amdhsa_system_sgpr_workgroup_id_y 0
		.amdhsa_system_sgpr_workgroup_id_z 0
		.amdhsa_system_sgpr_workgroup_info 0
		.amdhsa_system_vgpr_workitem_id 0
		.amdhsa_next_free_vgpr 43
		.amdhsa_next_free_sgpr 18
		.amdhsa_reserve_vcc 1
		.amdhsa_reserve_flat_scratch 0
		.amdhsa_float_round_mode_32 0
		.amdhsa_float_round_mode_16_64 0
		.amdhsa_float_denorm_mode_32 3
		.amdhsa_float_denorm_mode_16_64 3
		.amdhsa_dx10_clamp 1
		.amdhsa_ieee_mode 1
		.amdhsa_fp16_overflow 0
		.amdhsa_workgroup_processor_mode 1
		.amdhsa_memory_ordered 1
		.amdhsa_forward_progress 1
		.amdhsa_shared_vgpr_count 0
		.amdhsa_exception_fp_ieee_invalid_op 0
		.amdhsa_exception_fp_denorm_src 0
		.amdhsa_exception_fp_ieee_div_zero 0
		.amdhsa_exception_fp_ieee_overflow 0
		.amdhsa_exception_fp_ieee_underflow 0
		.amdhsa_exception_fp_ieee_inexact 0
		.amdhsa_exception_int_div_zero 0
	.end_amdhsa_kernel
	.section	.text._ZN2at6native12_GLOBAL__N_122cunn_SoftMaxForwardRegIN3c108BFloat16EfS4_NS1_25LogSoftMaxForwardEpilogueElLi7EEEvPT1_PKT_T3_,"axG",@progbits,_ZN2at6native12_GLOBAL__N_122cunn_SoftMaxForwardRegIN3c108BFloat16EfS4_NS1_25LogSoftMaxForwardEpilogueElLi7EEEvPT1_PKT_T3_,comdat
.Lfunc_end161:
	.size	_ZN2at6native12_GLOBAL__N_122cunn_SoftMaxForwardRegIN3c108BFloat16EfS4_NS1_25LogSoftMaxForwardEpilogueElLi7EEEvPT1_PKT_T3_, .Lfunc_end161-_ZN2at6native12_GLOBAL__N_122cunn_SoftMaxForwardRegIN3c108BFloat16EfS4_NS1_25LogSoftMaxForwardEpilogueElLi7EEEvPT1_PKT_T3_
                                        ; -- End function
	.set _ZN2at6native12_GLOBAL__N_122cunn_SoftMaxForwardRegIN3c108BFloat16EfS4_NS1_25LogSoftMaxForwardEpilogueElLi7EEEvPT1_PKT_T3_.num_vgpr, 43
	.set _ZN2at6native12_GLOBAL__N_122cunn_SoftMaxForwardRegIN3c108BFloat16EfS4_NS1_25LogSoftMaxForwardEpilogueElLi7EEEvPT1_PKT_T3_.num_agpr, 0
	.set _ZN2at6native12_GLOBAL__N_122cunn_SoftMaxForwardRegIN3c108BFloat16EfS4_NS1_25LogSoftMaxForwardEpilogueElLi7EEEvPT1_PKT_T3_.numbered_sgpr, 18
	.set _ZN2at6native12_GLOBAL__N_122cunn_SoftMaxForwardRegIN3c108BFloat16EfS4_NS1_25LogSoftMaxForwardEpilogueElLi7EEEvPT1_PKT_T3_.num_named_barrier, 0
	.set _ZN2at6native12_GLOBAL__N_122cunn_SoftMaxForwardRegIN3c108BFloat16EfS4_NS1_25LogSoftMaxForwardEpilogueElLi7EEEvPT1_PKT_T3_.private_seg_size, 0
	.set _ZN2at6native12_GLOBAL__N_122cunn_SoftMaxForwardRegIN3c108BFloat16EfS4_NS1_25LogSoftMaxForwardEpilogueElLi7EEEvPT1_PKT_T3_.uses_vcc, 1
	.set _ZN2at6native12_GLOBAL__N_122cunn_SoftMaxForwardRegIN3c108BFloat16EfS4_NS1_25LogSoftMaxForwardEpilogueElLi7EEEvPT1_PKT_T3_.uses_flat_scratch, 0
	.set _ZN2at6native12_GLOBAL__N_122cunn_SoftMaxForwardRegIN3c108BFloat16EfS4_NS1_25LogSoftMaxForwardEpilogueElLi7EEEvPT1_PKT_T3_.has_dyn_sized_stack, 0
	.set _ZN2at6native12_GLOBAL__N_122cunn_SoftMaxForwardRegIN3c108BFloat16EfS4_NS1_25LogSoftMaxForwardEpilogueElLi7EEEvPT1_PKT_T3_.has_recursion, 0
	.set _ZN2at6native12_GLOBAL__N_122cunn_SoftMaxForwardRegIN3c108BFloat16EfS4_NS1_25LogSoftMaxForwardEpilogueElLi7EEEvPT1_PKT_T3_.has_indirect_call, 0
	.section	.AMDGPU.csdata,"",@progbits
; Kernel info:
; codeLenInByte = 2912
; TotalNumSgprs: 20
; NumVgprs: 43
; ScratchSize: 0
; MemoryBound: 0
; FloatMode: 240
; IeeeMode: 1
; LDSByteSize: 0 bytes/workgroup (compile time only)
; SGPRBlocks: 0
; VGPRBlocks: 5
; NumSGPRsForWavesPerEU: 20
; NumVGPRsForWavesPerEU: 43
; Occupancy: 16
; WaveLimiterHint : 0
; COMPUTE_PGM_RSRC2:SCRATCH_EN: 0
; COMPUTE_PGM_RSRC2:USER_SGPR: 6
; COMPUTE_PGM_RSRC2:TRAP_HANDLER: 0
; COMPUTE_PGM_RSRC2:TGID_X_EN: 1
; COMPUTE_PGM_RSRC2:TGID_Y_EN: 0
; COMPUTE_PGM_RSRC2:TGID_Z_EN: 0
; COMPUTE_PGM_RSRC2:TIDIG_COMP_CNT: 0
	.section	.text._ZN2at6native12_GLOBAL__N_122cunn_SoftMaxForwardRegIN3c108BFloat16EfS4_NS1_25LogSoftMaxForwardEpilogueElLi8EEEvPT1_PKT_T3_,"axG",@progbits,_ZN2at6native12_GLOBAL__N_122cunn_SoftMaxForwardRegIN3c108BFloat16EfS4_NS1_25LogSoftMaxForwardEpilogueElLi8EEEvPT1_PKT_T3_,comdat
	.globl	_ZN2at6native12_GLOBAL__N_122cunn_SoftMaxForwardRegIN3c108BFloat16EfS4_NS1_25LogSoftMaxForwardEpilogueElLi8EEEvPT1_PKT_T3_ ; -- Begin function _ZN2at6native12_GLOBAL__N_122cunn_SoftMaxForwardRegIN3c108BFloat16EfS4_NS1_25LogSoftMaxForwardEpilogueElLi8EEEvPT1_PKT_T3_
	.p2align	8
	.type	_ZN2at6native12_GLOBAL__N_122cunn_SoftMaxForwardRegIN3c108BFloat16EfS4_NS1_25LogSoftMaxForwardEpilogueElLi8EEEvPT1_PKT_T3_,@function
_ZN2at6native12_GLOBAL__N_122cunn_SoftMaxForwardRegIN3c108BFloat16EfS4_NS1_25LogSoftMaxForwardEpilogueElLi8EEEvPT1_PKT_T3_: ; @_ZN2at6native12_GLOBAL__N_122cunn_SoftMaxForwardRegIN3c108BFloat16EfS4_NS1_25LogSoftMaxForwardEpilogueElLi8EEEvPT1_PKT_T3_
; %bb.0:
	s_clause 0x2
	s_load_dwordx2 s[8:9], s[4:5], 0x10
	s_load_dwordx4 s[12:15], s[4:5], 0x0
	s_load_dword s0, s[4:5], 0x24
	v_mov_b32_e32 v2, 0
	v_mov_b32_e32 v15, 0xff7fffff
	v_lshlrev_b32_e32 v9, 1, v0
	v_mov_b32_e32 v18, 0
	v_mov_b32_e32 v1, v2
	s_waitcnt lgkmcnt(0)
	s_mul_i32 s1, s9, s6
	s_mul_hi_u32 s3, s8, s6
	s_mul_i32 s2, s8, s6
	s_add_i32 s3, s3, s1
	v_cmp_gt_i64_e32 vcc_lo, s[8:9], v[0:1]
	s_lshl_b64 s[16:17], s[2:3], 1
	s_add_u32 s10, s14, s16
	s_addc_u32 s11, s15, s17
	s_and_saveexec_b32 s1, vcc_lo
	s_cbranch_execz .LBB162_2
; %bb.1:
	global_load_ushort v1, v9, s[10:11]
	s_waitcnt vmcnt(0)
	v_lshlrev_b32_e32 v18, 16, v1
	v_max_f32_e32 v1, v18, v18
	v_max_f32_e32 v15, 0xff7fffff, v1
.LBB162_2:
	s_or_b32 exec_lo, exec_lo, s1
	s_and_b32 s14, 0xffff, s0
	v_add_nc_u32_e32 v1, s14, v0
	v_cmp_gt_i64_e64 s0, s[8:9], v[1:2]
	v_lshlrev_b32_e32 v10, 1, v1
	s_and_saveexec_b32 s1, s0
	s_cbranch_execz .LBB162_4
; %bb.3:
	global_load_ushort v2, v10, s[10:11]
	v_max_f32_e32 v4, v15, v15
	s_waitcnt vmcnt(0)
	v_lshlrev_b32_e32 v2, 16, v2
	v_max_f32_e32 v3, v2, v2
	v_max_f32_e32 v15, v4, v3
.LBB162_4:
	s_or_b32 exec_lo, exec_lo, s1
	v_add_nc_u32_e32 v3, s14, v1
	v_mov_b32_e32 v4, 0
	v_lshlrev_b32_e32 v1, 1, v3
	v_cmp_gt_i64_e64 s1, s[8:9], v[3:4]
	v_mov_b32_e32 v19, v4
	s_and_saveexec_b32 s2, s1
	s_cbranch_execz .LBB162_6
; %bb.5:
	global_load_ushort v5, v1, s[10:11]
	v_max_f32_e32 v6, v15, v15
	s_waitcnt vmcnt(0)
	v_lshlrev_b32_e32 v19, 16, v5
	v_max_f32_e32 v5, v19, v19
	v_max_f32_e32 v15, v6, v5
.LBB162_6:
	s_or_b32 exec_lo, exec_lo, s2
	v_add_nc_u32_e32 v3, s14, v3
	v_cmp_gt_i64_e64 s2, s[8:9], v[3:4]
	v_lshlrev_b32_e32 v11, 1, v3
	s_and_saveexec_b32 s3, s2
	s_cbranch_execz .LBB162_8
; %bb.7:
	global_load_ushort v4, v11, s[10:11]
	v_max_f32_e32 v6, v15, v15
	s_waitcnt vmcnt(0)
	v_lshlrev_b32_e32 v4, 16, v4
	v_max_f32_e32 v5, v4, v4
	v_max_f32_e32 v15, v6, v5
.LBB162_8:
	s_or_b32 exec_lo, exec_lo, s3
	v_add_nc_u32_e32 v5, s14, v3
	v_mov_b32_e32 v6, 0
	v_lshlrev_b32_e32 v3, 1, v5
	v_cmp_gt_i64_e64 s3, s[8:9], v[5:6]
	v_mov_b32_e32 v26, v6
	s_and_saveexec_b32 s4, s3
	s_cbranch_execz .LBB162_10
; %bb.9:
	global_load_ushort v7, v3, s[10:11]
	v_max_f32_e32 v8, v15, v15
	s_waitcnt vmcnt(0)
	v_lshlrev_b32_e32 v26, 16, v7
	v_max_f32_e32 v7, v26, v26
	v_max_f32_e32 v15, v8, v7
.LBB162_10:
	s_or_b32 exec_lo, exec_lo, s4
	;; [unrolled: 30-line block ×3, first 2 shown]
	v_add_nc_u32_e32 v7, s14, v7
	v_cmp_gt_i64_e64 s6, s[8:9], v[7:8]
	v_lshlrev_b32_e32 v7, 1, v7
	s_and_saveexec_b32 s7, s6
	s_cbranch_execz .LBB162_16
; %bb.15:
	global_load_ushort v8, v7, s[10:11]
	v_max_f32_e32 v14, v15, v15
	s_waitcnt vmcnt(0)
	v_lshlrev_b32_e32 v8, 16, v8
	v_max_f32_e32 v13, v8, v8
	v_max_f32_e32 v15, v14, v13
.LBB162_16:
	s_or_b32 exec_lo, exec_lo, s7
	v_mbcnt_lo_u32_b32 v17, -1, 0
	v_lshrrev_b32_e32 v23, 3, v0
	s_barrier
	buffer_gl0_inv
	v_lshl_or_b32 v13, v17, 2, 64
	v_cmp_gt_u32_e64 s7, 24, v17
	ds_bpermute_b32 v16, v13, v15
	v_cndmask_b32_e64 v14, 0, 8, s7
	v_add_lshl_u32 v14, v14, v17, 2
	s_waitcnt lgkmcnt(0)
	v_cmp_lt_f32_e64 s7, v15, v16
	v_cndmask_b32_e64 v16, v15, v16, s7
	v_cmp_gt_u32_e64 s7, 28, v17
	ds_bpermute_b32 v20, v14, v16
	v_cndmask_b32_e64 v15, 0, 4, s7
	v_add_lshl_u32 v15, v15, v17, 2
	s_waitcnt lgkmcnt(0)
	v_cmp_lt_f32_e64 s7, v16, v20
	v_cndmask_b32_e64 v20, v16, v20, s7
	;; [unrolled: 7-line block ×3, first 2 shown]
	v_cmp_ne_u32_e64 s7, 31, v17
	ds_bpermute_b32 v21, v16, v20
	v_add_co_ci_u32_e64 v17, null, 0, v17, s7
	v_lshlrev_b32_e32 v17, 2, v17
	s_waitcnt lgkmcnt(0)
	v_cmp_lt_f32_e64 s7, v20, v21
	v_cndmask_b32_e64 v20, v20, v21, s7
	v_and_b32_e32 v21, 31, v0
	ds_bpermute_b32 v22, v17, v20
	v_cmp_eq_u32_e64 s7, 0, v21
	s_and_saveexec_b32 s8, s7
	s_xor_b32 s9, exec_lo, s8
	s_cbranch_execz .LBB162_18
; %bb.17:
	s_waitcnt lgkmcnt(0)
	v_cmp_lt_f32_e64 s8, v20, v22
	v_add_nc_u32_e32 v24, 0, v23
	v_cndmask_b32_e64 v20, v20, v22, s8
	ds_write_b32 v24, v20
.LBB162_18:
	s_or_b32 exec_lo, exec_lo, s9
	s_lshr_b32 s8, s14, 5
	v_mov_b32_e32 v20, 0xff7fffff
	v_cmp_gt_u32_e64 s8, s8, v0
	v_lshl_add_u32 v24, v21, 2, 0
	s_waitcnt lgkmcnt(0)
	s_barrier
	buffer_gl0_inv
	s_and_saveexec_b32 s9, s8
	s_cbranch_execnz .LBB162_37
; %bb.19:
	s_or_b32 exec_lo, exec_lo, s9
	v_cmp_gt_u32_e64 s9, 32, v0
	s_and_saveexec_b32 s11, s9
	s_cbranch_execnz .LBB162_38
.LBB162_20:
	s_or_b32 exec_lo, exec_lo, s11
	v_cmp_eq_u32_e64 s10, 0, v0
	s_and_saveexec_b32 s11, s10
	s_cbranch_execz .LBB162_22
.LBB162_21:
	v_mov_b32_e32 v0, 0
	s_waitcnt lgkmcnt(0)
	ds_write_b32 v0, v20
.LBB162_22:
	s_or_b32 exec_lo, exec_lo, s11
	v_mov_b32_e32 v25, 0
	s_waitcnt lgkmcnt(0)
	s_barrier
	buffer_gl0_inv
	ds_read_b32 v0, v25
	s_waitcnt lgkmcnt(0)
	s_barrier
	buffer_gl0_inv
	v_sub_f32_e32 v22, v18, v0
	v_sub_f32_e32 v21, v2, v0
	;; [unrolled: 1-line block ×5, first 2 shown]
	v_mul_f32_e32 v6, 0x3fb8aa3b, v22
	v_sub_f32_e32 v18, v26, v0
	v_sub_f32_e32 v2, v27, v0
	;; [unrolled: 1-line block ×3, first 2 shown]
	v_mul_f32_e32 v8, 0x3fb8aa3b, v21
	v_fma_f32 v32, 0x3fb8aa3b, v22, -v6
	v_rndne_f32_e32 v33, v6
	v_mul_f32_e32 v26, 0x3fb8aa3b, v20
	v_mul_f32_e32 v27, 0x3fb8aa3b, v19
	v_fma_f32 v34, 0x3fb8aa3b, v21, -v8
	v_rndne_f32_e32 v35, v8
	v_fmac_f32_e32 v32, 0x32a5705f, v22
	v_sub_f32_e32 v6, v6, v33
	v_fma_f32 v36, 0x3fb8aa3b, v20, -v26
	v_fmac_f32_e32 v34, 0x32a5705f, v21
	v_sub_f32_e32 v8, v8, v35
	v_rndne_f32_e32 v37, v26
	v_add_f32_e32 v6, v6, v32
	v_cvt_i32_f32_e32 v33, v33
	v_cvt_i32_f32_e32 v35, v35
	v_add_f32_e32 v8, v8, v34
	v_fmac_f32_e32 v36, 0x32a5705f, v20
	v_exp_f32_e32 v6, v6
	v_sub_f32_e32 v26, v26, v37
	v_cmp_ngt_f32_e64 s11, 0xc2ce8ed0, v22
	v_exp_f32_e32 v8, v8
	v_fma_f32 v38, 0x3fb8aa3b, v19, -v27
	v_rndne_f32_e32 v39, v27
	v_add_f32_e32 v26, v26, v36
	v_mul_f32_e32 v28, 0x3fb8aa3b, v18
	v_cvt_i32_f32_e32 v32, v37
	v_fmac_f32_e32 v38, 0x32a5705f, v19
	v_ldexp_f32 v6, v6, v33
	v_sub_f32_e32 v27, v27, v39
	v_exp_f32_e32 v26, v26
	v_ldexp_f32 v8, v8, v35
	v_fma_f32 v40, 0x3fb8aa3b, v18, -v28
	v_cndmask_b32_e64 v6, 0, v6, s11
	v_cmp_ngt_f32_e64 s11, 0xc2ce8ed0, v21
	v_rndne_f32_e32 v41, v28
	v_add_f32_e32 v27, v27, v38
	v_mul_f32_e32 v29, 0x3fb8aa3b, v4
	v_fmac_f32_e32 v40, 0x32a5705f, v18
	v_cndmask_b32_e64 v8, 0, v8, s11
	v_cmp_nlt_f32_e64 s11, 0x42b17218, v22
	v_sub_f32_e32 v28, v28, v41
	v_exp_f32_e32 v27, v27
	v_ldexp_f32 v26, v26, v32
	v_fma_f32 v42, 0x3fb8aa3b, v4, -v29
	v_cndmask_b32_e64 v6, 0x7f800000, v6, s11
	v_cmp_nlt_f32_e64 s11, 0x42b17218, v21
	v_rndne_f32_e32 v43, v29
	v_cvt_i32_f32_e32 v34, v39
	v_add_f32_e32 v28, v28, v40
	v_cndmask_b32_e32 v6, 0, v6, vcc_lo
	v_cndmask_b32_e64 v8, 0x7f800000, v8, s11
	v_cmp_ngt_f32_e64 s11, 0xc2ce8ed0, v20
	v_mul_f32_e32 v30, 0x3fb8aa3b, v2
	v_fmac_f32_e32 v42, 0x32a5705f, v4
	v_sub_f32_e32 v29, v29, v43
	v_add_f32_e32 v8, v6, v8
	v_cndmask_b32_e64 v26, 0, v26, s11
	v_cmp_nlt_f32_e64 s11, 0x42b17218, v20
	v_exp_f32_e32 v28, v28
	v_ldexp_f32 v27, v27, v34
	v_cndmask_b32_e64 v6, v6, v8, s0
	v_fma_f32 v44, 0x3fb8aa3b, v2, -v30
	v_cndmask_b32_e64 v26, 0x7f800000, v26, s11
	v_cmp_ngt_f32_e64 s11, 0xc2ce8ed0, v19
	v_rndne_f32_e32 v45, v30
	v_cvt_i32_f32_e32 v37, v41
	v_add_f32_e32 v8, v29, v42
	v_add_f32_e32 v26, v6, v26
	v_cndmask_b32_e64 v27, 0, v27, s11
	v_cmp_nlt_f32_e64 s11, 0x42b17218, v19
	v_mul_f32_e32 v31, 0x3fb8aa3b, v0
	v_fmac_f32_e32 v44, 0x32a5705f, v2
	v_sub_f32_e32 v29, v30, v45
	v_exp_f32_e32 v8, v8
	v_ldexp_f32 v28, v28, v37
	v_cndmask_b32_e64 v27, 0x7f800000, v27, s11
	v_cndmask_b32_e64 v6, v6, v26, s1
	v_cmp_ngt_f32_e64 s11, 0xc2ce8ed0, v18
	v_fma_f32 v46, 0x3fb8aa3b, v0, -v31
	v_rndne_f32_e32 v47, v31
	v_cvt_i32_f32_e32 v33, v43
	v_add_f32_e32 v26, v29, v44
	v_cndmask_b32_e64 v28, 0, v28, s11
	v_add_f32_e32 v27, v6, v27
	v_cmp_nlt_f32_e64 s11, 0x42b17218, v18
	v_fmac_f32_e32 v46, 0x32a5705f, v0
	v_exp_f32_e32 v26, v26
	v_ldexp_f32 v8, v8, v33
	v_cndmask_b32_e64 v6, v6, v27, s2
	v_cndmask_b32_e64 v28, 0x7f800000, v28, s11
	v_sub_f32_e32 v27, v31, v47
	v_cmp_ngt_f32_e64 s11, 0xc2ce8ed0, v4
	v_cvt_i32_f32_e32 v29, v45
	v_add_f32_e32 v28, v6, v28
	v_add_f32_e32 v27, v27, v46
	v_cndmask_b32_e64 v8, 0, v8, s11
	v_cmp_nlt_f32_e64 s11, 0x42b17218, v4
	v_ldexp_f32 v26, v26, v29
	v_cndmask_b32_e64 v6, v6, v28, s3
	v_exp_f32_e32 v27, v27
	v_cvt_i32_f32_e32 v28, v47
	v_cndmask_b32_e64 v8, 0x7f800000, v8, s11
	v_cmp_ngt_f32_e64 s11, 0xc2ce8ed0, v2
	v_add_f32_e32 v8, v6, v8
	v_cndmask_b32_e64 v26, 0, v26, s11
	v_cmp_nlt_f32_e64 s11, 0x42b17218, v2
	v_cndmask_b32_e64 v6, v6, v8, s4
	v_ldexp_f32 v8, v27, v28
	v_cndmask_b32_e64 v26, 0x7f800000, v26, s11
	v_cmp_ngt_f32_e64 s11, 0xc2ce8ed0, v0
	v_add_f32_e32 v26, v6, v26
	v_cndmask_b32_e64 v8, 0, v8, s11
	v_cmp_nlt_f32_e64 s11, 0x42b17218, v0
	v_cndmask_b32_e64 v6, v6, v26, s5
	v_cndmask_b32_e64 v8, 0x7f800000, v8, s11
	v_add_f32_e32 v8, v6, v8
	v_cndmask_b32_e64 v6, v6, v8, s6
	ds_bpermute_b32 v8, v13, v6
	s_waitcnt lgkmcnt(0)
	v_add_f32_e32 v6, v6, v8
	ds_bpermute_b32 v8, v14, v6
	s_waitcnt lgkmcnt(0)
	v_add_f32_e32 v6, v6, v8
	;; [unrolled: 3-line block ×4, first 2 shown]
	ds_bpermute_b32 v8, v17, v6
	s_and_saveexec_b32 s11, s7
	s_cbranch_execz .LBB162_24
; %bb.23:
	v_add_nc_u32_e32 v23, 0, v23
	s_waitcnt lgkmcnt(0)
	v_add_f32_e32 v6, v6, v8
	ds_write_b32 v23, v6
.LBB162_24:
	s_or_b32 exec_lo, exec_lo, s11
	s_waitcnt lgkmcnt(0)
	s_barrier
	buffer_gl0_inv
	s_and_saveexec_b32 s7, s8
	s_cbranch_execnz .LBB162_39
; %bb.25:
	s_or_b32 exec_lo, exec_lo, s7
	s_and_saveexec_b32 s7, s9
	s_cbranch_execnz .LBB162_40
.LBB162_26:
	s_or_b32 exec_lo, exec_lo, s7
	s_and_saveexec_b32 s7, s10
	s_cbranch_execz .LBB162_28
.LBB162_27:
	v_mov_b32_e32 v6, 0
	s_waitcnt lgkmcnt(0)
	ds_write_b32 v6, v25
.LBB162_28:
	s_or_b32 exec_lo, exec_lo, s7
	v_mov_b32_e32 v6, 0
	s_waitcnt lgkmcnt(0)
	s_barrier
	buffer_gl0_inv
	s_add_u32 s8, s12, s16
	ds_read_b32 v6, v6
	s_addc_u32 s9, s13, s17
	s_waitcnt lgkmcnt(0)
	v_cmp_gt_f32_e64 s7, 0x800000, v6
	v_cndmask_b32_e64 v8, 0, 0x41b17218, s7
	s_and_b32 s7, s7, exec_lo
	s_cselect_b32 s7, 32, 0
	v_ldexp_f32 v6, v6, s7
	v_log_f32_e32 v6, v6
	v_mul_f32_e32 v13, 0x3f317217, v6
	v_cmp_gt_f32_e64 s7, 0x7f800000, |v6|
	v_fma_f32 v13, 0x3f317217, v6, -v13
	v_fmamk_f32 v13, v6, 0x3377d1cf, v13
	v_fmac_f32_e32 v13, 0x3f317217, v6
	v_cndmask_b32_e64 v6, v6, v13, s7
	v_sub_f32_e32 v6, v6, v8
	s_and_saveexec_b32 s7, vcc_lo
	s_cbranch_execnz .LBB162_41
; %bb.29:
	s_or_b32 exec_lo, exec_lo, s7
	s_and_saveexec_b32 s7, s0
	s_cbranch_execnz .LBB162_42
.LBB162_30:
	s_or_b32 exec_lo, exec_lo, s7
	s_and_saveexec_b32 s0, s1
	s_cbranch_execnz .LBB162_43
.LBB162_31:
	s_or_b32 exec_lo, exec_lo, s0
	s_and_saveexec_b32 s0, s2
	s_cbranch_execnz .LBB162_44
.LBB162_32:
	s_or_b32 exec_lo, exec_lo, s0
	s_and_saveexec_b32 s0, s3
	s_cbranch_execnz .LBB162_45
.LBB162_33:
	s_or_b32 exec_lo, exec_lo, s0
	s_and_saveexec_b32 s0, s4
	s_cbranch_execnz .LBB162_46
.LBB162_34:
	s_or_b32 exec_lo, exec_lo, s0
	s_and_saveexec_b32 s0, s5
	s_cbranch_execnz .LBB162_47
.LBB162_35:
	s_or_b32 exec_lo, exec_lo, s0
	s_and_saveexec_b32 s0, s6
	s_cbranch_execnz .LBB162_48
.LBB162_36:
	s_endpgm
.LBB162_37:
	ds_read_b32 v20, v24
	s_or_b32 exec_lo, exec_lo, s9
	v_cmp_gt_u32_e64 s9, 32, v0
	s_and_saveexec_b32 s11, s9
	s_cbranch_execz .LBB162_20
.LBB162_38:
	s_waitcnt lgkmcnt(0)
	ds_bpermute_b32 v21, v13, v20
	s_waitcnt lgkmcnt(0)
	v_cmp_lt_f32_e64 s10, v20, v21
	v_cndmask_b32_e64 v20, v20, v21, s10
	ds_bpermute_b32 v21, v14, v20
	s_waitcnt lgkmcnt(0)
	v_cmp_lt_f32_e64 s10, v20, v21
	v_cndmask_b32_e64 v20, v20, v21, s10
	;; [unrolled: 4-line block ×5, first 2 shown]
	s_or_b32 exec_lo, exec_lo, s11
	v_cmp_eq_u32_e64 s10, 0, v0
	s_and_saveexec_b32 s11, s10
	s_cbranch_execnz .LBB162_21
	s_branch .LBB162_22
.LBB162_39:
	ds_read_b32 v25, v24
	s_or_b32 exec_lo, exec_lo, s7
	s_and_saveexec_b32 s7, s9
	s_cbranch_execz .LBB162_26
.LBB162_40:
	s_waitcnt lgkmcnt(0)
	ds_bpermute_b32 v6, v13, v25
	s_waitcnt lgkmcnt(0)
	v_add_f32_e32 v6, v25, v6
	ds_bpermute_b32 v8, v14, v6
	s_waitcnt lgkmcnt(0)
	v_add_f32_e32 v6, v6, v8
	;; [unrolled: 3-line block ×5, first 2 shown]
	s_or_b32 exec_lo, exec_lo, s7
	s_and_saveexec_b32 s7, s10
	s_cbranch_execnz .LBB162_27
	s_branch .LBB162_28
.LBB162_41:
	v_sub_f32_e32 v8, v22, v6
	v_bfe_u32 v13, v8, 16, 1
	v_cmp_o_f32_e32 vcc_lo, v8, v8
	v_add3_u32 v8, v8, v13, 0x7fff
	v_mov_b32_e32 v13, 0x7fc0
	v_cndmask_b32_sdwa v8, v13, v8, vcc_lo dst_sel:DWORD dst_unused:UNUSED_PAD src0_sel:DWORD src1_sel:WORD_1
	global_store_short v9, v8, s[8:9]
	s_or_b32 exec_lo, exec_lo, s7
	s_and_saveexec_b32 s7, s0
	s_cbranch_execz .LBB162_30
.LBB162_42:
	v_sub_f32_e32 v8, v21, v6
	v_bfe_u32 v9, v8, 16, 1
	v_cmp_o_f32_e32 vcc_lo, v8, v8
	v_add3_u32 v8, v8, v9, 0x7fff
	v_mov_b32_e32 v9, 0x7fc0
	v_cndmask_b32_sdwa v8, v9, v8, vcc_lo dst_sel:DWORD dst_unused:UNUSED_PAD src0_sel:DWORD src1_sel:WORD_1
	global_store_short v10, v8, s[8:9]
	s_or_b32 exec_lo, exec_lo, s7
	s_and_saveexec_b32 s0, s1
	s_cbranch_execz .LBB162_31
.LBB162_43:
	v_sub_f32_e32 v8, v20, v6
	v_bfe_u32 v9, v8, 16, 1
	v_cmp_o_f32_e32 vcc_lo, v8, v8
	v_add3_u32 v8, v8, v9, 0x7fff
	v_mov_b32_e32 v9, 0x7fc0
	v_cndmask_b32_sdwa v8, v9, v8, vcc_lo dst_sel:DWORD dst_unused:UNUSED_PAD src0_sel:DWORD src1_sel:WORD_1
	global_store_short v1, v8, s[8:9]
	s_or_b32 exec_lo, exec_lo, s0
	s_and_saveexec_b32 s0, s2
	s_cbranch_execz .LBB162_32
.LBB162_44:
	v_sub_f32_e32 v1, v19, v6
	v_bfe_u32 v8, v1, 16, 1
	v_cmp_o_f32_e32 vcc_lo, v1, v1
	v_add3_u32 v1, v1, v8, 0x7fff
	v_mov_b32_e32 v8, 0x7fc0
	v_cndmask_b32_sdwa v1, v8, v1, vcc_lo dst_sel:DWORD dst_unused:UNUSED_PAD src0_sel:DWORD src1_sel:WORD_1
	global_store_short v11, v1, s[8:9]
	s_or_b32 exec_lo, exec_lo, s0
	s_and_saveexec_b32 s0, s3
	s_cbranch_execz .LBB162_33
.LBB162_45:
	v_sub_f32_e32 v1, v18, v6
	v_bfe_u32 v8, v1, 16, 1
	v_cmp_o_f32_e32 vcc_lo, v1, v1
	v_add3_u32 v1, v1, v8, 0x7fff
	v_mov_b32_e32 v8, 0x7fc0
	v_cndmask_b32_sdwa v1, v8, v1, vcc_lo dst_sel:DWORD dst_unused:UNUSED_PAD src0_sel:DWORD src1_sel:WORD_1
	global_store_short v3, v1, s[8:9]
	s_or_b32 exec_lo, exec_lo, s0
	s_and_saveexec_b32 s0, s4
	s_cbranch_execz .LBB162_34
.LBB162_46:
	v_sub_f32_e32 v1, v4, v6
	v_bfe_u32 v3, v1, 16, 1
	v_cmp_o_f32_e32 vcc_lo, v1, v1
	v_add3_u32 v1, v1, v3, 0x7fff
	v_mov_b32_e32 v3, 0x7fc0
	v_cndmask_b32_sdwa v1, v3, v1, vcc_lo dst_sel:DWORD dst_unused:UNUSED_PAD src0_sel:DWORD src1_sel:WORD_1
	global_store_short v12, v1, s[8:9]
	s_or_b32 exec_lo, exec_lo, s0
	s_and_saveexec_b32 s0, s5
	s_cbranch_execz .LBB162_35
.LBB162_47:
	v_sub_f32_e32 v1, v2, v6
	v_bfe_u32 v2, v1, 16, 1
	v_cmp_o_f32_e32 vcc_lo, v1, v1
	v_add3_u32 v1, v1, v2, 0x7fff
	v_mov_b32_e32 v2, 0x7fc0
	v_cndmask_b32_sdwa v1, v2, v1, vcc_lo dst_sel:DWORD dst_unused:UNUSED_PAD src0_sel:DWORD src1_sel:WORD_1
	global_store_short v5, v1, s[8:9]
	s_or_b32 exec_lo, exec_lo, s0
	s_and_saveexec_b32 s0, s6
	s_cbranch_execz .LBB162_36
.LBB162_48:
	v_sub_f32_e32 v0, v0, v6
	v_bfe_u32 v1, v0, 16, 1
	v_cmp_o_f32_e32 vcc_lo, v0, v0
	v_add3_u32 v0, v0, v1, 0x7fff
	v_mov_b32_e32 v1, 0x7fc0
	v_cndmask_b32_sdwa v0, v1, v0, vcc_lo dst_sel:DWORD dst_unused:UNUSED_PAD src0_sel:DWORD src1_sel:WORD_1
	global_store_short v7, v0, s[8:9]
	s_endpgm
	.section	.rodata,"a",@progbits
	.p2align	6, 0x0
	.amdhsa_kernel _ZN2at6native12_GLOBAL__N_122cunn_SoftMaxForwardRegIN3c108BFloat16EfS4_NS1_25LogSoftMaxForwardEpilogueElLi8EEEvPT1_PKT_T3_
		.amdhsa_group_segment_fixed_size 0
		.amdhsa_private_segment_fixed_size 0
		.amdhsa_kernarg_size 280
		.amdhsa_user_sgpr_count 6
		.amdhsa_user_sgpr_private_segment_buffer 1
		.amdhsa_user_sgpr_dispatch_ptr 0
		.amdhsa_user_sgpr_queue_ptr 0
		.amdhsa_user_sgpr_kernarg_segment_ptr 1
		.amdhsa_user_sgpr_dispatch_id 0
		.amdhsa_user_sgpr_flat_scratch_init 0
		.amdhsa_user_sgpr_private_segment_size 0
		.amdhsa_wavefront_size32 1
		.amdhsa_uses_dynamic_stack 0
		.amdhsa_system_sgpr_private_segment_wavefront_offset 0
		.amdhsa_system_sgpr_workgroup_id_x 1
		.amdhsa_system_sgpr_workgroup_id_y 0
		.amdhsa_system_sgpr_workgroup_id_z 0
		.amdhsa_system_sgpr_workgroup_info 0
		.amdhsa_system_vgpr_workitem_id 0
		.amdhsa_next_free_vgpr 48
		.amdhsa_next_free_sgpr 18
		.amdhsa_reserve_vcc 1
		.amdhsa_reserve_flat_scratch 0
		.amdhsa_float_round_mode_32 0
		.amdhsa_float_round_mode_16_64 0
		.amdhsa_float_denorm_mode_32 3
		.amdhsa_float_denorm_mode_16_64 3
		.amdhsa_dx10_clamp 1
		.amdhsa_ieee_mode 1
		.amdhsa_fp16_overflow 0
		.amdhsa_workgroup_processor_mode 1
		.amdhsa_memory_ordered 1
		.amdhsa_forward_progress 1
		.amdhsa_shared_vgpr_count 0
		.amdhsa_exception_fp_ieee_invalid_op 0
		.amdhsa_exception_fp_denorm_src 0
		.amdhsa_exception_fp_ieee_div_zero 0
		.amdhsa_exception_fp_ieee_overflow 0
		.amdhsa_exception_fp_ieee_underflow 0
		.amdhsa_exception_fp_ieee_inexact 0
		.amdhsa_exception_int_div_zero 0
	.end_amdhsa_kernel
	.section	.text._ZN2at6native12_GLOBAL__N_122cunn_SoftMaxForwardRegIN3c108BFloat16EfS4_NS1_25LogSoftMaxForwardEpilogueElLi8EEEvPT1_PKT_T3_,"axG",@progbits,_ZN2at6native12_GLOBAL__N_122cunn_SoftMaxForwardRegIN3c108BFloat16EfS4_NS1_25LogSoftMaxForwardEpilogueElLi8EEEvPT1_PKT_T3_,comdat
.Lfunc_end162:
	.size	_ZN2at6native12_GLOBAL__N_122cunn_SoftMaxForwardRegIN3c108BFloat16EfS4_NS1_25LogSoftMaxForwardEpilogueElLi8EEEvPT1_PKT_T3_, .Lfunc_end162-_ZN2at6native12_GLOBAL__N_122cunn_SoftMaxForwardRegIN3c108BFloat16EfS4_NS1_25LogSoftMaxForwardEpilogueElLi8EEEvPT1_PKT_T3_
                                        ; -- End function
	.set _ZN2at6native12_GLOBAL__N_122cunn_SoftMaxForwardRegIN3c108BFloat16EfS4_NS1_25LogSoftMaxForwardEpilogueElLi8EEEvPT1_PKT_T3_.num_vgpr, 48
	.set _ZN2at6native12_GLOBAL__N_122cunn_SoftMaxForwardRegIN3c108BFloat16EfS4_NS1_25LogSoftMaxForwardEpilogueElLi8EEEvPT1_PKT_T3_.num_agpr, 0
	.set _ZN2at6native12_GLOBAL__N_122cunn_SoftMaxForwardRegIN3c108BFloat16EfS4_NS1_25LogSoftMaxForwardEpilogueElLi8EEEvPT1_PKT_T3_.numbered_sgpr, 18
	.set _ZN2at6native12_GLOBAL__N_122cunn_SoftMaxForwardRegIN3c108BFloat16EfS4_NS1_25LogSoftMaxForwardEpilogueElLi8EEEvPT1_PKT_T3_.num_named_barrier, 0
	.set _ZN2at6native12_GLOBAL__N_122cunn_SoftMaxForwardRegIN3c108BFloat16EfS4_NS1_25LogSoftMaxForwardEpilogueElLi8EEEvPT1_PKT_T3_.private_seg_size, 0
	.set _ZN2at6native12_GLOBAL__N_122cunn_SoftMaxForwardRegIN3c108BFloat16EfS4_NS1_25LogSoftMaxForwardEpilogueElLi8EEEvPT1_PKT_T3_.uses_vcc, 1
	.set _ZN2at6native12_GLOBAL__N_122cunn_SoftMaxForwardRegIN3c108BFloat16EfS4_NS1_25LogSoftMaxForwardEpilogueElLi8EEEvPT1_PKT_T3_.uses_flat_scratch, 0
	.set _ZN2at6native12_GLOBAL__N_122cunn_SoftMaxForwardRegIN3c108BFloat16EfS4_NS1_25LogSoftMaxForwardEpilogueElLi8EEEvPT1_PKT_T3_.has_dyn_sized_stack, 0
	.set _ZN2at6native12_GLOBAL__N_122cunn_SoftMaxForwardRegIN3c108BFloat16EfS4_NS1_25LogSoftMaxForwardEpilogueElLi8EEEvPT1_PKT_T3_.has_recursion, 0
	.set _ZN2at6native12_GLOBAL__N_122cunn_SoftMaxForwardRegIN3c108BFloat16EfS4_NS1_25LogSoftMaxForwardEpilogueElLi8EEEvPT1_PKT_T3_.has_indirect_call, 0
	.section	.AMDGPU.csdata,"",@progbits
; Kernel info:
; codeLenInByte = 3164
; TotalNumSgprs: 20
; NumVgprs: 48
; ScratchSize: 0
; MemoryBound: 0
; FloatMode: 240
; IeeeMode: 1
; LDSByteSize: 0 bytes/workgroup (compile time only)
; SGPRBlocks: 0
; VGPRBlocks: 5
; NumSGPRsForWavesPerEU: 20
; NumVGPRsForWavesPerEU: 48
; Occupancy: 16
; WaveLimiterHint : 0
; COMPUTE_PGM_RSRC2:SCRATCH_EN: 0
; COMPUTE_PGM_RSRC2:USER_SGPR: 6
; COMPUTE_PGM_RSRC2:TRAP_HANDLER: 0
; COMPUTE_PGM_RSRC2:TGID_X_EN: 1
; COMPUTE_PGM_RSRC2:TGID_Y_EN: 0
; COMPUTE_PGM_RSRC2:TGID_Z_EN: 0
; COMPUTE_PGM_RSRC2:TIDIG_COMP_CNT: 0
	.section	.text._ZN2at6native12_GLOBAL__N_122cunn_SoftMaxForwardRegIN3c108BFloat16EfS4_NS1_25LogSoftMaxForwardEpilogueElLi9EEEvPT1_PKT_T3_,"axG",@progbits,_ZN2at6native12_GLOBAL__N_122cunn_SoftMaxForwardRegIN3c108BFloat16EfS4_NS1_25LogSoftMaxForwardEpilogueElLi9EEEvPT1_PKT_T3_,comdat
	.globl	_ZN2at6native12_GLOBAL__N_122cunn_SoftMaxForwardRegIN3c108BFloat16EfS4_NS1_25LogSoftMaxForwardEpilogueElLi9EEEvPT1_PKT_T3_ ; -- Begin function _ZN2at6native12_GLOBAL__N_122cunn_SoftMaxForwardRegIN3c108BFloat16EfS4_NS1_25LogSoftMaxForwardEpilogueElLi9EEEvPT1_PKT_T3_
	.p2align	8
	.type	_ZN2at6native12_GLOBAL__N_122cunn_SoftMaxForwardRegIN3c108BFloat16EfS4_NS1_25LogSoftMaxForwardEpilogueElLi9EEEvPT1_PKT_T3_,@function
_ZN2at6native12_GLOBAL__N_122cunn_SoftMaxForwardRegIN3c108BFloat16EfS4_NS1_25LogSoftMaxForwardEpilogueElLi9EEEvPT1_PKT_T3_: ; @_ZN2at6native12_GLOBAL__N_122cunn_SoftMaxForwardRegIN3c108BFloat16EfS4_NS1_25LogSoftMaxForwardEpilogueElLi9EEEvPT1_PKT_T3_
; %bb.0:
	s_clause 0x2
	s_load_dwordx2 s[8:9], s[4:5], 0x10
	s_load_dwordx4 s[16:19], s[4:5], 0x0
	s_load_dword s0, s[4:5], 0x24
	v_mov_b32_e32 v2, 0
	v_mov_b32_e32 v17, 0xff7fffff
	v_lshlrev_b32_e32 v11, 1, v0
	v_mov_b32_e32 v20, 0
	v_mov_b32_e32 v1, v2
	s_waitcnt lgkmcnt(0)
	s_mul_i32 s1, s9, s6
	s_mul_hi_u32 s3, s8, s6
	s_mul_i32 s2, s8, s6
	s_add_i32 s3, s3, s1
	v_cmp_gt_i64_e32 vcc_lo, s[8:9], v[0:1]
	s_lshl_b64 s[14:15], s[2:3], 1
	s_add_u32 s10, s18, s14
	s_addc_u32 s11, s19, s15
	s_and_saveexec_b32 s1, vcc_lo
	s_cbranch_execz .LBB163_2
; %bb.1:
	global_load_ushort v1, v11, s[10:11]
	s_waitcnt vmcnt(0)
	v_lshlrev_b32_e32 v20, 16, v1
	v_max_f32_e32 v1, v20, v20
	v_max_f32_e32 v17, 0xff7fffff, v1
.LBB163_2:
	s_or_b32 exec_lo, exec_lo, s1
	s_and_b32 s12, 0xffff, s0
	v_add_nc_u32_e32 v1, s12, v0
	v_cmp_gt_i64_e64 s0, s[8:9], v[1:2]
	v_lshlrev_b32_e32 v12, 1, v1
	s_and_saveexec_b32 s1, s0
	s_cbranch_execz .LBB163_4
; %bb.3:
	global_load_ushort v2, v12, s[10:11]
	v_max_f32_e32 v4, v17, v17
	s_waitcnt vmcnt(0)
	v_lshlrev_b32_e32 v2, 16, v2
	v_max_f32_e32 v3, v2, v2
	v_max_f32_e32 v17, v4, v3
.LBB163_4:
	s_or_b32 exec_lo, exec_lo, s1
	v_add_nc_u32_e32 v3, s12, v1
	v_mov_b32_e32 v4, 0
	v_lshlrev_b32_e32 v1, 1, v3
	v_cmp_gt_i64_e64 s1, s[8:9], v[3:4]
	v_mov_b32_e32 v21, v4
	s_and_saveexec_b32 s2, s1
	s_cbranch_execz .LBB163_6
; %bb.5:
	global_load_ushort v5, v1, s[10:11]
	v_max_f32_e32 v6, v17, v17
	s_waitcnt vmcnt(0)
	v_lshlrev_b32_e32 v21, 16, v5
	v_max_f32_e32 v5, v21, v21
	v_max_f32_e32 v17, v6, v5
.LBB163_6:
	s_or_b32 exec_lo, exec_lo, s2
	v_add_nc_u32_e32 v3, s12, v3
	v_cmp_gt_i64_e64 s2, s[8:9], v[3:4]
	v_lshlrev_b32_e32 v13, 1, v3
	s_and_saveexec_b32 s3, s2
	s_cbranch_execz .LBB163_8
; %bb.7:
	global_load_ushort v4, v13, s[10:11]
	v_max_f32_e32 v6, v17, v17
	s_waitcnt vmcnt(0)
	v_lshlrev_b32_e32 v4, 16, v4
	v_max_f32_e32 v5, v4, v4
	v_max_f32_e32 v17, v6, v5
.LBB163_8:
	s_or_b32 exec_lo, exec_lo, s3
	v_add_nc_u32_e32 v5, s12, v3
	v_mov_b32_e32 v6, 0
	v_lshlrev_b32_e32 v3, 1, v5
	v_cmp_gt_i64_e64 s3, s[8:9], v[5:6]
	v_mov_b32_e32 v28, v6
	s_and_saveexec_b32 s4, s3
	s_cbranch_execz .LBB163_10
; %bb.9:
	global_load_ushort v7, v3, s[10:11]
	v_max_f32_e32 v8, v17, v17
	s_waitcnt vmcnt(0)
	v_lshlrev_b32_e32 v28, 16, v7
	v_max_f32_e32 v7, v28, v28
	v_max_f32_e32 v17, v8, v7
.LBB163_10:
	s_or_b32 exec_lo, exec_lo, s4
	;; [unrolled: 30-line block ×3, first 2 shown]
	v_add_nc_u32_e32 v7, s12, v7
	v_cmp_gt_i64_e64 s6, s[8:9], v[7:8]
	v_lshlrev_b32_e32 v15, 1, v7
	s_and_saveexec_b32 s7, s6
	s_cbranch_execz .LBB163_16
; %bb.15:
	global_load_ushort v8, v15, s[10:11]
	v_max_f32_e32 v10, v17, v17
	s_waitcnt vmcnt(0)
	v_lshlrev_b32_e32 v8, 16, v8
	v_max_f32_e32 v9, v8, v8
	v_max_f32_e32 v17, v10, v9
.LBB163_16:
	s_or_b32 exec_lo, exec_lo, s7
	v_add_nc_u32_e32 v9, s12, v7
	v_mov_b32_e32 v10, 0
	v_lshlrev_b32_e32 v7, 1, v9
	v_cmp_gt_i64_e64 s7, s[8:9], v[9:10]
	s_and_saveexec_b32 s8, s7
	s_cbranch_execz .LBB163_18
; %bb.17:
	global_load_ushort v9, v7, s[10:11]
	v_max_f32_e32 v16, v17, v17
	s_waitcnt vmcnt(0)
	v_lshlrev_b32_e32 v10, 16, v9
	v_max_f32_e32 v9, v10, v10
	v_max_f32_e32 v17, v16, v9
.LBB163_18:
	s_or_b32 exec_lo, exec_lo, s8
	v_mbcnt_lo_u32_b32 v19, -1, 0
	v_lshrrev_b32_e32 v25, 3, v0
	s_barrier
	buffer_gl0_inv
	v_lshl_or_b32 v9, v19, 2, 64
	v_cmp_gt_u32_e64 s8, 24, v19
	ds_bpermute_b32 v18, v9, v17
	v_cndmask_b32_e64 v16, 0, 8, s8
	v_add_lshl_u32 v16, v16, v19, 2
	s_waitcnt lgkmcnt(0)
	v_cmp_lt_f32_e64 s8, v17, v18
	v_cndmask_b32_e64 v18, v17, v18, s8
	v_cmp_gt_u32_e64 s8, 28, v19
	ds_bpermute_b32 v22, v16, v18
	v_cndmask_b32_e64 v17, 0, 4, s8
	v_add_lshl_u32 v17, v17, v19, 2
	s_waitcnt lgkmcnt(0)
	v_cmp_lt_f32_e64 s8, v18, v22
	v_cndmask_b32_e64 v22, v18, v22, s8
	;; [unrolled: 7-line block ×3, first 2 shown]
	v_cmp_ne_u32_e64 s8, 31, v19
	ds_bpermute_b32 v23, v18, v22
	v_add_co_ci_u32_e64 v19, null, 0, v19, s8
	v_lshlrev_b32_e32 v19, 2, v19
	s_waitcnt lgkmcnt(0)
	v_cmp_lt_f32_e64 s8, v22, v23
	v_cndmask_b32_e64 v22, v22, v23, s8
	v_and_b32_e32 v23, 31, v0
	ds_bpermute_b32 v24, v19, v22
	v_cmp_eq_u32_e64 s8, 0, v23
	s_and_saveexec_b32 s9, s8
	s_xor_b32 s10, exec_lo, s9
	s_cbranch_execz .LBB163_20
; %bb.19:
	s_waitcnt lgkmcnt(0)
	v_cmp_lt_f32_e64 s9, v22, v24
	v_add_nc_u32_e32 v26, 0, v25
	v_cndmask_b32_e64 v22, v22, v24, s9
	ds_write_b32 v26, v22
.LBB163_20:
	s_or_b32 exec_lo, exec_lo, s10
	s_lshr_b32 s9, s12, 5
	v_mov_b32_e32 v22, 0xff7fffff
	v_cmp_gt_u32_e64 s9, s9, v0
	v_lshl_add_u32 v26, v23, 2, 0
	s_waitcnt lgkmcnt(0)
	s_barrier
	buffer_gl0_inv
	s_and_saveexec_b32 s10, s9
	s_cbranch_execnz .LBB163_40
; %bb.21:
	s_or_b32 exec_lo, exec_lo, s10
	v_cmp_gt_u32_e64 s10, 32, v0
	s_and_saveexec_b32 s12, s10
	s_cbranch_execnz .LBB163_41
.LBB163_22:
	s_or_b32 exec_lo, exec_lo, s12
	v_cmp_eq_u32_e64 s11, 0, v0
	s_and_saveexec_b32 s12, s11
	s_cbranch_execz .LBB163_24
.LBB163_23:
	v_mov_b32_e32 v0, 0
	s_waitcnt lgkmcnt(0)
	ds_write_b32 v0, v22
.LBB163_24:
	s_or_b32 exec_lo, exec_lo, s12
	v_mov_b32_e32 v27, 0
	s_waitcnt lgkmcnt(0)
	s_barrier
	buffer_gl0_inv
	ds_read_b32 v0, v27
	s_waitcnt lgkmcnt(0)
	s_barrier
	buffer_gl0_inv
	v_sub_f32_e32 v24, v20, v0
	v_sub_f32_e32 v23, v2, v0
	;; [unrolled: 1-line block ×5, first 2 shown]
	v_mul_f32_e32 v8, 0x3fb8aa3b, v24
	v_sub_f32_e32 v20, v28, v0
	v_sub_f32_e32 v6, v6, v0
	;; [unrolled: 1-line block ×4, first 2 shown]
	v_mul_f32_e32 v10, 0x3fb8aa3b, v23
	v_fma_f32 v35, 0x3fb8aa3b, v24, -v8
	v_rndne_f32_e32 v36, v8
	v_mul_f32_e32 v28, 0x3fb8aa3b, v22
	v_mul_f32_e32 v29, 0x3fb8aa3b, v21
	v_fma_f32 v37, 0x3fb8aa3b, v23, -v10
	v_rndne_f32_e32 v38, v10
	v_fmac_f32_e32 v35, 0x32a5705f, v24
	v_sub_f32_e32 v8, v8, v36
	v_fma_f32 v39, 0x3fb8aa3b, v22, -v28
	v_fmac_f32_e32 v37, 0x32a5705f, v23
	v_sub_f32_e32 v10, v10, v38
	v_rndne_f32_e32 v40, v28
	v_add_f32_e32 v8, v8, v35
	v_cvt_i32_f32_e32 v36, v36
	v_cvt_i32_f32_e32 v35, v38
	v_add_f32_e32 v10, v10, v37
	v_fmac_f32_e32 v39, 0x32a5705f, v22
	v_exp_f32_e32 v8, v8
	v_sub_f32_e32 v28, v28, v40
	v_cmp_ngt_f32_e64 s12, 0xc2ce8ed0, v24
	v_exp_f32_e32 v10, v10
	v_fma_f32 v41, 0x3fb8aa3b, v21, -v29
	v_rndne_f32_e32 v42, v29
	v_add_f32_e32 v28, v28, v39
	v_mul_f32_e32 v30, 0x3fb8aa3b, v20
	v_cvt_i32_f32_e32 v37, v40
	v_fmac_f32_e32 v41, 0x32a5705f, v21
	v_ldexp_f32 v8, v8, v36
	v_sub_f32_e32 v29, v29, v42
	v_exp_f32_e32 v28, v28
	v_ldexp_f32 v10, v10, v35
	v_fma_f32 v43, 0x3fb8aa3b, v20, -v30
	v_cndmask_b32_e64 v8, 0, v8, s12
	v_cmp_ngt_f32_e64 s12, 0xc2ce8ed0, v23
	v_rndne_f32_e32 v44, v30
	v_add_f32_e32 v29, v29, v41
	v_mul_f32_e32 v31, 0x3fb8aa3b, v6
	v_fmac_f32_e32 v43, 0x32a5705f, v20
	v_cndmask_b32_e64 v10, 0, v10, s12
	v_cmp_nlt_f32_e64 s12, 0x42b17218, v24
	v_sub_f32_e32 v30, v30, v44
	v_exp_f32_e32 v29, v29
	v_ldexp_f32 v28, v28, v37
	v_fma_f32 v45, 0x3fb8aa3b, v6, -v31
	v_cndmask_b32_e64 v8, 0x7f800000, v8, s12
	v_cmp_nlt_f32_e64 s12, 0x42b17218, v23
	v_rndne_f32_e32 v46, v31
	v_cvt_i32_f32_e32 v38, v42
	v_add_f32_e32 v30, v30, v43
	v_cndmask_b32_e32 v8, 0, v8, vcc_lo
	v_cndmask_b32_e64 v10, 0x7f800000, v10, s12
	v_cmp_ngt_f32_e64 s12, 0xc2ce8ed0, v22
	v_fmac_f32_e32 v45, 0x32a5705f, v6
	v_sub_f32_e32 v31, v31, v46
	v_exp_f32_e32 v30, v30
	v_add_f32_e32 v10, v8, v10
	v_cndmask_b32_e64 v28, 0, v28, s12
	v_cmp_nlt_f32_e64 s12, 0x42b17218, v22
	v_ldexp_f32 v29, v29, v38
	v_mul_f32_e32 v32, 0x3fb8aa3b, v4
	v_cndmask_b32_e64 v8, v8, v10, s0
	v_cvt_i32_f32_e32 v39, v44
	v_cndmask_b32_e64 v28, 0x7f800000, v28, s12
	v_cmp_ngt_f32_e64 s12, 0xc2ce8ed0, v21
	v_add_f32_e32 v10, v31, v45
	v_fma_f32 v47, 0x3fb8aa3b, v4, -v32
	v_rndne_f32_e32 v48, v32
	v_add_f32_e32 v28, v8, v28
	v_cndmask_b32_e64 v29, 0, v29, s12
	v_cmp_nlt_f32_e64 s12, 0x42b17218, v21
	v_exp_f32_e32 v10, v10
	v_ldexp_f32 v30, v30, v39
	v_cndmask_b32_e64 v8, v8, v28, s1
	v_mul_f32_e32 v33, 0x3fb8aa3b, v2
	v_cndmask_b32_e64 v29, 0x7f800000, v29, s12
	v_cmp_ngt_f32_e64 s12, 0xc2ce8ed0, v20
	v_fmac_f32_e32 v47, 0x32a5705f, v4
	v_sub_f32_e32 v28, v32, v48
	v_cvt_i32_f32_e32 v31, v46
	v_add_f32_e32 v29, v8, v29
	v_cndmask_b32_e64 v30, 0, v30, s12
	v_cmp_nlt_f32_e64 s12, 0x42b17218, v20
	v_fma_f32 v49, 0x3fb8aa3b, v2, -v33
	v_rndne_f32_e32 v50, v33
	v_add_f32_e32 v28, v28, v47
	v_ldexp_f32 v10, v10, v31
	v_cndmask_b32_e64 v30, 0x7f800000, v30, s12
	v_cndmask_b32_e64 v8, v8, v29, s2
	v_cmp_ngt_f32_e64 s12, 0xc2ce8ed0, v6
	v_mul_f32_e32 v34, 0x3fb8aa3b, v0
	v_fmac_f32_e32 v49, 0x32a5705f, v2
	v_exp_f32_e32 v28, v28
	v_add_f32_e32 v29, v8, v30
	v_cndmask_b32_e64 v10, 0, v10, s12
	v_sub_f32_e32 v30, v33, v50
	v_cmp_nlt_f32_e64 s12, 0x42b17218, v6
	v_fma_f32 v51, 0x3fb8aa3b, v0, -v34
	v_cvt_i32_f32_e32 v31, v48
	v_cndmask_b32_e64 v8, v8, v29, s3
	v_add_f32_e32 v29, v30, v49
	v_cndmask_b32_e64 v10, 0x7f800000, v10, s12
	v_rndne_f32_e32 v30, v34
	v_fmac_f32_e32 v51, 0x32a5705f, v0
	v_ldexp_f32 v28, v28, v31
	v_exp_f32_e32 v29, v29
	v_add_f32_e32 v10, v8, v10
	v_sub_f32_e32 v31, v34, v30
	v_cmp_ngt_f32_e64 s12, 0xc2ce8ed0, v4
	v_cvt_i32_f32_e32 v30, v30
	v_cndmask_b32_e64 v8, v8, v10, s4
	v_cvt_i32_f32_e32 v10, v50
	v_cndmask_b32_e64 v28, 0, v28, s12
	v_add_f32_e32 v31, v31, v51
	v_cmp_nlt_f32_e64 s12, 0x42b17218, v4
	v_ldexp_f32 v10, v29, v10
	v_exp_f32_e32 v29, v31
	v_cndmask_b32_e64 v28, 0x7f800000, v28, s12
	v_cmp_ngt_f32_e64 s12, 0xc2ce8ed0, v2
	v_add_f32_e32 v28, v8, v28
	v_cndmask_b32_e64 v10, 0, v10, s12
	v_cmp_nlt_f32_e64 s12, 0x42b17218, v2
	v_cndmask_b32_e64 v8, v8, v28, s5
	v_ldexp_f32 v28, v29, v30
	v_cndmask_b32_e64 v10, 0x7f800000, v10, s12
	v_cmp_ngt_f32_e64 s12, 0xc2ce8ed0, v0
	v_add_f32_e32 v10, v8, v10
	v_cndmask_b32_e64 v28, 0, v28, s12
	v_cmp_nlt_f32_e64 s12, 0x42b17218, v0
	v_cndmask_b32_e64 v8, v8, v10, s6
	v_cndmask_b32_e64 v10, 0x7f800000, v28, s12
	v_add_f32_e32 v10, v8, v10
	v_cndmask_b32_e64 v8, v8, v10, s7
	ds_bpermute_b32 v10, v9, v8
	s_waitcnt lgkmcnt(0)
	v_add_f32_e32 v8, v8, v10
	ds_bpermute_b32 v10, v16, v8
	s_waitcnt lgkmcnt(0)
	v_add_f32_e32 v8, v8, v10
	;; [unrolled: 3-line block ×4, first 2 shown]
	ds_bpermute_b32 v10, v19, v8
	s_and_saveexec_b32 s12, s8
	s_cbranch_execz .LBB163_26
; %bb.25:
	v_add_nc_u32_e32 v25, 0, v25
	s_waitcnt lgkmcnt(0)
	v_add_f32_e32 v8, v8, v10
	ds_write_b32 v25, v8
.LBB163_26:
	s_or_b32 exec_lo, exec_lo, s12
	s_waitcnt lgkmcnt(0)
	s_barrier
	buffer_gl0_inv
	s_and_saveexec_b32 s8, s9
	s_cbranch_execnz .LBB163_42
; %bb.27:
	s_or_b32 exec_lo, exec_lo, s8
	s_and_saveexec_b32 s8, s10
	s_cbranch_execnz .LBB163_43
.LBB163_28:
	s_or_b32 exec_lo, exec_lo, s8
	s_and_saveexec_b32 s8, s11
	s_cbranch_execz .LBB163_30
.LBB163_29:
	v_mov_b32_e32 v8, 0
	s_waitcnt lgkmcnt(0)
	ds_write_b32 v8, v27
.LBB163_30:
	s_or_b32 exec_lo, exec_lo, s8
	v_mov_b32_e32 v8, 0
	s_waitcnt lgkmcnt(0)
	s_barrier
	buffer_gl0_inv
	s_add_u32 s10, s16, s14
	ds_read_b32 v8, v8
	s_addc_u32 s11, s17, s15
	s_waitcnt lgkmcnt(0)
	v_cmp_gt_f32_e64 s8, 0x800000, v8
	v_cndmask_b32_e64 v9, 0, 0x41b17218, s8
	s_and_b32 s8, s8, exec_lo
	s_cselect_b32 s8, 32, 0
	v_ldexp_f32 v8, v8, s8
	v_log_f32_e32 v8, v8
	v_mul_f32_e32 v10, 0x3f317217, v8
	v_cmp_gt_f32_e64 s8, 0x7f800000, |v8|
	v_fma_f32 v10, 0x3f317217, v8, -v10
	v_fmamk_f32 v10, v8, 0x3377d1cf, v10
	v_fmac_f32_e32 v10, 0x3f317217, v8
	v_cndmask_b32_e64 v8, v8, v10, s8
	v_sub_f32_e32 v8, v8, v9
	s_and_saveexec_b32 s8, vcc_lo
	s_cbranch_execnz .LBB163_44
; %bb.31:
	s_or_b32 exec_lo, exec_lo, s8
	s_and_saveexec_b32 s8, s0
	s_cbranch_execnz .LBB163_45
.LBB163_32:
	s_or_b32 exec_lo, exec_lo, s8
	s_and_saveexec_b32 s0, s1
	s_cbranch_execnz .LBB163_46
.LBB163_33:
	s_or_b32 exec_lo, exec_lo, s0
	s_and_saveexec_b32 s0, s2
	s_cbranch_execnz .LBB163_47
.LBB163_34:
	s_or_b32 exec_lo, exec_lo, s0
	s_and_saveexec_b32 s0, s3
	s_cbranch_execnz .LBB163_48
.LBB163_35:
	s_or_b32 exec_lo, exec_lo, s0
	s_and_saveexec_b32 s0, s4
	s_cbranch_execnz .LBB163_49
.LBB163_36:
	s_or_b32 exec_lo, exec_lo, s0
	s_and_saveexec_b32 s0, s5
	s_cbranch_execnz .LBB163_50
.LBB163_37:
	s_or_b32 exec_lo, exec_lo, s0
	s_and_saveexec_b32 s0, s6
	s_cbranch_execnz .LBB163_51
.LBB163_38:
	s_or_b32 exec_lo, exec_lo, s0
	s_and_saveexec_b32 s0, s7
	s_cbranch_execnz .LBB163_52
.LBB163_39:
	s_endpgm
.LBB163_40:
	ds_read_b32 v22, v26
	s_or_b32 exec_lo, exec_lo, s10
	v_cmp_gt_u32_e64 s10, 32, v0
	s_and_saveexec_b32 s12, s10
	s_cbranch_execz .LBB163_22
.LBB163_41:
	s_waitcnt lgkmcnt(0)
	ds_bpermute_b32 v23, v9, v22
	s_waitcnt lgkmcnt(0)
	v_cmp_lt_f32_e64 s11, v22, v23
	v_cndmask_b32_e64 v22, v22, v23, s11
	ds_bpermute_b32 v23, v16, v22
	s_waitcnt lgkmcnt(0)
	v_cmp_lt_f32_e64 s11, v22, v23
	v_cndmask_b32_e64 v22, v22, v23, s11
	;; [unrolled: 4-line block ×5, first 2 shown]
	s_or_b32 exec_lo, exec_lo, s12
	v_cmp_eq_u32_e64 s11, 0, v0
	s_and_saveexec_b32 s12, s11
	s_cbranch_execnz .LBB163_23
	s_branch .LBB163_24
.LBB163_42:
	ds_read_b32 v27, v26
	s_or_b32 exec_lo, exec_lo, s8
	s_and_saveexec_b32 s8, s10
	s_cbranch_execz .LBB163_28
.LBB163_43:
	s_waitcnt lgkmcnt(0)
	ds_bpermute_b32 v8, v9, v27
	s_waitcnt lgkmcnt(0)
	v_add_f32_e32 v8, v27, v8
	ds_bpermute_b32 v9, v16, v8
	s_waitcnt lgkmcnt(0)
	v_add_f32_e32 v8, v8, v9
	;; [unrolled: 3-line block ×5, first 2 shown]
	s_or_b32 exec_lo, exec_lo, s8
	s_and_saveexec_b32 s8, s11
	s_cbranch_execnz .LBB163_29
	s_branch .LBB163_30
.LBB163_44:
	v_sub_f32_e32 v9, v24, v8
	v_bfe_u32 v10, v9, 16, 1
	v_cmp_o_f32_e32 vcc_lo, v9, v9
	v_add3_u32 v9, v9, v10, 0x7fff
	v_mov_b32_e32 v10, 0x7fc0
	v_cndmask_b32_sdwa v9, v10, v9, vcc_lo dst_sel:DWORD dst_unused:UNUSED_PAD src0_sel:DWORD src1_sel:WORD_1
	global_store_short v11, v9, s[10:11]
	s_or_b32 exec_lo, exec_lo, s8
	s_and_saveexec_b32 s8, s0
	s_cbranch_execz .LBB163_32
.LBB163_45:
	v_sub_f32_e32 v9, v23, v8
	v_bfe_u32 v10, v9, 16, 1
	v_cmp_o_f32_e32 vcc_lo, v9, v9
	v_add3_u32 v9, v9, v10, 0x7fff
	v_mov_b32_e32 v10, 0x7fc0
	v_cndmask_b32_sdwa v9, v10, v9, vcc_lo dst_sel:DWORD dst_unused:UNUSED_PAD src0_sel:DWORD src1_sel:WORD_1
	global_store_short v12, v9, s[10:11]
	s_or_b32 exec_lo, exec_lo, s8
	s_and_saveexec_b32 s0, s1
	s_cbranch_execz .LBB163_33
.LBB163_46:
	v_sub_f32_e32 v9, v22, v8
	v_bfe_u32 v10, v9, 16, 1
	v_cmp_o_f32_e32 vcc_lo, v9, v9
	v_add3_u32 v9, v9, v10, 0x7fff
	v_mov_b32_e32 v10, 0x7fc0
	v_cndmask_b32_sdwa v9, v10, v9, vcc_lo dst_sel:DWORD dst_unused:UNUSED_PAD src0_sel:DWORD src1_sel:WORD_1
	global_store_short v1, v9, s[10:11]
	s_or_b32 exec_lo, exec_lo, s0
	s_and_saveexec_b32 s0, s2
	s_cbranch_execz .LBB163_34
.LBB163_47:
	v_sub_f32_e32 v1, v21, v8
	v_bfe_u32 v9, v1, 16, 1
	v_cmp_o_f32_e32 vcc_lo, v1, v1
	v_add3_u32 v1, v1, v9, 0x7fff
	v_mov_b32_e32 v9, 0x7fc0
	v_cndmask_b32_sdwa v1, v9, v1, vcc_lo dst_sel:DWORD dst_unused:UNUSED_PAD src0_sel:DWORD src1_sel:WORD_1
	global_store_short v13, v1, s[10:11]
	s_or_b32 exec_lo, exec_lo, s0
	s_and_saveexec_b32 s0, s3
	s_cbranch_execz .LBB163_35
.LBB163_48:
	v_sub_f32_e32 v1, v20, v8
	v_bfe_u32 v9, v1, 16, 1
	v_cmp_o_f32_e32 vcc_lo, v1, v1
	v_add3_u32 v1, v1, v9, 0x7fff
	v_mov_b32_e32 v9, 0x7fc0
	v_cndmask_b32_sdwa v1, v9, v1, vcc_lo dst_sel:DWORD dst_unused:UNUSED_PAD src0_sel:DWORD src1_sel:WORD_1
	global_store_short v3, v1, s[10:11]
	s_or_b32 exec_lo, exec_lo, s0
	s_and_saveexec_b32 s0, s4
	s_cbranch_execz .LBB163_36
.LBB163_49:
	v_sub_f32_e32 v1, v6, v8
	v_bfe_u32 v3, v1, 16, 1
	v_cmp_o_f32_e32 vcc_lo, v1, v1
	v_add3_u32 v1, v1, v3, 0x7fff
	v_mov_b32_e32 v3, 0x7fc0
	v_cndmask_b32_sdwa v1, v3, v1, vcc_lo dst_sel:DWORD dst_unused:UNUSED_PAD src0_sel:DWORD src1_sel:WORD_1
	global_store_short v14, v1, s[10:11]
	s_or_b32 exec_lo, exec_lo, s0
	s_and_saveexec_b32 s0, s5
	s_cbranch_execz .LBB163_37
.LBB163_50:
	v_sub_f32_e32 v1, v4, v8
	v_bfe_u32 v3, v1, 16, 1
	v_cmp_o_f32_e32 vcc_lo, v1, v1
	v_add3_u32 v1, v1, v3, 0x7fff
	v_mov_b32_e32 v3, 0x7fc0
	v_cndmask_b32_sdwa v1, v3, v1, vcc_lo dst_sel:DWORD dst_unused:UNUSED_PAD src0_sel:DWORD src1_sel:WORD_1
	global_store_short v5, v1, s[10:11]
	s_or_b32 exec_lo, exec_lo, s0
	s_and_saveexec_b32 s0, s6
	s_cbranch_execz .LBB163_38
.LBB163_51:
	v_sub_f32_e32 v1, v2, v8
	v_bfe_u32 v2, v1, 16, 1
	v_cmp_o_f32_e32 vcc_lo, v1, v1
	v_add3_u32 v1, v1, v2, 0x7fff
	v_mov_b32_e32 v2, 0x7fc0
	v_cndmask_b32_sdwa v1, v2, v1, vcc_lo dst_sel:DWORD dst_unused:UNUSED_PAD src0_sel:DWORD src1_sel:WORD_1
	global_store_short v15, v1, s[10:11]
	s_or_b32 exec_lo, exec_lo, s0
	s_and_saveexec_b32 s0, s7
	s_cbranch_execz .LBB163_39
.LBB163_52:
	v_sub_f32_e32 v0, v0, v8
	v_bfe_u32 v1, v0, 16, 1
	v_cmp_o_f32_e32 vcc_lo, v0, v0
	v_add3_u32 v0, v0, v1, 0x7fff
	v_mov_b32_e32 v1, 0x7fc0
	v_cndmask_b32_sdwa v0, v1, v0, vcc_lo dst_sel:DWORD dst_unused:UNUSED_PAD src0_sel:DWORD src1_sel:WORD_1
	global_store_short v7, v0, s[10:11]
	s_endpgm
	.section	.rodata,"a",@progbits
	.p2align	6, 0x0
	.amdhsa_kernel _ZN2at6native12_GLOBAL__N_122cunn_SoftMaxForwardRegIN3c108BFloat16EfS4_NS1_25LogSoftMaxForwardEpilogueElLi9EEEvPT1_PKT_T3_
		.amdhsa_group_segment_fixed_size 0
		.amdhsa_private_segment_fixed_size 0
		.amdhsa_kernarg_size 280
		.amdhsa_user_sgpr_count 6
		.amdhsa_user_sgpr_private_segment_buffer 1
		.amdhsa_user_sgpr_dispatch_ptr 0
		.amdhsa_user_sgpr_queue_ptr 0
		.amdhsa_user_sgpr_kernarg_segment_ptr 1
		.amdhsa_user_sgpr_dispatch_id 0
		.amdhsa_user_sgpr_flat_scratch_init 0
		.amdhsa_user_sgpr_private_segment_size 0
		.amdhsa_wavefront_size32 1
		.amdhsa_uses_dynamic_stack 0
		.amdhsa_system_sgpr_private_segment_wavefront_offset 0
		.amdhsa_system_sgpr_workgroup_id_x 1
		.amdhsa_system_sgpr_workgroup_id_y 0
		.amdhsa_system_sgpr_workgroup_id_z 0
		.amdhsa_system_sgpr_workgroup_info 0
		.amdhsa_system_vgpr_workitem_id 0
		.amdhsa_next_free_vgpr 52
		.amdhsa_next_free_sgpr 20
		.amdhsa_reserve_vcc 1
		.amdhsa_reserve_flat_scratch 0
		.amdhsa_float_round_mode_32 0
		.amdhsa_float_round_mode_16_64 0
		.amdhsa_float_denorm_mode_32 3
		.amdhsa_float_denorm_mode_16_64 3
		.amdhsa_dx10_clamp 1
		.amdhsa_ieee_mode 1
		.amdhsa_fp16_overflow 0
		.amdhsa_workgroup_processor_mode 1
		.amdhsa_memory_ordered 1
		.amdhsa_forward_progress 1
		.amdhsa_shared_vgpr_count 0
		.amdhsa_exception_fp_ieee_invalid_op 0
		.amdhsa_exception_fp_denorm_src 0
		.amdhsa_exception_fp_ieee_div_zero 0
		.amdhsa_exception_fp_ieee_overflow 0
		.amdhsa_exception_fp_ieee_underflow 0
		.amdhsa_exception_fp_ieee_inexact 0
		.amdhsa_exception_int_div_zero 0
	.end_amdhsa_kernel
	.section	.text._ZN2at6native12_GLOBAL__N_122cunn_SoftMaxForwardRegIN3c108BFloat16EfS4_NS1_25LogSoftMaxForwardEpilogueElLi9EEEvPT1_PKT_T3_,"axG",@progbits,_ZN2at6native12_GLOBAL__N_122cunn_SoftMaxForwardRegIN3c108BFloat16EfS4_NS1_25LogSoftMaxForwardEpilogueElLi9EEEvPT1_PKT_T3_,comdat
.Lfunc_end163:
	.size	_ZN2at6native12_GLOBAL__N_122cunn_SoftMaxForwardRegIN3c108BFloat16EfS4_NS1_25LogSoftMaxForwardEpilogueElLi9EEEvPT1_PKT_T3_, .Lfunc_end163-_ZN2at6native12_GLOBAL__N_122cunn_SoftMaxForwardRegIN3c108BFloat16EfS4_NS1_25LogSoftMaxForwardEpilogueElLi9EEEvPT1_PKT_T3_
                                        ; -- End function
	.set _ZN2at6native12_GLOBAL__N_122cunn_SoftMaxForwardRegIN3c108BFloat16EfS4_NS1_25LogSoftMaxForwardEpilogueElLi9EEEvPT1_PKT_T3_.num_vgpr, 52
	.set _ZN2at6native12_GLOBAL__N_122cunn_SoftMaxForwardRegIN3c108BFloat16EfS4_NS1_25LogSoftMaxForwardEpilogueElLi9EEEvPT1_PKT_T3_.num_agpr, 0
	.set _ZN2at6native12_GLOBAL__N_122cunn_SoftMaxForwardRegIN3c108BFloat16EfS4_NS1_25LogSoftMaxForwardEpilogueElLi9EEEvPT1_PKT_T3_.numbered_sgpr, 20
	.set _ZN2at6native12_GLOBAL__N_122cunn_SoftMaxForwardRegIN3c108BFloat16EfS4_NS1_25LogSoftMaxForwardEpilogueElLi9EEEvPT1_PKT_T3_.num_named_barrier, 0
	.set _ZN2at6native12_GLOBAL__N_122cunn_SoftMaxForwardRegIN3c108BFloat16EfS4_NS1_25LogSoftMaxForwardEpilogueElLi9EEEvPT1_PKT_T3_.private_seg_size, 0
	.set _ZN2at6native12_GLOBAL__N_122cunn_SoftMaxForwardRegIN3c108BFloat16EfS4_NS1_25LogSoftMaxForwardEpilogueElLi9EEEvPT1_PKT_T3_.uses_vcc, 1
	.set _ZN2at6native12_GLOBAL__N_122cunn_SoftMaxForwardRegIN3c108BFloat16EfS4_NS1_25LogSoftMaxForwardEpilogueElLi9EEEvPT1_PKT_T3_.uses_flat_scratch, 0
	.set _ZN2at6native12_GLOBAL__N_122cunn_SoftMaxForwardRegIN3c108BFloat16EfS4_NS1_25LogSoftMaxForwardEpilogueElLi9EEEvPT1_PKT_T3_.has_dyn_sized_stack, 0
	.set _ZN2at6native12_GLOBAL__N_122cunn_SoftMaxForwardRegIN3c108BFloat16EfS4_NS1_25LogSoftMaxForwardEpilogueElLi9EEEvPT1_PKT_T3_.has_recursion, 0
	.set _ZN2at6native12_GLOBAL__N_122cunn_SoftMaxForwardRegIN3c108BFloat16EfS4_NS1_25LogSoftMaxForwardEpilogueElLi9EEEvPT1_PKT_T3_.has_indirect_call, 0
	.section	.AMDGPU.csdata,"",@progbits
; Kernel info:
; codeLenInByte = 3416
; TotalNumSgprs: 22
; NumVgprs: 52
; ScratchSize: 0
; MemoryBound: 0
; FloatMode: 240
; IeeeMode: 1
; LDSByteSize: 0 bytes/workgroup (compile time only)
; SGPRBlocks: 0
; VGPRBlocks: 6
; NumSGPRsForWavesPerEU: 22
; NumVGPRsForWavesPerEU: 52
; Occupancy: 16
; WaveLimiterHint : 0
; COMPUTE_PGM_RSRC2:SCRATCH_EN: 0
; COMPUTE_PGM_RSRC2:USER_SGPR: 6
; COMPUTE_PGM_RSRC2:TRAP_HANDLER: 0
; COMPUTE_PGM_RSRC2:TGID_X_EN: 1
; COMPUTE_PGM_RSRC2:TGID_Y_EN: 0
; COMPUTE_PGM_RSRC2:TGID_Z_EN: 0
; COMPUTE_PGM_RSRC2:TIDIG_COMP_CNT: 0
	.section	.text._ZN2at6native12_GLOBAL__N_123cunn_SoftMaxForwardSmemILi8EN3c108BFloat16EfS4_NS1_25LogSoftMaxForwardEpilogueElEEvPT2_PKT0_T4_,"axG",@progbits,_ZN2at6native12_GLOBAL__N_123cunn_SoftMaxForwardSmemILi8EN3c108BFloat16EfS4_NS1_25LogSoftMaxForwardEpilogueElEEvPT2_PKT0_T4_,comdat
	.globl	_ZN2at6native12_GLOBAL__N_123cunn_SoftMaxForwardSmemILi8EN3c108BFloat16EfS4_NS1_25LogSoftMaxForwardEpilogueElEEvPT2_PKT0_T4_ ; -- Begin function _ZN2at6native12_GLOBAL__N_123cunn_SoftMaxForwardSmemILi8EN3c108BFloat16EfS4_NS1_25LogSoftMaxForwardEpilogueElEEvPT2_PKT0_T4_
	.p2align	8
	.type	_ZN2at6native12_GLOBAL__N_123cunn_SoftMaxForwardSmemILi8EN3c108BFloat16EfS4_NS1_25LogSoftMaxForwardEpilogueElEEvPT2_PKT0_T4_,@function
_ZN2at6native12_GLOBAL__N_123cunn_SoftMaxForwardSmemILi8EN3c108BFloat16EfS4_NS1_25LogSoftMaxForwardEpilogueElEEvPT2_PKT0_T4_: ; @_ZN2at6native12_GLOBAL__N_123cunn_SoftMaxForwardSmemILi8EN3c108BFloat16EfS4_NS1_25LogSoftMaxForwardEpilogueElEEvPT2_PKT0_T4_
; %bb.0:
	s_clause 0x1
	s_load_dwordx2 s[12:13], s[4:5], 0x10
	s_load_dwordx4 s[8:11], s[4:5], 0x0
	v_mov_b32_e32 v1, 0
	v_lshlrev_b32_e32 v2, 3, v0
	v_mov_b32_e32 v8, 0xff7fffff
	v_lshlrev_b32_e32 v6, 4, v0
	s_mov_b32 s2, 0
	v_mov_b32_e32 v3, v1
	s_waitcnt lgkmcnt(0)
	v_cmp_gt_i64_e32 vcc_lo, s[12:13], v[2:3]
	s_mul_i32 s14, s13, s6
	s_mul_hi_u32 s15, s12, s6
	s_mul_i32 s6, s12, s6
	s_and_saveexec_b32 s3, vcc_lo
	s_cbranch_execz .LBB164_4
; %bb.1:
	s_load_dword s0, s[4:5], 0x24
	s_add_i32 s7, s15, s14
	v_mov_b32_e32 v5, v1
	v_add_nc_u32_e32 v7, 0, v6
	v_mov_b32_e32 v8, 0xff7fffff
	v_mov_b32_e32 v4, v0
	s_waitcnt lgkmcnt(0)
	s_and_b32 s16, s0, 0xffff
	s_lshl_b64 s[0:1], s[6:7], 1
	s_lshl_b32 s7, s16, 4
	s_add_u32 s0, s10, s0
	s_addc_u32 s1, s11, s1
	v_add_co_u32 v2, s0, s0, v6
	v_add_co_ci_u32_e64 v3, null, s1, 0, s0
	v_add_co_u32 v2, s0, v2, 8
	v_add_co_ci_u32_e64 v3, null, 0, v3, s0
	s_inst_prefetch 0x1
	.p2align	6
.LBB164_2:                              ; =>This Inner Loop Header: Depth=1
	global_load_dwordx4 v[9:12], v[2:3], off offset:-8
	v_add_co_u32 v4, s0, v4, s16
	v_add_co_ci_u32_e64 v5, null, 0, v5, s0
	v_add_co_u32 v2, s0, v2, s7
	v_add_co_ci_u32_e64 v3, null, 0, v3, s0
	s_waitcnt vmcnt(0)
	v_lshlrev_b32_e32 v13, 16, v9
	v_and_b32_e32 v14, 0xffff0000, v9
	v_lshlrev_b32_e32 v15, 16, v10
	v_and_b32_e32 v16, 0xffff0000, v10
	;; [unrolled: 2-line block ×3, first 2 shown]
	v_max3_f32 v8, v8, v13, v14
	v_lshlrev_b64 v[13:14], 3, v[4:5]
	ds_write_b128 v7, v[9:12]
	v_add_nc_u32_e32 v7, s7, v7
	v_max3_f32 v8, v8, v15, v16
	v_cmp_le_i64_e64 s1, s[12:13], v[13:14]
	v_lshlrev_b32_e32 v13, 16, v12
	v_and_b32_e32 v14, 0xffff0000, v12
	v_max3_f32 v8, v8, v17, v18
	s_or_b32 s2, s1, s2
	v_max3_f32 v8, v8, v13, v14
	s_andn2_b32 exec_lo, exec_lo, s2
	s_cbranch_execnz .LBB164_2
; %bb.3:
	s_inst_prefetch 0x2
	s_or_b32 exec_lo, exec_lo, s2
.LBB164_4:
	s_or_b32 exec_lo, exec_lo, s3
	v_mbcnt_lo_u32_b32 v2, -1, 0
	v_lshrrev_b32_e32 v11, 3, v0
	s_lshl_b32 s1, s12, 1
	s_waitcnt lgkmcnt(0)
	s_add_i32 s7, s1, 0
	v_lshl_or_b32 v5, v2, 2, 64
	v_cmp_gt_u32_e64 s0, 24, v2
	s_barrier
	buffer_gl0_inv
	ds_bpermute_b32 v3, v5, v8
	v_cndmask_b32_e64 v4, 0, 8, s0
	v_add_lshl_u32 v7, v4, v2, 2
	s_waitcnt lgkmcnt(0)
	v_cmp_lt_f32_e64 s0, v8, v3
	v_cndmask_b32_e64 v3, v8, v3, s0
	v_cmp_gt_u32_e64 s0, 28, v2
	ds_bpermute_b32 v4, v7, v3
	v_cndmask_b32_e64 v8, 0, 4, s0
	v_add_lshl_u32 v8, v8, v2, 2
	s_waitcnt lgkmcnt(0)
	v_cmp_lt_f32_e64 s0, v3, v4
	v_cndmask_b32_e64 v3, v3, v4, s0
	v_cmp_gt_u32_e64 s0, 30, v2
	ds_bpermute_b32 v4, v8, v3
	v_cndmask_b32_e64 v9, 0, 2, s0
	v_add_lshl_u32 v9, v9, v2, 2
	s_waitcnt lgkmcnt(0)
	v_cmp_lt_f32_e64 s0, v3, v4
	v_cndmask_b32_e64 v3, v3, v4, s0
	v_cmp_ne_u32_e64 s0, 31, v2
	ds_bpermute_b32 v4, v9, v3
	v_add_co_ci_u32_e64 v10, null, 0, v2, s0
	v_lshlrev_b32_e32 v10, 2, v10
	s_waitcnt lgkmcnt(0)
	v_cmp_lt_f32_e64 s0, v3, v4
	v_cndmask_b32_e64 v2, v3, v4, s0
	v_and_b32_e32 v3, 31, v0
	ds_bpermute_b32 v4, v10, v2
	v_cmp_eq_u32_e64 s0, 0, v3
	s_and_saveexec_b32 s2, s0
	s_cbranch_execz .LBB164_6
; %bb.5:
	s_waitcnt lgkmcnt(0)
	v_cmp_lt_f32_e64 s1, v2, v4
	v_add_nc_u32_e32 v12, s7, v11
	v_cndmask_b32_e64 v2, v2, v4, s1
	ds_write_b32 v12, v2
.LBB164_6:
	s_or_b32 exec_lo, exec_lo, s2
	s_waitcnt lgkmcnt(0)
	s_barrier
	buffer_gl0_inv
	s_load_dword s4, s[4:5], 0x24
	v_mov_b32_e32 v2, 0xff7fffff
	v_lshl_add_u32 v12, v3, 2, s7
	s_waitcnt lgkmcnt(0)
	s_bfe_u32 s1, s4, 0xb0005
	v_cmp_gt_u32_e64 s1, s1, v0
	s_and_saveexec_b32 s2, s1
	s_cbranch_execnz .LBB164_24
; %bb.7:
	s_or_b32 exec_lo, exec_lo, s2
	v_cmp_gt_u32_e64 s2, 32, v0
	s_and_saveexec_b32 s5, s2
	s_cbranch_execnz .LBB164_25
.LBB164_8:
	s_or_b32 exec_lo, exec_lo, s5
	v_cmp_eq_u32_e64 s3, 0, v0
	s_and_saveexec_b32 s5, s3
	s_cbranch_execz .LBB164_10
.LBB164_9:
	v_mov_b32_e32 v3, s7
	s_waitcnt lgkmcnt(0)
	ds_write_b32 v3, v2
.LBB164_10:
	s_or_b32 exec_lo, exec_lo, s5
	s_waitcnt lgkmcnt(0)
	v_mov_b32_e32 v2, s7
	s_barrier
	buffer_gl0_inv
	v_mov_b32_e32 v14, 0
	ds_read_b32 v4, v2
	s_and_b32 s10, 0xffff, s4
	s_and_saveexec_b32 s5, vcc_lo
	s_cbranch_execz .LBB164_14
; %bb.11:
	v_mov_b32_e32 v3, v1
	v_lshl_add_u32 v13, v0, 4, 0
	v_mov_b32_e32 v14, 0
	v_mov_b32_e32 v2, v0
	s_mov_b32 s11, 0
	s_lshl_b32 s16, s10, 4
.LBB164_12:                             ; =>This Inner Loop Header: Depth=1
	ds_read_b128 v[15:18], v13
	v_add_co_u32 v2, s4, v2, s10
	v_add_co_ci_u32_e64 v3, null, 0, v3, s4
	v_add_nc_u32_e32 v13, s16, v13
	v_lshlrev_b64 v[19:20], 3, v[2:3]
	s_waitcnt lgkmcnt(0)
	v_lshlrev_b32_e32 v21, 16, v15
	v_and_b32_e32 v15, 0xffff0000, v15
	v_lshlrev_b32_e32 v22, 16, v16
	v_and_b32_e32 v16, 0xffff0000, v16
	v_lshlrev_b32_e32 v23, 16, v17
	v_sub_f32_e32 v21, v21, v4
	v_sub_f32_e32 v15, v15, v4
	;; [unrolled: 1-line block ×5, first 2 shown]
	v_mul_f32_e32 v25, 0x3fb8aa3b, v21
	v_mul_f32_e32 v26, 0x3fb8aa3b, v15
	;; [unrolled: 1-line block ×4, first 2 shown]
	v_cmp_ngt_f32_e64 s4, 0xc2ce8ed0, v21
	v_fma_f32 v33, 0x3fb8aa3b, v21, -v25
	v_rndne_f32_e32 v34, v25
	v_fma_f32 v35, 0x3fb8aa3b, v15, -v26
	v_rndne_f32_e32 v36, v26
	v_fma_f32 v37, 0x3fb8aa3b, v22, -v27
	v_fmac_f32_e32 v33, 0x32a5705f, v21
	v_sub_f32_e32 v25, v25, v34
	v_fmac_f32_e32 v35, 0x32a5705f, v15
	v_sub_f32_e32 v26, v26, v36
	v_rndne_f32_e32 v38, v27
	v_cvt_i32_f32_e32 v34, v34
	v_add_f32_e32 v25, v25, v33
	v_fmac_f32_e32 v37, 0x32a5705f, v22
	v_add_f32_e32 v26, v26, v35
	v_sub_f32_e32 v27, v27, v38
	v_fma_f32 v39, 0x3fb8aa3b, v16, -v28
	v_exp_f32_e32 v25, v25
	v_rndne_f32_e32 v40, v28
	v_exp_f32_e32 v26, v26
	v_cvt_i32_f32_e32 v36, v36
	v_add_f32_e32 v27, v27, v37
	v_and_b32_e32 v17, 0xffff0000, v17
	v_mul_f32_e32 v29, 0x3fb8aa3b, v23
	v_fmac_f32_e32 v39, 0x32a5705f, v16
	v_sub_f32_e32 v28, v28, v40
	v_exp_f32_e32 v27, v27
	v_ldexp_f32 v25, v25, v34
	v_sub_f32_e32 v17, v17, v4
	v_ldexp_f32 v26, v26, v36
	v_fma_f32 v41, 0x3fb8aa3b, v23, -v29
	v_rndne_f32_e32 v42, v29
	v_cndmask_b32_e64 v25, 0, v25, s4
	v_cmp_ngt_f32_e64 s4, 0xc2ce8ed0, v15
	v_cvt_i32_f32_e32 v38, v38
	v_add_f32_e32 v28, v28, v39
	v_lshlrev_b32_e32 v24, 16, v18
	v_mul_f32_e32 v30, 0x3fb8aa3b, v17
	v_cndmask_b32_e64 v26, 0, v26, s4
	v_cmp_nlt_f32_e64 s4, 0x42b17218, v21
	v_fmac_f32_e32 v41, 0x32a5705f, v23
	v_sub_f32_e32 v29, v29, v42
	v_exp_f32_e32 v28, v28
	v_ldexp_f32 v27, v27, v38
	v_cndmask_b32_e64 v21, 0x7f800000, v25, s4
	v_cmp_ngt_f32_e64 s4, 0xc2ce8ed0, v22
	v_sub_f32_e32 v24, v24, v4
	v_fma_f32 v43, 0x3fb8aa3b, v17, -v30
	v_rndne_f32_e32 v44, v30
	v_cvt_i32_f32_e32 v40, v40
	v_add_f32_e32 v29, v29, v41
	v_cndmask_b32_e64 v25, 0, v27, s4
	v_cmp_nlt_f32_e64 s4, 0x42b17218, v15
	v_and_b32_e32 v18, 0xffff0000, v18
	v_mul_f32_e32 v31, 0x3fb8aa3b, v24
	v_fmac_f32_e32 v43, 0x32a5705f, v17
	v_sub_f32_e32 v30, v30, v44
	v_exp_f32_e32 v29, v29
	v_ldexp_f32 v28, v28, v40
	v_cndmask_b32_e64 v15, 0x7f800000, v26, s4
	v_cmp_ngt_f32_e64 s4, 0xc2ce8ed0, v16
	v_sub_f32_e32 v18, v18, v4
	v_fma_f32 v45, 0x3fb8aa3b, v24, -v31
	v_rndne_f32_e32 v46, v31
	v_cvt_i32_f32_e32 v42, v42
	v_add_f32_e32 v30, v30, v43
	v_add_f32_e32 v14, v14, v21
	v_cndmask_b32_e64 v21, 0, v28, s4
	v_cmp_nlt_f32_e64 s4, 0x42b17218, v22
	v_mul_f32_e32 v32, 0x3fb8aa3b, v18
	v_fmac_f32_e32 v45, 0x32a5705f, v24
	v_sub_f32_e32 v31, v31, v46
	v_exp_f32_e32 v30, v30
	v_ldexp_f32 v29, v29, v42
	v_cndmask_b32_e64 v22, 0x7f800000, v25, s4
	v_cmp_ngt_f32_e64 s4, 0xc2ce8ed0, v23
	v_fma_f32 v47, 0x3fb8aa3b, v18, -v32
	v_rndne_f32_e32 v48, v32
	v_cvt_i32_f32_e32 v44, v44
	v_add_f32_e32 v31, v31, v45
	v_add_f32_e32 v14, v14, v15
	v_cndmask_b32_e64 v15, 0, v29, s4
	v_cmp_nlt_f32_e64 s4, 0x42b17218, v16
	v_fmac_f32_e32 v47, 0x32a5705f, v18
	v_sub_f32_e32 v32, v32, v48
	v_exp_f32_e32 v31, v31
	v_ldexp_f32 v30, v30, v44
	v_cndmask_b32_e64 v16, 0x7f800000, v21, s4
	v_cmp_ngt_f32_e64 s4, 0xc2ce8ed0, v17
	v_cvt_i32_f32_e32 v46, v46
	v_add_f32_e32 v32, v32, v47
	v_add_f32_e32 v14, v14, v22
	v_cvt_i32_f32_e32 v48, v48
	v_cndmask_b32_e64 v21, 0, v30, s4
	v_cmp_nlt_f32_e64 s4, 0x42b17218, v23
	v_exp_f32_e32 v32, v32
	v_ldexp_f32 v31, v31, v46
	v_add_f32_e32 v14, v14, v16
	v_cndmask_b32_e64 v15, 0x7f800000, v15, s4
	v_cmp_ngt_f32_e64 s4, 0xc2ce8ed0, v24
	v_add_f32_e32 v14, v14, v15
	v_cndmask_b32_e64 v16, 0, v31, s4
	v_cmp_nlt_f32_e64 s4, 0x42b17218, v17
	v_ldexp_f32 v32, v32, v48
	v_cndmask_b32_e64 v17, 0x7f800000, v21, s4
	v_cmp_ngt_f32_e64 s4, 0xc2ce8ed0, v18
	v_add_f32_e32 v14, v14, v17
	v_cndmask_b32_e64 v15, 0, v32, s4
	v_cmp_nlt_f32_e64 s4, 0x42b17218, v24
	v_cndmask_b32_e64 v16, 0x7f800000, v16, s4
	v_cmp_nlt_f32_e64 s4, 0x42b17218, v18
	v_add_f32_e32 v14, v14, v16
	v_cndmask_b32_e64 v15, 0x7f800000, v15, s4
	v_cmp_le_i64_e64 s4, s[12:13], v[19:20]
	v_add_f32_e32 v14, v14, v15
	s_or_b32 s11, s4, s11
	s_andn2_b32 exec_lo, exec_lo, s11
	s_cbranch_execnz .LBB164_12
; %bb.13:
	s_or_b32 exec_lo, exec_lo, s11
.LBB164_14:
	s_or_b32 exec_lo, exec_lo, s5
	ds_bpermute_b32 v2, v5, v14
	s_waitcnt lgkmcnt(0)
	s_barrier
	buffer_gl0_inv
	v_add_f32_e32 v2, v14, v2
	ds_bpermute_b32 v3, v7, v2
	s_waitcnt lgkmcnt(0)
	v_add_f32_e32 v2, v2, v3
	ds_bpermute_b32 v3, v8, v2
	s_waitcnt lgkmcnt(0)
	;; [unrolled: 3-line block ×3, first 2 shown]
	v_add_f32_e32 v2, v2, v3
	ds_bpermute_b32 v3, v10, v2
	s_and_saveexec_b32 s4, s0
	s_cbranch_execz .LBB164_16
; %bb.15:
	v_add_nc_u32_e32 v11, s7, v11
	s_waitcnt lgkmcnt(0)
	v_add_f32_e32 v2, v2, v3
	ds_write_b32 v11, v2
.LBB164_16:
	s_or_b32 exec_lo, exec_lo, s4
	v_mov_b32_e32 v2, 0
	s_waitcnt lgkmcnt(0)
	s_barrier
	buffer_gl0_inv
	s_and_saveexec_b32 s0, s1
	s_cbranch_execnz .LBB164_26
; %bb.17:
	s_or_b32 exec_lo, exec_lo, s0
	s_and_saveexec_b32 s0, s2
	s_cbranch_execnz .LBB164_27
.LBB164_18:
	s_or_b32 exec_lo, exec_lo, s0
	s_and_saveexec_b32 s0, s3
	s_cbranch_execz .LBB164_20
.LBB164_19:
	v_mov_b32_e32 v3, s7
	s_waitcnt lgkmcnt(0)
	ds_write_b32 v3, v2
.LBB164_20:
	s_or_b32 exec_lo, exec_lo, s0
	s_waitcnt lgkmcnt(0)
	s_barrier
	buffer_gl0_inv
	s_and_saveexec_b32 s0, vcc_lo
	s_cbranch_execz .LBB164_23
; %bb.21:
	v_mov_b32_e32 v2, s7
	v_add_nc_u32_e32 v5, 0, v6
	ds_read_b32 v2, v2
	s_waitcnt lgkmcnt(0)
	v_cmp_gt_f32_e32 vcc_lo, 0x800000, v2
	s_and_b32 s0, vcc_lo, exec_lo
	s_cselect_b32 s0, 32, 0
	s_add_i32 s7, s15, s14
	v_ldexp_f32 v2, v2, s0
	s_lshl_b64 s[0:1], s[6:7], 1
	v_cndmask_b32_e64 v7, 0, 0x41b17218, vcc_lo
	s_lshl_b32 s11, s10, 4
	s_add_u32 s0, s8, s0
	v_log_f32_e32 v2, v2
	s_addc_u32 s1, s9, s1
	v_add_co_u32 v6, s0, s0, v6
	v_add_co_ci_u32_e64 v8, null, s1, 0, s0
	s_mov_b32 s8, 0
	v_mul_f32_e32 v3, 0x3f317217, v2
	v_cmp_gt_f32_e64 vcc_lo, 0x7f800000, |v2|
	v_fma_f32 v3, 0x3f317217, v2, -v3
	v_fmamk_f32 v3, v2, 0x3377d1cf, v3
	v_fmac_f32_e32 v3, 0x3f317217, v2
	v_cndmask_b32_e32 v9, v2, v3, vcc_lo
	v_add_co_u32 v2, vcc_lo, v6, 8
	v_add_co_ci_u32_e64 v3, null, 0, v8, vcc_lo
	v_sub_f32_e32 v6, v9, v7
	v_mov_b32_e32 v7, 1
.LBB164_22:                             ; =>This Inner Loop Header: Depth=1
	ds_read_b128 v[8:11], v5
	v_add_co_u32 v0, vcc_lo, v0, s10
	v_add_co_ci_u32_e64 v1, null, 0, v1, vcc_lo
	v_add_nc_u32_e32 v5, s11, v5
	v_lshlrev_b64 v[12:13], 3, v[0:1]
	v_cmp_le_i64_e32 vcc_lo, s[12:13], v[12:13]
	s_or_b32 s8, vcc_lo, s8
	s_waitcnt lgkmcnt(0)
	v_and_b32_e32 v12, 0xffff0000, v8
	v_lshlrev_b32_e32 v8, 16, v8
	v_and_b32_e32 v13, 0xffff0000, v9
	v_lshlrev_b32_e32 v9, 16, v9
	v_and_b32_e32 v14, 0xffff0000, v10
	v_lshlrev_b32_e32 v10, 16, v10
	v_and_b32_e32 v15, 0xffff0000, v11
	v_lshlrev_b32_e32 v11, 16, v11
	v_sub_f32_e32 v12, v12, v4
	v_sub_f32_e32 v8, v8, v4
	v_sub_f32_e32 v13, v13, v4
	v_sub_f32_e32 v9, v9, v4
	v_sub_f32_e32 v14, v14, v4
	v_sub_f32_e32 v10, v10, v4
	v_sub_f32_e32 v15, v15, v4
	v_sub_f32_e32 v11, v11, v4
	v_sub_f32_e32 v8, v8, v6
	v_sub_f32_e32 v12, v12, v6
	v_sub_f32_e32 v9, v9, v6
	v_sub_f32_e32 v13, v13, v6
	v_sub_f32_e32 v10, v10, v6
	v_sub_f32_e32 v14, v14, v6
	v_sub_f32_e32 v11, v11, v6
	v_sub_f32_e32 v15, v15, v6
	v_and_b32_sdwa v16, v12, v7 dst_sel:DWORD dst_unused:UNUSED_PAD src0_sel:WORD_1 src1_sel:DWORD
	v_and_b32_sdwa v17, v8, v7 dst_sel:DWORD dst_unused:UNUSED_PAD src0_sel:WORD_1 src1_sel:DWORD
	;; [unrolled: 1-line block ×8, first 2 shown]
	v_add3_u32 v16, v12, v16, 0x7fff
	v_add3_u32 v17, v8, v17, 0x7fff
	;; [unrolled: 1-line block ×8, first 2 shown]
	v_lshrrev_b32_e32 v17, 16, v17
	v_lshrrev_b32_e32 v16, 16, v16
	v_cmp_o_f32_e64 s0, v12, v12
	v_lshrrev_b32_e32 v12, 16, v19
	v_lshrrev_b32_e32 v18, 16, v18
	v_cmp_o_f32_e64 s1, v9, v9
	v_cmp_o_f32_e64 s2, v13, v13
	v_lshrrev_b32_e32 v9, 16, v21
	v_lshrrev_b32_e32 v13, 16, v20
	v_cmp_o_f32_e64 s3, v10, v10
	;; [unrolled: 4-line block ×3, first 2 shown]
	v_cmp_o_f32_e64 s6, v15, v15
	v_cmp_o_f32_e64 s7, v8, v8
	v_cndmask_b32_e64 v12, 0x7fc0, v12, s1
	v_cndmask_b32_e64 v9, 0x7fc0, v9, s3
	;; [unrolled: 1-line block ×8, first 2 shown]
	v_perm_b32 v11, v11, v10, 0x5040100
	v_perm_b32 v10, v13, v9, 0x5040100
	;; [unrolled: 1-line block ×4, first 2 shown]
	global_store_dwordx4 v[2:3], v[8:11], off offset:-8
	v_add_co_u32 v2, s0, v2, s11
	v_add_co_ci_u32_e64 v3, null, 0, v3, s0
	s_andn2_b32 exec_lo, exec_lo, s8
	s_cbranch_execnz .LBB164_22
.LBB164_23:
	s_endpgm
.LBB164_24:
	ds_read_b32 v2, v12
	s_or_b32 exec_lo, exec_lo, s2
	v_cmp_gt_u32_e64 s2, 32, v0
	s_and_saveexec_b32 s5, s2
	s_cbranch_execz .LBB164_8
.LBB164_25:
	s_waitcnt lgkmcnt(0)
	ds_bpermute_b32 v3, v5, v2
	s_waitcnt lgkmcnt(0)
	v_cmp_lt_f32_e64 s3, v2, v3
	v_cndmask_b32_e64 v2, v2, v3, s3
	ds_bpermute_b32 v3, v7, v2
	s_waitcnt lgkmcnt(0)
	v_cmp_lt_f32_e64 s3, v2, v3
	v_cndmask_b32_e64 v2, v2, v3, s3
	;; [unrolled: 4-line block ×5, first 2 shown]
	s_or_b32 exec_lo, exec_lo, s5
	v_cmp_eq_u32_e64 s3, 0, v0
	s_and_saveexec_b32 s5, s3
	s_cbranch_execnz .LBB164_9
	s_branch .LBB164_10
.LBB164_26:
	ds_read_b32 v2, v12
	s_or_b32 exec_lo, exec_lo, s0
	s_and_saveexec_b32 s0, s2
	s_cbranch_execz .LBB164_18
.LBB164_27:
	s_waitcnt lgkmcnt(0)
	ds_bpermute_b32 v3, v5, v2
	s_waitcnt lgkmcnt(0)
	v_add_f32_e32 v2, v2, v3
	ds_bpermute_b32 v3, v7, v2
	s_waitcnt lgkmcnt(0)
	v_add_f32_e32 v2, v2, v3
	;; [unrolled: 3-line block ×5, first 2 shown]
	s_or_b32 exec_lo, exec_lo, s0
	s_and_saveexec_b32 s0, s3
	s_cbranch_execnz .LBB164_19
	s_branch .LBB164_20
	.section	.rodata,"a",@progbits
	.p2align	6, 0x0
	.amdhsa_kernel _ZN2at6native12_GLOBAL__N_123cunn_SoftMaxForwardSmemILi8EN3c108BFloat16EfS4_NS1_25LogSoftMaxForwardEpilogueElEEvPT2_PKT0_T4_
		.amdhsa_group_segment_fixed_size 0
		.amdhsa_private_segment_fixed_size 0
		.amdhsa_kernarg_size 280
		.amdhsa_user_sgpr_count 6
		.amdhsa_user_sgpr_private_segment_buffer 1
		.amdhsa_user_sgpr_dispatch_ptr 0
		.amdhsa_user_sgpr_queue_ptr 0
		.amdhsa_user_sgpr_kernarg_segment_ptr 1
		.amdhsa_user_sgpr_dispatch_id 0
		.amdhsa_user_sgpr_flat_scratch_init 0
		.amdhsa_user_sgpr_private_segment_size 0
		.amdhsa_wavefront_size32 1
		.amdhsa_uses_dynamic_stack 0
		.amdhsa_system_sgpr_private_segment_wavefront_offset 0
		.amdhsa_system_sgpr_workgroup_id_x 1
		.amdhsa_system_sgpr_workgroup_id_y 0
		.amdhsa_system_sgpr_workgroup_id_z 0
		.amdhsa_system_sgpr_workgroup_info 0
		.amdhsa_system_vgpr_workitem_id 0
		.amdhsa_next_free_vgpr 49
		.amdhsa_next_free_sgpr 17
		.amdhsa_reserve_vcc 1
		.amdhsa_reserve_flat_scratch 0
		.amdhsa_float_round_mode_32 0
		.amdhsa_float_round_mode_16_64 0
		.amdhsa_float_denorm_mode_32 3
		.amdhsa_float_denorm_mode_16_64 3
		.amdhsa_dx10_clamp 1
		.amdhsa_ieee_mode 1
		.amdhsa_fp16_overflow 0
		.amdhsa_workgroup_processor_mode 1
		.amdhsa_memory_ordered 1
		.amdhsa_forward_progress 1
		.amdhsa_shared_vgpr_count 0
		.amdhsa_exception_fp_ieee_invalid_op 0
		.amdhsa_exception_fp_denorm_src 0
		.amdhsa_exception_fp_ieee_div_zero 0
		.amdhsa_exception_fp_ieee_overflow 0
		.amdhsa_exception_fp_ieee_underflow 0
		.amdhsa_exception_fp_ieee_inexact 0
		.amdhsa_exception_int_div_zero 0
	.end_amdhsa_kernel
	.section	.text._ZN2at6native12_GLOBAL__N_123cunn_SoftMaxForwardSmemILi8EN3c108BFloat16EfS4_NS1_25LogSoftMaxForwardEpilogueElEEvPT2_PKT0_T4_,"axG",@progbits,_ZN2at6native12_GLOBAL__N_123cunn_SoftMaxForwardSmemILi8EN3c108BFloat16EfS4_NS1_25LogSoftMaxForwardEpilogueElEEvPT2_PKT0_T4_,comdat
.Lfunc_end164:
	.size	_ZN2at6native12_GLOBAL__N_123cunn_SoftMaxForwardSmemILi8EN3c108BFloat16EfS4_NS1_25LogSoftMaxForwardEpilogueElEEvPT2_PKT0_T4_, .Lfunc_end164-_ZN2at6native12_GLOBAL__N_123cunn_SoftMaxForwardSmemILi8EN3c108BFloat16EfS4_NS1_25LogSoftMaxForwardEpilogueElEEvPT2_PKT0_T4_
                                        ; -- End function
	.set _ZN2at6native12_GLOBAL__N_123cunn_SoftMaxForwardSmemILi8EN3c108BFloat16EfS4_NS1_25LogSoftMaxForwardEpilogueElEEvPT2_PKT0_T4_.num_vgpr, 49
	.set _ZN2at6native12_GLOBAL__N_123cunn_SoftMaxForwardSmemILi8EN3c108BFloat16EfS4_NS1_25LogSoftMaxForwardEpilogueElEEvPT2_PKT0_T4_.num_agpr, 0
	.set _ZN2at6native12_GLOBAL__N_123cunn_SoftMaxForwardSmemILi8EN3c108BFloat16EfS4_NS1_25LogSoftMaxForwardEpilogueElEEvPT2_PKT0_T4_.numbered_sgpr, 17
	.set _ZN2at6native12_GLOBAL__N_123cunn_SoftMaxForwardSmemILi8EN3c108BFloat16EfS4_NS1_25LogSoftMaxForwardEpilogueElEEvPT2_PKT0_T4_.num_named_barrier, 0
	.set _ZN2at6native12_GLOBAL__N_123cunn_SoftMaxForwardSmemILi8EN3c108BFloat16EfS4_NS1_25LogSoftMaxForwardEpilogueElEEvPT2_PKT0_T4_.private_seg_size, 0
	.set _ZN2at6native12_GLOBAL__N_123cunn_SoftMaxForwardSmemILi8EN3c108BFloat16EfS4_NS1_25LogSoftMaxForwardEpilogueElEEvPT2_PKT0_T4_.uses_vcc, 1
	.set _ZN2at6native12_GLOBAL__N_123cunn_SoftMaxForwardSmemILi8EN3c108BFloat16EfS4_NS1_25LogSoftMaxForwardEpilogueElEEvPT2_PKT0_T4_.uses_flat_scratch, 0
	.set _ZN2at6native12_GLOBAL__N_123cunn_SoftMaxForwardSmemILi8EN3c108BFloat16EfS4_NS1_25LogSoftMaxForwardEpilogueElEEvPT2_PKT0_T4_.has_dyn_sized_stack, 0
	.set _ZN2at6native12_GLOBAL__N_123cunn_SoftMaxForwardSmemILi8EN3c108BFloat16EfS4_NS1_25LogSoftMaxForwardEpilogueElEEvPT2_PKT0_T4_.has_recursion, 0
	.set _ZN2at6native12_GLOBAL__N_123cunn_SoftMaxForwardSmemILi8EN3c108BFloat16EfS4_NS1_25LogSoftMaxForwardEpilogueElEEvPT2_PKT0_T4_.has_indirect_call, 0
	.section	.AMDGPU.csdata,"",@progbits
; Kernel info:
; codeLenInByte = 3164
; TotalNumSgprs: 19
; NumVgprs: 49
; ScratchSize: 0
; MemoryBound: 0
; FloatMode: 240
; IeeeMode: 1
; LDSByteSize: 0 bytes/workgroup (compile time only)
; SGPRBlocks: 0
; VGPRBlocks: 6
; NumSGPRsForWavesPerEU: 19
; NumVGPRsForWavesPerEU: 49
; Occupancy: 16
; WaveLimiterHint : 0
; COMPUTE_PGM_RSRC2:SCRATCH_EN: 0
; COMPUTE_PGM_RSRC2:USER_SGPR: 6
; COMPUTE_PGM_RSRC2:TRAP_HANDLER: 0
; COMPUTE_PGM_RSRC2:TGID_X_EN: 1
; COMPUTE_PGM_RSRC2:TGID_Y_EN: 0
; COMPUTE_PGM_RSRC2:TGID_Z_EN: 0
; COMPUTE_PGM_RSRC2:TIDIG_COMP_CNT: 0
	.section	.text._ZN2at6native12_GLOBAL__N_119cunn_SoftMaxForwardILi8EN3c108BFloat16EfS4_NS1_25LogSoftMaxForwardEpilogueEEEvPT2_PKT0_i,"axG",@progbits,_ZN2at6native12_GLOBAL__N_119cunn_SoftMaxForwardILi8EN3c108BFloat16EfS4_NS1_25LogSoftMaxForwardEpilogueEEEvPT2_PKT0_i,comdat
	.globl	_ZN2at6native12_GLOBAL__N_119cunn_SoftMaxForwardILi8EN3c108BFloat16EfS4_NS1_25LogSoftMaxForwardEpilogueEEEvPT2_PKT0_i ; -- Begin function _ZN2at6native12_GLOBAL__N_119cunn_SoftMaxForwardILi8EN3c108BFloat16EfS4_NS1_25LogSoftMaxForwardEpilogueEEEvPT2_PKT0_i
	.p2align	8
	.type	_ZN2at6native12_GLOBAL__N_119cunn_SoftMaxForwardILi8EN3c108BFloat16EfS4_NS1_25LogSoftMaxForwardEpilogueEEEvPT2_PKT0_i,@function
_ZN2at6native12_GLOBAL__N_119cunn_SoftMaxForwardILi8EN3c108BFloat16EfS4_NS1_25LogSoftMaxForwardEpilogueEEEvPT2_PKT0_i: ; @_ZN2at6native12_GLOBAL__N_119cunn_SoftMaxForwardILi8EN3c108BFloat16EfS4_NS1_25LogSoftMaxForwardEpilogueEEEvPT2_PKT0_i
; %bb.0:
	s_clause 0x1
	s_load_dword s7, s[4:5], 0x10
	s_load_dwordx4 s[8:11], s[4:5], 0x0
	s_mov_b32 s13, 0
	s_waitcnt lgkmcnt(0)
	s_ashr_i32 s0, s7, 31
	s_mul_hi_u32 s1, s7, s6
	s_mul_i32 s2, s0, s6
	s_mul_i32 s0, s7, s6
	s_add_i32 s1, s1, s2
	s_lshl_b64 s[14:15], s[0:1], 1
	s_add_u32 s10, s10, s14
	s_addc_u32 s11, s11, s15
	s_bfe_u32 s12, s10, 0x30001
	s_cmp_lg_u32 s12, 0
	s_cselect_b32 s18, -1, 0
	s_add_u32 s2, s4, 24
	s_addc_u32 s3, s5, 0
	s_and_b32 vcc_lo, exec_lo, s18
	s_cbranch_vccz .LBB165_25
; %bb.1:
	s_lshl_b64 s[0:1], s[12:13], 1
	v_cmp_le_u32_e32 vcc_lo, s12, v0
	s_sub_u32 s16, s10, s0
	s_subb_u32 s17, s11, s1
	s_add_i32 s1, s12, s7
	v_mov_b32_e32 v4, 0xff7fffff
	v_cmp_gt_i32_e64 s0, s1, v0
	s_and_b32 s2, vcc_lo, s0
	s_and_saveexec_b32 s0, s2
	s_cbranch_execz .LBB165_3
; %bb.2:
	v_lshlrev_b32_e32 v1, 1, v0
	global_load_ushort v1, v1, s[16:17]
	s_waitcnt vmcnt(0)
	v_lshlrev_b32_e32 v1, 16, v1
	v_max_f32_e32 v1, v1, v1
	v_max_f32_e32 v4, 0xff7fffff, v1
.LBB165_3:
	s_or_b32 exec_lo, exec_lo, s0
	s_load_dword s0, s[4:5], 0x24
	s_add_u32 s2, s4, 24
	s_addc_u32 s3, s5, 0
	s_waitcnt lgkmcnt(0)
	s_and_b32 s0, s0, 0xffff
	v_sub_nc_u32_e64 v1, s1, s0 clamp
	s_lshl_b32 s0, s0, 1
	s_add_u32 s0, s16, s0
	s_addc_u32 s1, s17, 0
	v_readfirstlane_b32 s13, v1
	s_branch .LBB165_5
.LBB165_4:
	v_mov_b32_e32 v4, 0xff7fffff
	s_mov_b32 s13, s7
	s_mov_b64 s[0:1], s[10:11]
.LBB165_5:
	s_load_dword s16, s[2:3], 0x0
	v_mov_b32_e32 v1, 0
	v_lshlrev_b32_e32 v3, 3, v0
	s_waitcnt lgkmcnt(0)
	s_cmp_lt_u32 s6, s16
	s_cselect_b32 s16, 12, 18
	s_add_u32 s2, s2, s16
	s_addc_u32 s3, s3, 0
	global_load_ushort v5, v1, s[2:3]
	s_waitcnt vmcnt(0)
	v_readfirstlane_b32 s2, v5
	s_lshl_b32 s2, s2, 3
	v_cvt_f32_u32_e32 v1, s2
	s_sub_i32 s16, 0, s2
	v_rcp_iflag_f32_e32 v1, v1
	v_mul_f32_e32 v1, 0x4f7ffffe, v1
	v_cvt_u32_f32_e32 v1, v1
	v_readfirstlane_b32 s3, v1
	s_mul_i32 s16, s16, s3
	s_mul_hi_u32 s16, s3, s16
	s_add_i32 s3, s3, s16
	s_mul_hi_u32 s3, s13, s3
	s_mul_i32 s3, s3, s2
	s_sub_i32 s3, s13, s3
	s_sub_i32 s16, s3, s2
	s_cmp_ge_u32 s3, s2
	s_cselect_b32 s3, s16, s3
	s_sub_i32 s16, s3, s2
	s_cmp_ge_u32 s3, s2
	s_cselect_b32 s2, s16, s3
	s_mov_b32 s16, 0
	s_sub_i32 s2, s13, s2
	s_mov_b32 s3, exec_lo
	v_cmpx_gt_i32_e64 s2, v3
	s_cbranch_execz .LBB165_9
; %bb.6:
	v_mov_b32_e32 v1, v0
	s_inst_prefetch 0x1
	.p2align	6
.LBB165_7:                              ; =>This Inner Loop Header: Depth=1
	v_ashrrev_i32_e32 v2, 31, v1
	v_lshlrev_b64 v[6:7], 4, v[1:2]
	v_add_nc_u32_e32 v1, v1, v5
	v_add_co_u32 v6, vcc_lo, s0, v6
	v_add_co_ci_u32_e64 v7, null, s1, v7, vcc_lo
	global_load_dwordx4 v[6:9], v[6:7], off
	s_waitcnt vmcnt(0)
	v_lshlrev_b32_e32 v2, 16, v6
	v_and_b32_e32 v6, 0xffff0000, v6
	v_lshlrev_b32_e32 v10, 16, v7
	v_and_b32_e32 v7, 0xffff0000, v7
	v_max3_f32 v2, v4, v2, v6
	v_lshlrev_b32_e32 v4, 16, v8
	v_and_b32_e32 v6, 0xffff0000, v8
	v_lshlrev_b32_e32 v8, 16, v9
	v_and_b32_e32 v9, 0xffff0000, v9
	v_max3_f32 v2, v2, v10, v7
	v_lshlrev_b32_e32 v7, 3, v1
	v_max3_f32 v2, v2, v4, v6
	v_cmp_le_i32_e32 vcc_lo, s2, v7
	v_max3_f32 v4, v2, v8, v9
	s_or_b32 s16, vcc_lo, s16
	s_andn2_b32 exec_lo, exec_lo, s16
	s_cbranch_execnz .LBB165_7
; %bb.8:
	s_inst_prefetch 0x2
	s_or_b32 exec_lo, exec_lo, s16
.LBB165_9:
	s_or_b32 exec_lo, exec_lo, s3
	v_add_nc_u32_e32 v1, s2, v0
	s_mov_b32 s2, exec_lo
	v_cmpx_gt_i32_e64 s13, v1
	s_cbranch_execz .LBB165_13
; %bb.10:
	s_mov_b32 s3, 0
	.p2align	6
.LBB165_11:                             ; =>This Inner Loop Header: Depth=1
	v_ashrrev_i32_e32 v2, 31, v1
	v_max_f32_e32 v4, v4, v4
	v_lshlrev_b64 v[6:7], 1, v[1:2]
	v_add_nc_u32_e32 v1, v1, v5
	v_add_co_u32 v6, vcc_lo, s0, v6
	v_add_co_ci_u32_e64 v7, null, s1, v7, vcc_lo
	v_cmp_le_i32_e32 vcc_lo, s13, v1
	global_load_ushort v2, v[6:7], off
	s_or_b32 s3, vcc_lo, s3
	s_waitcnt vmcnt(0)
	v_lshlrev_b32_e32 v2, 16, v2
	v_max_f32_e32 v2, v2, v2
	v_max_f32_e32 v4, v4, v2
	s_andn2_b32 exec_lo, exec_lo, s3
	s_cbranch_execnz .LBB165_11
; %bb.12:
	s_or_b32 exec_lo, exec_lo, s3
.LBB165_13:
	s_or_b32 exec_lo, exec_lo, s2
	v_mbcnt_lo_u32_b32 v1, -1, 0
	v_lshrrev_b32_e32 v12, 3, v0
	s_barrier
	buffer_gl0_inv
	v_lshl_or_b32 v7, v1, 2, 64
	v_cmp_gt_u32_e32 vcc_lo, 24, v1
	ds_bpermute_b32 v2, v7, v4
	v_cndmask_b32_e64 v5, 0, 8, vcc_lo
	v_add_lshl_u32 v8, v5, v1, 2
	s_waitcnt lgkmcnt(0)
	v_cmp_lt_f32_e32 vcc_lo, v4, v2
	v_cndmask_b32_e32 v2, v4, v2, vcc_lo
	v_cmp_gt_u32_e32 vcc_lo, 28, v1
	ds_bpermute_b32 v4, v8, v2
	v_cndmask_b32_e64 v5, 0, 4, vcc_lo
	v_add_lshl_u32 v9, v5, v1, 2
	s_waitcnt lgkmcnt(0)
	v_cmp_lt_f32_e32 vcc_lo, v2, v4
	v_cndmask_b32_e32 v2, v2, v4, vcc_lo
	;; [unrolled: 7-line block ×3, first 2 shown]
	v_cmp_ne_u32_e32 vcc_lo, 31, v1
	ds_bpermute_b32 v4, v10, v2
	v_add_co_ci_u32_e64 v5, null, 0, v1, vcc_lo
	v_lshlrev_b32_e32 v11, 2, v5
	s_waitcnt lgkmcnt(0)
	v_cmp_lt_f32_e32 vcc_lo, v2, v4
	v_cndmask_b32_e32 v1, v2, v4, vcc_lo
	v_and_b32_e32 v2, 31, v0
	ds_bpermute_b32 v4, v11, v1
	v_cmp_eq_u32_e64 s0, 0, v2
	s_and_saveexec_b32 s1, s0
	s_cbranch_execz .LBB165_15
; %bb.14:
	s_waitcnt lgkmcnt(0)
	v_cmp_lt_f32_e32 vcc_lo, v1, v4
	v_add_nc_u32_e32 v5, 0, v12
	v_cndmask_b32_e32 v1, v1, v4, vcc_lo
	ds_write_b32 v5, v1
.LBB165_15:
	s_or_b32 exec_lo, exec_lo, s1
	s_waitcnt lgkmcnt(0)
	s_barrier
	buffer_gl0_inv
	s_load_dword s20, s[4:5], 0x24
	s_add_u32 s16, s4, 24
	s_addc_u32 s17, s5, 0
	v_mov_b32_e32 v1, 0xff7fffff
	v_lshl_add_u32 v13, v2, 2, 0
	s_waitcnt lgkmcnt(0)
	s_bfe_u32 s1, s20, 0xb0005
	v_cmp_gt_u32_e64 s1, s1, v0
	s_and_saveexec_b32 s2, s1
	s_cbranch_execnz .LBB165_23
; %bb.16:
	s_or_b32 exec_lo, exec_lo, s2
	v_cmp_gt_u32_e64 s2, 32, v0
	s_and_saveexec_b32 s3, s2
	s_cbranch_execnz .LBB165_24
.LBB165_17:
	s_or_b32 exec_lo, exec_lo, s3
	v_cmp_eq_u32_e64 s3, 0, v0
	s_and_saveexec_b32 s4, s3
	s_cbranch_execz .LBB165_19
.LBB165_18:
	v_mov_b32_e32 v2, 0
	s_waitcnt lgkmcnt(0)
	ds_write_b32 v2, v1
.LBB165_19:
	s_or_b32 exec_lo, exec_lo, s4
	v_mov_b32_e32 v14, 0
	s_waitcnt lgkmcnt(0)
	s_barrier
	buffer_gl0_inv
	v_cndmask_b32_e64 v6, 0, 1, s18
	ds_read_b32 v4, v14
	s_andn2_b32 vcc_lo, exec_lo, s18
	s_mov_b32 s13, 0
	s_cbranch_vccnz .LBB165_26
; %bb.20:
	s_lshl_b64 s[4:5], s[12:13], 1
	v_cmp_le_u32_e32 vcc_lo, s12, v0
	s_sub_u32 s18, s10, s4
	s_subb_u32 s19, s11, s5
	s_add_i32 s5, s12, s7
	v_mov_b32_e32 v14, 0
	v_cmp_gt_i32_e64 s4, s5, v0
	s_and_b32 s13, vcc_lo, s4
	s_and_saveexec_b32 s4, s13
	s_cbranch_execz .LBB165_22
; %bb.21:
	v_lshlrev_b32_e32 v1, 1, v0
	global_load_ushort v1, v1, s[18:19]
	s_waitcnt vmcnt(0)
	v_lshlrev_b32_e32 v1, 16, v1
	s_waitcnt lgkmcnt(0)
	v_sub_f32_e32 v1, v1, v4
	v_mul_f32_e32 v2, 0x3fb8aa3b, v1
	v_cmp_ngt_f32_e32 vcc_lo, 0xc2ce8ed0, v1
	v_fma_f32 v5, 0x3fb8aa3b, v1, -v2
	v_rndne_f32_e32 v14, v2
	v_fmamk_f32 v5, v1, 0x32a5705f, v5
	v_sub_f32_e32 v2, v2, v14
	v_add_f32_e32 v2, v2, v5
	v_cvt_i32_f32_e32 v5, v14
	v_exp_f32_e32 v2, v2
	v_ldexp_f32 v2, v2, v5
	v_cndmask_b32_e32 v2, 0, v2, vcc_lo
	v_cmp_nlt_f32_e32 vcc_lo, 0x42b17218, v1
	v_cndmask_b32_e32 v14, 0x7f800000, v2, vcc_lo
.LBB165_22:
	s_or_b32 exec_lo, exec_lo, s4
	s_and_b32 s4, 0xffff, s20
	v_sub_nc_u32_e64 v1, s5, s4 clamp
	s_lshl_b32 s4, s4, 1
	s_add_u32 s4, s18, s4
	s_addc_u32 s5, s19, 0
	v_readfirstlane_b32 s13, v1
	s_branch .LBB165_27
.LBB165_23:
	ds_read_b32 v1, v13
	s_or_b32 exec_lo, exec_lo, s2
	v_cmp_gt_u32_e64 s2, 32, v0
	s_and_saveexec_b32 s3, s2
	s_cbranch_execz .LBB165_17
.LBB165_24:
	s_waitcnt lgkmcnt(0)
	ds_bpermute_b32 v2, v7, v1
	s_waitcnt lgkmcnt(0)
	v_cmp_lt_f32_e32 vcc_lo, v1, v2
	v_cndmask_b32_e32 v1, v1, v2, vcc_lo
	ds_bpermute_b32 v2, v8, v1
	s_waitcnt lgkmcnt(0)
	v_cmp_lt_f32_e32 vcc_lo, v1, v2
	v_cndmask_b32_e32 v1, v1, v2, vcc_lo
	;; [unrolled: 4-line block ×5, first 2 shown]
	s_or_b32 exec_lo, exec_lo, s3
	v_cmp_eq_u32_e64 s3, 0, v0
	s_and_saveexec_b32 s4, s3
	s_cbranch_execnz .LBB165_18
	s_branch .LBB165_19
.LBB165_25:
                                        ; implicit-def: $sgpr0_sgpr1
                                        ; implicit-def: $sgpr13
                                        ; implicit-def: $vgpr4
	s_cbranch_execnz .LBB165_4
	s_branch .LBB165_5
.LBB165_26:
	s_mov_b64 s[4:5], s[10:11]
	s_mov_b32 s13, s7
.LBB165_27:
	s_load_dword s18, s[16:17], 0x0
	v_mov_b32_e32 v1, 0
	s_mov_b32 s19, 0
	s_waitcnt lgkmcnt(0)
	s_cmp_lt_u32 s6, s18
	s_cselect_b32 s6, 12, 18
	s_add_u32 s16, s16, s6
	s_addc_u32 s17, s17, 0
	global_load_ushort v5, v1, s[16:17]
	s_waitcnt vmcnt(0)
	v_readfirstlane_b32 s6, v5
	s_lshl_b32 s6, s6, 3
	v_cvt_f32_u32_e32 v1, s6
	s_sub_i32 s17, 0, s6
	v_rcp_iflag_f32_e32 v1, v1
	v_mul_f32_e32 v1, 0x4f7ffffe, v1
	v_cvt_u32_f32_e32 v1, v1
	v_readfirstlane_b32 s16, v1
	s_mul_i32 s17, s17, s16
	s_mul_hi_u32 s17, s16, s17
	s_add_i32 s16, s16, s17
	s_mul_hi_u32 s17, s13, s16
	s_mul_i32 s17, s17, s6
	s_sub_i32 s17, s13, s17
	s_sub_i32 s18, s17, s6
	s_cmp_ge_u32 s17, s6
	s_cselect_b32 s17, s18, s17
	s_sub_i32 s18, s17, s6
	s_cmp_ge_u32 s17, s6
	s_cselect_b32 s17, s18, s17
	s_mov_b32 s18, exec_lo
	s_sub_i32 s17, s13, s17
	v_cmpx_gt_i32_e64 s17, v3
	s_cbranch_execz .LBB165_31
; %bb.28:
	v_mov_b32_e32 v1, v0
.LBB165_29:                             ; =>This Inner Loop Header: Depth=1
	v_ashrrev_i32_e32 v2, 31, v1
	v_lshlrev_b64 v[15:16], 4, v[1:2]
	v_add_nc_u32_e32 v1, v1, v5
	v_add_co_u32 v15, vcc_lo, s4, v15
	v_add_co_ci_u32_e64 v16, null, s5, v16, vcc_lo
	global_load_dwordx4 v[15:18], v[15:16], off
	s_waitcnt vmcnt(0)
	v_lshlrev_b32_e32 v2, 16, v15
	v_and_b32_e32 v15, 0xffff0000, v15
	v_lshlrev_b32_e32 v19, 16, v16
	v_and_b32_e32 v16, 0xffff0000, v16
	v_lshlrev_b32_e32 v20, 16, v17
	v_sub_f32_e32 v2, v2, v4
	v_sub_f32_e32 v15, v15, v4
	;; [unrolled: 1-line block ×5, first 2 shown]
	v_mul_f32_e32 v22, 0x3fb8aa3b, v2
	v_mul_f32_e32 v23, 0x3fb8aa3b, v15
	;; [unrolled: 1-line block ×4, first 2 shown]
	v_cmp_ngt_f32_e32 vcc_lo, 0xc2ce8ed0, v2
	v_fma_f32 v30, 0x3fb8aa3b, v2, -v22
	v_rndne_f32_e32 v31, v22
	v_fma_f32 v32, 0x3fb8aa3b, v15, -v23
	v_rndne_f32_e32 v33, v23
	v_fma_f32 v34, 0x3fb8aa3b, v19, -v24
	v_fmac_f32_e32 v30, 0x32a5705f, v2
	v_sub_f32_e32 v22, v22, v31
	v_fmac_f32_e32 v32, 0x32a5705f, v15
	v_sub_f32_e32 v23, v23, v33
	v_rndne_f32_e32 v35, v24
	v_cvt_i32_f32_e32 v31, v31
	v_add_f32_e32 v22, v22, v30
	v_fmac_f32_e32 v34, 0x32a5705f, v19
	v_add_f32_e32 v23, v23, v32
	v_sub_f32_e32 v24, v24, v35
	v_fma_f32 v36, 0x3fb8aa3b, v16, -v25
	v_exp_f32_e32 v22, v22
	v_rndne_f32_e32 v37, v25
	v_exp_f32_e32 v23, v23
	v_cvt_i32_f32_e32 v33, v33
	v_add_f32_e32 v24, v24, v34
	v_and_b32_e32 v17, 0xffff0000, v17
	v_mul_f32_e32 v26, 0x3fb8aa3b, v20
	v_fmac_f32_e32 v36, 0x32a5705f, v16
	v_sub_f32_e32 v25, v25, v37
	v_exp_f32_e32 v24, v24
	v_ldexp_f32 v22, v22, v31
	v_sub_f32_e32 v17, v17, v4
	v_ldexp_f32 v23, v23, v33
	v_fma_f32 v38, 0x3fb8aa3b, v20, -v26
	v_rndne_f32_e32 v39, v26
	v_cndmask_b32_e32 v22, 0, v22, vcc_lo
	v_cmp_ngt_f32_e32 vcc_lo, 0xc2ce8ed0, v15
	v_cvt_i32_f32_e32 v35, v35
	v_add_f32_e32 v25, v25, v36
	v_lshlrev_b32_e32 v21, 16, v18
	v_mul_f32_e32 v27, 0x3fb8aa3b, v17
	v_cndmask_b32_e32 v23, 0, v23, vcc_lo
	v_cmp_nlt_f32_e32 vcc_lo, 0x42b17218, v2
	v_fmac_f32_e32 v38, 0x32a5705f, v20
	v_sub_f32_e32 v26, v26, v39
	v_exp_f32_e32 v25, v25
	v_ldexp_f32 v24, v24, v35
	v_cndmask_b32_e32 v2, 0x7f800000, v22, vcc_lo
	v_cmp_ngt_f32_e32 vcc_lo, 0xc2ce8ed0, v19
	v_sub_f32_e32 v21, v21, v4
	v_fma_f32 v40, 0x3fb8aa3b, v17, -v27
	v_rndne_f32_e32 v41, v27
	v_cvt_i32_f32_e32 v37, v37
	v_add_f32_e32 v26, v26, v38
	v_cndmask_b32_e32 v22, 0, v24, vcc_lo
	v_cmp_nlt_f32_e32 vcc_lo, 0x42b17218, v15
	v_and_b32_e32 v18, 0xffff0000, v18
	v_mul_f32_e32 v28, 0x3fb8aa3b, v21
	v_fmac_f32_e32 v40, 0x32a5705f, v17
	v_sub_f32_e32 v27, v27, v41
	v_exp_f32_e32 v26, v26
	v_ldexp_f32 v25, v25, v37
	v_cndmask_b32_e32 v15, 0x7f800000, v23, vcc_lo
	v_cmp_ngt_f32_e32 vcc_lo, 0xc2ce8ed0, v16
	v_sub_f32_e32 v18, v18, v4
	v_fma_f32 v42, 0x3fb8aa3b, v21, -v28
	v_rndne_f32_e32 v43, v28
	v_cvt_i32_f32_e32 v39, v39
	v_add_f32_e32 v27, v27, v40
	v_add_f32_e32 v2, v14, v2
	v_cndmask_b32_e32 v14, 0, v25, vcc_lo
	v_cmp_nlt_f32_e32 vcc_lo, 0x42b17218, v19
	v_mul_f32_e32 v29, 0x3fb8aa3b, v18
	v_fmac_f32_e32 v42, 0x32a5705f, v21
	v_sub_f32_e32 v28, v28, v43
	v_exp_f32_e32 v27, v27
	v_ldexp_f32 v26, v26, v39
	v_cndmask_b32_e32 v19, 0x7f800000, v22, vcc_lo
	v_cmp_ngt_f32_e32 vcc_lo, 0xc2ce8ed0, v20
	v_fma_f32 v44, 0x3fb8aa3b, v18, -v29
	v_rndne_f32_e32 v45, v29
	v_cvt_i32_f32_e32 v41, v41
	v_add_f32_e32 v28, v28, v42
	v_add_f32_e32 v2, v2, v15
	v_cndmask_b32_e32 v15, 0, v26, vcc_lo
	v_cmp_nlt_f32_e32 vcc_lo, 0x42b17218, v16
	v_fmac_f32_e32 v44, 0x32a5705f, v18
	v_sub_f32_e32 v29, v29, v45
	v_exp_f32_e32 v28, v28
	v_ldexp_f32 v27, v27, v41
	v_cndmask_b32_e32 v14, 0x7f800000, v14, vcc_lo
	v_cmp_ngt_f32_e32 vcc_lo, 0xc2ce8ed0, v17
	v_cvt_i32_f32_e32 v43, v43
	v_add_f32_e32 v29, v29, v44
	v_add_f32_e32 v2, v2, v19
	v_cvt_i32_f32_e32 v45, v45
	v_cndmask_b32_e32 v16, 0, v27, vcc_lo
	v_cmp_nlt_f32_e32 vcc_lo, 0x42b17218, v20
	v_exp_f32_e32 v29, v29
	v_ldexp_f32 v28, v28, v43
	v_add_f32_e32 v2, v2, v14
	v_cndmask_b32_e32 v15, 0x7f800000, v15, vcc_lo
	v_cmp_ngt_f32_e32 vcc_lo, 0xc2ce8ed0, v21
	v_add_f32_e32 v2, v2, v15
	v_cndmask_b32_e32 v14, 0, v28, vcc_lo
	v_cmp_nlt_f32_e32 vcc_lo, 0x42b17218, v17
	v_ldexp_f32 v29, v29, v45
	v_cndmask_b32_e32 v16, 0x7f800000, v16, vcc_lo
	v_cmp_ngt_f32_e32 vcc_lo, 0xc2ce8ed0, v18
	v_add_f32_e32 v2, v2, v16
	v_cndmask_b32_e32 v15, 0, v29, vcc_lo
	v_cmp_nlt_f32_e32 vcc_lo, 0x42b17218, v21
	v_lshlrev_b32_e32 v16, 3, v1
	v_cndmask_b32_e32 v14, 0x7f800000, v14, vcc_lo
	v_cmp_nlt_f32_e32 vcc_lo, 0x42b17218, v18
	v_add_f32_e32 v2, v2, v14
	v_cndmask_b32_e32 v15, 0x7f800000, v15, vcc_lo
	v_cmp_le_i32_e32 vcc_lo, s17, v16
	v_add_f32_e32 v14, v2, v15
	s_or_b32 s19, vcc_lo, s19
	s_andn2_b32 exec_lo, exec_lo, s19
	s_cbranch_execnz .LBB165_29
; %bb.30:
	s_or_b32 exec_lo, exec_lo, s19
.LBB165_31:
	s_or_b32 exec_lo, exec_lo, s18
	v_add_nc_u32_e32 v1, s17, v0
	s_mov_b32 s17, exec_lo
	v_cmpx_gt_i32_e64 s13, v1
	s_cbranch_execz .LBB165_35
; %bb.32:
	s_mov_b32 s18, 0
	s_inst_prefetch 0x1
	.p2align	6
.LBB165_33:                             ; =>This Inner Loop Header: Depth=1
	v_ashrrev_i32_e32 v2, 31, v1
	v_lshlrev_b64 v[15:16], 1, v[1:2]
	v_add_nc_u32_e32 v1, v1, v5
	v_add_co_u32 v15, vcc_lo, s4, v15
	v_add_co_ci_u32_e64 v16, null, s5, v16, vcc_lo
	global_load_ushort v2, v[15:16], off
	s_waitcnt vmcnt(0)
	v_lshlrev_b32_e32 v2, 16, v2
	v_sub_f32_e32 v2, v2, v4
	v_mul_f32_e32 v15, 0x3fb8aa3b, v2
	v_cmp_ngt_f32_e32 vcc_lo, 0xc2ce8ed0, v2
	v_fma_f32 v16, 0x3fb8aa3b, v2, -v15
	v_rndne_f32_e32 v17, v15
	v_fmac_f32_e32 v16, 0x32a5705f, v2
	v_sub_f32_e32 v15, v15, v17
	v_add_f32_e32 v15, v15, v16
	v_cvt_i32_f32_e32 v16, v17
	v_exp_f32_e32 v15, v15
	v_ldexp_f32 v15, v15, v16
	v_cndmask_b32_e32 v15, 0, v15, vcc_lo
	v_cmp_nlt_f32_e32 vcc_lo, 0x42b17218, v2
	v_cndmask_b32_e32 v2, 0x7f800000, v15, vcc_lo
	v_cmp_le_i32_e32 vcc_lo, s13, v1
	v_add_f32_e32 v14, v14, v2
	s_or_b32 s18, vcc_lo, s18
	s_andn2_b32 exec_lo, exec_lo, s18
	s_cbranch_execnz .LBB165_33
; %bb.34:
	s_inst_prefetch 0x2
	s_or_b32 exec_lo, exec_lo, s18
.LBB165_35:
	s_or_b32 exec_lo, exec_lo, s17
	ds_bpermute_b32 v1, v7, v14
	s_waitcnt lgkmcnt(0)
	s_barrier
	buffer_gl0_inv
	v_add_f32_e32 v1, v14, v1
	ds_bpermute_b32 v2, v8, v1
	s_waitcnt lgkmcnt(0)
	v_add_f32_e32 v1, v1, v2
	ds_bpermute_b32 v2, v9, v1
	s_waitcnt lgkmcnt(0)
	;; [unrolled: 3-line block ×3, first 2 shown]
	v_add_f32_e32 v1, v1, v2
	ds_bpermute_b32 v2, v11, v1
	s_and_saveexec_b32 s4, s0
	s_cbranch_execz .LBB165_37
; %bb.36:
	v_add_nc_u32_e32 v12, 0, v12
	s_waitcnt lgkmcnt(0)
	v_add_f32_e32 v1, v1, v2
	ds_write_b32 v12, v1
.LBB165_37:
	s_or_b32 exec_lo, exec_lo, s4
	v_mov_b32_e32 v1, 0
	s_waitcnt lgkmcnt(0)
	s_barrier
	buffer_gl0_inv
	s_and_saveexec_b32 s0, s1
	s_cbranch_execnz .LBB165_58
; %bb.38:
	s_or_b32 exec_lo, exec_lo, s0
	s_and_saveexec_b32 s0, s2
	s_cbranch_execnz .LBB165_59
.LBB165_39:
	s_or_b32 exec_lo, exec_lo, s0
	s_and_saveexec_b32 s0, s3
	s_cbranch_execz .LBB165_41
.LBB165_40:
	v_mov_b32_e32 v2, 0
	s_waitcnt lgkmcnt(0)
	ds_write_b32 v2, v1
.LBB165_41:
	s_or_b32 exec_lo, exec_lo, s0
	s_waitcnt lgkmcnt(0)
	v_mov_b32_e32 v1, 0
	s_barrier
	buffer_gl0_inv
	s_and_b32 s17, 0xffff, s20
	ds_read_b32 v1, v1
	s_add_u32 s1, s8, s14
	s_addc_u32 s5, s9, s15
	s_bfe_u32 s0, s1, 0x30001
	s_waitcnt lgkmcnt(0)
	v_cmp_gt_f32_e32 vcc_lo, 0x800000, v1
	s_and_b32 s2, vcc_lo, exec_lo
	s_cselect_b32 s2, 32, 0
	v_cndmask_b32_e64 v2, 0, 0x41b17218, vcc_lo
	v_ldexp_f32 v1, v1, s2
	s_cmp_lg_u32 s12, s0
	s_mov_b32 s0, -1
	v_log_f32_e32 v1, v1
	v_mul_f32_e32 v7, 0x3f317217, v1
	v_cmp_gt_f32_e64 vcc_lo, 0x7f800000, |v1|
	v_fma_f32 v7, 0x3f317217, v1, -v7
	v_fmamk_f32 v7, v1, 0x3377d1cf, v7
	v_fmac_f32_e32 v7, 0x3f317217, v1
	v_cndmask_b32_e32 v1, v1, v7, vcc_lo
	v_sub_f32_e32 v7, v1, v2
	s_cbranch_scc0 .LBB165_46
; %bb.42:
	s_mov_b32 s2, exec_lo
	v_cmpx_gt_i32_e64 s7, v0
	s_cbranch_execz .LBB165_45
; %bb.43:
	v_mov_b32_e32 v8, 0x7fc0
	v_mov_b32_e32 v1, v0
	s_mov_b32 s3, 0
	.p2align	6
.LBB165_44:                             ; =>This Inner Loop Header: Depth=1
	v_ashrrev_i32_e32 v2, 31, v1
	v_lshlrev_b64 v[9:10], 1, v[1:2]
	v_add_nc_u32_e32 v1, s17, v1
	v_cmp_le_i32_e64 s0, s7, v1
	v_add_co_u32 v11, vcc_lo, s10, v9
	v_add_co_ci_u32_e64 v12, null, s11, v10, vcc_lo
	s_or_b32 s3, s0, s3
	global_load_ushort v2, v[11:12], off
	s_waitcnt vmcnt(0)
	v_lshlrev_b32_e32 v2, 16, v2
	v_sub_f32_e32 v2, v2, v4
	v_sub_f32_e32 v2, v2, v7
	v_bfe_u32 v11, v2, 16, 1
	v_cmp_o_f32_e32 vcc_lo, v2, v2
	v_add3_u32 v2, v2, v11, 0x7fff
	v_cndmask_b32_sdwa v2, v8, v2, vcc_lo dst_sel:DWORD dst_unused:UNUSED_PAD src0_sel:DWORD src1_sel:WORD_1
	v_add_co_u32 v9, vcc_lo, s1, v9
	v_add_co_ci_u32_e64 v10, null, s5, v10, vcc_lo
	global_store_short v[9:10], v2, off
	s_andn2_b32 exec_lo, exec_lo, s3
	s_cbranch_execnz .LBB165_44
.LBB165_45:
	s_or_b32 exec_lo, exec_lo, s2
	s_mov_b32 s0, 0
.LBB165_46:
	s_andn2_b32 vcc_lo, exec_lo, s0
	s_cbranch_vccnz .LBB165_57
; %bb.47:
	v_cmp_ne_u32_e32 vcc_lo, 1, v6
	s_cbranch_vccnz .LBB165_51
; %bb.48:
	s_mov_b32 s13, 0
	v_cmp_le_u32_e32 vcc_lo, s12, v0
	s_lshl_b64 s[8:9], s[12:13], 1
	s_sub_u32 s2, s10, s8
	s_subb_u32 s3, s11, s9
	s_sub_u32 s4, s1, s8
	s_subb_u32 s5, s5, s9
	s_add_i32 s1, s12, s7
	v_cmp_gt_i32_e64 s0, s1, v0
	s_and_b32 s7, vcc_lo, s0
	s_and_saveexec_b32 s0, s7
	s_cbranch_execz .LBB165_50
; %bb.49:
	v_lshlrev_b32_e32 v1, 1, v0
	global_load_ushort v2, v1, s[2:3]
	s_waitcnt vmcnt(0)
	v_lshlrev_b32_e32 v2, 16, v2
	v_sub_f32_e32 v2, v2, v4
	v_sub_f32_e32 v2, v2, v7
	v_bfe_u32 v6, v2, 16, 1
	v_cmp_o_f32_e32 vcc_lo, v2, v2
	v_add3_u32 v2, v2, v6, 0x7fff
	v_mov_b32_e32 v6, 0x7fc0
	v_cndmask_b32_sdwa v2, v6, v2, vcc_lo dst_sel:DWORD dst_unused:UNUSED_PAD src0_sel:DWORD src1_sel:WORD_1
	global_store_short v1, v2, s[4:5]
.LBB165_50:
	s_or_b32 exec_lo, exec_lo, s0
	v_sub_nc_u32_e64 v1, s1, s17 clamp
	s_lshl_b32 s0, s17, 1
	s_add_u32 s10, s2, s0
	s_addc_u32 s11, s3, 0
	v_readfirstlane_b32 s7, v1
	s_add_u32 s1, s4, s0
	s_addc_u32 s5, s5, 0
.LBB165_51:
	s_mul_hi_u32 s0, s7, s16
	s_mul_i32 s0, s0, s6
	s_sub_i32 s0, s7, s0
	s_sub_i32 s2, s0, s6
	s_cmp_ge_u32 s0, s6
	s_cselect_b32 s0, s2, s0
	s_sub_i32 s2, s0, s6
	s_cmp_ge_u32 s0, s6
	s_cselect_b32 s0, s2, s0
	s_mov_b32 s2, exec_lo
	s_sub_i32 s0, s7, s0
	v_cmpx_gt_i32_e64 s0, v3
	s_cbranch_execz .LBB165_54
; %bb.52:
	v_mov_b32_e32 v3, 1
	v_mov_b32_e32 v1, v0
	s_mov_b32 s3, 0
.LBB165_53:                             ; =>This Inner Loop Header: Depth=1
	v_ashrrev_i32_e32 v2, 31, v1
	v_lshlrev_b64 v[12:13], 4, v[1:2]
	v_add_nc_u32_e32 v1, v1, v5
	v_lshlrev_b32_e32 v2, 3, v1
	v_add_co_u32 v8, vcc_lo, s10, v12
	v_add_co_ci_u32_e64 v9, null, s11, v13, vcc_lo
	v_add_co_u32 v12, vcc_lo, s1, v12
	v_add_co_ci_u32_e64 v13, null, s5, v13, vcc_lo
	global_load_dwordx4 v[8:11], v[8:9], off
	s_waitcnt vmcnt(0)
	v_lshlrev_b32_e32 v6, 16, v8
	v_lshlrev_b32_e32 v14, 16, v9
	v_and_b32_e32 v9, 0xffff0000, v9
	v_lshlrev_b32_e32 v15, 16, v10
	v_lshlrev_b32_e32 v16, 16, v11
	v_sub_f32_e32 v6, v6, v4
	v_sub_f32_e32 v14, v14, v4
	;; [unrolled: 1-line block ×4, first 2 shown]
	v_and_b32_e32 v11, 0xffff0000, v11
	v_sub_f32_e32 v6, v6, v7
	v_sub_f32_e32 v14, v14, v7
	;; [unrolled: 1-line block ×5, first 2 shown]
	v_and_b32_sdwa v18, v6, v3 dst_sel:DWORD dst_unused:UNUSED_PAD src0_sel:WORD_1 src1_sel:DWORD
	v_and_b32_sdwa v20, v14, v3 dst_sel:DWORD dst_unused:UNUSED_PAD src0_sel:WORD_1 src1_sel:DWORD
	;; [unrolled: 1-line block ×3, first 2 shown]
	v_cmp_o_f32_e32 vcc_lo, v6, v6
	v_and_b32_e32 v10, 0xffff0000, v10
	v_add3_u32 v18, v6, v18, 0x7fff
	v_add3_u32 v20, v14, v20, 0x7fff
	v_sub_f32_e32 v11, v11, v4
	v_sub_f32_e32 v16, v16, v7
	v_and_b32_sdwa v22, v15, v3 dst_sel:DWORD dst_unused:UNUSED_PAD src0_sel:WORD_1 src1_sel:DWORD
	v_lshrrev_b32_e32 v18, 16, v18
	v_add3_u32 v19, v9, v19, 0x7fff
	v_lshrrev_b32_e32 v20, 16, v20
	v_and_b32_e32 v8, 0xffff0000, v8
	v_sub_f32_e32 v10, v10, v4
	v_cndmask_b32_e32 v6, 0x7fc0, v18, vcc_lo
	v_cmp_o_f32_e32 vcc_lo, v14, v14
	v_sub_f32_e32 v11, v11, v7
	v_and_b32_sdwa v24, v16, v3 dst_sel:DWORD dst_unused:UNUSED_PAD src0_sel:WORD_1 src1_sel:DWORD
	v_add3_u32 v22, v15, v22, 0x7fff
	v_lshrrev_b32_e32 v19, 16, v19
	v_cndmask_b32_e32 v14, 0x7fc0, v20, vcc_lo
	v_cmp_o_f32_e32 vcc_lo, v9, v9
	v_sub_f32_e32 v8, v8, v4
	v_sub_f32_e32 v10, v10, v7
	v_and_b32_sdwa v23, v11, v3 dst_sel:DWORD dst_unused:UNUSED_PAD src0_sel:WORD_1 src1_sel:DWORD
	v_add3_u32 v24, v16, v24, 0x7fff
	v_lshrrev_b32_e32 v22, 16, v22
	v_cndmask_b32_e32 v9, 0x7fc0, v19, vcc_lo
	v_cmp_o_f32_e32 vcc_lo, v15, v15
	v_sub_f32_e32 v8, v8, v7
	v_and_b32_sdwa v21, v10, v3 dst_sel:DWORD dst_unused:UNUSED_PAD src0_sel:WORD_1 src1_sel:DWORD
	v_add3_u32 v23, v11, v23, 0x7fff
	v_lshrrev_b32_e32 v24, 16, v24
	v_cndmask_b32_e32 v15, 0x7fc0, v22, vcc_lo
	v_cmp_o_f32_e32 vcc_lo, v16, v16
	v_and_b32_sdwa v17, v8, v3 dst_sel:DWORD dst_unused:UNUSED_PAD src0_sel:WORD_1 src1_sel:DWORD
	v_add3_u32 v21, v10, v21, 0x7fff
	v_lshrrev_b32_e32 v23, 16, v23
	v_perm_b32 v9, v9, v14, 0x5040100
	v_cndmask_b32_e32 v16, 0x7fc0, v24, vcc_lo
	v_cmp_o_f32_e32 vcc_lo, v11, v11
	v_add3_u32 v17, v8, v17, 0x7fff
	v_lshrrev_b32_e32 v21, 16, v21
	v_cndmask_b32_e32 v11, 0x7fc0, v23, vcc_lo
	v_cmp_o_f32_e32 vcc_lo, v10, v10
	v_lshrrev_b32_e32 v17, 16, v17
	v_perm_b32 v11, v11, v16, 0x5040100
	v_cndmask_b32_e32 v10, 0x7fc0, v21, vcc_lo
	v_cmp_o_f32_e32 vcc_lo, v8, v8
	v_perm_b32 v10, v10, v15, 0x5040100
	v_cndmask_b32_e32 v8, 0x7fc0, v17, vcc_lo
	v_cmp_le_i32_e32 vcc_lo, s0, v2
	v_perm_b32 v8, v8, v6, 0x5040100
	s_or_b32 s3, vcc_lo, s3
	global_store_dwordx4 v[12:13], v[8:11], off
	s_andn2_b32 exec_lo, exec_lo, s3
	s_cbranch_execnz .LBB165_53
.LBB165_54:
	s_or_b32 exec_lo, exec_lo, s2
	v_add_nc_u32_e32 v0, s0, v0
	s_mov_b32 s0, exec_lo
	v_cmpx_gt_i32_e64 s7, v0
	s_cbranch_execz .LBB165_57
; %bb.55:
	v_mov_b32_e32 v2, 0x7fc0
	s_mov_b32 s2, 0
	.p2align	6
.LBB165_56:                             ; =>This Inner Loop Header: Depth=1
	v_ashrrev_i32_e32 v1, 31, v0
	v_lshlrev_b64 v[8:9], 1, v[0:1]
	v_add_nc_u32_e32 v0, v0, v5
	v_cmp_le_i32_e64 s0, s7, v0
	v_add_co_u32 v10, vcc_lo, s10, v8
	v_add_co_ci_u32_e64 v11, null, s11, v9, vcc_lo
	s_or_b32 s2, s0, s2
	global_load_ushort v1, v[10:11], off
	s_waitcnt vmcnt(0)
	v_lshlrev_b32_e32 v1, 16, v1
	v_sub_f32_e32 v1, v1, v4
	v_sub_f32_e32 v1, v1, v7
	v_bfe_u32 v3, v1, 16, 1
	v_cmp_o_f32_e32 vcc_lo, v1, v1
	v_add3_u32 v1, v1, v3, 0x7fff
	v_cndmask_b32_sdwa v1, v2, v1, vcc_lo dst_sel:DWORD dst_unused:UNUSED_PAD src0_sel:DWORD src1_sel:WORD_1
	v_add_co_u32 v8, vcc_lo, s1, v8
	v_add_co_ci_u32_e64 v9, null, s5, v9, vcc_lo
	global_store_short v[8:9], v1, off
	s_andn2_b32 exec_lo, exec_lo, s2
	s_cbranch_execnz .LBB165_56
.LBB165_57:
	s_endpgm
.LBB165_58:
	ds_read_b32 v1, v13
	s_or_b32 exec_lo, exec_lo, s0
	s_and_saveexec_b32 s0, s2
	s_cbranch_execz .LBB165_39
.LBB165_59:
	s_waitcnt lgkmcnt(0)
	ds_bpermute_b32 v2, v7, v1
	s_waitcnt lgkmcnt(0)
	v_add_f32_e32 v1, v1, v2
	ds_bpermute_b32 v2, v8, v1
	s_waitcnt lgkmcnt(0)
	v_add_f32_e32 v1, v1, v2
	;; [unrolled: 3-line block ×5, first 2 shown]
	s_or_b32 exec_lo, exec_lo, s0
	s_and_saveexec_b32 s0, s3
	s_cbranch_execnz .LBB165_40
	s_branch .LBB165_41
	.section	.rodata,"a",@progbits
	.p2align	6, 0x0
	.amdhsa_kernel _ZN2at6native12_GLOBAL__N_119cunn_SoftMaxForwardILi8EN3c108BFloat16EfS4_NS1_25LogSoftMaxForwardEpilogueEEEvPT2_PKT0_i
		.amdhsa_group_segment_fixed_size 0
		.amdhsa_private_segment_fixed_size 0
		.amdhsa_kernarg_size 280
		.amdhsa_user_sgpr_count 6
		.amdhsa_user_sgpr_private_segment_buffer 1
		.amdhsa_user_sgpr_dispatch_ptr 0
		.amdhsa_user_sgpr_queue_ptr 0
		.amdhsa_user_sgpr_kernarg_segment_ptr 1
		.amdhsa_user_sgpr_dispatch_id 0
		.amdhsa_user_sgpr_flat_scratch_init 0
		.amdhsa_user_sgpr_private_segment_size 0
		.amdhsa_wavefront_size32 1
		.amdhsa_uses_dynamic_stack 0
		.amdhsa_system_sgpr_private_segment_wavefront_offset 0
		.amdhsa_system_sgpr_workgroup_id_x 1
		.amdhsa_system_sgpr_workgroup_id_y 0
		.amdhsa_system_sgpr_workgroup_id_z 0
		.amdhsa_system_sgpr_workgroup_info 0
		.amdhsa_system_vgpr_workitem_id 0
		.amdhsa_next_free_vgpr 46
		.amdhsa_next_free_sgpr 21
		.amdhsa_reserve_vcc 1
		.amdhsa_reserve_flat_scratch 0
		.amdhsa_float_round_mode_32 0
		.amdhsa_float_round_mode_16_64 0
		.amdhsa_float_denorm_mode_32 3
		.amdhsa_float_denorm_mode_16_64 3
		.amdhsa_dx10_clamp 1
		.amdhsa_ieee_mode 1
		.amdhsa_fp16_overflow 0
		.amdhsa_workgroup_processor_mode 1
		.amdhsa_memory_ordered 1
		.amdhsa_forward_progress 1
		.amdhsa_shared_vgpr_count 0
		.amdhsa_exception_fp_ieee_invalid_op 0
		.amdhsa_exception_fp_denorm_src 0
		.amdhsa_exception_fp_ieee_div_zero 0
		.amdhsa_exception_fp_ieee_overflow 0
		.amdhsa_exception_fp_ieee_underflow 0
		.amdhsa_exception_fp_ieee_inexact 0
		.amdhsa_exception_int_div_zero 0
	.end_amdhsa_kernel
	.section	.text._ZN2at6native12_GLOBAL__N_119cunn_SoftMaxForwardILi8EN3c108BFloat16EfS4_NS1_25LogSoftMaxForwardEpilogueEEEvPT2_PKT0_i,"axG",@progbits,_ZN2at6native12_GLOBAL__N_119cunn_SoftMaxForwardILi8EN3c108BFloat16EfS4_NS1_25LogSoftMaxForwardEpilogueEEEvPT2_PKT0_i,comdat
.Lfunc_end165:
	.size	_ZN2at6native12_GLOBAL__N_119cunn_SoftMaxForwardILi8EN3c108BFloat16EfS4_NS1_25LogSoftMaxForwardEpilogueEEEvPT2_PKT0_i, .Lfunc_end165-_ZN2at6native12_GLOBAL__N_119cunn_SoftMaxForwardILi8EN3c108BFloat16EfS4_NS1_25LogSoftMaxForwardEpilogueEEEvPT2_PKT0_i
                                        ; -- End function
	.set _ZN2at6native12_GLOBAL__N_119cunn_SoftMaxForwardILi8EN3c108BFloat16EfS4_NS1_25LogSoftMaxForwardEpilogueEEEvPT2_PKT0_i.num_vgpr, 46
	.set _ZN2at6native12_GLOBAL__N_119cunn_SoftMaxForwardILi8EN3c108BFloat16EfS4_NS1_25LogSoftMaxForwardEpilogueEEEvPT2_PKT0_i.num_agpr, 0
	.set _ZN2at6native12_GLOBAL__N_119cunn_SoftMaxForwardILi8EN3c108BFloat16EfS4_NS1_25LogSoftMaxForwardEpilogueEEEvPT2_PKT0_i.numbered_sgpr, 21
	.set _ZN2at6native12_GLOBAL__N_119cunn_SoftMaxForwardILi8EN3c108BFloat16EfS4_NS1_25LogSoftMaxForwardEpilogueEEEvPT2_PKT0_i.num_named_barrier, 0
	.set _ZN2at6native12_GLOBAL__N_119cunn_SoftMaxForwardILi8EN3c108BFloat16EfS4_NS1_25LogSoftMaxForwardEpilogueEEEvPT2_PKT0_i.private_seg_size, 0
	.set _ZN2at6native12_GLOBAL__N_119cunn_SoftMaxForwardILi8EN3c108BFloat16EfS4_NS1_25LogSoftMaxForwardEpilogueEEEvPT2_PKT0_i.uses_vcc, 1
	.set _ZN2at6native12_GLOBAL__N_119cunn_SoftMaxForwardILi8EN3c108BFloat16EfS4_NS1_25LogSoftMaxForwardEpilogueEEEvPT2_PKT0_i.uses_flat_scratch, 0
	.set _ZN2at6native12_GLOBAL__N_119cunn_SoftMaxForwardILi8EN3c108BFloat16EfS4_NS1_25LogSoftMaxForwardEpilogueEEEvPT2_PKT0_i.has_dyn_sized_stack, 0
	.set _ZN2at6native12_GLOBAL__N_119cunn_SoftMaxForwardILi8EN3c108BFloat16EfS4_NS1_25LogSoftMaxForwardEpilogueEEEvPT2_PKT0_i.has_recursion, 0
	.set _ZN2at6native12_GLOBAL__N_119cunn_SoftMaxForwardILi8EN3c108BFloat16EfS4_NS1_25LogSoftMaxForwardEpilogueEEEvPT2_PKT0_i.has_indirect_call, 0
	.section	.AMDGPU.csdata,"",@progbits
; Kernel info:
; codeLenInByte = 4352
; TotalNumSgprs: 23
; NumVgprs: 46
; ScratchSize: 0
; MemoryBound: 0
; FloatMode: 240
; IeeeMode: 1
; LDSByteSize: 0 bytes/workgroup (compile time only)
; SGPRBlocks: 0
; VGPRBlocks: 5
; NumSGPRsForWavesPerEU: 23
; NumVGPRsForWavesPerEU: 46
; Occupancy: 16
; WaveLimiterHint : 0
; COMPUTE_PGM_RSRC2:SCRATCH_EN: 0
; COMPUTE_PGM_RSRC2:USER_SGPR: 6
; COMPUTE_PGM_RSRC2:TRAP_HANDLER: 0
; COMPUTE_PGM_RSRC2:TGID_X_EN: 1
; COMPUTE_PGM_RSRC2:TGID_Y_EN: 0
; COMPUTE_PGM_RSRC2:TGID_Z_EN: 0
; COMPUTE_PGM_RSRC2:TIDIG_COMP_CNT: 0
	.section	.text._ZN12_GLOBAL__N_120softmax_warp_forwardIN3c108BFloat16EffLi0ELb1ELb0ELi64EEEvPT0_PKT_iiiPKbib,"axG",@progbits,_ZN12_GLOBAL__N_120softmax_warp_forwardIN3c108BFloat16EffLi0ELb1ELb0ELi64EEEvPT0_PKT_iiiPKbib,comdat
	.globl	_ZN12_GLOBAL__N_120softmax_warp_forwardIN3c108BFloat16EffLi0ELb1ELb0ELi64EEEvPT0_PKT_iiiPKbib ; -- Begin function _ZN12_GLOBAL__N_120softmax_warp_forwardIN3c108BFloat16EffLi0ELb1ELb0ELi64EEEvPT0_PKT_iiiPKbib
	.p2align	8
	.type	_ZN12_GLOBAL__N_120softmax_warp_forwardIN3c108BFloat16EffLi0ELb1ELb0ELi64EEEvPT0_PKT_iiiPKbib,@function
_ZN12_GLOBAL__N_120softmax_warp_forwardIN3c108BFloat16EffLi0ELb1ELb0ELi64EEEvPT0_PKT_iiiPKbib: ; @_ZN12_GLOBAL__N_120softmax_warp_forwardIN3c108BFloat16EffLi0ELb1ELb0ELi64EEEvPT0_PKT_iiiPKbib
; %bb.0:
	s_clause 0x1
	s_load_dword s0, s[4:5], 0x3c
	s_load_dwordx8 s[8:15], s[4:5], 0x0
	v_mov_b32_e32 v6, 0xff800000
	v_mov_b32_e32 v7, 0xff800000
	s_waitcnt lgkmcnt(0)
	s_lshr_b32 s0, s0, 16
	v_cmp_gt_i32_e32 vcc_lo, s14, v0
	s_and_b32 s0, s0, 0xffff
	s_mul_i32 s6, s6, s0
	v_add_lshl_u32 v3, s6, v1, 1
	v_mad_u64_u32 v[1:2], null, v3, s13, v[0:1]
	v_sub_nc_u32_e32 v5, s12, v3
	v_cmp_lt_i32_e64 s0, 0, v5
	v_ashrrev_i32_e32 v2, 31, v1
	s_and_b32 s2, vcc_lo, s0
	v_lshlrev_b64 v[3:4], 1, v[1:2]
	v_add_co_u32 v3, s1, s10, v3
	v_add_co_ci_u32_e64 v4, null, s11, v4, s1
	s_and_saveexec_b32 s1, s2
	s_cbranch_execz .LBB166_2
; %bb.1:
	global_load_ushort v0, v[3:4], off
	s_waitcnt vmcnt(0)
	v_lshlrev_b32_e32 v7, 16, v0
.LBB166_2:
	s_or_b32 exec_lo, exec_lo, s1
	v_cmp_lt_i32_e64 s1, 1, v5
	s_and_b32 s1, vcc_lo, s1
	s_and_saveexec_b32 s2, s1
	s_cbranch_execz .LBB166_4
; %bb.3:
	s_mov_b32 s15, 0
	s_lshl_b64 s[4:5], s[14:15], 1
	v_add_co_u32 v3, s1, v3, s4
	v_add_co_ci_u32_e64 v4, null, s5, v4, s1
	global_load_ushort v0, v[3:4], off
	s_waitcnt vmcnt(0)
	v_lshlrev_b32_e32 v6, 16, v0
.LBB166_4:
	s_or_b32 exec_lo, exec_lo, s2
	s_and_saveexec_b32 s1, s0
	s_cbranch_execz .LBB166_9
; %bb.5:
	v_lshlrev_b64 v[0:1], 2, v[1:2]
	v_add_co_u32 v0, s0, s8, v0
	v_add_co_ci_u32_e64 v1, null, s9, v1, s0
	s_and_saveexec_b32 s2, vcc_lo
	s_cbranch_execz .LBB166_7
; %bb.6:
	v_sub_f32_e32 v2, v7, v7
	v_mul_f32_e32 v3, 0x3fb8aa3b, v2
	v_cmp_ngt_f32_e64 s0, 0xc2ce8ed0, v2
	v_rndne_f32_e32 v4, v3
	v_fma_f32 v7, 0x3fb8aa3b, v2, -v3
	v_sub_f32_e32 v3, v3, v4
	v_fmamk_f32 v7, v2, 0x32a5705f, v7
	v_cvt_i32_f32_e32 v4, v4
	v_add_f32_e32 v3, v3, v7
	v_exp_f32_e32 v3, v3
	v_ldexp_f32 v3, v3, v4
	v_cndmask_b32_e64 v3, 0, v3, s0
	v_cmp_nlt_f32_e64 s0, 0x42b17218, v2
	v_cndmask_b32_e64 v3, 0x7f800000, v3, s0
	v_cmp_gt_f32_e64 s0, 0x800000, v3
	v_cndmask_b32_e64 v4, 0, 32, s0
	v_ldexp_f32 v3, v3, v4
	v_log_f32_e32 v3, v3
	v_mul_f32_e32 v4, 0x3f317217, v3
	v_cmp_gt_f32_e64 s1, 0x7f800000, |v3|
	v_fma_f32 v4, 0x3f317217, v3, -v4
	v_fmamk_f32 v4, v3, 0x3377d1cf, v4
	v_fmac_f32_e32 v4, 0x3f317217, v3
	v_cndmask_b32_e64 v3, v3, v4, s1
	v_cndmask_b32_e64 v4, 0, 0x41b17218, s0
	v_sub_f32_e32 v3, v3, v4
	v_sub_f32_e32 v2, v2, v3
	global_store_dword v[0:1], v2, off
.LBB166_7:
	s_or_b32 exec_lo, exec_lo, s2
	v_cmp_ne_u32_e64 s0, 1, v5
	s_and_b32 s0, s0, vcc_lo
	s_and_b32 exec_lo, exec_lo, s0
	s_cbranch_execz .LBB166_9
; %bb.8:
	v_sub_f32_e32 v2, v6, v6
	s_mov_b32 s15, 0
	s_lshl_b64 s[0:1], s[14:15], 2
	v_mul_f32_e32 v3, 0x3fb8aa3b, v2
	v_cmp_ngt_f32_e32 vcc_lo, 0xc2ce8ed0, v2
	v_rndne_f32_e32 v4, v3
	v_fma_f32 v5, 0x3fb8aa3b, v2, -v3
	v_sub_f32_e32 v3, v3, v4
	v_fmamk_f32 v5, v2, 0x32a5705f, v5
	v_cvt_i32_f32_e32 v4, v4
	v_add_f32_e32 v3, v3, v5
	v_exp_f32_e32 v3, v3
	v_ldexp_f32 v3, v3, v4
	v_cndmask_b32_e32 v3, 0, v3, vcc_lo
	v_cmp_nlt_f32_e32 vcc_lo, 0x42b17218, v2
	v_cndmask_b32_e32 v3, 0x7f800000, v3, vcc_lo
	v_cmp_gt_f32_e32 vcc_lo, 0x800000, v3
	v_cndmask_b32_e64 v4, 0, 32, vcc_lo
	v_cndmask_b32_e64 v5, 0, 0x41b17218, vcc_lo
	v_ldexp_f32 v3, v3, v4
	v_log_f32_e32 v3, v3
	v_mul_f32_e32 v4, 0x3f317217, v3
	v_cmp_gt_f32_e64 vcc_lo, 0x7f800000, |v3|
	v_fma_f32 v4, 0x3f317217, v3, -v4
	v_fmamk_f32 v4, v3, 0x3377d1cf, v4
	v_fmac_f32_e32 v4, 0x3f317217, v3
	v_cndmask_b32_e32 v3, v3, v4, vcc_lo
	v_add_co_u32 v0, vcc_lo, v0, s0
	v_add_co_ci_u32_e64 v1, null, s1, v1, vcc_lo
	v_sub_f32_e32 v3, v3, v5
	v_sub_f32_e32 v2, v2, v3
	global_store_dword v[0:1], v2, off
.LBB166_9:
	s_endpgm
	.section	.rodata,"a",@progbits
	.p2align	6, 0x0
	.amdhsa_kernel _ZN12_GLOBAL__N_120softmax_warp_forwardIN3c108BFloat16EffLi0ELb1ELb0ELi64EEEvPT0_PKT_iiiPKbib
		.amdhsa_group_segment_fixed_size 0
		.amdhsa_private_segment_fixed_size 0
		.amdhsa_kernarg_size 304
		.amdhsa_user_sgpr_count 6
		.amdhsa_user_sgpr_private_segment_buffer 1
		.amdhsa_user_sgpr_dispatch_ptr 0
		.amdhsa_user_sgpr_queue_ptr 0
		.amdhsa_user_sgpr_kernarg_segment_ptr 1
		.amdhsa_user_sgpr_dispatch_id 0
		.amdhsa_user_sgpr_flat_scratch_init 0
		.amdhsa_user_sgpr_private_segment_size 0
		.amdhsa_wavefront_size32 1
		.amdhsa_uses_dynamic_stack 0
		.amdhsa_system_sgpr_private_segment_wavefront_offset 0
		.amdhsa_system_sgpr_workgroup_id_x 1
		.amdhsa_system_sgpr_workgroup_id_y 0
		.amdhsa_system_sgpr_workgroup_id_z 0
		.amdhsa_system_sgpr_workgroup_info 0
		.amdhsa_system_vgpr_workitem_id 1
		.amdhsa_next_free_vgpr 8
		.amdhsa_next_free_sgpr 16
		.amdhsa_reserve_vcc 1
		.amdhsa_reserve_flat_scratch 0
		.amdhsa_float_round_mode_32 0
		.amdhsa_float_round_mode_16_64 0
		.amdhsa_float_denorm_mode_32 3
		.amdhsa_float_denorm_mode_16_64 3
		.amdhsa_dx10_clamp 1
		.amdhsa_ieee_mode 1
		.amdhsa_fp16_overflow 0
		.amdhsa_workgroup_processor_mode 1
		.amdhsa_memory_ordered 1
		.amdhsa_forward_progress 1
		.amdhsa_shared_vgpr_count 0
		.amdhsa_exception_fp_ieee_invalid_op 0
		.amdhsa_exception_fp_denorm_src 0
		.amdhsa_exception_fp_ieee_div_zero 0
		.amdhsa_exception_fp_ieee_overflow 0
		.amdhsa_exception_fp_ieee_underflow 0
		.amdhsa_exception_fp_ieee_inexact 0
		.amdhsa_exception_int_div_zero 0
	.end_amdhsa_kernel
	.section	.text._ZN12_GLOBAL__N_120softmax_warp_forwardIN3c108BFloat16EffLi0ELb1ELb0ELi64EEEvPT0_PKT_iiiPKbib,"axG",@progbits,_ZN12_GLOBAL__N_120softmax_warp_forwardIN3c108BFloat16EffLi0ELb1ELb0ELi64EEEvPT0_PKT_iiiPKbib,comdat
.Lfunc_end166:
	.size	_ZN12_GLOBAL__N_120softmax_warp_forwardIN3c108BFloat16EffLi0ELb1ELb0ELi64EEEvPT0_PKT_iiiPKbib, .Lfunc_end166-_ZN12_GLOBAL__N_120softmax_warp_forwardIN3c108BFloat16EffLi0ELb1ELb0ELi64EEEvPT0_PKT_iiiPKbib
                                        ; -- End function
	.set _ZN12_GLOBAL__N_120softmax_warp_forwardIN3c108BFloat16EffLi0ELb1ELb0ELi64EEEvPT0_PKT_iiiPKbib.num_vgpr, 8
	.set _ZN12_GLOBAL__N_120softmax_warp_forwardIN3c108BFloat16EffLi0ELb1ELb0ELi64EEEvPT0_PKT_iiiPKbib.num_agpr, 0
	.set _ZN12_GLOBAL__N_120softmax_warp_forwardIN3c108BFloat16EffLi0ELb1ELb0ELi64EEEvPT0_PKT_iiiPKbib.numbered_sgpr, 16
	.set _ZN12_GLOBAL__N_120softmax_warp_forwardIN3c108BFloat16EffLi0ELb1ELb0ELi64EEEvPT0_PKT_iiiPKbib.num_named_barrier, 0
	.set _ZN12_GLOBAL__N_120softmax_warp_forwardIN3c108BFloat16EffLi0ELb1ELb0ELi64EEEvPT0_PKT_iiiPKbib.private_seg_size, 0
	.set _ZN12_GLOBAL__N_120softmax_warp_forwardIN3c108BFloat16EffLi0ELb1ELb0ELi64EEEvPT0_PKT_iiiPKbib.uses_vcc, 1
	.set _ZN12_GLOBAL__N_120softmax_warp_forwardIN3c108BFloat16EffLi0ELb1ELb0ELi64EEEvPT0_PKT_iiiPKbib.uses_flat_scratch, 0
	.set _ZN12_GLOBAL__N_120softmax_warp_forwardIN3c108BFloat16EffLi0ELb1ELb0ELi64EEEvPT0_PKT_iiiPKbib.has_dyn_sized_stack, 0
	.set _ZN12_GLOBAL__N_120softmax_warp_forwardIN3c108BFloat16EffLi0ELb1ELb0ELi64EEEvPT0_PKT_iiiPKbib.has_recursion, 0
	.set _ZN12_GLOBAL__N_120softmax_warp_forwardIN3c108BFloat16EffLi0ELb1ELb0ELi64EEEvPT0_PKT_iiiPKbib.has_indirect_call, 0
	.section	.AMDGPU.csdata,"",@progbits
; Kernel info:
; codeLenInByte = 720
; TotalNumSgprs: 18
; NumVgprs: 8
; ScratchSize: 0
; MemoryBound: 0
; FloatMode: 240
; IeeeMode: 1
; LDSByteSize: 0 bytes/workgroup (compile time only)
; SGPRBlocks: 0
; VGPRBlocks: 0
; NumSGPRsForWavesPerEU: 18
; NumVGPRsForWavesPerEU: 8
; Occupancy: 16
; WaveLimiterHint : 0
; COMPUTE_PGM_RSRC2:SCRATCH_EN: 0
; COMPUTE_PGM_RSRC2:USER_SGPR: 6
; COMPUTE_PGM_RSRC2:TRAP_HANDLER: 0
; COMPUTE_PGM_RSRC2:TGID_X_EN: 1
; COMPUTE_PGM_RSRC2:TGID_Y_EN: 0
; COMPUTE_PGM_RSRC2:TGID_Z_EN: 0
; COMPUTE_PGM_RSRC2:TIDIG_COMP_CNT: 1
	.section	.text._ZN12_GLOBAL__N_120softmax_warp_forwardIN3c108BFloat16EffLi0ELb1ELb0ELi32EEEvPT0_PKT_iiiPKbib,"axG",@progbits,_ZN12_GLOBAL__N_120softmax_warp_forwardIN3c108BFloat16EffLi0ELb1ELb0ELi32EEEvPT0_PKT_iiiPKbib,comdat
	.globl	_ZN12_GLOBAL__N_120softmax_warp_forwardIN3c108BFloat16EffLi0ELb1ELb0ELi32EEEvPT0_PKT_iiiPKbib ; -- Begin function _ZN12_GLOBAL__N_120softmax_warp_forwardIN3c108BFloat16EffLi0ELb1ELb0ELi32EEEvPT0_PKT_iiiPKbib
	.p2align	8
	.type	_ZN12_GLOBAL__N_120softmax_warp_forwardIN3c108BFloat16EffLi0ELb1ELb0ELi32EEEvPT0_PKT_iiiPKbib,@function
_ZN12_GLOBAL__N_120softmax_warp_forwardIN3c108BFloat16EffLi0ELb1ELb0ELi32EEEvPT0_PKT_iiiPKbib: ; @_ZN12_GLOBAL__N_120softmax_warp_forwardIN3c108BFloat16EffLi0ELb1ELb0ELi32EEEvPT0_PKT_iiiPKbib
; %bb.0:
	s_clause 0x1
	s_load_dword s0, s[4:5], 0x3c
	s_load_dwordx8 s[8:15], s[4:5], 0x0
	v_mov_b32_e32 v6, 0xff800000
	v_mov_b32_e32 v7, 0xff800000
	s_waitcnt lgkmcnt(0)
	s_lshr_b32 s0, s0, 16
	v_cmp_gt_i32_e32 vcc_lo, s14, v0
	s_and_b32 s0, s0, 0xffff
	s_mul_i32 s6, s6, s0
	v_add_lshl_u32 v3, s6, v1, 1
	v_mad_u64_u32 v[1:2], null, v3, s13, v[0:1]
	v_sub_nc_u32_e32 v5, s12, v3
	v_cmp_lt_i32_e64 s0, 0, v5
	v_ashrrev_i32_e32 v2, 31, v1
	s_and_b32 s2, vcc_lo, s0
	v_lshlrev_b64 v[3:4], 1, v[1:2]
	v_add_co_u32 v3, s1, s10, v3
	v_add_co_ci_u32_e64 v4, null, s11, v4, s1
	s_and_saveexec_b32 s1, s2
	s_cbranch_execz .LBB167_2
; %bb.1:
	global_load_ushort v0, v[3:4], off
	s_waitcnt vmcnt(0)
	v_lshlrev_b32_e32 v7, 16, v0
.LBB167_2:
	s_or_b32 exec_lo, exec_lo, s1
	v_cmp_lt_i32_e64 s1, 1, v5
	s_and_b32 s1, vcc_lo, s1
	s_and_saveexec_b32 s2, s1
	s_cbranch_execz .LBB167_4
; %bb.3:
	s_mov_b32 s15, 0
	s_lshl_b64 s[4:5], s[14:15], 1
	v_add_co_u32 v3, s1, v3, s4
	v_add_co_ci_u32_e64 v4, null, s5, v4, s1
	global_load_ushort v0, v[3:4], off
	s_waitcnt vmcnt(0)
	v_lshlrev_b32_e32 v6, 16, v0
.LBB167_4:
	s_or_b32 exec_lo, exec_lo, s2
	s_and_saveexec_b32 s1, s0
	s_cbranch_execz .LBB167_9
; %bb.5:
	v_lshlrev_b64 v[0:1], 2, v[1:2]
	v_add_co_u32 v0, s0, s8, v0
	v_add_co_ci_u32_e64 v1, null, s9, v1, s0
	s_and_saveexec_b32 s2, vcc_lo
	s_cbranch_execz .LBB167_7
; %bb.6:
	v_sub_f32_e32 v2, v7, v7
	v_mul_f32_e32 v3, 0x3fb8aa3b, v2
	v_cmp_ngt_f32_e64 s0, 0xc2ce8ed0, v2
	v_rndne_f32_e32 v4, v3
	v_fma_f32 v7, 0x3fb8aa3b, v2, -v3
	v_sub_f32_e32 v3, v3, v4
	v_fmamk_f32 v7, v2, 0x32a5705f, v7
	v_cvt_i32_f32_e32 v4, v4
	v_add_f32_e32 v3, v3, v7
	v_exp_f32_e32 v3, v3
	v_ldexp_f32 v3, v3, v4
	v_cndmask_b32_e64 v3, 0, v3, s0
	v_cmp_nlt_f32_e64 s0, 0x42b17218, v2
	v_cndmask_b32_e64 v3, 0x7f800000, v3, s0
	v_cmp_gt_f32_e64 s0, 0x800000, v3
	v_cndmask_b32_e64 v4, 0, 32, s0
	v_ldexp_f32 v3, v3, v4
	v_log_f32_e32 v3, v3
	v_mul_f32_e32 v4, 0x3f317217, v3
	v_cmp_gt_f32_e64 s1, 0x7f800000, |v3|
	v_fma_f32 v4, 0x3f317217, v3, -v4
	v_fmamk_f32 v4, v3, 0x3377d1cf, v4
	v_fmac_f32_e32 v4, 0x3f317217, v3
	v_cndmask_b32_e64 v3, v3, v4, s1
	v_cndmask_b32_e64 v4, 0, 0x41b17218, s0
	v_sub_f32_e32 v3, v3, v4
	v_sub_f32_e32 v2, v2, v3
	global_store_dword v[0:1], v2, off
.LBB167_7:
	s_or_b32 exec_lo, exec_lo, s2
	v_cmp_ne_u32_e64 s0, 1, v5
	s_and_b32 s0, s0, vcc_lo
	s_and_b32 exec_lo, exec_lo, s0
	s_cbranch_execz .LBB167_9
; %bb.8:
	v_sub_f32_e32 v2, v6, v6
	s_mov_b32 s15, 0
	s_lshl_b64 s[0:1], s[14:15], 2
	v_mul_f32_e32 v3, 0x3fb8aa3b, v2
	v_cmp_ngt_f32_e32 vcc_lo, 0xc2ce8ed0, v2
	v_rndne_f32_e32 v4, v3
	v_fma_f32 v5, 0x3fb8aa3b, v2, -v3
	v_sub_f32_e32 v3, v3, v4
	v_fmamk_f32 v5, v2, 0x32a5705f, v5
	v_cvt_i32_f32_e32 v4, v4
	v_add_f32_e32 v3, v3, v5
	v_exp_f32_e32 v3, v3
	v_ldexp_f32 v3, v3, v4
	v_cndmask_b32_e32 v3, 0, v3, vcc_lo
	v_cmp_nlt_f32_e32 vcc_lo, 0x42b17218, v2
	v_cndmask_b32_e32 v3, 0x7f800000, v3, vcc_lo
	v_cmp_gt_f32_e32 vcc_lo, 0x800000, v3
	v_cndmask_b32_e64 v4, 0, 32, vcc_lo
	v_cndmask_b32_e64 v5, 0, 0x41b17218, vcc_lo
	v_ldexp_f32 v3, v3, v4
	v_log_f32_e32 v3, v3
	v_mul_f32_e32 v4, 0x3f317217, v3
	v_cmp_gt_f32_e64 vcc_lo, 0x7f800000, |v3|
	v_fma_f32 v4, 0x3f317217, v3, -v4
	v_fmamk_f32 v4, v3, 0x3377d1cf, v4
	v_fmac_f32_e32 v4, 0x3f317217, v3
	v_cndmask_b32_e32 v3, v3, v4, vcc_lo
	v_add_co_u32 v0, vcc_lo, v0, s0
	v_add_co_ci_u32_e64 v1, null, s1, v1, vcc_lo
	v_sub_f32_e32 v3, v3, v5
	v_sub_f32_e32 v2, v2, v3
	global_store_dword v[0:1], v2, off
.LBB167_9:
	s_endpgm
	.section	.rodata,"a",@progbits
	.p2align	6, 0x0
	.amdhsa_kernel _ZN12_GLOBAL__N_120softmax_warp_forwardIN3c108BFloat16EffLi0ELb1ELb0ELi32EEEvPT0_PKT_iiiPKbib
		.amdhsa_group_segment_fixed_size 0
		.amdhsa_private_segment_fixed_size 0
		.amdhsa_kernarg_size 304
		.amdhsa_user_sgpr_count 6
		.amdhsa_user_sgpr_private_segment_buffer 1
		.amdhsa_user_sgpr_dispatch_ptr 0
		.amdhsa_user_sgpr_queue_ptr 0
		.amdhsa_user_sgpr_kernarg_segment_ptr 1
		.amdhsa_user_sgpr_dispatch_id 0
		.amdhsa_user_sgpr_flat_scratch_init 0
		.amdhsa_user_sgpr_private_segment_size 0
		.amdhsa_wavefront_size32 1
		.amdhsa_uses_dynamic_stack 0
		.amdhsa_system_sgpr_private_segment_wavefront_offset 0
		.amdhsa_system_sgpr_workgroup_id_x 1
		.amdhsa_system_sgpr_workgroup_id_y 0
		.amdhsa_system_sgpr_workgroup_id_z 0
		.amdhsa_system_sgpr_workgroup_info 0
		.amdhsa_system_vgpr_workitem_id 1
		.amdhsa_next_free_vgpr 8
		.amdhsa_next_free_sgpr 16
		.amdhsa_reserve_vcc 1
		.amdhsa_reserve_flat_scratch 0
		.amdhsa_float_round_mode_32 0
		.amdhsa_float_round_mode_16_64 0
		.amdhsa_float_denorm_mode_32 3
		.amdhsa_float_denorm_mode_16_64 3
		.amdhsa_dx10_clamp 1
		.amdhsa_ieee_mode 1
		.amdhsa_fp16_overflow 0
		.amdhsa_workgroup_processor_mode 1
		.amdhsa_memory_ordered 1
		.amdhsa_forward_progress 1
		.amdhsa_shared_vgpr_count 0
		.amdhsa_exception_fp_ieee_invalid_op 0
		.amdhsa_exception_fp_denorm_src 0
		.amdhsa_exception_fp_ieee_div_zero 0
		.amdhsa_exception_fp_ieee_overflow 0
		.amdhsa_exception_fp_ieee_underflow 0
		.amdhsa_exception_fp_ieee_inexact 0
		.amdhsa_exception_int_div_zero 0
	.end_amdhsa_kernel
	.section	.text._ZN12_GLOBAL__N_120softmax_warp_forwardIN3c108BFloat16EffLi0ELb1ELb0ELi32EEEvPT0_PKT_iiiPKbib,"axG",@progbits,_ZN12_GLOBAL__N_120softmax_warp_forwardIN3c108BFloat16EffLi0ELb1ELb0ELi32EEEvPT0_PKT_iiiPKbib,comdat
.Lfunc_end167:
	.size	_ZN12_GLOBAL__N_120softmax_warp_forwardIN3c108BFloat16EffLi0ELb1ELb0ELi32EEEvPT0_PKT_iiiPKbib, .Lfunc_end167-_ZN12_GLOBAL__N_120softmax_warp_forwardIN3c108BFloat16EffLi0ELb1ELb0ELi32EEEvPT0_PKT_iiiPKbib
                                        ; -- End function
	.set _ZN12_GLOBAL__N_120softmax_warp_forwardIN3c108BFloat16EffLi0ELb1ELb0ELi32EEEvPT0_PKT_iiiPKbib.num_vgpr, 8
	.set _ZN12_GLOBAL__N_120softmax_warp_forwardIN3c108BFloat16EffLi0ELb1ELb0ELi32EEEvPT0_PKT_iiiPKbib.num_agpr, 0
	.set _ZN12_GLOBAL__N_120softmax_warp_forwardIN3c108BFloat16EffLi0ELb1ELb0ELi32EEEvPT0_PKT_iiiPKbib.numbered_sgpr, 16
	.set _ZN12_GLOBAL__N_120softmax_warp_forwardIN3c108BFloat16EffLi0ELb1ELb0ELi32EEEvPT0_PKT_iiiPKbib.num_named_barrier, 0
	.set _ZN12_GLOBAL__N_120softmax_warp_forwardIN3c108BFloat16EffLi0ELb1ELb0ELi32EEEvPT0_PKT_iiiPKbib.private_seg_size, 0
	.set _ZN12_GLOBAL__N_120softmax_warp_forwardIN3c108BFloat16EffLi0ELb1ELb0ELi32EEEvPT0_PKT_iiiPKbib.uses_vcc, 1
	.set _ZN12_GLOBAL__N_120softmax_warp_forwardIN3c108BFloat16EffLi0ELb1ELb0ELi32EEEvPT0_PKT_iiiPKbib.uses_flat_scratch, 0
	.set _ZN12_GLOBAL__N_120softmax_warp_forwardIN3c108BFloat16EffLi0ELb1ELb0ELi32EEEvPT0_PKT_iiiPKbib.has_dyn_sized_stack, 0
	.set _ZN12_GLOBAL__N_120softmax_warp_forwardIN3c108BFloat16EffLi0ELb1ELb0ELi32EEEvPT0_PKT_iiiPKbib.has_recursion, 0
	.set _ZN12_GLOBAL__N_120softmax_warp_forwardIN3c108BFloat16EffLi0ELb1ELb0ELi32EEEvPT0_PKT_iiiPKbib.has_indirect_call, 0
	.section	.AMDGPU.csdata,"",@progbits
; Kernel info:
; codeLenInByte = 720
; TotalNumSgprs: 18
; NumVgprs: 8
; ScratchSize: 0
; MemoryBound: 0
; FloatMode: 240
; IeeeMode: 1
; LDSByteSize: 0 bytes/workgroup (compile time only)
; SGPRBlocks: 0
; VGPRBlocks: 0
; NumSGPRsForWavesPerEU: 18
; NumVGPRsForWavesPerEU: 8
; Occupancy: 16
; WaveLimiterHint : 0
; COMPUTE_PGM_RSRC2:SCRATCH_EN: 0
; COMPUTE_PGM_RSRC2:USER_SGPR: 6
; COMPUTE_PGM_RSRC2:TRAP_HANDLER: 0
; COMPUTE_PGM_RSRC2:TGID_X_EN: 1
; COMPUTE_PGM_RSRC2:TGID_Y_EN: 0
; COMPUTE_PGM_RSRC2:TGID_Z_EN: 0
; COMPUTE_PGM_RSRC2:TIDIG_COMP_CNT: 1
	.section	.text._ZN12_GLOBAL__N_120softmax_warp_forwardIN3c108BFloat16EffLi1ELb1ELb0ELi64EEEvPT0_PKT_iiiPKbib,"axG",@progbits,_ZN12_GLOBAL__N_120softmax_warp_forwardIN3c108BFloat16EffLi1ELb1ELb0ELi64EEEvPT0_PKT_iiiPKbib,comdat
	.globl	_ZN12_GLOBAL__N_120softmax_warp_forwardIN3c108BFloat16EffLi1ELb1ELb0ELi64EEEvPT0_PKT_iiiPKbib ; -- Begin function _ZN12_GLOBAL__N_120softmax_warp_forwardIN3c108BFloat16EffLi1ELb1ELb0ELi64EEEvPT0_PKT_iiiPKbib
	.p2align	8
	.type	_ZN12_GLOBAL__N_120softmax_warp_forwardIN3c108BFloat16EffLi1ELb1ELb0ELi64EEEvPT0_PKT_iiiPKbib,@function
_ZN12_GLOBAL__N_120softmax_warp_forwardIN3c108BFloat16EffLi1ELb1ELb0ELi64EEEvPT0_PKT_iiiPKbib: ; @_ZN12_GLOBAL__N_120softmax_warp_forwardIN3c108BFloat16EffLi1ELb1ELb0ELi64EEEvPT0_PKT_iiiPKbib
; %bb.0:
	s_clause 0x1
	s_load_dword s0, s[4:5], 0x3c
	s_load_dwordx8 s[8:15], s[4:5], 0x0
	v_mov_b32_e32 v6, 0xff800000
	s_waitcnt lgkmcnt(0)
	s_lshr_b32 s0, s0, 16
	v_cmp_gt_i32_e32 vcc_lo, s14, v0
	s_and_b32 s0, s0, 0xffff
	s_mul_i32 s6, s6, s0
	v_add_lshl_u32 v3, s6, v1, 1
	v_mad_u64_u32 v[1:2], null, v3, s13, v[0:1]
	v_sub_nc_u32_e32 v5, s12, v3
	v_mov_b32_e32 v0, 0xff800000
	v_cmp_lt_i32_e64 s0, 0, v5
	v_ashrrev_i32_e32 v2, 31, v1
	s_and_b32 s2, vcc_lo, s0
	v_lshlrev_b64 v[3:4], 1, v[1:2]
	v_add_co_u32 v3, s1, s10, v3
	v_add_co_ci_u32_e64 v4, null, s11, v4, s1
	s_and_saveexec_b32 s1, s2
	s_cbranch_execz .LBB168_2
; %bb.1:
	global_load_ushort v0, v[3:4], off
	s_waitcnt vmcnt(0)
	v_lshlrev_b32_e32 v0, 16, v0
.LBB168_2:
	s_or_b32 exec_lo, exec_lo, s1
	v_cmp_lt_i32_e64 s1, 1, v5
	s_and_b32 s1, vcc_lo, s1
	s_and_saveexec_b32 s2, s1
	s_cbranch_execz .LBB168_4
; %bb.3:
	s_mov_b32 s15, 0
	s_lshl_b64 s[4:5], s[14:15], 1
	v_add_co_u32 v3, s1, v3, s4
	v_add_co_ci_u32_e64 v4, null, s5, v4, s1
	global_load_ushort v3, v[3:4], off
	s_waitcnt vmcnt(0)
	v_lshlrev_b32_e32 v6, 16, v3
.LBB168_4:
	s_or_b32 exec_lo, exec_lo, s2
	v_mbcnt_lo_u32_b32 v3, -1, 0
	v_and_b32_e32 v4, 30, v3
	v_xor_b32_e32 v7, 1, v3
	v_add_nc_u32_e32 v4, 2, v4
	v_cmp_lt_i32_e64 s1, v7, v4
	v_cndmask_b32_e64 v3, v3, v7, s1
	v_lshlrev_b32_e32 v7, 2, v3
	ds_bpermute_b32 v3, v7, v0
	ds_bpermute_b32 v4, v7, v6
	s_waitcnt lgkmcnt(1)
	v_cmp_lt_f32_e64 s1, v0, v3
	v_cndmask_b32_e64 v3, v0, v3, s1
	s_waitcnt lgkmcnt(0)
	v_cmp_lt_f32_e64 s1, v6, v4
	v_cndmask_b32_e64 v8, v6, v4, s1
	v_sub_f32_e32 v4, v0, v3
	v_sub_f32_e32 v3, v6, v8
	v_mul_f32_e32 v0, 0x3fb8aa3b, v4
	v_cmp_ngt_f32_e64 s1, 0xc2ce8ed0, v4
	v_mul_f32_e32 v6, 0x3fb8aa3b, v3
	v_fma_f32 v8, 0x3fb8aa3b, v4, -v0
	v_rndne_f32_e32 v9, v0
	v_fma_f32 v10, 0x3fb8aa3b, v3, -v6
	v_rndne_f32_e32 v11, v6
	v_fmac_f32_e32 v8, 0x32a5705f, v4
	v_sub_f32_e32 v0, v0, v9
	v_fmac_f32_e32 v10, 0x32a5705f, v3
	v_sub_f32_e32 v6, v6, v11
	v_add_f32_e32 v0, v0, v8
	v_cvt_i32_f32_e32 v8, v9
	v_cvt_i32_f32_e32 v9, v11
	v_add_f32_e32 v6, v6, v10
	v_exp_f32_e32 v0, v0
	v_exp_f32_e32 v6, v6
	v_ldexp_f32 v0, v0, v8
	v_ldexp_f32 v6, v6, v9
	v_cndmask_b32_e64 v0, 0, v0, s1
	v_cmp_ngt_f32_e64 s1, 0xc2ce8ed0, v3
	v_cndmask_b32_e64 v6, 0, v6, s1
	v_cmp_nlt_f32_e64 s1, 0x42b17218, v4
	v_cndmask_b32_e64 v8, 0x7f800000, v0, s1
	v_cmp_nlt_f32_e64 s1, 0x42b17218, v3
	ds_bpermute_b32 v9, v7, v8
	v_cndmask_b32_e64 v6, 0x7f800000, v6, s1
	ds_bpermute_b32 v7, v7, v6
	s_and_saveexec_b32 s1, s0
	s_cbranch_execz .LBB168_9
; %bb.5:
	v_lshlrev_b64 v[0:1], 2, v[1:2]
	v_add_co_u32 v0, s0, s8, v0
	v_add_co_ci_u32_e64 v1, null, s9, v1, s0
	s_and_saveexec_b32 s2, vcc_lo
	s_cbranch_execz .LBB168_7
; %bb.6:
	s_waitcnt lgkmcnt(1)
	v_add_f32_e32 v2, v8, v9
	v_cmp_gt_f32_e64 s0, 0x800000, v2
	v_cndmask_b32_e64 v8, 0, 32, s0
	v_ldexp_f32 v2, v2, v8
	v_log_f32_e32 v2, v2
	v_mul_f32_e32 v8, 0x3f317217, v2
	v_cmp_gt_f32_e64 s1, 0x7f800000, |v2|
	v_fma_f32 v8, 0x3f317217, v2, -v8
	v_fmamk_f32 v8, v2, 0x3377d1cf, v8
	v_fmac_f32_e32 v8, 0x3f317217, v2
	v_cndmask_b32_e64 v2, v2, v8, s1
	v_cndmask_b32_e64 v8, 0, 0x41b17218, s0
	v_sub_f32_e32 v2, v2, v8
	v_sub_f32_e32 v2, v4, v2
	global_store_dword v[0:1], v2, off
.LBB168_7:
	s_or_b32 exec_lo, exec_lo, s2
	v_cmp_ne_u32_e64 s0, 1, v5
	s_and_b32 s0, s0, vcc_lo
	s_and_b32 exec_lo, exec_lo, s0
	s_cbranch_execz .LBB168_9
; %bb.8:
	s_waitcnt lgkmcnt(0)
	v_add_f32_e32 v2, v6, v7
	s_mov_b32 s15, 0
	s_lshl_b64 s[0:1], s[14:15], 2
	v_cmp_gt_f32_e32 vcc_lo, 0x800000, v2
	v_cndmask_b32_e64 v4, 0, 32, vcc_lo
	v_cndmask_b32_e64 v5, 0, 0x41b17218, vcc_lo
	v_ldexp_f32 v2, v2, v4
	v_log_f32_e32 v2, v2
	v_mul_f32_e32 v4, 0x3f317217, v2
	v_cmp_gt_f32_e64 vcc_lo, 0x7f800000, |v2|
	v_fma_f32 v4, 0x3f317217, v2, -v4
	v_fmamk_f32 v4, v2, 0x3377d1cf, v4
	v_fmac_f32_e32 v4, 0x3f317217, v2
	v_cndmask_b32_e32 v2, v2, v4, vcc_lo
	v_add_co_u32 v0, vcc_lo, v0, s0
	v_add_co_ci_u32_e64 v1, null, s1, v1, vcc_lo
	v_sub_f32_e32 v2, v2, v5
	v_sub_f32_e32 v2, v3, v2
	global_store_dword v[0:1], v2, off
.LBB168_9:
	s_endpgm
	.section	.rodata,"a",@progbits
	.p2align	6, 0x0
	.amdhsa_kernel _ZN12_GLOBAL__N_120softmax_warp_forwardIN3c108BFloat16EffLi1ELb1ELb0ELi64EEEvPT0_PKT_iiiPKbib
		.amdhsa_group_segment_fixed_size 0
		.amdhsa_private_segment_fixed_size 0
		.amdhsa_kernarg_size 304
		.amdhsa_user_sgpr_count 6
		.amdhsa_user_sgpr_private_segment_buffer 1
		.amdhsa_user_sgpr_dispatch_ptr 0
		.amdhsa_user_sgpr_queue_ptr 0
		.amdhsa_user_sgpr_kernarg_segment_ptr 1
		.amdhsa_user_sgpr_dispatch_id 0
		.amdhsa_user_sgpr_flat_scratch_init 0
		.amdhsa_user_sgpr_private_segment_size 0
		.amdhsa_wavefront_size32 1
		.amdhsa_uses_dynamic_stack 0
		.amdhsa_system_sgpr_private_segment_wavefront_offset 0
		.amdhsa_system_sgpr_workgroup_id_x 1
		.amdhsa_system_sgpr_workgroup_id_y 0
		.amdhsa_system_sgpr_workgroup_id_z 0
		.amdhsa_system_sgpr_workgroup_info 0
		.amdhsa_system_vgpr_workitem_id 1
		.amdhsa_next_free_vgpr 12
		.amdhsa_next_free_sgpr 16
		.amdhsa_reserve_vcc 1
		.amdhsa_reserve_flat_scratch 0
		.amdhsa_float_round_mode_32 0
		.amdhsa_float_round_mode_16_64 0
		.amdhsa_float_denorm_mode_32 3
		.amdhsa_float_denorm_mode_16_64 3
		.amdhsa_dx10_clamp 1
		.amdhsa_ieee_mode 1
		.amdhsa_fp16_overflow 0
		.amdhsa_workgroup_processor_mode 1
		.amdhsa_memory_ordered 1
		.amdhsa_forward_progress 1
		.amdhsa_shared_vgpr_count 0
		.amdhsa_exception_fp_ieee_invalid_op 0
		.amdhsa_exception_fp_denorm_src 0
		.amdhsa_exception_fp_ieee_div_zero 0
		.amdhsa_exception_fp_ieee_overflow 0
		.amdhsa_exception_fp_ieee_underflow 0
		.amdhsa_exception_fp_ieee_inexact 0
		.amdhsa_exception_int_div_zero 0
	.end_amdhsa_kernel
	.section	.text._ZN12_GLOBAL__N_120softmax_warp_forwardIN3c108BFloat16EffLi1ELb1ELb0ELi64EEEvPT0_PKT_iiiPKbib,"axG",@progbits,_ZN12_GLOBAL__N_120softmax_warp_forwardIN3c108BFloat16EffLi1ELb1ELb0ELi64EEEvPT0_PKT_iiiPKbib,comdat
.Lfunc_end168:
	.size	_ZN12_GLOBAL__N_120softmax_warp_forwardIN3c108BFloat16EffLi1ELb1ELb0ELi64EEEvPT0_PKT_iiiPKbib, .Lfunc_end168-_ZN12_GLOBAL__N_120softmax_warp_forwardIN3c108BFloat16EffLi1ELb1ELb0ELi64EEEvPT0_PKT_iiiPKbib
                                        ; -- End function
	.set _ZN12_GLOBAL__N_120softmax_warp_forwardIN3c108BFloat16EffLi1ELb1ELb0ELi64EEEvPT0_PKT_iiiPKbib.num_vgpr, 12
	.set _ZN12_GLOBAL__N_120softmax_warp_forwardIN3c108BFloat16EffLi1ELb1ELb0ELi64EEEvPT0_PKT_iiiPKbib.num_agpr, 0
	.set _ZN12_GLOBAL__N_120softmax_warp_forwardIN3c108BFloat16EffLi1ELb1ELb0ELi64EEEvPT0_PKT_iiiPKbib.numbered_sgpr, 16
	.set _ZN12_GLOBAL__N_120softmax_warp_forwardIN3c108BFloat16EffLi1ELb1ELb0ELi64EEEvPT0_PKT_iiiPKbib.num_named_barrier, 0
	.set _ZN12_GLOBAL__N_120softmax_warp_forwardIN3c108BFloat16EffLi1ELb1ELb0ELi64EEEvPT0_PKT_iiiPKbib.private_seg_size, 0
	.set _ZN12_GLOBAL__N_120softmax_warp_forwardIN3c108BFloat16EffLi1ELb1ELb0ELi64EEEvPT0_PKT_iiiPKbib.uses_vcc, 1
	.set _ZN12_GLOBAL__N_120softmax_warp_forwardIN3c108BFloat16EffLi1ELb1ELb0ELi64EEEvPT0_PKT_iiiPKbib.uses_flat_scratch, 0
	.set _ZN12_GLOBAL__N_120softmax_warp_forwardIN3c108BFloat16EffLi1ELb1ELb0ELi64EEEvPT0_PKT_iiiPKbib.has_dyn_sized_stack, 0
	.set _ZN12_GLOBAL__N_120softmax_warp_forwardIN3c108BFloat16EffLi1ELb1ELb0ELi64EEEvPT0_PKT_iiiPKbib.has_recursion, 0
	.set _ZN12_GLOBAL__N_120softmax_warp_forwardIN3c108BFloat16EffLi1ELb1ELb0ELi64EEEvPT0_PKT_iiiPKbib.has_indirect_call, 0
	.section	.AMDGPU.csdata,"",@progbits
; Kernel info:
; codeLenInByte = 864
; TotalNumSgprs: 18
; NumVgprs: 12
; ScratchSize: 0
; MemoryBound: 0
; FloatMode: 240
; IeeeMode: 1
; LDSByteSize: 0 bytes/workgroup (compile time only)
; SGPRBlocks: 0
; VGPRBlocks: 1
; NumSGPRsForWavesPerEU: 18
; NumVGPRsForWavesPerEU: 12
; Occupancy: 16
; WaveLimiterHint : 0
; COMPUTE_PGM_RSRC2:SCRATCH_EN: 0
; COMPUTE_PGM_RSRC2:USER_SGPR: 6
; COMPUTE_PGM_RSRC2:TRAP_HANDLER: 0
; COMPUTE_PGM_RSRC2:TGID_X_EN: 1
; COMPUTE_PGM_RSRC2:TGID_Y_EN: 0
; COMPUTE_PGM_RSRC2:TGID_Z_EN: 0
; COMPUTE_PGM_RSRC2:TIDIG_COMP_CNT: 1
	.section	.text._ZN12_GLOBAL__N_120softmax_warp_forwardIN3c108BFloat16EffLi1ELb1ELb0ELi32EEEvPT0_PKT_iiiPKbib,"axG",@progbits,_ZN12_GLOBAL__N_120softmax_warp_forwardIN3c108BFloat16EffLi1ELb1ELb0ELi32EEEvPT0_PKT_iiiPKbib,comdat
	.globl	_ZN12_GLOBAL__N_120softmax_warp_forwardIN3c108BFloat16EffLi1ELb1ELb0ELi32EEEvPT0_PKT_iiiPKbib ; -- Begin function _ZN12_GLOBAL__N_120softmax_warp_forwardIN3c108BFloat16EffLi1ELb1ELb0ELi32EEEvPT0_PKT_iiiPKbib
	.p2align	8
	.type	_ZN12_GLOBAL__N_120softmax_warp_forwardIN3c108BFloat16EffLi1ELb1ELb0ELi32EEEvPT0_PKT_iiiPKbib,@function
_ZN12_GLOBAL__N_120softmax_warp_forwardIN3c108BFloat16EffLi1ELb1ELb0ELi32EEEvPT0_PKT_iiiPKbib: ; @_ZN12_GLOBAL__N_120softmax_warp_forwardIN3c108BFloat16EffLi1ELb1ELb0ELi32EEEvPT0_PKT_iiiPKbib
; %bb.0:
	s_clause 0x1
	s_load_dword s0, s[4:5], 0x3c
	s_load_dwordx8 s[8:15], s[4:5], 0x0
	v_mov_b32_e32 v6, 0xff800000
	s_waitcnt lgkmcnt(0)
	s_lshr_b32 s0, s0, 16
	v_cmp_gt_i32_e32 vcc_lo, s14, v0
	s_and_b32 s0, s0, 0xffff
	s_mul_i32 s6, s6, s0
	v_add_lshl_u32 v3, s6, v1, 1
	v_mad_u64_u32 v[1:2], null, v3, s13, v[0:1]
	v_sub_nc_u32_e32 v5, s12, v3
	v_mov_b32_e32 v0, 0xff800000
	v_cmp_lt_i32_e64 s0, 0, v5
	v_ashrrev_i32_e32 v2, 31, v1
	s_and_b32 s2, vcc_lo, s0
	v_lshlrev_b64 v[3:4], 1, v[1:2]
	v_add_co_u32 v3, s1, s10, v3
	v_add_co_ci_u32_e64 v4, null, s11, v4, s1
	s_and_saveexec_b32 s1, s2
	s_cbranch_execz .LBB169_2
; %bb.1:
	global_load_ushort v0, v[3:4], off
	s_waitcnt vmcnt(0)
	v_lshlrev_b32_e32 v0, 16, v0
.LBB169_2:
	s_or_b32 exec_lo, exec_lo, s1
	v_cmp_lt_i32_e64 s1, 1, v5
	s_and_b32 s1, vcc_lo, s1
	s_and_saveexec_b32 s2, s1
	s_cbranch_execz .LBB169_4
; %bb.3:
	s_mov_b32 s15, 0
	s_lshl_b64 s[4:5], s[14:15], 1
	v_add_co_u32 v3, s1, v3, s4
	v_add_co_ci_u32_e64 v4, null, s5, v4, s1
	global_load_ushort v3, v[3:4], off
	s_waitcnt vmcnt(0)
	v_lshlrev_b32_e32 v6, 16, v3
.LBB169_4:
	s_or_b32 exec_lo, exec_lo, s2
	v_mbcnt_lo_u32_b32 v3, -1, 0
	v_and_b32_e32 v4, 30, v3
	v_xor_b32_e32 v7, 1, v3
	v_add_nc_u32_e32 v4, 2, v4
	v_cmp_lt_i32_e64 s1, v7, v4
	v_cndmask_b32_e64 v3, v3, v7, s1
	v_lshlrev_b32_e32 v7, 2, v3
	ds_bpermute_b32 v3, v7, v0
	ds_bpermute_b32 v4, v7, v6
	s_waitcnt lgkmcnt(1)
	v_cmp_lt_f32_e64 s1, v0, v3
	v_cndmask_b32_e64 v3, v0, v3, s1
	s_waitcnt lgkmcnt(0)
	v_cmp_lt_f32_e64 s1, v6, v4
	v_cndmask_b32_e64 v8, v6, v4, s1
	v_sub_f32_e32 v4, v0, v3
	v_sub_f32_e32 v3, v6, v8
	v_mul_f32_e32 v0, 0x3fb8aa3b, v4
	v_cmp_ngt_f32_e64 s1, 0xc2ce8ed0, v4
	v_mul_f32_e32 v6, 0x3fb8aa3b, v3
	v_fma_f32 v8, 0x3fb8aa3b, v4, -v0
	v_rndne_f32_e32 v9, v0
	v_fma_f32 v10, 0x3fb8aa3b, v3, -v6
	v_rndne_f32_e32 v11, v6
	v_fmac_f32_e32 v8, 0x32a5705f, v4
	v_sub_f32_e32 v0, v0, v9
	v_fmac_f32_e32 v10, 0x32a5705f, v3
	v_sub_f32_e32 v6, v6, v11
	v_add_f32_e32 v0, v0, v8
	v_cvt_i32_f32_e32 v8, v9
	v_cvt_i32_f32_e32 v9, v11
	v_add_f32_e32 v6, v6, v10
	v_exp_f32_e32 v0, v0
	v_exp_f32_e32 v6, v6
	v_ldexp_f32 v0, v0, v8
	v_ldexp_f32 v6, v6, v9
	v_cndmask_b32_e64 v0, 0, v0, s1
	v_cmp_ngt_f32_e64 s1, 0xc2ce8ed0, v3
	v_cndmask_b32_e64 v6, 0, v6, s1
	v_cmp_nlt_f32_e64 s1, 0x42b17218, v4
	v_cndmask_b32_e64 v8, 0x7f800000, v0, s1
	v_cmp_nlt_f32_e64 s1, 0x42b17218, v3
	ds_bpermute_b32 v9, v7, v8
	v_cndmask_b32_e64 v6, 0x7f800000, v6, s1
	ds_bpermute_b32 v7, v7, v6
	s_and_saveexec_b32 s1, s0
	s_cbranch_execz .LBB169_9
; %bb.5:
	v_lshlrev_b64 v[0:1], 2, v[1:2]
	v_add_co_u32 v0, s0, s8, v0
	v_add_co_ci_u32_e64 v1, null, s9, v1, s0
	s_and_saveexec_b32 s2, vcc_lo
	s_cbranch_execz .LBB169_7
; %bb.6:
	s_waitcnt lgkmcnt(1)
	v_add_f32_e32 v2, v8, v9
	v_cmp_gt_f32_e64 s0, 0x800000, v2
	v_cndmask_b32_e64 v8, 0, 32, s0
	v_ldexp_f32 v2, v2, v8
	v_log_f32_e32 v2, v2
	v_mul_f32_e32 v8, 0x3f317217, v2
	v_cmp_gt_f32_e64 s1, 0x7f800000, |v2|
	v_fma_f32 v8, 0x3f317217, v2, -v8
	v_fmamk_f32 v8, v2, 0x3377d1cf, v8
	v_fmac_f32_e32 v8, 0x3f317217, v2
	v_cndmask_b32_e64 v2, v2, v8, s1
	v_cndmask_b32_e64 v8, 0, 0x41b17218, s0
	v_sub_f32_e32 v2, v2, v8
	v_sub_f32_e32 v2, v4, v2
	global_store_dword v[0:1], v2, off
.LBB169_7:
	s_or_b32 exec_lo, exec_lo, s2
	v_cmp_ne_u32_e64 s0, 1, v5
	s_and_b32 s0, s0, vcc_lo
	s_and_b32 exec_lo, exec_lo, s0
	s_cbranch_execz .LBB169_9
; %bb.8:
	s_waitcnt lgkmcnt(0)
	v_add_f32_e32 v2, v6, v7
	s_mov_b32 s15, 0
	s_lshl_b64 s[0:1], s[14:15], 2
	v_cmp_gt_f32_e32 vcc_lo, 0x800000, v2
	v_cndmask_b32_e64 v4, 0, 32, vcc_lo
	v_cndmask_b32_e64 v5, 0, 0x41b17218, vcc_lo
	v_ldexp_f32 v2, v2, v4
	v_log_f32_e32 v2, v2
	v_mul_f32_e32 v4, 0x3f317217, v2
	v_cmp_gt_f32_e64 vcc_lo, 0x7f800000, |v2|
	v_fma_f32 v4, 0x3f317217, v2, -v4
	v_fmamk_f32 v4, v2, 0x3377d1cf, v4
	v_fmac_f32_e32 v4, 0x3f317217, v2
	v_cndmask_b32_e32 v2, v2, v4, vcc_lo
	v_add_co_u32 v0, vcc_lo, v0, s0
	v_add_co_ci_u32_e64 v1, null, s1, v1, vcc_lo
	v_sub_f32_e32 v2, v2, v5
	v_sub_f32_e32 v2, v3, v2
	global_store_dword v[0:1], v2, off
.LBB169_9:
	s_endpgm
	.section	.rodata,"a",@progbits
	.p2align	6, 0x0
	.amdhsa_kernel _ZN12_GLOBAL__N_120softmax_warp_forwardIN3c108BFloat16EffLi1ELb1ELb0ELi32EEEvPT0_PKT_iiiPKbib
		.amdhsa_group_segment_fixed_size 0
		.amdhsa_private_segment_fixed_size 0
		.amdhsa_kernarg_size 304
		.amdhsa_user_sgpr_count 6
		.amdhsa_user_sgpr_private_segment_buffer 1
		.amdhsa_user_sgpr_dispatch_ptr 0
		.amdhsa_user_sgpr_queue_ptr 0
		.amdhsa_user_sgpr_kernarg_segment_ptr 1
		.amdhsa_user_sgpr_dispatch_id 0
		.amdhsa_user_sgpr_flat_scratch_init 0
		.amdhsa_user_sgpr_private_segment_size 0
		.amdhsa_wavefront_size32 1
		.amdhsa_uses_dynamic_stack 0
		.amdhsa_system_sgpr_private_segment_wavefront_offset 0
		.amdhsa_system_sgpr_workgroup_id_x 1
		.amdhsa_system_sgpr_workgroup_id_y 0
		.amdhsa_system_sgpr_workgroup_id_z 0
		.amdhsa_system_sgpr_workgroup_info 0
		.amdhsa_system_vgpr_workitem_id 1
		.amdhsa_next_free_vgpr 12
		.amdhsa_next_free_sgpr 16
		.amdhsa_reserve_vcc 1
		.amdhsa_reserve_flat_scratch 0
		.amdhsa_float_round_mode_32 0
		.amdhsa_float_round_mode_16_64 0
		.amdhsa_float_denorm_mode_32 3
		.amdhsa_float_denorm_mode_16_64 3
		.amdhsa_dx10_clamp 1
		.amdhsa_ieee_mode 1
		.amdhsa_fp16_overflow 0
		.amdhsa_workgroup_processor_mode 1
		.amdhsa_memory_ordered 1
		.amdhsa_forward_progress 1
		.amdhsa_shared_vgpr_count 0
		.amdhsa_exception_fp_ieee_invalid_op 0
		.amdhsa_exception_fp_denorm_src 0
		.amdhsa_exception_fp_ieee_div_zero 0
		.amdhsa_exception_fp_ieee_overflow 0
		.amdhsa_exception_fp_ieee_underflow 0
		.amdhsa_exception_fp_ieee_inexact 0
		.amdhsa_exception_int_div_zero 0
	.end_amdhsa_kernel
	.section	.text._ZN12_GLOBAL__N_120softmax_warp_forwardIN3c108BFloat16EffLi1ELb1ELb0ELi32EEEvPT0_PKT_iiiPKbib,"axG",@progbits,_ZN12_GLOBAL__N_120softmax_warp_forwardIN3c108BFloat16EffLi1ELb1ELb0ELi32EEEvPT0_PKT_iiiPKbib,comdat
.Lfunc_end169:
	.size	_ZN12_GLOBAL__N_120softmax_warp_forwardIN3c108BFloat16EffLi1ELb1ELb0ELi32EEEvPT0_PKT_iiiPKbib, .Lfunc_end169-_ZN12_GLOBAL__N_120softmax_warp_forwardIN3c108BFloat16EffLi1ELb1ELb0ELi32EEEvPT0_PKT_iiiPKbib
                                        ; -- End function
	.set _ZN12_GLOBAL__N_120softmax_warp_forwardIN3c108BFloat16EffLi1ELb1ELb0ELi32EEEvPT0_PKT_iiiPKbib.num_vgpr, 12
	.set _ZN12_GLOBAL__N_120softmax_warp_forwardIN3c108BFloat16EffLi1ELb1ELb0ELi32EEEvPT0_PKT_iiiPKbib.num_agpr, 0
	.set _ZN12_GLOBAL__N_120softmax_warp_forwardIN3c108BFloat16EffLi1ELb1ELb0ELi32EEEvPT0_PKT_iiiPKbib.numbered_sgpr, 16
	.set _ZN12_GLOBAL__N_120softmax_warp_forwardIN3c108BFloat16EffLi1ELb1ELb0ELi32EEEvPT0_PKT_iiiPKbib.num_named_barrier, 0
	.set _ZN12_GLOBAL__N_120softmax_warp_forwardIN3c108BFloat16EffLi1ELb1ELb0ELi32EEEvPT0_PKT_iiiPKbib.private_seg_size, 0
	.set _ZN12_GLOBAL__N_120softmax_warp_forwardIN3c108BFloat16EffLi1ELb1ELb0ELi32EEEvPT0_PKT_iiiPKbib.uses_vcc, 1
	.set _ZN12_GLOBAL__N_120softmax_warp_forwardIN3c108BFloat16EffLi1ELb1ELb0ELi32EEEvPT0_PKT_iiiPKbib.uses_flat_scratch, 0
	.set _ZN12_GLOBAL__N_120softmax_warp_forwardIN3c108BFloat16EffLi1ELb1ELb0ELi32EEEvPT0_PKT_iiiPKbib.has_dyn_sized_stack, 0
	.set _ZN12_GLOBAL__N_120softmax_warp_forwardIN3c108BFloat16EffLi1ELb1ELb0ELi32EEEvPT0_PKT_iiiPKbib.has_recursion, 0
	.set _ZN12_GLOBAL__N_120softmax_warp_forwardIN3c108BFloat16EffLi1ELb1ELb0ELi32EEEvPT0_PKT_iiiPKbib.has_indirect_call, 0
	.section	.AMDGPU.csdata,"",@progbits
; Kernel info:
; codeLenInByte = 864
; TotalNumSgprs: 18
; NumVgprs: 12
; ScratchSize: 0
; MemoryBound: 0
; FloatMode: 240
; IeeeMode: 1
; LDSByteSize: 0 bytes/workgroup (compile time only)
; SGPRBlocks: 0
; VGPRBlocks: 1
; NumSGPRsForWavesPerEU: 18
; NumVGPRsForWavesPerEU: 12
; Occupancy: 16
; WaveLimiterHint : 0
; COMPUTE_PGM_RSRC2:SCRATCH_EN: 0
; COMPUTE_PGM_RSRC2:USER_SGPR: 6
; COMPUTE_PGM_RSRC2:TRAP_HANDLER: 0
; COMPUTE_PGM_RSRC2:TGID_X_EN: 1
; COMPUTE_PGM_RSRC2:TGID_Y_EN: 0
; COMPUTE_PGM_RSRC2:TGID_Z_EN: 0
; COMPUTE_PGM_RSRC2:TIDIG_COMP_CNT: 1
	.section	.text._ZN12_GLOBAL__N_120softmax_warp_forwardIN3c108BFloat16EffLi2ELb1ELb0ELi64EEEvPT0_PKT_iiiPKbib,"axG",@progbits,_ZN12_GLOBAL__N_120softmax_warp_forwardIN3c108BFloat16EffLi2ELb1ELb0ELi64EEEvPT0_PKT_iiiPKbib,comdat
	.globl	_ZN12_GLOBAL__N_120softmax_warp_forwardIN3c108BFloat16EffLi2ELb1ELb0ELi64EEEvPT0_PKT_iiiPKbib ; -- Begin function _ZN12_GLOBAL__N_120softmax_warp_forwardIN3c108BFloat16EffLi2ELb1ELb0ELi64EEEvPT0_PKT_iiiPKbib
	.p2align	8
	.type	_ZN12_GLOBAL__N_120softmax_warp_forwardIN3c108BFloat16EffLi2ELb1ELb0ELi64EEEvPT0_PKT_iiiPKbib,@function
_ZN12_GLOBAL__N_120softmax_warp_forwardIN3c108BFloat16EffLi2ELb1ELb0ELi64EEEvPT0_PKT_iiiPKbib: ; @_ZN12_GLOBAL__N_120softmax_warp_forwardIN3c108BFloat16EffLi2ELb1ELb0ELi64EEEvPT0_PKT_iiiPKbib
; %bb.0:
	s_clause 0x1
	s_load_dword s0, s[4:5], 0x3c
	s_load_dwordx8 s[8:15], s[4:5], 0x0
	v_mov_b32_e32 v6, 0xff800000
	s_waitcnt lgkmcnt(0)
	s_lshr_b32 s0, s0, 16
	v_cmp_gt_i32_e32 vcc_lo, s14, v0
	s_and_b32 s0, s0, 0xffff
	s_mul_i32 s6, s6, s0
	v_add_lshl_u32 v3, s6, v1, 1
	v_mad_u64_u32 v[1:2], null, v3, s13, v[0:1]
	v_sub_nc_u32_e32 v5, s12, v3
	v_mov_b32_e32 v0, 0xff800000
	v_cmp_lt_i32_e64 s0, 0, v5
	v_ashrrev_i32_e32 v2, 31, v1
	s_and_b32 s2, vcc_lo, s0
	v_lshlrev_b64 v[3:4], 1, v[1:2]
	v_add_co_u32 v3, s1, s10, v3
	v_add_co_ci_u32_e64 v4, null, s11, v4, s1
	s_and_saveexec_b32 s1, s2
	s_cbranch_execz .LBB170_2
; %bb.1:
	global_load_ushort v0, v[3:4], off
	s_waitcnt vmcnt(0)
	v_lshlrev_b32_e32 v0, 16, v0
.LBB170_2:
	s_or_b32 exec_lo, exec_lo, s1
	v_cmp_lt_i32_e64 s1, 1, v5
	s_and_b32 s1, vcc_lo, s1
	s_and_saveexec_b32 s2, s1
	s_cbranch_execz .LBB170_4
; %bb.3:
	s_mov_b32 s15, 0
	s_lshl_b64 s[4:5], s[14:15], 1
	v_add_co_u32 v3, s1, v3, s4
	v_add_co_ci_u32_e64 v4, null, s5, v4, s1
	global_load_ushort v3, v[3:4], off
	s_waitcnt vmcnt(0)
	v_lshlrev_b32_e32 v6, 16, v3
.LBB170_4:
	s_or_b32 exec_lo, exec_lo, s2
	v_mbcnt_lo_u32_b32 v3, -1, 0
	v_and_b32_e32 v4, 28, v3
	v_xor_b32_e32 v7, 2, v3
	v_xor_b32_e32 v10, 1, v3
	v_add_nc_u32_e32 v4, 4, v4
	v_cmp_lt_i32_e64 s1, v7, v4
	v_cndmask_b32_e64 v7, v3, v7, s1
	v_cmp_lt_i32_e64 s1, v10, v4
	v_lshlrev_b32_e32 v7, 2, v7
	v_cndmask_b32_e64 v3, v3, v10, s1
	ds_bpermute_b32 v8, v7, v0
	ds_bpermute_b32 v9, v7, v6
	v_lshlrev_b32_e32 v10, 2, v3
	s_waitcnt lgkmcnt(1)
	v_cmp_lt_f32_e64 s1, v0, v8
	v_cndmask_b32_e64 v3, v0, v8, s1
	s_waitcnt lgkmcnt(0)
	v_cmp_lt_f32_e64 s1, v6, v9
	ds_bpermute_b32 v8, v10, v3
	v_cndmask_b32_e64 v4, v6, v9, s1
	ds_bpermute_b32 v9, v10, v4
	s_waitcnt lgkmcnt(1)
	v_cmp_lt_f32_e64 s1, v3, v8
	v_cndmask_b32_e64 v3, v3, v8, s1
	s_waitcnt lgkmcnt(0)
	v_cmp_lt_f32_e64 s1, v4, v9
	v_cndmask_b32_e64 v8, v4, v9, s1
	v_sub_f32_e32 v4, v0, v3
	v_sub_f32_e32 v3, v6, v8
	v_mul_f32_e32 v0, 0x3fb8aa3b, v4
	v_cmp_ngt_f32_e64 s1, 0xc2ce8ed0, v4
	v_mul_f32_e32 v6, 0x3fb8aa3b, v3
	v_fma_f32 v8, 0x3fb8aa3b, v4, -v0
	v_rndne_f32_e32 v9, v0
	v_fma_f32 v11, 0x3fb8aa3b, v3, -v6
	v_rndne_f32_e32 v12, v6
	v_fmac_f32_e32 v8, 0x32a5705f, v4
	v_sub_f32_e32 v0, v0, v9
	v_fmac_f32_e32 v11, 0x32a5705f, v3
	v_sub_f32_e32 v6, v6, v12
	v_add_f32_e32 v0, v0, v8
	v_cvt_i32_f32_e32 v8, v9
	v_cvt_i32_f32_e32 v9, v12
	v_add_f32_e32 v6, v6, v11
	v_exp_f32_e32 v0, v0
	v_exp_f32_e32 v6, v6
	v_ldexp_f32 v0, v0, v8
	v_ldexp_f32 v6, v6, v9
	v_cndmask_b32_e64 v0, 0, v0, s1
	v_cmp_ngt_f32_e64 s1, 0xc2ce8ed0, v3
	v_cndmask_b32_e64 v6, 0, v6, s1
	v_cmp_nlt_f32_e64 s1, 0x42b17218, v4
	v_cndmask_b32_e64 v0, 0x7f800000, v0, s1
	v_cmp_nlt_f32_e64 s1, 0x42b17218, v3
	ds_bpermute_b32 v8, v7, v0
	v_cndmask_b32_e64 v6, 0x7f800000, v6, s1
	ds_bpermute_b32 v7, v7, v6
	s_waitcnt lgkmcnt(1)
	v_add_f32_e32 v8, v0, v8
	ds_bpermute_b32 v9, v10, v8
	s_waitcnt lgkmcnt(1)
	v_add_f32_e32 v6, v6, v7
	ds_bpermute_b32 v7, v10, v6
	s_and_saveexec_b32 s1, s0
	s_cbranch_execz .LBB170_9
; %bb.5:
	v_lshlrev_b64 v[0:1], 2, v[1:2]
	v_add_co_u32 v0, s0, s8, v0
	v_add_co_ci_u32_e64 v1, null, s9, v1, s0
	s_and_saveexec_b32 s2, vcc_lo
	s_cbranch_execz .LBB170_7
; %bb.6:
	s_waitcnt lgkmcnt(1)
	v_add_f32_e32 v2, v8, v9
	v_cmp_gt_f32_e64 s0, 0x800000, v2
	v_cndmask_b32_e64 v8, 0, 32, s0
	v_ldexp_f32 v2, v2, v8
	v_log_f32_e32 v2, v2
	v_mul_f32_e32 v8, 0x3f317217, v2
	v_cmp_gt_f32_e64 s1, 0x7f800000, |v2|
	v_fma_f32 v8, 0x3f317217, v2, -v8
	v_fmamk_f32 v8, v2, 0x3377d1cf, v8
	v_fmac_f32_e32 v8, 0x3f317217, v2
	v_cndmask_b32_e64 v2, v2, v8, s1
	v_cndmask_b32_e64 v8, 0, 0x41b17218, s0
	v_sub_f32_e32 v2, v2, v8
	v_sub_f32_e32 v2, v4, v2
	global_store_dword v[0:1], v2, off
.LBB170_7:
	s_or_b32 exec_lo, exec_lo, s2
	v_cmp_ne_u32_e64 s0, 1, v5
	s_and_b32 s0, s0, vcc_lo
	s_and_b32 exec_lo, exec_lo, s0
	s_cbranch_execz .LBB170_9
; %bb.8:
	s_waitcnt lgkmcnt(0)
	v_add_f32_e32 v2, v6, v7
	s_mov_b32 s15, 0
	s_lshl_b64 s[0:1], s[14:15], 2
	v_cmp_gt_f32_e32 vcc_lo, 0x800000, v2
	v_cndmask_b32_e64 v4, 0, 32, vcc_lo
	v_cndmask_b32_e64 v5, 0, 0x41b17218, vcc_lo
	v_ldexp_f32 v2, v2, v4
	v_log_f32_e32 v2, v2
	v_mul_f32_e32 v4, 0x3f317217, v2
	v_cmp_gt_f32_e64 vcc_lo, 0x7f800000, |v2|
	v_fma_f32 v4, 0x3f317217, v2, -v4
	v_fmamk_f32 v4, v2, 0x3377d1cf, v4
	v_fmac_f32_e32 v4, 0x3f317217, v2
	v_cndmask_b32_e32 v2, v2, v4, vcc_lo
	v_add_co_u32 v0, vcc_lo, v0, s0
	v_add_co_ci_u32_e64 v1, null, s1, v1, vcc_lo
	v_sub_f32_e32 v2, v2, v5
	v_sub_f32_e32 v2, v3, v2
	global_store_dword v[0:1], v2, off
.LBB170_9:
	s_endpgm
	.section	.rodata,"a",@progbits
	.p2align	6, 0x0
	.amdhsa_kernel _ZN12_GLOBAL__N_120softmax_warp_forwardIN3c108BFloat16EffLi2ELb1ELb0ELi64EEEvPT0_PKT_iiiPKbib
		.amdhsa_group_segment_fixed_size 0
		.amdhsa_private_segment_fixed_size 0
		.amdhsa_kernarg_size 304
		.amdhsa_user_sgpr_count 6
		.amdhsa_user_sgpr_private_segment_buffer 1
		.amdhsa_user_sgpr_dispatch_ptr 0
		.amdhsa_user_sgpr_queue_ptr 0
		.amdhsa_user_sgpr_kernarg_segment_ptr 1
		.amdhsa_user_sgpr_dispatch_id 0
		.amdhsa_user_sgpr_flat_scratch_init 0
		.amdhsa_user_sgpr_private_segment_size 0
		.amdhsa_wavefront_size32 1
		.amdhsa_uses_dynamic_stack 0
		.amdhsa_system_sgpr_private_segment_wavefront_offset 0
		.amdhsa_system_sgpr_workgroup_id_x 1
		.amdhsa_system_sgpr_workgroup_id_y 0
		.amdhsa_system_sgpr_workgroup_id_z 0
		.amdhsa_system_sgpr_workgroup_info 0
		.amdhsa_system_vgpr_workitem_id 1
		.amdhsa_next_free_vgpr 13
		.amdhsa_next_free_sgpr 16
		.amdhsa_reserve_vcc 1
		.amdhsa_reserve_flat_scratch 0
		.amdhsa_float_round_mode_32 0
		.amdhsa_float_round_mode_16_64 0
		.amdhsa_float_denorm_mode_32 3
		.amdhsa_float_denorm_mode_16_64 3
		.amdhsa_dx10_clamp 1
		.amdhsa_ieee_mode 1
		.amdhsa_fp16_overflow 0
		.amdhsa_workgroup_processor_mode 1
		.amdhsa_memory_ordered 1
		.amdhsa_forward_progress 1
		.amdhsa_shared_vgpr_count 0
		.amdhsa_exception_fp_ieee_invalid_op 0
		.amdhsa_exception_fp_denorm_src 0
		.amdhsa_exception_fp_ieee_div_zero 0
		.amdhsa_exception_fp_ieee_overflow 0
		.amdhsa_exception_fp_ieee_underflow 0
		.amdhsa_exception_fp_ieee_inexact 0
		.amdhsa_exception_int_div_zero 0
	.end_amdhsa_kernel
	.section	.text._ZN12_GLOBAL__N_120softmax_warp_forwardIN3c108BFloat16EffLi2ELb1ELb0ELi64EEEvPT0_PKT_iiiPKbib,"axG",@progbits,_ZN12_GLOBAL__N_120softmax_warp_forwardIN3c108BFloat16EffLi2ELb1ELb0ELi64EEEvPT0_PKT_iiiPKbib,comdat
.Lfunc_end170:
	.size	_ZN12_GLOBAL__N_120softmax_warp_forwardIN3c108BFloat16EffLi2ELb1ELb0ELi64EEEvPT0_PKT_iiiPKbib, .Lfunc_end170-_ZN12_GLOBAL__N_120softmax_warp_forwardIN3c108BFloat16EffLi2ELb1ELb0ELi64EEEvPT0_PKT_iiiPKbib
                                        ; -- End function
	.set _ZN12_GLOBAL__N_120softmax_warp_forwardIN3c108BFloat16EffLi2ELb1ELb0ELi64EEEvPT0_PKT_iiiPKbib.num_vgpr, 13
	.set _ZN12_GLOBAL__N_120softmax_warp_forwardIN3c108BFloat16EffLi2ELb1ELb0ELi64EEEvPT0_PKT_iiiPKbib.num_agpr, 0
	.set _ZN12_GLOBAL__N_120softmax_warp_forwardIN3c108BFloat16EffLi2ELb1ELb0ELi64EEEvPT0_PKT_iiiPKbib.numbered_sgpr, 16
	.set _ZN12_GLOBAL__N_120softmax_warp_forwardIN3c108BFloat16EffLi2ELb1ELb0ELi64EEEvPT0_PKT_iiiPKbib.num_named_barrier, 0
	.set _ZN12_GLOBAL__N_120softmax_warp_forwardIN3c108BFloat16EffLi2ELb1ELb0ELi64EEEvPT0_PKT_iiiPKbib.private_seg_size, 0
	.set _ZN12_GLOBAL__N_120softmax_warp_forwardIN3c108BFloat16EffLi2ELb1ELb0ELi64EEEvPT0_PKT_iiiPKbib.uses_vcc, 1
	.set _ZN12_GLOBAL__N_120softmax_warp_forwardIN3c108BFloat16EffLi2ELb1ELb0ELi64EEEvPT0_PKT_iiiPKbib.uses_flat_scratch, 0
	.set _ZN12_GLOBAL__N_120softmax_warp_forwardIN3c108BFloat16EffLi2ELb1ELb0ELi64EEEvPT0_PKT_iiiPKbib.has_dyn_sized_stack, 0
	.set _ZN12_GLOBAL__N_120softmax_warp_forwardIN3c108BFloat16EffLi2ELb1ELb0ELi64EEEvPT0_PKT_iiiPKbib.has_recursion, 0
	.set _ZN12_GLOBAL__N_120softmax_warp_forwardIN3c108BFloat16EffLi2ELb1ELb0ELi64EEEvPT0_PKT_iiiPKbib.has_indirect_call, 0
	.section	.AMDGPU.csdata,"",@progbits
; Kernel info:
; codeLenInByte = 976
; TotalNumSgprs: 18
; NumVgprs: 13
; ScratchSize: 0
; MemoryBound: 0
; FloatMode: 240
; IeeeMode: 1
; LDSByteSize: 0 bytes/workgroup (compile time only)
; SGPRBlocks: 0
; VGPRBlocks: 1
; NumSGPRsForWavesPerEU: 18
; NumVGPRsForWavesPerEU: 13
; Occupancy: 16
; WaveLimiterHint : 0
; COMPUTE_PGM_RSRC2:SCRATCH_EN: 0
; COMPUTE_PGM_RSRC2:USER_SGPR: 6
; COMPUTE_PGM_RSRC2:TRAP_HANDLER: 0
; COMPUTE_PGM_RSRC2:TGID_X_EN: 1
; COMPUTE_PGM_RSRC2:TGID_Y_EN: 0
; COMPUTE_PGM_RSRC2:TGID_Z_EN: 0
; COMPUTE_PGM_RSRC2:TIDIG_COMP_CNT: 1
	.section	.text._ZN12_GLOBAL__N_120softmax_warp_forwardIN3c108BFloat16EffLi2ELb1ELb0ELi32EEEvPT0_PKT_iiiPKbib,"axG",@progbits,_ZN12_GLOBAL__N_120softmax_warp_forwardIN3c108BFloat16EffLi2ELb1ELb0ELi32EEEvPT0_PKT_iiiPKbib,comdat
	.globl	_ZN12_GLOBAL__N_120softmax_warp_forwardIN3c108BFloat16EffLi2ELb1ELb0ELi32EEEvPT0_PKT_iiiPKbib ; -- Begin function _ZN12_GLOBAL__N_120softmax_warp_forwardIN3c108BFloat16EffLi2ELb1ELb0ELi32EEEvPT0_PKT_iiiPKbib
	.p2align	8
	.type	_ZN12_GLOBAL__N_120softmax_warp_forwardIN3c108BFloat16EffLi2ELb1ELb0ELi32EEEvPT0_PKT_iiiPKbib,@function
_ZN12_GLOBAL__N_120softmax_warp_forwardIN3c108BFloat16EffLi2ELb1ELb0ELi32EEEvPT0_PKT_iiiPKbib: ; @_ZN12_GLOBAL__N_120softmax_warp_forwardIN3c108BFloat16EffLi2ELb1ELb0ELi32EEEvPT0_PKT_iiiPKbib
; %bb.0:
	s_clause 0x1
	s_load_dword s0, s[4:5], 0x3c
	s_load_dwordx8 s[8:15], s[4:5], 0x0
	v_mov_b32_e32 v6, 0xff800000
	s_waitcnt lgkmcnt(0)
	s_lshr_b32 s0, s0, 16
	v_cmp_gt_i32_e32 vcc_lo, s14, v0
	s_and_b32 s0, s0, 0xffff
	s_mul_i32 s6, s6, s0
	v_add_lshl_u32 v3, s6, v1, 1
	v_mad_u64_u32 v[1:2], null, v3, s13, v[0:1]
	v_sub_nc_u32_e32 v5, s12, v3
	v_mov_b32_e32 v0, 0xff800000
	v_cmp_lt_i32_e64 s0, 0, v5
	v_ashrrev_i32_e32 v2, 31, v1
	s_and_b32 s2, vcc_lo, s0
	v_lshlrev_b64 v[3:4], 1, v[1:2]
	v_add_co_u32 v3, s1, s10, v3
	v_add_co_ci_u32_e64 v4, null, s11, v4, s1
	s_and_saveexec_b32 s1, s2
	s_cbranch_execz .LBB171_2
; %bb.1:
	global_load_ushort v0, v[3:4], off
	s_waitcnt vmcnt(0)
	v_lshlrev_b32_e32 v0, 16, v0
.LBB171_2:
	s_or_b32 exec_lo, exec_lo, s1
	v_cmp_lt_i32_e64 s1, 1, v5
	s_and_b32 s1, vcc_lo, s1
	s_and_saveexec_b32 s2, s1
	s_cbranch_execz .LBB171_4
; %bb.3:
	s_mov_b32 s15, 0
	s_lshl_b64 s[4:5], s[14:15], 1
	v_add_co_u32 v3, s1, v3, s4
	v_add_co_ci_u32_e64 v4, null, s5, v4, s1
	global_load_ushort v3, v[3:4], off
	s_waitcnt vmcnt(0)
	v_lshlrev_b32_e32 v6, 16, v3
.LBB171_4:
	s_or_b32 exec_lo, exec_lo, s2
	v_mbcnt_lo_u32_b32 v3, -1, 0
	v_and_b32_e32 v4, 28, v3
	v_xor_b32_e32 v7, 2, v3
	v_xor_b32_e32 v10, 1, v3
	v_add_nc_u32_e32 v4, 4, v4
	v_cmp_lt_i32_e64 s1, v7, v4
	v_cndmask_b32_e64 v7, v3, v7, s1
	v_cmp_lt_i32_e64 s1, v10, v4
	v_lshlrev_b32_e32 v7, 2, v7
	v_cndmask_b32_e64 v3, v3, v10, s1
	ds_bpermute_b32 v8, v7, v0
	ds_bpermute_b32 v9, v7, v6
	v_lshlrev_b32_e32 v10, 2, v3
	s_waitcnt lgkmcnt(1)
	v_cmp_lt_f32_e64 s1, v0, v8
	v_cndmask_b32_e64 v3, v0, v8, s1
	s_waitcnt lgkmcnt(0)
	v_cmp_lt_f32_e64 s1, v6, v9
	ds_bpermute_b32 v8, v10, v3
	v_cndmask_b32_e64 v4, v6, v9, s1
	ds_bpermute_b32 v9, v10, v4
	s_waitcnt lgkmcnt(1)
	v_cmp_lt_f32_e64 s1, v3, v8
	v_cndmask_b32_e64 v3, v3, v8, s1
	s_waitcnt lgkmcnt(0)
	v_cmp_lt_f32_e64 s1, v4, v9
	v_cndmask_b32_e64 v8, v4, v9, s1
	v_sub_f32_e32 v4, v0, v3
	v_sub_f32_e32 v3, v6, v8
	v_mul_f32_e32 v0, 0x3fb8aa3b, v4
	v_cmp_ngt_f32_e64 s1, 0xc2ce8ed0, v4
	v_mul_f32_e32 v6, 0x3fb8aa3b, v3
	v_fma_f32 v8, 0x3fb8aa3b, v4, -v0
	v_rndne_f32_e32 v9, v0
	v_fma_f32 v11, 0x3fb8aa3b, v3, -v6
	v_rndne_f32_e32 v12, v6
	v_fmac_f32_e32 v8, 0x32a5705f, v4
	v_sub_f32_e32 v0, v0, v9
	v_fmac_f32_e32 v11, 0x32a5705f, v3
	v_sub_f32_e32 v6, v6, v12
	v_add_f32_e32 v0, v0, v8
	v_cvt_i32_f32_e32 v8, v9
	v_cvt_i32_f32_e32 v9, v12
	v_add_f32_e32 v6, v6, v11
	v_exp_f32_e32 v0, v0
	v_exp_f32_e32 v6, v6
	v_ldexp_f32 v0, v0, v8
	v_ldexp_f32 v6, v6, v9
	v_cndmask_b32_e64 v0, 0, v0, s1
	v_cmp_ngt_f32_e64 s1, 0xc2ce8ed0, v3
	v_cndmask_b32_e64 v6, 0, v6, s1
	v_cmp_nlt_f32_e64 s1, 0x42b17218, v4
	v_cndmask_b32_e64 v0, 0x7f800000, v0, s1
	v_cmp_nlt_f32_e64 s1, 0x42b17218, v3
	ds_bpermute_b32 v8, v7, v0
	v_cndmask_b32_e64 v6, 0x7f800000, v6, s1
	ds_bpermute_b32 v7, v7, v6
	s_waitcnt lgkmcnt(1)
	v_add_f32_e32 v8, v0, v8
	ds_bpermute_b32 v9, v10, v8
	s_waitcnt lgkmcnt(1)
	v_add_f32_e32 v6, v6, v7
	ds_bpermute_b32 v7, v10, v6
	s_and_saveexec_b32 s1, s0
	s_cbranch_execz .LBB171_9
; %bb.5:
	v_lshlrev_b64 v[0:1], 2, v[1:2]
	v_add_co_u32 v0, s0, s8, v0
	v_add_co_ci_u32_e64 v1, null, s9, v1, s0
	s_and_saveexec_b32 s2, vcc_lo
	s_cbranch_execz .LBB171_7
; %bb.6:
	s_waitcnt lgkmcnt(1)
	v_add_f32_e32 v2, v8, v9
	v_cmp_gt_f32_e64 s0, 0x800000, v2
	v_cndmask_b32_e64 v8, 0, 32, s0
	v_ldexp_f32 v2, v2, v8
	v_log_f32_e32 v2, v2
	v_mul_f32_e32 v8, 0x3f317217, v2
	v_cmp_gt_f32_e64 s1, 0x7f800000, |v2|
	v_fma_f32 v8, 0x3f317217, v2, -v8
	v_fmamk_f32 v8, v2, 0x3377d1cf, v8
	v_fmac_f32_e32 v8, 0x3f317217, v2
	v_cndmask_b32_e64 v2, v2, v8, s1
	v_cndmask_b32_e64 v8, 0, 0x41b17218, s0
	v_sub_f32_e32 v2, v2, v8
	v_sub_f32_e32 v2, v4, v2
	global_store_dword v[0:1], v2, off
.LBB171_7:
	s_or_b32 exec_lo, exec_lo, s2
	v_cmp_ne_u32_e64 s0, 1, v5
	s_and_b32 s0, s0, vcc_lo
	s_and_b32 exec_lo, exec_lo, s0
	s_cbranch_execz .LBB171_9
; %bb.8:
	s_waitcnt lgkmcnt(0)
	v_add_f32_e32 v2, v6, v7
	s_mov_b32 s15, 0
	s_lshl_b64 s[0:1], s[14:15], 2
	v_cmp_gt_f32_e32 vcc_lo, 0x800000, v2
	v_cndmask_b32_e64 v4, 0, 32, vcc_lo
	v_cndmask_b32_e64 v5, 0, 0x41b17218, vcc_lo
	v_ldexp_f32 v2, v2, v4
	v_log_f32_e32 v2, v2
	v_mul_f32_e32 v4, 0x3f317217, v2
	v_cmp_gt_f32_e64 vcc_lo, 0x7f800000, |v2|
	v_fma_f32 v4, 0x3f317217, v2, -v4
	v_fmamk_f32 v4, v2, 0x3377d1cf, v4
	v_fmac_f32_e32 v4, 0x3f317217, v2
	v_cndmask_b32_e32 v2, v2, v4, vcc_lo
	v_add_co_u32 v0, vcc_lo, v0, s0
	v_add_co_ci_u32_e64 v1, null, s1, v1, vcc_lo
	v_sub_f32_e32 v2, v2, v5
	v_sub_f32_e32 v2, v3, v2
	global_store_dword v[0:1], v2, off
.LBB171_9:
	s_endpgm
	.section	.rodata,"a",@progbits
	.p2align	6, 0x0
	.amdhsa_kernel _ZN12_GLOBAL__N_120softmax_warp_forwardIN3c108BFloat16EffLi2ELb1ELb0ELi32EEEvPT0_PKT_iiiPKbib
		.amdhsa_group_segment_fixed_size 0
		.amdhsa_private_segment_fixed_size 0
		.amdhsa_kernarg_size 304
		.amdhsa_user_sgpr_count 6
		.amdhsa_user_sgpr_private_segment_buffer 1
		.amdhsa_user_sgpr_dispatch_ptr 0
		.amdhsa_user_sgpr_queue_ptr 0
		.amdhsa_user_sgpr_kernarg_segment_ptr 1
		.amdhsa_user_sgpr_dispatch_id 0
		.amdhsa_user_sgpr_flat_scratch_init 0
		.amdhsa_user_sgpr_private_segment_size 0
		.amdhsa_wavefront_size32 1
		.amdhsa_uses_dynamic_stack 0
		.amdhsa_system_sgpr_private_segment_wavefront_offset 0
		.amdhsa_system_sgpr_workgroup_id_x 1
		.amdhsa_system_sgpr_workgroup_id_y 0
		.amdhsa_system_sgpr_workgroup_id_z 0
		.amdhsa_system_sgpr_workgroup_info 0
		.amdhsa_system_vgpr_workitem_id 1
		.amdhsa_next_free_vgpr 13
		.amdhsa_next_free_sgpr 16
		.amdhsa_reserve_vcc 1
		.amdhsa_reserve_flat_scratch 0
		.amdhsa_float_round_mode_32 0
		.amdhsa_float_round_mode_16_64 0
		.amdhsa_float_denorm_mode_32 3
		.amdhsa_float_denorm_mode_16_64 3
		.amdhsa_dx10_clamp 1
		.amdhsa_ieee_mode 1
		.amdhsa_fp16_overflow 0
		.amdhsa_workgroup_processor_mode 1
		.amdhsa_memory_ordered 1
		.amdhsa_forward_progress 1
		.amdhsa_shared_vgpr_count 0
		.amdhsa_exception_fp_ieee_invalid_op 0
		.amdhsa_exception_fp_denorm_src 0
		.amdhsa_exception_fp_ieee_div_zero 0
		.amdhsa_exception_fp_ieee_overflow 0
		.amdhsa_exception_fp_ieee_underflow 0
		.amdhsa_exception_fp_ieee_inexact 0
		.amdhsa_exception_int_div_zero 0
	.end_amdhsa_kernel
	.section	.text._ZN12_GLOBAL__N_120softmax_warp_forwardIN3c108BFloat16EffLi2ELb1ELb0ELi32EEEvPT0_PKT_iiiPKbib,"axG",@progbits,_ZN12_GLOBAL__N_120softmax_warp_forwardIN3c108BFloat16EffLi2ELb1ELb0ELi32EEEvPT0_PKT_iiiPKbib,comdat
.Lfunc_end171:
	.size	_ZN12_GLOBAL__N_120softmax_warp_forwardIN3c108BFloat16EffLi2ELb1ELb0ELi32EEEvPT0_PKT_iiiPKbib, .Lfunc_end171-_ZN12_GLOBAL__N_120softmax_warp_forwardIN3c108BFloat16EffLi2ELb1ELb0ELi32EEEvPT0_PKT_iiiPKbib
                                        ; -- End function
	.set _ZN12_GLOBAL__N_120softmax_warp_forwardIN3c108BFloat16EffLi2ELb1ELb0ELi32EEEvPT0_PKT_iiiPKbib.num_vgpr, 13
	.set _ZN12_GLOBAL__N_120softmax_warp_forwardIN3c108BFloat16EffLi2ELb1ELb0ELi32EEEvPT0_PKT_iiiPKbib.num_agpr, 0
	.set _ZN12_GLOBAL__N_120softmax_warp_forwardIN3c108BFloat16EffLi2ELb1ELb0ELi32EEEvPT0_PKT_iiiPKbib.numbered_sgpr, 16
	.set _ZN12_GLOBAL__N_120softmax_warp_forwardIN3c108BFloat16EffLi2ELb1ELb0ELi32EEEvPT0_PKT_iiiPKbib.num_named_barrier, 0
	.set _ZN12_GLOBAL__N_120softmax_warp_forwardIN3c108BFloat16EffLi2ELb1ELb0ELi32EEEvPT0_PKT_iiiPKbib.private_seg_size, 0
	.set _ZN12_GLOBAL__N_120softmax_warp_forwardIN3c108BFloat16EffLi2ELb1ELb0ELi32EEEvPT0_PKT_iiiPKbib.uses_vcc, 1
	.set _ZN12_GLOBAL__N_120softmax_warp_forwardIN3c108BFloat16EffLi2ELb1ELb0ELi32EEEvPT0_PKT_iiiPKbib.uses_flat_scratch, 0
	.set _ZN12_GLOBAL__N_120softmax_warp_forwardIN3c108BFloat16EffLi2ELb1ELb0ELi32EEEvPT0_PKT_iiiPKbib.has_dyn_sized_stack, 0
	.set _ZN12_GLOBAL__N_120softmax_warp_forwardIN3c108BFloat16EffLi2ELb1ELb0ELi32EEEvPT0_PKT_iiiPKbib.has_recursion, 0
	.set _ZN12_GLOBAL__N_120softmax_warp_forwardIN3c108BFloat16EffLi2ELb1ELb0ELi32EEEvPT0_PKT_iiiPKbib.has_indirect_call, 0
	.section	.AMDGPU.csdata,"",@progbits
; Kernel info:
; codeLenInByte = 976
; TotalNumSgprs: 18
; NumVgprs: 13
; ScratchSize: 0
; MemoryBound: 0
; FloatMode: 240
; IeeeMode: 1
; LDSByteSize: 0 bytes/workgroup (compile time only)
; SGPRBlocks: 0
; VGPRBlocks: 1
; NumSGPRsForWavesPerEU: 18
; NumVGPRsForWavesPerEU: 13
; Occupancy: 16
; WaveLimiterHint : 0
; COMPUTE_PGM_RSRC2:SCRATCH_EN: 0
; COMPUTE_PGM_RSRC2:USER_SGPR: 6
; COMPUTE_PGM_RSRC2:TRAP_HANDLER: 0
; COMPUTE_PGM_RSRC2:TGID_X_EN: 1
; COMPUTE_PGM_RSRC2:TGID_Y_EN: 0
; COMPUTE_PGM_RSRC2:TGID_Z_EN: 0
; COMPUTE_PGM_RSRC2:TIDIG_COMP_CNT: 1
	.section	.text._ZN12_GLOBAL__N_120softmax_warp_forwardIN3c108BFloat16EffLi3ELb1ELb0ELi64EEEvPT0_PKT_iiiPKbib,"axG",@progbits,_ZN12_GLOBAL__N_120softmax_warp_forwardIN3c108BFloat16EffLi3ELb1ELb0ELi64EEEvPT0_PKT_iiiPKbib,comdat
	.globl	_ZN12_GLOBAL__N_120softmax_warp_forwardIN3c108BFloat16EffLi3ELb1ELb0ELi64EEEvPT0_PKT_iiiPKbib ; -- Begin function _ZN12_GLOBAL__N_120softmax_warp_forwardIN3c108BFloat16EffLi3ELb1ELb0ELi64EEEvPT0_PKT_iiiPKbib
	.p2align	8
	.type	_ZN12_GLOBAL__N_120softmax_warp_forwardIN3c108BFloat16EffLi3ELb1ELb0ELi64EEEvPT0_PKT_iiiPKbib,@function
_ZN12_GLOBAL__N_120softmax_warp_forwardIN3c108BFloat16EffLi3ELb1ELb0ELi64EEEvPT0_PKT_iiiPKbib: ; @_ZN12_GLOBAL__N_120softmax_warp_forwardIN3c108BFloat16EffLi3ELb1ELb0ELi64EEEvPT0_PKT_iiiPKbib
; %bb.0:
	s_clause 0x1
	s_load_dword s0, s[4:5], 0x3c
	s_load_dwordx8 s[8:15], s[4:5], 0x0
	v_mov_b32_e32 v6, 0xff800000
	s_waitcnt lgkmcnt(0)
	s_lshr_b32 s0, s0, 16
	v_cmp_gt_i32_e32 vcc_lo, s14, v0
	s_and_b32 s0, s0, 0xffff
	s_mul_i32 s6, s6, s0
	v_add_lshl_u32 v3, s6, v1, 1
	v_mad_u64_u32 v[1:2], null, v3, s13, v[0:1]
	v_sub_nc_u32_e32 v5, s12, v3
	v_mov_b32_e32 v0, 0xff800000
	v_cmp_lt_i32_e64 s0, 0, v5
	v_ashrrev_i32_e32 v2, 31, v1
	s_and_b32 s2, vcc_lo, s0
	v_lshlrev_b64 v[3:4], 1, v[1:2]
	v_add_co_u32 v3, s1, s10, v3
	v_add_co_ci_u32_e64 v4, null, s11, v4, s1
	s_and_saveexec_b32 s1, s2
	s_cbranch_execz .LBB172_2
; %bb.1:
	global_load_ushort v0, v[3:4], off
	s_waitcnt vmcnt(0)
	v_lshlrev_b32_e32 v0, 16, v0
.LBB172_2:
	s_or_b32 exec_lo, exec_lo, s1
	v_cmp_lt_i32_e64 s1, 1, v5
	s_and_b32 s1, vcc_lo, s1
	s_and_saveexec_b32 s2, s1
	s_cbranch_execz .LBB172_4
; %bb.3:
	s_mov_b32 s15, 0
	s_lshl_b64 s[4:5], s[14:15], 1
	v_add_co_u32 v3, s1, v3, s4
	v_add_co_ci_u32_e64 v4, null, s5, v4, s1
	global_load_ushort v3, v[3:4], off
	s_waitcnt vmcnt(0)
	v_lshlrev_b32_e32 v6, 16, v3
.LBB172_4:
	s_or_b32 exec_lo, exec_lo, s2
	v_mbcnt_lo_u32_b32 v3, -1, 0
	v_and_b32_e32 v4, 24, v3
	v_xor_b32_e32 v7, 4, v3
	v_xor_b32_e32 v10, 2, v3
	;; [unrolled: 1-line block ×3, first 2 shown]
	v_add_nc_u32_e32 v4, 8, v4
	v_cmp_lt_i32_e64 s1, v7, v4
	v_cndmask_b32_e64 v7, v3, v7, s1
	v_cmp_lt_i32_e64 s1, v10, v4
	v_lshlrev_b32_e32 v7, 2, v7
	v_cndmask_b32_e64 v10, v3, v10, s1
	ds_bpermute_b32 v8, v7, v0
	ds_bpermute_b32 v9, v7, v6
	v_lshlrev_b32_e32 v10, 2, v10
	s_waitcnt lgkmcnt(1)
	v_cmp_lt_f32_e64 s1, v0, v8
	v_cndmask_b32_e64 v8, v0, v8, s1
	s_waitcnt lgkmcnt(0)
	v_cmp_lt_f32_e64 s1, v6, v9
	ds_bpermute_b32 v11, v10, v8
	v_cndmask_b32_e64 v9, v6, v9, s1
	v_cmp_lt_i32_e64 s1, v13, v4
	ds_bpermute_b32 v12, v10, v9
	v_cndmask_b32_e64 v3, v3, v13, s1
	v_lshlrev_b32_e32 v13, 2, v3
	s_waitcnt lgkmcnt(1)
	v_cmp_lt_f32_e64 s1, v8, v11
	v_cndmask_b32_e64 v3, v8, v11, s1
	s_waitcnt lgkmcnt(0)
	v_cmp_lt_f32_e64 s1, v9, v12
	ds_bpermute_b32 v8, v13, v3
	v_cndmask_b32_e64 v4, v9, v12, s1
	ds_bpermute_b32 v9, v13, v4
	s_waitcnt lgkmcnt(1)
	v_cmp_lt_f32_e64 s1, v3, v8
	v_cndmask_b32_e64 v3, v3, v8, s1
	s_waitcnt lgkmcnt(0)
	v_cmp_lt_f32_e64 s1, v4, v9
	v_cndmask_b32_e64 v8, v4, v9, s1
	v_sub_f32_e32 v4, v0, v3
	v_sub_f32_e32 v3, v6, v8
	v_mul_f32_e32 v0, 0x3fb8aa3b, v4
	v_cmp_ngt_f32_e64 s1, 0xc2ce8ed0, v4
	v_mul_f32_e32 v6, 0x3fb8aa3b, v3
	v_fma_f32 v8, 0x3fb8aa3b, v4, -v0
	v_rndne_f32_e32 v9, v0
	v_fma_f32 v11, 0x3fb8aa3b, v3, -v6
	v_rndne_f32_e32 v12, v6
	v_fmac_f32_e32 v8, 0x32a5705f, v4
	v_sub_f32_e32 v0, v0, v9
	v_fmac_f32_e32 v11, 0x32a5705f, v3
	v_sub_f32_e32 v6, v6, v12
	v_add_f32_e32 v0, v0, v8
	v_cvt_i32_f32_e32 v8, v9
	v_cvt_i32_f32_e32 v9, v12
	v_add_f32_e32 v6, v6, v11
	v_exp_f32_e32 v0, v0
	v_exp_f32_e32 v6, v6
	v_ldexp_f32 v0, v0, v8
	v_ldexp_f32 v6, v6, v9
	v_cndmask_b32_e64 v0, 0, v0, s1
	v_cmp_ngt_f32_e64 s1, 0xc2ce8ed0, v3
	v_cndmask_b32_e64 v6, 0, v6, s1
	v_cmp_nlt_f32_e64 s1, 0x42b17218, v4
	v_cndmask_b32_e64 v0, 0x7f800000, v0, s1
	v_cmp_nlt_f32_e64 s1, 0x42b17218, v3
	ds_bpermute_b32 v8, v7, v0
	v_cndmask_b32_e64 v6, 0x7f800000, v6, s1
	ds_bpermute_b32 v7, v7, v6
	s_waitcnt lgkmcnt(1)
	v_add_f32_e32 v0, v0, v8
	s_waitcnt lgkmcnt(0)
	v_add_f32_e32 v6, v6, v7
	ds_bpermute_b32 v7, v10, v0
	ds_bpermute_b32 v9, v10, v6
	s_waitcnt lgkmcnt(1)
	v_add_f32_e32 v8, v0, v7
	s_waitcnt lgkmcnt(0)
	v_add_f32_e32 v6, v6, v9
	ds_bpermute_b32 v9, v13, v8
	ds_bpermute_b32 v7, v13, v6
	s_and_saveexec_b32 s1, s0
	s_cbranch_execz .LBB172_9
; %bb.5:
	v_lshlrev_b64 v[0:1], 2, v[1:2]
	v_add_co_u32 v0, s0, s8, v0
	v_add_co_ci_u32_e64 v1, null, s9, v1, s0
	s_and_saveexec_b32 s2, vcc_lo
	s_cbranch_execz .LBB172_7
; %bb.6:
	s_waitcnt lgkmcnt(1)
	v_add_f32_e32 v2, v8, v9
	v_cmp_gt_f32_e64 s0, 0x800000, v2
	v_cndmask_b32_e64 v8, 0, 32, s0
	v_ldexp_f32 v2, v2, v8
	v_log_f32_e32 v2, v2
	v_mul_f32_e32 v8, 0x3f317217, v2
	v_cmp_gt_f32_e64 s1, 0x7f800000, |v2|
	v_fma_f32 v8, 0x3f317217, v2, -v8
	v_fmamk_f32 v8, v2, 0x3377d1cf, v8
	v_fmac_f32_e32 v8, 0x3f317217, v2
	v_cndmask_b32_e64 v2, v2, v8, s1
	v_cndmask_b32_e64 v8, 0, 0x41b17218, s0
	v_sub_f32_e32 v2, v2, v8
	v_sub_f32_e32 v2, v4, v2
	global_store_dword v[0:1], v2, off
.LBB172_7:
	s_or_b32 exec_lo, exec_lo, s2
	v_cmp_ne_u32_e64 s0, 1, v5
	s_and_b32 s0, s0, vcc_lo
	s_and_b32 exec_lo, exec_lo, s0
	s_cbranch_execz .LBB172_9
; %bb.8:
	s_waitcnt lgkmcnt(0)
	v_add_f32_e32 v2, v6, v7
	s_mov_b32 s15, 0
	s_lshl_b64 s[0:1], s[14:15], 2
	v_cmp_gt_f32_e32 vcc_lo, 0x800000, v2
	v_cndmask_b32_e64 v4, 0, 32, vcc_lo
	v_cndmask_b32_e64 v5, 0, 0x41b17218, vcc_lo
	v_ldexp_f32 v2, v2, v4
	v_log_f32_e32 v2, v2
	v_mul_f32_e32 v4, 0x3f317217, v2
	v_cmp_gt_f32_e64 vcc_lo, 0x7f800000, |v2|
	v_fma_f32 v4, 0x3f317217, v2, -v4
	v_fmamk_f32 v4, v2, 0x3377d1cf, v4
	v_fmac_f32_e32 v4, 0x3f317217, v2
	v_cndmask_b32_e32 v2, v2, v4, vcc_lo
	v_add_co_u32 v0, vcc_lo, v0, s0
	v_add_co_ci_u32_e64 v1, null, s1, v1, vcc_lo
	v_sub_f32_e32 v2, v2, v5
	v_sub_f32_e32 v2, v3, v2
	global_store_dword v[0:1], v2, off
.LBB172_9:
	s_endpgm
	.section	.rodata,"a",@progbits
	.p2align	6, 0x0
	.amdhsa_kernel _ZN12_GLOBAL__N_120softmax_warp_forwardIN3c108BFloat16EffLi3ELb1ELb0ELi64EEEvPT0_PKT_iiiPKbib
		.amdhsa_group_segment_fixed_size 0
		.amdhsa_private_segment_fixed_size 0
		.amdhsa_kernarg_size 304
		.amdhsa_user_sgpr_count 6
		.amdhsa_user_sgpr_private_segment_buffer 1
		.amdhsa_user_sgpr_dispatch_ptr 0
		.amdhsa_user_sgpr_queue_ptr 0
		.amdhsa_user_sgpr_kernarg_segment_ptr 1
		.amdhsa_user_sgpr_dispatch_id 0
		.amdhsa_user_sgpr_flat_scratch_init 0
		.amdhsa_user_sgpr_private_segment_size 0
		.amdhsa_wavefront_size32 1
		.amdhsa_uses_dynamic_stack 0
		.amdhsa_system_sgpr_private_segment_wavefront_offset 0
		.amdhsa_system_sgpr_workgroup_id_x 1
		.amdhsa_system_sgpr_workgroup_id_y 0
		.amdhsa_system_sgpr_workgroup_id_z 0
		.amdhsa_system_sgpr_workgroup_info 0
		.amdhsa_system_vgpr_workitem_id 1
		.amdhsa_next_free_vgpr 14
		.amdhsa_next_free_sgpr 16
		.amdhsa_reserve_vcc 1
		.amdhsa_reserve_flat_scratch 0
		.amdhsa_float_round_mode_32 0
		.amdhsa_float_round_mode_16_64 0
		.amdhsa_float_denorm_mode_32 3
		.amdhsa_float_denorm_mode_16_64 3
		.amdhsa_dx10_clamp 1
		.amdhsa_ieee_mode 1
		.amdhsa_fp16_overflow 0
		.amdhsa_workgroup_processor_mode 1
		.amdhsa_memory_ordered 1
		.amdhsa_forward_progress 1
		.amdhsa_shared_vgpr_count 0
		.amdhsa_exception_fp_ieee_invalid_op 0
		.amdhsa_exception_fp_denorm_src 0
		.amdhsa_exception_fp_ieee_div_zero 0
		.amdhsa_exception_fp_ieee_overflow 0
		.amdhsa_exception_fp_ieee_underflow 0
		.amdhsa_exception_fp_ieee_inexact 0
		.amdhsa_exception_int_div_zero 0
	.end_amdhsa_kernel
	.section	.text._ZN12_GLOBAL__N_120softmax_warp_forwardIN3c108BFloat16EffLi3ELb1ELb0ELi64EEEvPT0_PKT_iiiPKbib,"axG",@progbits,_ZN12_GLOBAL__N_120softmax_warp_forwardIN3c108BFloat16EffLi3ELb1ELb0ELi64EEEvPT0_PKT_iiiPKbib,comdat
.Lfunc_end172:
	.size	_ZN12_GLOBAL__N_120softmax_warp_forwardIN3c108BFloat16EffLi3ELb1ELb0ELi64EEEvPT0_PKT_iiiPKbib, .Lfunc_end172-_ZN12_GLOBAL__N_120softmax_warp_forwardIN3c108BFloat16EffLi3ELb1ELb0ELi64EEEvPT0_PKT_iiiPKbib
                                        ; -- End function
	.set _ZN12_GLOBAL__N_120softmax_warp_forwardIN3c108BFloat16EffLi3ELb1ELb0ELi64EEEvPT0_PKT_iiiPKbib.num_vgpr, 14
	.set _ZN12_GLOBAL__N_120softmax_warp_forwardIN3c108BFloat16EffLi3ELb1ELb0ELi64EEEvPT0_PKT_iiiPKbib.num_agpr, 0
	.set _ZN12_GLOBAL__N_120softmax_warp_forwardIN3c108BFloat16EffLi3ELb1ELb0ELi64EEEvPT0_PKT_iiiPKbib.numbered_sgpr, 16
	.set _ZN12_GLOBAL__N_120softmax_warp_forwardIN3c108BFloat16EffLi3ELb1ELb0ELi64EEEvPT0_PKT_iiiPKbib.num_named_barrier, 0
	.set _ZN12_GLOBAL__N_120softmax_warp_forwardIN3c108BFloat16EffLi3ELb1ELb0ELi64EEEvPT0_PKT_iiiPKbib.private_seg_size, 0
	.set _ZN12_GLOBAL__N_120softmax_warp_forwardIN3c108BFloat16EffLi3ELb1ELb0ELi64EEEvPT0_PKT_iiiPKbib.uses_vcc, 1
	.set _ZN12_GLOBAL__N_120softmax_warp_forwardIN3c108BFloat16EffLi3ELb1ELb0ELi64EEEvPT0_PKT_iiiPKbib.uses_flat_scratch, 0
	.set _ZN12_GLOBAL__N_120softmax_warp_forwardIN3c108BFloat16EffLi3ELb1ELb0ELi64EEEvPT0_PKT_iiiPKbib.has_dyn_sized_stack, 0
	.set _ZN12_GLOBAL__N_120softmax_warp_forwardIN3c108BFloat16EffLi3ELb1ELb0ELi64EEEvPT0_PKT_iiiPKbib.has_recursion, 0
	.set _ZN12_GLOBAL__N_120softmax_warp_forwardIN3c108BFloat16EffLi3ELb1ELb0ELi64EEEvPT0_PKT_iiiPKbib.has_indirect_call, 0
	.section	.AMDGPU.csdata,"",@progbits
; Kernel info:
; codeLenInByte = 1088
; TotalNumSgprs: 18
; NumVgprs: 14
; ScratchSize: 0
; MemoryBound: 0
; FloatMode: 240
; IeeeMode: 1
; LDSByteSize: 0 bytes/workgroup (compile time only)
; SGPRBlocks: 0
; VGPRBlocks: 1
; NumSGPRsForWavesPerEU: 18
; NumVGPRsForWavesPerEU: 14
; Occupancy: 16
; WaveLimiterHint : 0
; COMPUTE_PGM_RSRC2:SCRATCH_EN: 0
; COMPUTE_PGM_RSRC2:USER_SGPR: 6
; COMPUTE_PGM_RSRC2:TRAP_HANDLER: 0
; COMPUTE_PGM_RSRC2:TGID_X_EN: 1
; COMPUTE_PGM_RSRC2:TGID_Y_EN: 0
; COMPUTE_PGM_RSRC2:TGID_Z_EN: 0
; COMPUTE_PGM_RSRC2:TIDIG_COMP_CNT: 1
	.section	.text._ZN12_GLOBAL__N_120softmax_warp_forwardIN3c108BFloat16EffLi3ELb1ELb0ELi32EEEvPT0_PKT_iiiPKbib,"axG",@progbits,_ZN12_GLOBAL__N_120softmax_warp_forwardIN3c108BFloat16EffLi3ELb1ELb0ELi32EEEvPT0_PKT_iiiPKbib,comdat
	.globl	_ZN12_GLOBAL__N_120softmax_warp_forwardIN3c108BFloat16EffLi3ELb1ELb0ELi32EEEvPT0_PKT_iiiPKbib ; -- Begin function _ZN12_GLOBAL__N_120softmax_warp_forwardIN3c108BFloat16EffLi3ELb1ELb0ELi32EEEvPT0_PKT_iiiPKbib
	.p2align	8
	.type	_ZN12_GLOBAL__N_120softmax_warp_forwardIN3c108BFloat16EffLi3ELb1ELb0ELi32EEEvPT0_PKT_iiiPKbib,@function
_ZN12_GLOBAL__N_120softmax_warp_forwardIN3c108BFloat16EffLi3ELb1ELb0ELi32EEEvPT0_PKT_iiiPKbib: ; @_ZN12_GLOBAL__N_120softmax_warp_forwardIN3c108BFloat16EffLi3ELb1ELb0ELi32EEEvPT0_PKT_iiiPKbib
; %bb.0:
	s_clause 0x1
	s_load_dword s0, s[4:5], 0x3c
	s_load_dwordx8 s[8:15], s[4:5], 0x0
	v_mov_b32_e32 v6, 0xff800000
	s_waitcnt lgkmcnt(0)
	s_lshr_b32 s0, s0, 16
	v_cmp_gt_i32_e32 vcc_lo, s14, v0
	s_and_b32 s0, s0, 0xffff
	s_mul_i32 s6, s6, s0
	v_add_lshl_u32 v3, s6, v1, 1
	v_mad_u64_u32 v[1:2], null, v3, s13, v[0:1]
	v_sub_nc_u32_e32 v5, s12, v3
	v_mov_b32_e32 v0, 0xff800000
	v_cmp_lt_i32_e64 s0, 0, v5
	v_ashrrev_i32_e32 v2, 31, v1
	s_and_b32 s2, vcc_lo, s0
	v_lshlrev_b64 v[3:4], 1, v[1:2]
	v_add_co_u32 v3, s1, s10, v3
	v_add_co_ci_u32_e64 v4, null, s11, v4, s1
	s_and_saveexec_b32 s1, s2
	s_cbranch_execz .LBB173_2
; %bb.1:
	global_load_ushort v0, v[3:4], off
	s_waitcnt vmcnt(0)
	v_lshlrev_b32_e32 v0, 16, v0
.LBB173_2:
	s_or_b32 exec_lo, exec_lo, s1
	v_cmp_lt_i32_e64 s1, 1, v5
	s_and_b32 s1, vcc_lo, s1
	s_and_saveexec_b32 s2, s1
	s_cbranch_execz .LBB173_4
; %bb.3:
	s_mov_b32 s15, 0
	s_lshl_b64 s[4:5], s[14:15], 1
	v_add_co_u32 v3, s1, v3, s4
	v_add_co_ci_u32_e64 v4, null, s5, v4, s1
	global_load_ushort v3, v[3:4], off
	s_waitcnt vmcnt(0)
	v_lshlrev_b32_e32 v6, 16, v3
.LBB173_4:
	s_or_b32 exec_lo, exec_lo, s2
	v_mbcnt_lo_u32_b32 v3, -1, 0
	v_and_b32_e32 v4, 24, v3
	v_xor_b32_e32 v7, 4, v3
	v_xor_b32_e32 v10, 2, v3
	;; [unrolled: 1-line block ×3, first 2 shown]
	v_add_nc_u32_e32 v4, 8, v4
	v_cmp_lt_i32_e64 s1, v7, v4
	v_cndmask_b32_e64 v7, v3, v7, s1
	v_cmp_lt_i32_e64 s1, v10, v4
	v_lshlrev_b32_e32 v7, 2, v7
	v_cndmask_b32_e64 v10, v3, v10, s1
	ds_bpermute_b32 v8, v7, v0
	ds_bpermute_b32 v9, v7, v6
	v_lshlrev_b32_e32 v10, 2, v10
	s_waitcnt lgkmcnt(1)
	v_cmp_lt_f32_e64 s1, v0, v8
	v_cndmask_b32_e64 v8, v0, v8, s1
	s_waitcnt lgkmcnt(0)
	v_cmp_lt_f32_e64 s1, v6, v9
	ds_bpermute_b32 v11, v10, v8
	v_cndmask_b32_e64 v9, v6, v9, s1
	v_cmp_lt_i32_e64 s1, v13, v4
	ds_bpermute_b32 v12, v10, v9
	v_cndmask_b32_e64 v3, v3, v13, s1
	v_lshlrev_b32_e32 v13, 2, v3
	s_waitcnt lgkmcnt(1)
	v_cmp_lt_f32_e64 s1, v8, v11
	v_cndmask_b32_e64 v3, v8, v11, s1
	s_waitcnt lgkmcnt(0)
	v_cmp_lt_f32_e64 s1, v9, v12
	ds_bpermute_b32 v8, v13, v3
	v_cndmask_b32_e64 v4, v9, v12, s1
	ds_bpermute_b32 v9, v13, v4
	s_waitcnt lgkmcnt(1)
	v_cmp_lt_f32_e64 s1, v3, v8
	v_cndmask_b32_e64 v3, v3, v8, s1
	s_waitcnt lgkmcnt(0)
	v_cmp_lt_f32_e64 s1, v4, v9
	v_cndmask_b32_e64 v8, v4, v9, s1
	v_sub_f32_e32 v4, v0, v3
	v_sub_f32_e32 v3, v6, v8
	v_mul_f32_e32 v0, 0x3fb8aa3b, v4
	v_cmp_ngt_f32_e64 s1, 0xc2ce8ed0, v4
	v_mul_f32_e32 v6, 0x3fb8aa3b, v3
	v_fma_f32 v8, 0x3fb8aa3b, v4, -v0
	v_rndne_f32_e32 v9, v0
	v_fma_f32 v11, 0x3fb8aa3b, v3, -v6
	v_rndne_f32_e32 v12, v6
	v_fmac_f32_e32 v8, 0x32a5705f, v4
	v_sub_f32_e32 v0, v0, v9
	v_fmac_f32_e32 v11, 0x32a5705f, v3
	v_sub_f32_e32 v6, v6, v12
	v_add_f32_e32 v0, v0, v8
	v_cvt_i32_f32_e32 v8, v9
	v_cvt_i32_f32_e32 v9, v12
	v_add_f32_e32 v6, v6, v11
	v_exp_f32_e32 v0, v0
	v_exp_f32_e32 v6, v6
	v_ldexp_f32 v0, v0, v8
	v_ldexp_f32 v6, v6, v9
	v_cndmask_b32_e64 v0, 0, v0, s1
	v_cmp_ngt_f32_e64 s1, 0xc2ce8ed0, v3
	v_cndmask_b32_e64 v6, 0, v6, s1
	v_cmp_nlt_f32_e64 s1, 0x42b17218, v4
	v_cndmask_b32_e64 v0, 0x7f800000, v0, s1
	v_cmp_nlt_f32_e64 s1, 0x42b17218, v3
	ds_bpermute_b32 v8, v7, v0
	v_cndmask_b32_e64 v6, 0x7f800000, v6, s1
	ds_bpermute_b32 v7, v7, v6
	s_waitcnt lgkmcnt(1)
	v_add_f32_e32 v0, v0, v8
	s_waitcnt lgkmcnt(0)
	v_add_f32_e32 v6, v6, v7
	ds_bpermute_b32 v7, v10, v0
	ds_bpermute_b32 v9, v10, v6
	s_waitcnt lgkmcnt(1)
	v_add_f32_e32 v8, v0, v7
	s_waitcnt lgkmcnt(0)
	v_add_f32_e32 v6, v6, v9
	ds_bpermute_b32 v9, v13, v8
	ds_bpermute_b32 v7, v13, v6
	s_and_saveexec_b32 s1, s0
	s_cbranch_execz .LBB173_9
; %bb.5:
	v_lshlrev_b64 v[0:1], 2, v[1:2]
	v_add_co_u32 v0, s0, s8, v0
	v_add_co_ci_u32_e64 v1, null, s9, v1, s0
	s_and_saveexec_b32 s2, vcc_lo
	s_cbranch_execz .LBB173_7
; %bb.6:
	s_waitcnt lgkmcnt(1)
	v_add_f32_e32 v2, v8, v9
	v_cmp_gt_f32_e64 s0, 0x800000, v2
	v_cndmask_b32_e64 v8, 0, 32, s0
	v_ldexp_f32 v2, v2, v8
	v_log_f32_e32 v2, v2
	v_mul_f32_e32 v8, 0x3f317217, v2
	v_cmp_gt_f32_e64 s1, 0x7f800000, |v2|
	v_fma_f32 v8, 0x3f317217, v2, -v8
	v_fmamk_f32 v8, v2, 0x3377d1cf, v8
	v_fmac_f32_e32 v8, 0x3f317217, v2
	v_cndmask_b32_e64 v2, v2, v8, s1
	v_cndmask_b32_e64 v8, 0, 0x41b17218, s0
	v_sub_f32_e32 v2, v2, v8
	v_sub_f32_e32 v2, v4, v2
	global_store_dword v[0:1], v2, off
.LBB173_7:
	s_or_b32 exec_lo, exec_lo, s2
	v_cmp_ne_u32_e64 s0, 1, v5
	s_and_b32 s0, s0, vcc_lo
	s_and_b32 exec_lo, exec_lo, s0
	s_cbranch_execz .LBB173_9
; %bb.8:
	s_waitcnt lgkmcnt(0)
	v_add_f32_e32 v2, v6, v7
	s_mov_b32 s15, 0
	s_lshl_b64 s[0:1], s[14:15], 2
	v_cmp_gt_f32_e32 vcc_lo, 0x800000, v2
	v_cndmask_b32_e64 v4, 0, 32, vcc_lo
	v_cndmask_b32_e64 v5, 0, 0x41b17218, vcc_lo
	v_ldexp_f32 v2, v2, v4
	v_log_f32_e32 v2, v2
	v_mul_f32_e32 v4, 0x3f317217, v2
	v_cmp_gt_f32_e64 vcc_lo, 0x7f800000, |v2|
	v_fma_f32 v4, 0x3f317217, v2, -v4
	v_fmamk_f32 v4, v2, 0x3377d1cf, v4
	v_fmac_f32_e32 v4, 0x3f317217, v2
	v_cndmask_b32_e32 v2, v2, v4, vcc_lo
	v_add_co_u32 v0, vcc_lo, v0, s0
	v_add_co_ci_u32_e64 v1, null, s1, v1, vcc_lo
	v_sub_f32_e32 v2, v2, v5
	v_sub_f32_e32 v2, v3, v2
	global_store_dword v[0:1], v2, off
.LBB173_9:
	s_endpgm
	.section	.rodata,"a",@progbits
	.p2align	6, 0x0
	.amdhsa_kernel _ZN12_GLOBAL__N_120softmax_warp_forwardIN3c108BFloat16EffLi3ELb1ELb0ELi32EEEvPT0_PKT_iiiPKbib
		.amdhsa_group_segment_fixed_size 0
		.amdhsa_private_segment_fixed_size 0
		.amdhsa_kernarg_size 304
		.amdhsa_user_sgpr_count 6
		.amdhsa_user_sgpr_private_segment_buffer 1
		.amdhsa_user_sgpr_dispatch_ptr 0
		.amdhsa_user_sgpr_queue_ptr 0
		.amdhsa_user_sgpr_kernarg_segment_ptr 1
		.amdhsa_user_sgpr_dispatch_id 0
		.amdhsa_user_sgpr_flat_scratch_init 0
		.amdhsa_user_sgpr_private_segment_size 0
		.amdhsa_wavefront_size32 1
		.amdhsa_uses_dynamic_stack 0
		.amdhsa_system_sgpr_private_segment_wavefront_offset 0
		.amdhsa_system_sgpr_workgroup_id_x 1
		.amdhsa_system_sgpr_workgroup_id_y 0
		.amdhsa_system_sgpr_workgroup_id_z 0
		.amdhsa_system_sgpr_workgroup_info 0
		.amdhsa_system_vgpr_workitem_id 1
		.amdhsa_next_free_vgpr 14
		.amdhsa_next_free_sgpr 16
		.amdhsa_reserve_vcc 1
		.amdhsa_reserve_flat_scratch 0
		.amdhsa_float_round_mode_32 0
		.amdhsa_float_round_mode_16_64 0
		.amdhsa_float_denorm_mode_32 3
		.amdhsa_float_denorm_mode_16_64 3
		.amdhsa_dx10_clamp 1
		.amdhsa_ieee_mode 1
		.amdhsa_fp16_overflow 0
		.amdhsa_workgroup_processor_mode 1
		.amdhsa_memory_ordered 1
		.amdhsa_forward_progress 1
		.amdhsa_shared_vgpr_count 0
		.amdhsa_exception_fp_ieee_invalid_op 0
		.amdhsa_exception_fp_denorm_src 0
		.amdhsa_exception_fp_ieee_div_zero 0
		.amdhsa_exception_fp_ieee_overflow 0
		.amdhsa_exception_fp_ieee_underflow 0
		.amdhsa_exception_fp_ieee_inexact 0
		.amdhsa_exception_int_div_zero 0
	.end_amdhsa_kernel
	.section	.text._ZN12_GLOBAL__N_120softmax_warp_forwardIN3c108BFloat16EffLi3ELb1ELb0ELi32EEEvPT0_PKT_iiiPKbib,"axG",@progbits,_ZN12_GLOBAL__N_120softmax_warp_forwardIN3c108BFloat16EffLi3ELb1ELb0ELi32EEEvPT0_PKT_iiiPKbib,comdat
.Lfunc_end173:
	.size	_ZN12_GLOBAL__N_120softmax_warp_forwardIN3c108BFloat16EffLi3ELb1ELb0ELi32EEEvPT0_PKT_iiiPKbib, .Lfunc_end173-_ZN12_GLOBAL__N_120softmax_warp_forwardIN3c108BFloat16EffLi3ELb1ELb0ELi32EEEvPT0_PKT_iiiPKbib
                                        ; -- End function
	.set _ZN12_GLOBAL__N_120softmax_warp_forwardIN3c108BFloat16EffLi3ELb1ELb0ELi32EEEvPT0_PKT_iiiPKbib.num_vgpr, 14
	.set _ZN12_GLOBAL__N_120softmax_warp_forwardIN3c108BFloat16EffLi3ELb1ELb0ELi32EEEvPT0_PKT_iiiPKbib.num_agpr, 0
	.set _ZN12_GLOBAL__N_120softmax_warp_forwardIN3c108BFloat16EffLi3ELb1ELb0ELi32EEEvPT0_PKT_iiiPKbib.numbered_sgpr, 16
	.set _ZN12_GLOBAL__N_120softmax_warp_forwardIN3c108BFloat16EffLi3ELb1ELb0ELi32EEEvPT0_PKT_iiiPKbib.num_named_barrier, 0
	.set _ZN12_GLOBAL__N_120softmax_warp_forwardIN3c108BFloat16EffLi3ELb1ELb0ELi32EEEvPT0_PKT_iiiPKbib.private_seg_size, 0
	.set _ZN12_GLOBAL__N_120softmax_warp_forwardIN3c108BFloat16EffLi3ELb1ELb0ELi32EEEvPT0_PKT_iiiPKbib.uses_vcc, 1
	.set _ZN12_GLOBAL__N_120softmax_warp_forwardIN3c108BFloat16EffLi3ELb1ELb0ELi32EEEvPT0_PKT_iiiPKbib.uses_flat_scratch, 0
	.set _ZN12_GLOBAL__N_120softmax_warp_forwardIN3c108BFloat16EffLi3ELb1ELb0ELi32EEEvPT0_PKT_iiiPKbib.has_dyn_sized_stack, 0
	.set _ZN12_GLOBAL__N_120softmax_warp_forwardIN3c108BFloat16EffLi3ELb1ELb0ELi32EEEvPT0_PKT_iiiPKbib.has_recursion, 0
	.set _ZN12_GLOBAL__N_120softmax_warp_forwardIN3c108BFloat16EffLi3ELb1ELb0ELi32EEEvPT0_PKT_iiiPKbib.has_indirect_call, 0
	.section	.AMDGPU.csdata,"",@progbits
; Kernel info:
; codeLenInByte = 1088
; TotalNumSgprs: 18
; NumVgprs: 14
; ScratchSize: 0
; MemoryBound: 0
; FloatMode: 240
; IeeeMode: 1
; LDSByteSize: 0 bytes/workgroup (compile time only)
; SGPRBlocks: 0
; VGPRBlocks: 1
; NumSGPRsForWavesPerEU: 18
; NumVGPRsForWavesPerEU: 14
; Occupancy: 16
; WaveLimiterHint : 0
; COMPUTE_PGM_RSRC2:SCRATCH_EN: 0
; COMPUTE_PGM_RSRC2:USER_SGPR: 6
; COMPUTE_PGM_RSRC2:TRAP_HANDLER: 0
; COMPUTE_PGM_RSRC2:TGID_X_EN: 1
; COMPUTE_PGM_RSRC2:TGID_Y_EN: 0
; COMPUTE_PGM_RSRC2:TGID_Z_EN: 0
; COMPUTE_PGM_RSRC2:TIDIG_COMP_CNT: 1
	.section	.text._ZN12_GLOBAL__N_120softmax_warp_forwardIN3c108BFloat16EffLi4ELb1ELb0ELi64EEEvPT0_PKT_iiiPKbib,"axG",@progbits,_ZN12_GLOBAL__N_120softmax_warp_forwardIN3c108BFloat16EffLi4ELb1ELb0ELi64EEEvPT0_PKT_iiiPKbib,comdat
	.globl	_ZN12_GLOBAL__N_120softmax_warp_forwardIN3c108BFloat16EffLi4ELb1ELb0ELi64EEEvPT0_PKT_iiiPKbib ; -- Begin function _ZN12_GLOBAL__N_120softmax_warp_forwardIN3c108BFloat16EffLi4ELb1ELb0ELi64EEEvPT0_PKT_iiiPKbib
	.p2align	8
	.type	_ZN12_GLOBAL__N_120softmax_warp_forwardIN3c108BFloat16EffLi4ELb1ELb0ELi64EEEvPT0_PKT_iiiPKbib,@function
_ZN12_GLOBAL__N_120softmax_warp_forwardIN3c108BFloat16EffLi4ELb1ELb0ELi64EEEvPT0_PKT_iiiPKbib: ; @_ZN12_GLOBAL__N_120softmax_warp_forwardIN3c108BFloat16EffLi4ELb1ELb0ELi64EEEvPT0_PKT_iiiPKbib
; %bb.0:
	s_clause 0x1
	s_load_dword s0, s[4:5], 0x3c
	s_load_dwordx8 s[8:15], s[4:5], 0x0
	v_mov_b32_e32 v6, 0xff800000
	s_waitcnt lgkmcnt(0)
	s_lshr_b32 s0, s0, 16
	v_cmp_gt_i32_e32 vcc_lo, s14, v0
	s_and_b32 s0, s0, 0xffff
	s_mul_i32 s6, s6, s0
	v_add_lshl_u32 v3, s6, v1, 1
	v_mad_u64_u32 v[1:2], null, v3, s13, v[0:1]
	v_sub_nc_u32_e32 v5, s12, v3
	v_mov_b32_e32 v0, 0xff800000
	v_cmp_lt_i32_e64 s0, 0, v5
	v_ashrrev_i32_e32 v2, 31, v1
	s_and_b32 s2, vcc_lo, s0
	v_lshlrev_b64 v[3:4], 1, v[1:2]
	v_add_co_u32 v3, s1, s10, v3
	v_add_co_ci_u32_e64 v4, null, s11, v4, s1
	s_and_saveexec_b32 s1, s2
	s_cbranch_execz .LBB174_2
; %bb.1:
	global_load_ushort v0, v[3:4], off
	s_waitcnt vmcnt(0)
	v_lshlrev_b32_e32 v0, 16, v0
.LBB174_2:
	s_or_b32 exec_lo, exec_lo, s1
	v_cmp_lt_i32_e64 s1, 1, v5
	s_and_b32 s1, vcc_lo, s1
	s_and_saveexec_b32 s2, s1
	s_cbranch_execz .LBB174_4
; %bb.3:
	s_mov_b32 s15, 0
	s_lshl_b64 s[4:5], s[14:15], 1
	v_add_co_u32 v3, s1, v3, s4
	v_add_co_ci_u32_e64 v4, null, s5, v4, s1
	global_load_ushort v3, v[3:4], off
	s_waitcnt vmcnt(0)
	v_lshlrev_b32_e32 v6, 16, v3
.LBB174_4:
	s_or_b32 exec_lo, exec_lo, s2
	v_mbcnt_lo_u32_b32 v3, -1, 0
	v_and_b32_e32 v4, 16, v3
	v_xor_b32_e32 v7, 8, v3
	v_xor_b32_e32 v10, 4, v3
	;; [unrolled: 1-line block ×4, first 2 shown]
	v_add_nc_u32_e32 v4, 16, v4
	v_cmp_lt_i32_e64 s1, v7, v4
	v_cndmask_b32_e64 v7, v3, v7, s1
	v_cmp_lt_i32_e64 s1, v10, v4
	v_lshlrev_b32_e32 v7, 2, v7
	v_cndmask_b32_e64 v10, v3, v10, s1
	ds_bpermute_b32 v8, v7, v0
	ds_bpermute_b32 v9, v7, v6
	v_lshlrev_b32_e32 v10, 2, v10
	s_waitcnt lgkmcnt(1)
	v_cmp_lt_f32_e64 s1, v0, v8
	v_cndmask_b32_e64 v8, v0, v8, s1
	s_waitcnt lgkmcnt(0)
	v_cmp_lt_f32_e64 s1, v6, v9
	ds_bpermute_b32 v11, v10, v8
	v_cndmask_b32_e64 v9, v6, v9, s1
	v_cmp_lt_i32_e64 s1, v13, v4
	ds_bpermute_b32 v12, v10, v9
	v_cndmask_b32_e64 v13, v3, v13, s1
	v_lshlrev_b32_e32 v13, 2, v13
	s_waitcnt lgkmcnt(1)
	v_cmp_lt_f32_e64 s1, v8, v11
	v_cndmask_b32_e64 v8, v8, v11, s1
	s_waitcnt lgkmcnt(0)
	v_cmp_lt_f32_e64 s1, v9, v12
	ds_bpermute_b32 v11, v13, v8
	v_cndmask_b32_e64 v9, v9, v12, s1
	v_cmp_lt_i32_e64 s1, v14, v4
	ds_bpermute_b32 v12, v13, v9
	v_cndmask_b32_e64 v3, v3, v14, s1
	v_lshlrev_b32_e32 v14, 2, v3
	s_waitcnt lgkmcnt(1)
	v_cmp_lt_f32_e64 s1, v8, v11
	v_cndmask_b32_e64 v3, v8, v11, s1
	s_waitcnt lgkmcnt(0)
	v_cmp_lt_f32_e64 s1, v9, v12
	ds_bpermute_b32 v8, v14, v3
	v_cndmask_b32_e64 v4, v9, v12, s1
	ds_bpermute_b32 v9, v14, v4
	s_waitcnt lgkmcnt(1)
	v_cmp_lt_f32_e64 s1, v3, v8
	v_cndmask_b32_e64 v3, v3, v8, s1
	s_waitcnt lgkmcnt(0)
	v_cmp_lt_f32_e64 s1, v4, v9
	v_cndmask_b32_e64 v8, v4, v9, s1
	v_sub_f32_e32 v4, v0, v3
	v_sub_f32_e32 v3, v6, v8
	v_mul_f32_e32 v0, 0x3fb8aa3b, v4
	v_cmp_ngt_f32_e64 s1, 0xc2ce8ed0, v4
	v_mul_f32_e32 v6, 0x3fb8aa3b, v3
	v_fma_f32 v8, 0x3fb8aa3b, v4, -v0
	v_rndne_f32_e32 v9, v0
	v_fma_f32 v11, 0x3fb8aa3b, v3, -v6
	v_rndne_f32_e32 v12, v6
	v_fmac_f32_e32 v8, 0x32a5705f, v4
	v_sub_f32_e32 v0, v0, v9
	v_fmac_f32_e32 v11, 0x32a5705f, v3
	v_sub_f32_e32 v6, v6, v12
	v_add_f32_e32 v0, v0, v8
	v_cvt_i32_f32_e32 v8, v9
	v_cvt_i32_f32_e32 v9, v12
	v_add_f32_e32 v6, v6, v11
	v_exp_f32_e32 v0, v0
	v_exp_f32_e32 v6, v6
	v_ldexp_f32 v0, v0, v8
	v_ldexp_f32 v6, v6, v9
	v_cndmask_b32_e64 v0, 0, v0, s1
	v_cmp_ngt_f32_e64 s1, 0xc2ce8ed0, v3
	v_cndmask_b32_e64 v6, 0, v6, s1
	v_cmp_nlt_f32_e64 s1, 0x42b17218, v4
	v_cndmask_b32_e64 v0, 0x7f800000, v0, s1
	v_cmp_nlt_f32_e64 s1, 0x42b17218, v3
	ds_bpermute_b32 v8, v7, v0
	v_cndmask_b32_e64 v6, 0x7f800000, v6, s1
	ds_bpermute_b32 v7, v7, v6
	s_waitcnt lgkmcnt(1)
	v_add_f32_e32 v0, v0, v8
	s_waitcnt lgkmcnt(0)
	v_add_f32_e32 v6, v6, v7
	ds_bpermute_b32 v7, v10, v0
	ds_bpermute_b32 v8, v10, v6
	s_waitcnt lgkmcnt(1)
	v_add_f32_e32 v0, v0, v7
	s_waitcnt lgkmcnt(0)
	v_add_f32_e32 v6, v6, v8
	ds_bpermute_b32 v7, v13, v0
	;; [unrolled: 6-line block ×3, first 2 shown]
	ds_bpermute_b32 v7, v14, v6
	s_and_saveexec_b32 s1, s0
	s_cbranch_execz .LBB174_9
; %bb.5:
	v_lshlrev_b64 v[0:1], 2, v[1:2]
	v_add_co_u32 v0, s0, s8, v0
	v_add_co_ci_u32_e64 v1, null, s9, v1, s0
	s_and_saveexec_b32 s2, vcc_lo
	s_cbranch_execz .LBB174_7
; %bb.6:
	s_waitcnt lgkmcnt(1)
	v_add_f32_e32 v2, v8, v9
	v_cmp_gt_f32_e64 s0, 0x800000, v2
	v_cndmask_b32_e64 v8, 0, 32, s0
	v_ldexp_f32 v2, v2, v8
	v_log_f32_e32 v2, v2
	v_mul_f32_e32 v8, 0x3f317217, v2
	v_cmp_gt_f32_e64 s1, 0x7f800000, |v2|
	v_fma_f32 v8, 0x3f317217, v2, -v8
	v_fmamk_f32 v8, v2, 0x3377d1cf, v8
	v_fmac_f32_e32 v8, 0x3f317217, v2
	v_cndmask_b32_e64 v2, v2, v8, s1
	v_cndmask_b32_e64 v8, 0, 0x41b17218, s0
	v_sub_f32_e32 v2, v2, v8
	v_sub_f32_e32 v2, v4, v2
	global_store_dword v[0:1], v2, off
.LBB174_7:
	s_or_b32 exec_lo, exec_lo, s2
	v_cmp_ne_u32_e64 s0, 1, v5
	s_and_b32 s0, s0, vcc_lo
	s_and_b32 exec_lo, exec_lo, s0
	s_cbranch_execz .LBB174_9
; %bb.8:
	s_waitcnt lgkmcnt(0)
	v_add_f32_e32 v2, v6, v7
	s_mov_b32 s15, 0
	s_lshl_b64 s[0:1], s[14:15], 2
	v_cmp_gt_f32_e32 vcc_lo, 0x800000, v2
	v_cndmask_b32_e64 v4, 0, 32, vcc_lo
	v_cndmask_b32_e64 v5, 0, 0x41b17218, vcc_lo
	v_ldexp_f32 v2, v2, v4
	v_log_f32_e32 v2, v2
	v_mul_f32_e32 v4, 0x3f317217, v2
	v_cmp_gt_f32_e64 vcc_lo, 0x7f800000, |v2|
	v_fma_f32 v4, 0x3f317217, v2, -v4
	v_fmamk_f32 v4, v2, 0x3377d1cf, v4
	v_fmac_f32_e32 v4, 0x3f317217, v2
	v_cndmask_b32_e32 v2, v2, v4, vcc_lo
	v_add_co_u32 v0, vcc_lo, v0, s0
	v_add_co_ci_u32_e64 v1, null, s1, v1, vcc_lo
	v_sub_f32_e32 v2, v2, v5
	v_sub_f32_e32 v2, v3, v2
	global_store_dword v[0:1], v2, off
.LBB174_9:
	s_endpgm
	.section	.rodata,"a",@progbits
	.p2align	6, 0x0
	.amdhsa_kernel _ZN12_GLOBAL__N_120softmax_warp_forwardIN3c108BFloat16EffLi4ELb1ELb0ELi64EEEvPT0_PKT_iiiPKbib
		.amdhsa_group_segment_fixed_size 0
		.amdhsa_private_segment_fixed_size 0
		.amdhsa_kernarg_size 304
		.amdhsa_user_sgpr_count 6
		.amdhsa_user_sgpr_private_segment_buffer 1
		.amdhsa_user_sgpr_dispatch_ptr 0
		.amdhsa_user_sgpr_queue_ptr 0
		.amdhsa_user_sgpr_kernarg_segment_ptr 1
		.amdhsa_user_sgpr_dispatch_id 0
		.amdhsa_user_sgpr_flat_scratch_init 0
		.amdhsa_user_sgpr_private_segment_size 0
		.amdhsa_wavefront_size32 1
		.amdhsa_uses_dynamic_stack 0
		.amdhsa_system_sgpr_private_segment_wavefront_offset 0
		.amdhsa_system_sgpr_workgroup_id_x 1
		.amdhsa_system_sgpr_workgroup_id_y 0
		.amdhsa_system_sgpr_workgroup_id_z 0
		.amdhsa_system_sgpr_workgroup_info 0
		.amdhsa_system_vgpr_workitem_id 1
		.amdhsa_next_free_vgpr 15
		.amdhsa_next_free_sgpr 16
		.amdhsa_reserve_vcc 1
		.amdhsa_reserve_flat_scratch 0
		.amdhsa_float_round_mode_32 0
		.amdhsa_float_round_mode_16_64 0
		.amdhsa_float_denorm_mode_32 3
		.amdhsa_float_denorm_mode_16_64 3
		.amdhsa_dx10_clamp 1
		.amdhsa_ieee_mode 1
		.amdhsa_fp16_overflow 0
		.amdhsa_workgroup_processor_mode 1
		.amdhsa_memory_ordered 1
		.amdhsa_forward_progress 1
		.amdhsa_shared_vgpr_count 0
		.amdhsa_exception_fp_ieee_invalid_op 0
		.amdhsa_exception_fp_denorm_src 0
		.amdhsa_exception_fp_ieee_div_zero 0
		.amdhsa_exception_fp_ieee_overflow 0
		.amdhsa_exception_fp_ieee_underflow 0
		.amdhsa_exception_fp_ieee_inexact 0
		.amdhsa_exception_int_div_zero 0
	.end_amdhsa_kernel
	.section	.text._ZN12_GLOBAL__N_120softmax_warp_forwardIN3c108BFloat16EffLi4ELb1ELb0ELi64EEEvPT0_PKT_iiiPKbib,"axG",@progbits,_ZN12_GLOBAL__N_120softmax_warp_forwardIN3c108BFloat16EffLi4ELb1ELb0ELi64EEEvPT0_PKT_iiiPKbib,comdat
.Lfunc_end174:
	.size	_ZN12_GLOBAL__N_120softmax_warp_forwardIN3c108BFloat16EffLi4ELb1ELb0ELi64EEEvPT0_PKT_iiiPKbib, .Lfunc_end174-_ZN12_GLOBAL__N_120softmax_warp_forwardIN3c108BFloat16EffLi4ELb1ELb0ELi64EEEvPT0_PKT_iiiPKbib
                                        ; -- End function
	.set _ZN12_GLOBAL__N_120softmax_warp_forwardIN3c108BFloat16EffLi4ELb1ELb0ELi64EEEvPT0_PKT_iiiPKbib.num_vgpr, 15
	.set _ZN12_GLOBAL__N_120softmax_warp_forwardIN3c108BFloat16EffLi4ELb1ELb0ELi64EEEvPT0_PKT_iiiPKbib.num_agpr, 0
	.set _ZN12_GLOBAL__N_120softmax_warp_forwardIN3c108BFloat16EffLi4ELb1ELb0ELi64EEEvPT0_PKT_iiiPKbib.numbered_sgpr, 16
	.set _ZN12_GLOBAL__N_120softmax_warp_forwardIN3c108BFloat16EffLi4ELb1ELb0ELi64EEEvPT0_PKT_iiiPKbib.num_named_barrier, 0
	.set _ZN12_GLOBAL__N_120softmax_warp_forwardIN3c108BFloat16EffLi4ELb1ELb0ELi64EEEvPT0_PKT_iiiPKbib.private_seg_size, 0
	.set _ZN12_GLOBAL__N_120softmax_warp_forwardIN3c108BFloat16EffLi4ELb1ELb0ELi64EEEvPT0_PKT_iiiPKbib.uses_vcc, 1
	.set _ZN12_GLOBAL__N_120softmax_warp_forwardIN3c108BFloat16EffLi4ELb1ELb0ELi64EEEvPT0_PKT_iiiPKbib.uses_flat_scratch, 0
	.set _ZN12_GLOBAL__N_120softmax_warp_forwardIN3c108BFloat16EffLi4ELb1ELb0ELi64EEEvPT0_PKT_iiiPKbib.has_dyn_sized_stack, 0
	.set _ZN12_GLOBAL__N_120softmax_warp_forwardIN3c108BFloat16EffLi4ELb1ELb0ELi64EEEvPT0_PKT_iiiPKbib.has_recursion, 0
	.set _ZN12_GLOBAL__N_120softmax_warp_forwardIN3c108BFloat16EffLi4ELb1ELb0ELi64EEEvPT0_PKT_iiiPKbib.has_indirect_call, 0
	.section	.AMDGPU.csdata,"",@progbits
; Kernel info:
; codeLenInByte = 1200
; TotalNumSgprs: 18
; NumVgprs: 15
; ScratchSize: 0
; MemoryBound: 0
; FloatMode: 240
; IeeeMode: 1
; LDSByteSize: 0 bytes/workgroup (compile time only)
; SGPRBlocks: 0
; VGPRBlocks: 1
; NumSGPRsForWavesPerEU: 18
; NumVGPRsForWavesPerEU: 15
; Occupancy: 16
; WaveLimiterHint : 0
; COMPUTE_PGM_RSRC2:SCRATCH_EN: 0
; COMPUTE_PGM_RSRC2:USER_SGPR: 6
; COMPUTE_PGM_RSRC2:TRAP_HANDLER: 0
; COMPUTE_PGM_RSRC2:TGID_X_EN: 1
; COMPUTE_PGM_RSRC2:TGID_Y_EN: 0
; COMPUTE_PGM_RSRC2:TGID_Z_EN: 0
; COMPUTE_PGM_RSRC2:TIDIG_COMP_CNT: 1
	.section	.text._ZN12_GLOBAL__N_120softmax_warp_forwardIN3c108BFloat16EffLi4ELb1ELb0ELi32EEEvPT0_PKT_iiiPKbib,"axG",@progbits,_ZN12_GLOBAL__N_120softmax_warp_forwardIN3c108BFloat16EffLi4ELb1ELb0ELi32EEEvPT0_PKT_iiiPKbib,comdat
	.globl	_ZN12_GLOBAL__N_120softmax_warp_forwardIN3c108BFloat16EffLi4ELb1ELb0ELi32EEEvPT0_PKT_iiiPKbib ; -- Begin function _ZN12_GLOBAL__N_120softmax_warp_forwardIN3c108BFloat16EffLi4ELb1ELb0ELi32EEEvPT0_PKT_iiiPKbib
	.p2align	8
	.type	_ZN12_GLOBAL__N_120softmax_warp_forwardIN3c108BFloat16EffLi4ELb1ELb0ELi32EEEvPT0_PKT_iiiPKbib,@function
_ZN12_GLOBAL__N_120softmax_warp_forwardIN3c108BFloat16EffLi4ELb1ELb0ELi32EEEvPT0_PKT_iiiPKbib: ; @_ZN12_GLOBAL__N_120softmax_warp_forwardIN3c108BFloat16EffLi4ELb1ELb0ELi32EEEvPT0_PKT_iiiPKbib
; %bb.0:
	s_clause 0x1
	s_load_dword s0, s[4:5], 0x3c
	s_load_dwordx8 s[8:15], s[4:5], 0x0
	v_mov_b32_e32 v6, 0xff800000
	s_waitcnt lgkmcnt(0)
	s_lshr_b32 s0, s0, 16
	v_cmp_gt_i32_e32 vcc_lo, s14, v0
	s_and_b32 s0, s0, 0xffff
	s_mul_i32 s6, s6, s0
	v_add_lshl_u32 v3, s6, v1, 1
	v_mad_u64_u32 v[1:2], null, v3, s13, v[0:1]
	v_sub_nc_u32_e32 v5, s12, v3
	v_mov_b32_e32 v0, 0xff800000
	v_cmp_lt_i32_e64 s0, 0, v5
	v_ashrrev_i32_e32 v2, 31, v1
	s_and_b32 s2, vcc_lo, s0
	v_lshlrev_b64 v[3:4], 1, v[1:2]
	v_add_co_u32 v3, s1, s10, v3
	v_add_co_ci_u32_e64 v4, null, s11, v4, s1
	s_and_saveexec_b32 s1, s2
	s_cbranch_execz .LBB175_2
; %bb.1:
	global_load_ushort v0, v[3:4], off
	s_waitcnt vmcnt(0)
	v_lshlrev_b32_e32 v0, 16, v0
.LBB175_2:
	s_or_b32 exec_lo, exec_lo, s1
	v_cmp_lt_i32_e64 s1, 1, v5
	s_and_b32 s1, vcc_lo, s1
	s_and_saveexec_b32 s2, s1
	s_cbranch_execz .LBB175_4
; %bb.3:
	s_mov_b32 s15, 0
	s_lshl_b64 s[4:5], s[14:15], 1
	v_add_co_u32 v3, s1, v3, s4
	v_add_co_ci_u32_e64 v4, null, s5, v4, s1
	global_load_ushort v3, v[3:4], off
	s_waitcnt vmcnt(0)
	v_lshlrev_b32_e32 v6, 16, v3
.LBB175_4:
	s_or_b32 exec_lo, exec_lo, s2
	v_mbcnt_lo_u32_b32 v3, -1, 0
	v_and_b32_e32 v4, 16, v3
	v_xor_b32_e32 v7, 8, v3
	v_xor_b32_e32 v10, 4, v3
	;; [unrolled: 1-line block ×4, first 2 shown]
	v_add_nc_u32_e32 v4, 16, v4
	v_cmp_lt_i32_e64 s1, v7, v4
	v_cndmask_b32_e64 v7, v3, v7, s1
	v_cmp_lt_i32_e64 s1, v10, v4
	v_lshlrev_b32_e32 v7, 2, v7
	v_cndmask_b32_e64 v10, v3, v10, s1
	ds_bpermute_b32 v8, v7, v0
	ds_bpermute_b32 v9, v7, v6
	v_lshlrev_b32_e32 v10, 2, v10
	s_waitcnt lgkmcnt(1)
	v_cmp_lt_f32_e64 s1, v0, v8
	v_cndmask_b32_e64 v8, v0, v8, s1
	s_waitcnt lgkmcnt(0)
	v_cmp_lt_f32_e64 s1, v6, v9
	ds_bpermute_b32 v11, v10, v8
	v_cndmask_b32_e64 v9, v6, v9, s1
	v_cmp_lt_i32_e64 s1, v13, v4
	ds_bpermute_b32 v12, v10, v9
	v_cndmask_b32_e64 v13, v3, v13, s1
	v_lshlrev_b32_e32 v13, 2, v13
	s_waitcnt lgkmcnt(1)
	v_cmp_lt_f32_e64 s1, v8, v11
	v_cndmask_b32_e64 v8, v8, v11, s1
	s_waitcnt lgkmcnt(0)
	v_cmp_lt_f32_e64 s1, v9, v12
	ds_bpermute_b32 v11, v13, v8
	v_cndmask_b32_e64 v9, v9, v12, s1
	v_cmp_lt_i32_e64 s1, v14, v4
	ds_bpermute_b32 v12, v13, v9
	v_cndmask_b32_e64 v3, v3, v14, s1
	v_lshlrev_b32_e32 v14, 2, v3
	s_waitcnt lgkmcnt(1)
	v_cmp_lt_f32_e64 s1, v8, v11
	v_cndmask_b32_e64 v3, v8, v11, s1
	s_waitcnt lgkmcnt(0)
	v_cmp_lt_f32_e64 s1, v9, v12
	ds_bpermute_b32 v8, v14, v3
	v_cndmask_b32_e64 v4, v9, v12, s1
	ds_bpermute_b32 v9, v14, v4
	s_waitcnt lgkmcnt(1)
	v_cmp_lt_f32_e64 s1, v3, v8
	v_cndmask_b32_e64 v3, v3, v8, s1
	s_waitcnt lgkmcnt(0)
	v_cmp_lt_f32_e64 s1, v4, v9
	v_cndmask_b32_e64 v8, v4, v9, s1
	v_sub_f32_e32 v4, v0, v3
	v_sub_f32_e32 v3, v6, v8
	v_mul_f32_e32 v0, 0x3fb8aa3b, v4
	v_cmp_ngt_f32_e64 s1, 0xc2ce8ed0, v4
	v_mul_f32_e32 v6, 0x3fb8aa3b, v3
	v_fma_f32 v8, 0x3fb8aa3b, v4, -v0
	v_rndne_f32_e32 v9, v0
	v_fma_f32 v11, 0x3fb8aa3b, v3, -v6
	v_rndne_f32_e32 v12, v6
	v_fmac_f32_e32 v8, 0x32a5705f, v4
	v_sub_f32_e32 v0, v0, v9
	v_fmac_f32_e32 v11, 0x32a5705f, v3
	v_sub_f32_e32 v6, v6, v12
	v_add_f32_e32 v0, v0, v8
	v_cvt_i32_f32_e32 v8, v9
	v_cvt_i32_f32_e32 v9, v12
	v_add_f32_e32 v6, v6, v11
	v_exp_f32_e32 v0, v0
	v_exp_f32_e32 v6, v6
	v_ldexp_f32 v0, v0, v8
	v_ldexp_f32 v6, v6, v9
	v_cndmask_b32_e64 v0, 0, v0, s1
	v_cmp_ngt_f32_e64 s1, 0xc2ce8ed0, v3
	v_cndmask_b32_e64 v6, 0, v6, s1
	v_cmp_nlt_f32_e64 s1, 0x42b17218, v4
	v_cndmask_b32_e64 v0, 0x7f800000, v0, s1
	v_cmp_nlt_f32_e64 s1, 0x42b17218, v3
	ds_bpermute_b32 v8, v7, v0
	v_cndmask_b32_e64 v6, 0x7f800000, v6, s1
	ds_bpermute_b32 v7, v7, v6
	s_waitcnt lgkmcnt(1)
	v_add_f32_e32 v0, v0, v8
	s_waitcnt lgkmcnt(0)
	v_add_f32_e32 v6, v6, v7
	ds_bpermute_b32 v7, v10, v0
	ds_bpermute_b32 v8, v10, v6
	s_waitcnt lgkmcnt(1)
	v_add_f32_e32 v0, v0, v7
	s_waitcnt lgkmcnt(0)
	v_add_f32_e32 v6, v6, v8
	ds_bpermute_b32 v7, v13, v0
	ds_bpermute_b32 v9, v13, v6
	s_waitcnt lgkmcnt(1)
	v_add_f32_e32 v8, v0, v7
	s_waitcnt lgkmcnt(0)
	v_add_f32_e32 v6, v6, v9
	ds_bpermute_b32 v9, v14, v8
	ds_bpermute_b32 v7, v14, v6
	s_and_saveexec_b32 s1, s0
	s_cbranch_execz .LBB175_9
; %bb.5:
	v_lshlrev_b64 v[0:1], 2, v[1:2]
	v_add_co_u32 v0, s0, s8, v0
	v_add_co_ci_u32_e64 v1, null, s9, v1, s0
	s_and_saveexec_b32 s2, vcc_lo
	s_cbranch_execz .LBB175_7
; %bb.6:
	s_waitcnt lgkmcnt(1)
	v_add_f32_e32 v2, v8, v9
	v_cmp_gt_f32_e64 s0, 0x800000, v2
	v_cndmask_b32_e64 v8, 0, 32, s0
	v_ldexp_f32 v2, v2, v8
	v_log_f32_e32 v2, v2
	v_mul_f32_e32 v8, 0x3f317217, v2
	v_cmp_gt_f32_e64 s1, 0x7f800000, |v2|
	v_fma_f32 v8, 0x3f317217, v2, -v8
	v_fmamk_f32 v8, v2, 0x3377d1cf, v8
	v_fmac_f32_e32 v8, 0x3f317217, v2
	v_cndmask_b32_e64 v2, v2, v8, s1
	v_cndmask_b32_e64 v8, 0, 0x41b17218, s0
	v_sub_f32_e32 v2, v2, v8
	v_sub_f32_e32 v2, v4, v2
	global_store_dword v[0:1], v2, off
.LBB175_7:
	s_or_b32 exec_lo, exec_lo, s2
	v_cmp_ne_u32_e64 s0, 1, v5
	s_and_b32 s0, s0, vcc_lo
	s_and_b32 exec_lo, exec_lo, s0
	s_cbranch_execz .LBB175_9
; %bb.8:
	s_waitcnt lgkmcnt(0)
	v_add_f32_e32 v2, v6, v7
	s_mov_b32 s15, 0
	s_lshl_b64 s[0:1], s[14:15], 2
	v_cmp_gt_f32_e32 vcc_lo, 0x800000, v2
	v_cndmask_b32_e64 v4, 0, 32, vcc_lo
	v_cndmask_b32_e64 v5, 0, 0x41b17218, vcc_lo
	v_ldexp_f32 v2, v2, v4
	v_log_f32_e32 v2, v2
	v_mul_f32_e32 v4, 0x3f317217, v2
	v_cmp_gt_f32_e64 vcc_lo, 0x7f800000, |v2|
	v_fma_f32 v4, 0x3f317217, v2, -v4
	v_fmamk_f32 v4, v2, 0x3377d1cf, v4
	v_fmac_f32_e32 v4, 0x3f317217, v2
	v_cndmask_b32_e32 v2, v2, v4, vcc_lo
	v_add_co_u32 v0, vcc_lo, v0, s0
	v_add_co_ci_u32_e64 v1, null, s1, v1, vcc_lo
	v_sub_f32_e32 v2, v2, v5
	v_sub_f32_e32 v2, v3, v2
	global_store_dword v[0:1], v2, off
.LBB175_9:
	s_endpgm
	.section	.rodata,"a",@progbits
	.p2align	6, 0x0
	.amdhsa_kernel _ZN12_GLOBAL__N_120softmax_warp_forwardIN3c108BFloat16EffLi4ELb1ELb0ELi32EEEvPT0_PKT_iiiPKbib
		.amdhsa_group_segment_fixed_size 0
		.amdhsa_private_segment_fixed_size 0
		.amdhsa_kernarg_size 304
		.amdhsa_user_sgpr_count 6
		.amdhsa_user_sgpr_private_segment_buffer 1
		.amdhsa_user_sgpr_dispatch_ptr 0
		.amdhsa_user_sgpr_queue_ptr 0
		.amdhsa_user_sgpr_kernarg_segment_ptr 1
		.amdhsa_user_sgpr_dispatch_id 0
		.amdhsa_user_sgpr_flat_scratch_init 0
		.amdhsa_user_sgpr_private_segment_size 0
		.amdhsa_wavefront_size32 1
		.amdhsa_uses_dynamic_stack 0
		.amdhsa_system_sgpr_private_segment_wavefront_offset 0
		.amdhsa_system_sgpr_workgroup_id_x 1
		.amdhsa_system_sgpr_workgroup_id_y 0
		.amdhsa_system_sgpr_workgroup_id_z 0
		.amdhsa_system_sgpr_workgroup_info 0
		.amdhsa_system_vgpr_workitem_id 1
		.amdhsa_next_free_vgpr 15
		.amdhsa_next_free_sgpr 16
		.amdhsa_reserve_vcc 1
		.amdhsa_reserve_flat_scratch 0
		.amdhsa_float_round_mode_32 0
		.amdhsa_float_round_mode_16_64 0
		.amdhsa_float_denorm_mode_32 3
		.amdhsa_float_denorm_mode_16_64 3
		.amdhsa_dx10_clamp 1
		.amdhsa_ieee_mode 1
		.amdhsa_fp16_overflow 0
		.amdhsa_workgroup_processor_mode 1
		.amdhsa_memory_ordered 1
		.amdhsa_forward_progress 1
		.amdhsa_shared_vgpr_count 0
		.amdhsa_exception_fp_ieee_invalid_op 0
		.amdhsa_exception_fp_denorm_src 0
		.amdhsa_exception_fp_ieee_div_zero 0
		.amdhsa_exception_fp_ieee_overflow 0
		.amdhsa_exception_fp_ieee_underflow 0
		.amdhsa_exception_fp_ieee_inexact 0
		.amdhsa_exception_int_div_zero 0
	.end_amdhsa_kernel
	.section	.text._ZN12_GLOBAL__N_120softmax_warp_forwardIN3c108BFloat16EffLi4ELb1ELb0ELi32EEEvPT0_PKT_iiiPKbib,"axG",@progbits,_ZN12_GLOBAL__N_120softmax_warp_forwardIN3c108BFloat16EffLi4ELb1ELb0ELi32EEEvPT0_PKT_iiiPKbib,comdat
.Lfunc_end175:
	.size	_ZN12_GLOBAL__N_120softmax_warp_forwardIN3c108BFloat16EffLi4ELb1ELb0ELi32EEEvPT0_PKT_iiiPKbib, .Lfunc_end175-_ZN12_GLOBAL__N_120softmax_warp_forwardIN3c108BFloat16EffLi4ELb1ELb0ELi32EEEvPT0_PKT_iiiPKbib
                                        ; -- End function
	.set _ZN12_GLOBAL__N_120softmax_warp_forwardIN3c108BFloat16EffLi4ELb1ELb0ELi32EEEvPT0_PKT_iiiPKbib.num_vgpr, 15
	.set _ZN12_GLOBAL__N_120softmax_warp_forwardIN3c108BFloat16EffLi4ELb1ELb0ELi32EEEvPT0_PKT_iiiPKbib.num_agpr, 0
	.set _ZN12_GLOBAL__N_120softmax_warp_forwardIN3c108BFloat16EffLi4ELb1ELb0ELi32EEEvPT0_PKT_iiiPKbib.numbered_sgpr, 16
	.set _ZN12_GLOBAL__N_120softmax_warp_forwardIN3c108BFloat16EffLi4ELb1ELb0ELi32EEEvPT0_PKT_iiiPKbib.num_named_barrier, 0
	.set _ZN12_GLOBAL__N_120softmax_warp_forwardIN3c108BFloat16EffLi4ELb1ELb0ELi32EEEvPT0_PKT_iiiPKbib.private_seg_size, 0
	.set _ZN12_GLOBAL__N_120softmax_warp_forwardIN3c108BFloat16EffLi4ELb1ELb0ELi32EEEvPT0_PKT_iiiPKbib.uses_vcc, 1
	.set _ZN12_GLOBAL__N_120softmax_warp_forwardIN3c108BFloat16EffLi4ELb1ELb0ELi32EEEvPT0_PKT_iiiPKbib.uses_flat_scratch, 0
	.set _ZN12_GLOBAL__N_120softmax_warp_forwardIN3c108BFloat16EffLi4ELb1ELb0ELi32EEEvPT0_PKT_iiiPKbib.has_dyn_sized_stack, 0
	.set _ZN12_GLOBAL__N_120softmax_warp_forwardIN3c108BFloat16EffLi4ELb1ELb0ELi32EEEvPT0_PKT_iiiPKbib.has_recursion, 0
	.set _ZN12_GLOBAL__N_120softmax_warp_forwardIN3c108BFloat16EffLi4ELb1ELb0ELi32EEEvPT0_PKT_iiiPKbib.has_indirect_call, 0
	.section	.AMDGPU.csdata,"",@progbits
; Kernel info:
; codeLenInByte = 1200
; TotalNumSgprs: 18
; NumVgprs: 15
; ScratchSize: 0
; MemoryBound: 0
; FloatMode: 240
; IeeeMode: 1
; LDSByteSize: 0 bytes/workgroup (compile time only)
; SGPRBlocks: 0
; VGPRBlocks: 1
; NumSGPRsForWavesPerEU: 18
; NumVGPRsForWavesPerEU: 15
; Occupancy: 16
; WaveLimiterHint : 0
; COMPUTE_PGM_RSRC2:SCRATCH_EN: 0
; COMPUTE_PGM_RSRC2:USER_SGPR: 6
; COMPUTE_PGM_RSRC2:TRAP_HANDLER: 0
; COMPUTE_PGM_RSRC2:TGID_X_EN: 1
; COMPUTE_PGM_RSRC2:TGID_Y_EN: 0
; COMPUTE_PGM_RSRC2:TGID_Z_EN: 0
; COMPUTE_PGM_RSRC2:TIDIG_COMP_CNT: 1
	.section	.text._ZN12_GLOBAL__N_120softmax_warp_forwardIN3c108BFloat16EffLi5ELb1ELb0ELi64EEEvPT0_PKT_iiiPKbib,"axG",@progbits,_ZN12_GLOBAL__N_120softmax_warp_forwardIN3c108BFloat16EffLi5ELb1ELb0ELi64EEEvPT0_PKT_iiiPKbib,comdat
	.globl	_ZN12_GLOBAL__N_120softmax_warp_forwardIN3c108BFloat16EffLi5ELb1ELb0ELi64EEEvPT0_PKT_iiiPKbib ; -- Begin function _ZN12_GLOBAL__N_120softmax_warp_forwardIN3c108BFloat16EffLi5ELb1ELb0ELi64EEEvPT0_PKT_iiiPKbib
	.p2align	8
	.type	_ZN12_GLOBAL__N_120softmax_warp_forwardIN3c108BFloat16EffLi5ELb1ELb0ELi64EEEvPT0_PKT_iiiPKbib,@function
_ZN12_GLOBAL__N_120softmax_warp_forwardIN3c108BFloat16EffLi5ELb1ELb0ELi64EEEvPT0_PKT_iiiPKbib: ; @_ZN12_GLOBAL__N_120softmax_warp_forwardIN3c108BFloat16EffLi5ELb1ELb0ELi64EEEvPT0_PKT_iiiPKbib
; %bb.0:
	s_clause 0x1
	s_load_dword s0, s[4:5], 0x3c
	s_load_dwordx8 s[8:15], s[4:5], 0x0
	v_mov_b32_e32 v6, 0xff800000
	s_waitcnt lgkmcnt(0)
	s_lshr_b32 s0, s0, 16
	v_cmp_gt_i32_e32 vcc_lo, s14, v0
	s_and_b32 s0, s0, 0xffff
	s_mul_i32 s6, s6, s0
	v_add_lshl_u32 v3, s6, v1, 1
	v_mad_u64_u32 v[1:2], null, v3, s13, v[0:1]
	v_sub_nc_u32_e32 v5, s12, v3
	v_mov_b32_e32 v0, 0xff800000
	v_cmp_lt_i32_e64 s0, 0, v5
	v_ashrrev_i32_e32 v2, 31, v1
	s_and_b32 s2, vcc_lo, s0
	v_lshlrev_b64 v[3:4], 1, v[1:2]
	v_add_co_u32 v3, s1, s10, v3
	v_add_co_ci_u32_e64 v4, null, s11, v4, s1
	s_and_saveexec_b32 s1, s2
	s_cbranch_execz .LBB176_2
; %bb.1:
	global_load_ushort v0, v[3:4], off
	s_waitcnt vmcnt(0)
	v_lshlrev_b32_e32 v0, 16, v0
.LBB176_2:
	s_or_b32 exec_lo, exec_lo, s1
	v_cmp_lt_i32_e64 s1, 1, v5
	s_and_b32 s1, vcc_lo, s1
	s_and_saveexec_b32 s2, s1
	s_cbranch_execz .LBB176_4
; %bb.3:
	s_mov_b32 s15, 0
	s_lshl_b64 s[4:5], s[14:15], 1
	v_add_co_u32 v3, s1, v3, s4
	v_add_co_ci_u32_e64 v4, null, s5, v4, s1
	global_load_ushort v3, v[3:4], off
	s_waitcnt vmcnt(0)
	v_lshlrev_b32_e32 v6, 16, v3
.LBB176_4:
	s_or_b32 exec_lo, exec_lo, s2
	v_mbcnt_lo_u32_b32 v3, -1, 0
	v_xor_b32_e32 v4, 16, v3
	v_xor_b32_e32 v9, 8, v3
	;; [unrolled: 1-line block ×5, first 2 shown]
	v_cmp_gt_i32_e64 s1, 32, v4
	v_cndmask_b32_e64 v4, v3, v4, s1
	v_cmp_gt_i32_e64 s1, 32, v9
	v_lshlrev_b32_e32 v7, 2, v4
	v_cndmask_b32_e64 v9, v3, v9, s1
	ds_bpermute_b32 v4, v7, v0
	ds_bpermute_b32 v8, v7, v6
	v_lshlrev_b32_e32 v9, 2, v9
	s_waitcnt lgkmcnt(1)
	v_cmp_lt_f32_e64 s1, v0, v4
	v_cndmask_b32_e64 v4, v0, v4, s1
	s_waitcnt lgkmcnt(0)
	v_cmp_lt_f32_e64 s1, v6, v8
	ds_bpermute_b32 v10, v9, v4
	v_cndmask_b32_e64 v8, v6, v8, s1
	v_cmp_gt_i32_e64 s1, 32, v12
	ds_bpermute_b32 v11, v9, v8
	v_cndmask_b32_e64 v12, v3, v12, s1
	v_lshlrev_b32_e32 v12, 2, v12
	s_waitcnt lgkmcnt(1)
	v_cmp_lt_f32_e64 s1, v4, v10
	v_cndmask_b32_e64 v4, v4, v10, s1
	s_waitcnt lgkmcnt(0)
	v_cmp_lt_f32_e64 s1, v8, v11
	ds_bpermute_b32 v10, v12, v4
	v_cndmask_b32_e64 v8, v8, v11, s1
	v_cmp_gt_i32_e64 s1, 32, v13
	ds_bpermute_b32 v11, v12, v8
	v_cndmask_b32_e64 v13, v3, v13, s1
	;; [unrolled: 11-line block ×3, first 2 shown]
	v_lshlrev_b32_e32 v14, 2, v3
	s_waitcnt lgkmcnt(1)
	v_cmp_lt_f32_e64 s1, v4, v10
	v_cndmask_b32_e64 v3, v4, v10, s1
	s_waitcnt lgkmcnt(0)
	v_cmp_lt_f32_e64 s1, v8, v11
	v_cndmask_b32_e64 v4, v8, v11, s1
	ds_bpermute_b32 v8, v14, v3
	ds_bpermute_b32 v10, v14, v4
	s_waitcnt lgkmcnt(1)
	v_cmp_lt_f32_e64 s1, v3, v8
	v_cndmask_b32_e64 v3, v3, v8, s1
	s_waitcnt lgkmcnt(0)
	v_cmp_lt_f32_e64 s1, v4, v10
	v_cndmask_b32_e64 v8, v4, v10, s1
	v_sub_f32_e32 v4, v0, v3
	v_sub_f32_e32 v3, v6, v8
	v_mul_f32_e32 v0, 0x3fb8aa3b, v4
	v_cmp_ngt_f32_e64 s1, 0xc2ce8ed0, v4
	v_mul_f32_e32 v6, 0x3fb8aa3b, v3
	v_fma_f32 v8, 0x3fb8aa3b, v4, -v0
	v_rndne_f32_e32 v10, v0
	v_fma_f32 v11, 0x3fb8aa3b, v3, -v6
	v_rndne_f32_e32 v15, v6
	v_fmac_f32_e32 v8, 0x32a5705f, v4
	v_sub_f32_e32 v0, v0, v10
	v_fmac_f32_e32 v11, 0x32a5705f, v3
	v_sub_f32_e32 v6, v6, v15
	v_add_f32_e32 v0, v0, v8
	v_cvt_i32_f32_e32 v8, v10
	v_cvt_i32_f32_e32 v10, v15
	v_add_f32_e32 v6, v6, v11
	v_exp_f32_e32 v0, v0
	v_exp_f32_e32 v6, v6
	v_ldexp_f32 v0, v0, v8
	v_ldexp_f32 v6, v6, v10
	v_cndmask_b32_e64 v0, 0, v0, s1
	v_cmp_ngt_f32_e64 s1, 0xc2ce8ed0, v3
	v_cndmask_b32_e64 v6, 0, v6, s1
	v_cmp_nlt_f32_e64 s1, 0x42b17218, v4
	v_cndmask_b32_e64 v0, 0x7f800000, v0, s1
	v_cmp_nlt_f32_e64 s1, 0x42b17218, v3
	ds_bpermute_b32 v8, v7, v0
	v_cndmask_b32_e64 v6, 0x7f800000, v6, s1
	ds_bpermute_b32 v7, v7, v6
	s_waitcnt lgkmcnt(1)
	v_add_f32_e32 v0, v0, v8
	s_waitcnt lgkmcnt(0)
	v_add_f32_e32 v6, v6, v7
	ds_bpermute_b32 v7, v9, v0
	ds_bpermute_b32 v8, v9, v6
	s_waitcnt lgkmcnt(1)
	v_add_f32_e32 v0, v0, v7
	s_waitcnt lgkmcnt(0)
	v_add_f32_e32 v6, v6, v8
	ds_bpermute_b32 v7, v12, v0
	;; [unrolled: 6-line block ×4, first 2 shown]
	ds_bpermute_b32 v7, v14, v6
	s_and_saveexec_b32 s1, s0
	s_cbranch_execz .LBB176_9
; %bb.5:
	v_lshlrev_b64 v[0:1], 2, v[1:2]
	v_add_co_u32 v0, s0, s8, v0
	v_add_co_ci_u32_e64 v1, null, s9, v1, s0
	s_and_saveexec_b32 s2, vcc_lo
	s_cbranch_execz .LBB176_7
; %bb.6:
	s_waitcnt lgkmcnt(1)
	v_add_f32_e32 v2, v8, v9
	v_cmp_gt_f32_e64 s0, 0x800000, v2
	v_cndmask_b32_e64 v8, 0, 32, s0
	v_ldexp_f32 v2, v2, v8
	v_log_f32_e32 v2, v2
	v_mul_f32_e32 v8, 0x3f317217, v2
	v_cmp_gt_f32_e64 s1, 0x7f800000, |v2|
	v_fma_f32 v8, 0x3f317217, v2, -v8
	v_fmamk_f32 v8, v2, 0x3377d1cf, v8
	v_fmac_f32_e32 v8, 0x3f317217, v2
	v_cndmask_b32_e64 v2, v2, v8, s1
	v_cndmask_b32_e64 v8, 0, 0x41b17218, s0
	v_sub_f32_e32 v2, v2, v8
	v_sub_f32_e32 v2, v4, v2
	global_store_dword v[0:1], v2, off
.LBB176_7:
	s_or_b32 exec_lo, exec_lo, s2
	v_cmp_ne_u32_e64 s0, 1, v5
	s_and_b32 s0, s0, vcc_lo
	s_and_b32 exec_lo, exec_lo, s0
	s_cbranch_execz .LBB176_9
; %bb.8:
	s_waitcnt lgkmcnt(0)
	v_add_f32_e32 v2, v6, v7
	s_mov_b32 s15, 0
	s_lshl_b64 s[0:1], s[14:15], 2
	v_cmp_gt_f32_e32 vcc_lo, 0x800000, v2
	v_cndmask_b32_e64 v4, 0, 32, vcc_lo
	v_cndmask_b32_e64 v5, 0, 0x41b17218, vcc_lo
	v_ldexp_f32 v2, v2, v4
	v_log_f32_e32 v2, v2
	v_mul_f32_e32 v4, 0x3f317217, v2
	v_cmp_gt_f32_e64 vcc_lo, 0x7f800000, |v2|
	v_fma_f32 v4, 0x3f317217, v2, -v4
	v_fmamk_f32 v4, v2, 0x3377d1cf, v4
	v_fmac_f32_e32 v4, 0x3f317217, v2
	v_cndmask_b32_e32 v2, v2, v4, vcc_lo
	v_add_co_u32 v0, vcc_lo, v0, s0
	v_add_co_ci_u32_e64 v1, null, s1, v1, vcc_lo
	v_sub_f32_e32 v2, v2, v5
	v_sub_f32_e32 v2, v3, v2
	global_store_dword v[0:1], v2, off
.LBB176_9:
	s_endpgm
	.section	.rodata,"a",@progbits
	.p2align	6, 0x0
	.amdhsa_kernel _ZN12_GLOBAL__N_120softmax_warp_forwardIN3c108BFloat16EffLi5ELb1ELb0ELi64EEEvPT0_PKT_iiiPKbib
		.amdhsa_group_segment_fixed_size 0
		.amdhsa_private_segment_fixed_size 0
		.amdhsa_kernarg_size 304
		.amdhsa_user_sgpr_count 6
		.amdhsa_user_sgpr_private_segment_buffer 1
		.amdhsa_user_sgpr_dispatch_ptr 0
		.amdhsa_user_sgpr_queue_ptr 0
		.amdhsa_user_sgpr_kernarg_segment_ptr 1
		.amdhsa_user_sgpr_dispatch_id 0
		.amdhsa_user_sgpr_flat_scratch_init 0
		.amdhsa_user_sgpr_private_segment_size 0
		.amdhsa_wavefront_size32 1
		.amdhsa_uses_dynamic_stack 0
		.amdhsa_system_sgpr_private_segment_wavefront_offset 0
		.amdhsa_system_sgpr_workgroup_id_x 1
		.amdhsa_system_sgpr_workgroup_id_y 0
		.amdhsa_system_sgpr_workgroup_id_z 0
		.amdhsa_system_sgpr_workgroup_info 0
		.amdhsa_system_vgpr_workitem_id 1
		.amdhsa_next_free_vgpr 16
		.amdhsa_next_free_sgpr 16
		.amdhsa_reserve_vcc 1
		.amdhsa_reserve_flat_scratch 0
		.amdhsa_float_round_mode_32 0
		.amdhsa_float_round_mode_16_64 0
		.amdhsa_float_denorm_mode_32 3
		.amdhsa_float_denorm_mode_16_64 3
		.amdhsa_dx10_clamp 1
		.amdhsa_ieee_mode 1
		.amdhsa_fp16_overflow 0
		.amdhsa_workgroup_processor_mode 1
		.amdhsa_memory_ordered 1
		.amdhsa_forward_progress 1
		.amdhsa_shared_vgpr_count 0
		.amdhsa_exception_fp_ieee_invalid_op 0
		.amdhsa_exception_fp_denorm_src 0
		.amdhsa_exception_fp_ieee_div_zero 0
		.amdhsa_exception_fp_ieee_overflow 0
		.amdhsa_exception_fp_ieee_underflow 0
		.amdhsa_exception_fp_ieee_inexact 0
		.amdhsa_exception_int_div_zero 0
	.end_amdhsa_kernel
	.section	.text._ZN12_GLOBAL__N_120softmax_warp_forwardIN3c108BFloat16EffLi5ELb1ELb0ELi64EEEvPT0_PKT_iiiPKbib,"axG",@progbits,_ZN12_GLOBAL__N_120softmax_warp_forwardIN3c108BFloat16EffLi5ELb1ELb0ELi64EEEvPT0_PKT_iiiPKbib,comdat
.Lfunc_end176:
	.size	_ZN12_GLOBAL__N_120softmax_warp_forwardIN3c108BFloat16EffLi5ELb1ELb0ELi64EEEvPT0_PKT_iiiPKbib, .Lfunc_end176-_ZN12_GLOBAL__N_120softmax_warp_forwardIN3c108BFloat16EffLi5ELb1ELb0ELi64EEEvPT0_PKT_iiiPKbib
                                        ; -- End function
	.set _ZN12_GLOBAL__N_120softmax_warp_forwardIN3c108BFloat16EffLi5ELb1ELb0ELi64EEEvPT0_PKT_iiiPKbib.num_vgpr, 16
	.set _ZN12_GLOBAL__N_120softmax_warp_forwardIN3c108BFloat16EffLi5ELb1ELb0ELi64EEEvPT0_PKT_iiiPKbib.num_agpr, 0
	.set _ZN12_GLOBAL__N_120softmax_warp_forwardIN3c108BFloat16EffLi5ELb1ELb0ELi64EEEvPT0_PKT_iiiPKbib.numbered_sgpr, 16
	.set _ZN12_GLOBAL__N_120softmax_warp_forwardIN3c108BFloat16EffLi5ELb1ELb0ELi64EEEvPT0_PKT_iiiPKbib.num_named_barrier, 0
	.set _ZN12_GLOBAL__N_120softmax_warp_forwardIN3c108BFloat16EffLi5ELb1ELb0ELi64EEEvPT0_PKT_iiiPKbib.private_seg_size, 0
	.set _ZN12_GLOBAL__N_120softmax_warp_forwardIN3c108BFloat16EffLi5ELb1ELb0ELi64EEEvPT0_PKT_iiiPKbib.uses_vcc, 1
	.set _ZN12_GLOBAL__N_120softmax_warp_forwardIN3c108BFloat16EffLi5ELb1ELb0ELi64EEEvPT0_PKT_iiiPKbib.uses_flat_scratch, 0
	.set _ZN12_GLOBAL__N_120softmax_warp_forwardIN3c108BFloat16EffLi5ELb1ELb0ELi64EEEvPT0_PKT_iiiPKbib.has_dyn_sized_stack, 0
	.set _ZN12_GLOBAL__N_120softmax_warp_forwardIN3c108BFloat16EffLi5ELb1ELb0ELi64EEEvPT0_PKT_iiiPKbib.has_recursion, 0
	.set _ZN12_GLOBAL__N_120softmax_warp_forwardIN3c108BFloat16EffLi5ELb1ELb0ELi64EEEvPT0_PKT_iiiPKbib.has_indirect_call, 0
	.section	.AMDGPU.csdata,"",@progbits
; Kernel info:
; codeLenInByte = 1304
; TotalNumSgprs: 18
; NumVgprs: 16
; ScratchSize: 0
; MemoryBound: 0
; FloatMode: 240
; IeeeMode: 1
; LDSByteSize: 0 bytes/workgroup (compile time only)
; SGPRBlocks: 0
; VGPRBlocks: 1
; NumSGPRsForWavesPerEU: 18
; NumVGPRsForWavesPerEU: 16
; Occupancy: 16
; WaveLimiterHint : 0
; COMPUTE_PGM_RSRC2:SCRATCH_EN: 0
; COMPUTE_PGM_RSRC2:USER_SGPR: 6
; COMPUTE_PGM_RSRC2:TRAP_HANDLER: 0
; COMPUTE_PGM_RSRC2:TGID_X_EN: 1
; COMPUTE_PGM_RSRC2:TGID_Y_EN: 0
; COMPUTE_PGM_RSRC2:TGID_Z_EN: 0
; COMPUTE_PGM_RSRC2:TIDIG_COMP_CNT: 1
	.section	.text._ZN12_GLOBAL__N_120softmax_warp_forwardIN3c108BFloat16EffLi5ELb1ELb0ELi32EEEvPT0_PKT_iiiPKbib,"axG",@progbits,_ZN12_GLOBAL__N_120softmax_warp_forwardIN3c108BFloat16EffLi5ELb1ELb0ELi32EEEvPT0_PKT_iiiPKbib,comdat
	.globl	_ZN12_GLOBAL__N_120softmax_warp_forwardIN3c108BFloat16EffLi5ELb1ELb0ELi32EEEvPT0_PKT_iiiPKbib ; -- Begin function _ZN12_GLOBAL__N_120softmax_warp_forwardIN3c108BFloat16EffLi5ELb1ELb0ELi32EEEvPT0_PKT_iiiPKbib
	.p2align	8
	.type	_ZN12_GLOBAL__N_120softmax_warp_forwardIN3c108BFloat16EffLi5ELb1ELb0ELi32EEEvPT0_PKT_iiiPKbib,@function
_ZN12_GLOBAL__N_120softmax_warp_forwardIN3c108BFloat16EffLi5ELb1ELb0ELi32EEEvPT0_PKT_iiiPKbib: ; @_ZN12_GLOBAL__N_120softmax_warp_forwardIN3c108BFloat16EffLi5ELb1ELb0ELi32EEEvPT0_PKT_iiiPKbib
; %bb.0:
	s_clause 0x1
	s_load_dword s0, s[4:5], 0x3c
	s_load_dwordx8 s[8:15], s[4:5], 0x0
	v_mov_b32_e32 v6, 0xff800000
	s_waitcnt lgkmcnt(0)
	s_lshr_b32 s0, s0, 16
	v_cmp_gt_i32_e32 vcc_lo, s14, v0
	s_and_b32 s0, s0, 0xffff
	s_mul_i32 s6, s6, s0
	v_add_lshl_u32 v3, s6, v1, 1
	v_mad_u64_u32 v[1:2], null, v3, s13, v[0:1]
	v_sub_nc_u32_e32 v5, s12, v3
	v_mov_b32_e32 v0, 0xff800000
	v_cmp_lt_i32_e64 s0, 0, v5
	v_ashrrev_i32_e32 v2, 31, v1
	s_and_b32 s2, vcc_lo, s0
	v_lshlrev_b64 v[3:4], 1, v[1:2]
	v_add_co_u32 v3, s1, s10, v3
	v_add_co_ci_u32_e64 v4, null, s11, v4, s1
	s_and_saveexec_b32 s1, s2
	s_cbranch_execz .LBB177_2
; %bb.1:
	global_load_ushort v0, v[3:4], off
	s_waitcnt vmcnt(0)
	v_lshlrev_b32_e32 v0, 16, v0
.LBB177_2:
	s_or_b32 exec_lo, exec_lo, s1
	v_cmp_lt_i32_e64 s1, 1, v5
	s_and_b32 s1, vcc_lo, s1
	s_and_saveexec_b32 s2, s1
	s_cbranch_execz .LBB177_4
; %bb.3:
	s_mov_b32 s15, 0
	s_lshl_b64 s[4:5], s[14:15], 1
	v_add_co_u32 v3, s1, v3, s4
	v_add_co_ci_u32_e64 v4, null, s5, v4, s1
	global_load_ushort v3, v[3:4], off
	s_waitcnt vmcnt(0)
	v_lshlrev_b32_e32 v6, 16, v3
.LBB177_4:
	s_or_b32 exec_lo, exec_lo, s2
	v_mbcnt_lo_u32_b32 v3, -1, 0
	v_xor_b32_e32 v4, 16, v3
	v_xor_b32_e32 v9, 8, v3
	;; [unrolled: 1-line block ×5, first 2 shown]
	v_cmp_gt_i32_e64 s1, 32, v4
	v_cndmask_b32_e64 v4, v3, v4, s1
	v_cmp_gt_i32_e64 s1, 32, v9
	v_lshlrev_b32_e32 v7, 2, v4
	v_cndmask_b32_e64 v9, v3, v9, s1
	ds_bpermute_b32 v4, v7, v0
	ds_bpermute_b32 v8, v7, v6
	v_lshlrev_b32_e32 v9, 2, v9
	s_waitcnt lgkmcnt(1)
	v_cmp_lt_f32_e64 s1, v0, v4
	v_cndmask_b32_e64 v4, v0, v4, s1
	s_waitcnt lgkmcnt(0)
	v_cmp_lt_f32_e64 s1, v6, v8
	ds_bpermute_b32 v10, v9, v4
	v_cndmask_b32_e64 v8, v6, v8, s1
	v_cmp_gt_i32_e64 s1, 32, v12
	ds_bpermute_b32 v11, v9, v8
	v_cndmask_b32_e64 v12, v3, v12, s1
	v_lshlrev_b32_e32 v12, 2, v12
	s_waitcnt lgkmcnt(1)
	v_cmp_lt_f32_e64 s1, v4, v10
	v_cndmask_b32_e64 v4, v4, v10, s1
	s_waitcnt lgkmcnt(0)
	v_cmp_lt_f32_e64 s1, v8, v11
	ds_bpermute_b32 v10, v12, v4
	v_cndmask_b32_e64 v8, v8, v11, s1
	v_cmp_gt_i32_e64 s1, 32, v13
	ds_bpermute_b32 v11, v12, v8
	v_cndmask_b32_e64 v13, v3, v13, s1
	;; [unrolled: 11-line block ×3, first 2 shown]
	v_lshlrev_b32_e32 v14, 2, v3
	s_waitcnt lgkmcnt(1)
	v_cmp_lt_f32_e64 s1, v4, v10
	v_cndmask_b32_e64 v3, v4, v10, s1
	s_waitcnt lgkmcnt(0)
	v_cmp_lt_f32_e64 s1, v8, v11
	v_cndmask_b32_e64 v4, v8, v11, s1
	ds_bpermute_b32 v8, v14, v3
	ds_bpermute_b32 v10, v14, v4
	s_waitcnt lgkmcnt(1)
	v_cmp_lt_f32_e64 s1, v3, v8
	v_cndmask_b32_e64 v3, v3, v8, s1
	s_waitcnt lgkmcnt(0)
	v_cmp_lt_f32_e64 s1, v4, v10
	v_cndmask_b32_e64 v8, v4, v10, s1
	v_sub_f32_e32 v4, v0, v3
	v_sub_f32_e32 v3, v6, v8
	v_mul_f32_e32 v0, 0x3fb8aa3b, v4
	v_cmp_ngt_f32_e64 s1, 0xc2ce8ed0, v4
	v_mul_f32_e32 v6, 0x3fb8aa3b, v3
	v_fma_f32 v8, 0x3fb8aa3b, v4, -v0
	v_rndne_f32_e32 v10, v0
	v_fma_f32 v11, 0x3fb8aa3b, v3, -v6
	v_rndne_f32_e32 v15, v6
	v_fmac_f32_e32 v8, 0x32a5705f, v4
	v_sub_f32_e32 v0, v0, v10
	v_fmac_f32_e32 v11, 0x32a5705f, v3
	v_sub_f32_e32 v6, v6, v15
	v_add_f32_e32 v0, v0, v8
	v_cvt_i32_f32_e32 v8, v10
	v_cvt_i32_f32_e32 v10, v15
	v_add_f32_e32 v6, v6, v11
	v_exp_f32_e32 v0, v0
	v_exp_f32_e32 v6, v6
	v_ldexp_f32 v0, v0, v8
	v_ldexp_f32 v6, v6, v10
	v_cndmask_b32_e64 v0, 0, v0, s1
	v_cmp_ngt_f32_e64 s1, 0xc2ce8ed0, v3
	v_cndmask_b32_e64 v6, 0, v6, s1
	v_cmp_nlt_f32_e64 s1, 0x42b17218, v4
	v_cndmask_b32_e64 v0, 0x7f800000, v0, s1
	v_cmp_nlt_f32_e64 s1, 0x42b17218, v3
	ds_bpermute_b32 v8, v7, v0
	v_cndmask_b32_e64 v6, 0x7f800000, v6, s1
	ds_bpermute_b32 v7, v7, v6
	s_waitcnt lgkmcnt(1)
	v_add_f32_e32 v0, v0, v8
	s_waitcnt lgkmcnt(0)
	v_add_f32_e32 v6, v6, v7
	ds_bpermute_b32 v7, v9, v0
	ds_bpermute_b32 v8, v9, v6
	s_waitcnt lgkmcnt(1)
	v_add_f32_e32 v0, v0, v7
	s_waitcnt lgkmcnt(0)
	v_add_f32_e32 v6, v6, v8
	ds_bpermute_b32 v7, v12, v0
	;; [unrolled: 6-line block ×4, first 2 shown]
	ds_bpermute_b32 v7, v14, v6
	s_and_saveexec_b32 s1, s0
	s_cbranch_execz .LBB177_9
; %bb.5:
	v_lshlrev_b64 v[0:1], 2, v[1:2]
	v_add_co_u32 v0, s0, s8, v0
	v_add_co_ci_u32_e64 v1, null, s9, v1, s0
	s_and_saveexec_b32 s2, vcc_lo
	s_cbranch_execz .LBB177_7
; %bb.6:
	s_waitcnt lgkmcnt(1)
	v_add_f32_e32 v2, v8, v9
	v_cmp_gt_f32_e64 s0, 0x800000, v2
	v_cndmask_b32_e64 v8, 0, 32, s0
	v_ldexp_f32 v2, v2, v8
	v_log_f32_e32 v2, v2
	v_mul_f32_e32 v8, 0x3f317217, v2
	v_cmp_gt_f32_e64 s1, 0x7f800000, |v2|
	v_fma_f32 v8, 0x3f317217, v2, -v8
	v_fmamk_f32 v8, v2, 0x3377d1cf, v8
	v_fmac_f32_e32 v8, 0x3f317217, v2
	v_cndmask_b32_e64 v2, v2, v8, s1
	v_cndmask_b32_e64 v8, 0, 0x41b17218, s0
	v_sub_f32_e32 v2, v2, v8
	v_sub_f32_e32 v2, v4, v2
	global_store_dword v[0:1], v2, off
.LBB177_7:
	s_or_b32 exec_lo, exec_lo, s2
	v_cmp_ne_u32_e64 s0, 1, v5
	s_and_b32 s0, s0, vcc_lo
	s_and_b32 exec_lo, exec_lo, s0
	s_cbranch_execz .LBB177_9
; %bb.8:
	s_waitcnt lgkmcnt(0)
	v_add_f32_e32 v2, v6, v7
	s_mov_b32 s15, 0
	s_lshl_b64 s[0:1], s[14:15], 2
	v_cmp_gt_f32_e32 vcc_lo, 0x800000, v2
	v_cndmask_b32_e64 v4, 0, 32, vcc_lo
	v_cndmask_b32_e64 v5, 0, 0x41b17218, vcc_lo
	v_ldexp_f32 v2, v2, v4
	v_log_f32_e32 v2, v2
	v_mul_f32_e32 v4, 0x3f317217, v2
	v_cmp_gt_f32_e64 vcc_lo, 0x7f800000, |v2|
	v_fma_f32 v4, 0x3f317217, v2, -v4
	v_fmamk_f32 v4, v2, 0x3377d1cf, v4
	v_fmac_f32_e32 v4, 0x3f317217, v2
	v_cndmask_b32_e32 v2, v2, v4, vcc_lo
	v_add_co_u32 v0, vcc_lo, v0, s0
	v_add_co_ci_u32_e64 v1, null, s1, v1, vcc_lo
	v_sub_f32_e32 v2, v2, v5
	v_sub_f32_e32 v2, v3, v2
	global_store_dword v[0:1], v2, off
.LBB177_9:
	s_endpgm
	.section	.rodata,"a",@progbits
	.p2align	6, 0x0
	.amdhsa_kernel _ZN12_GLOBAL__N_120softmax_warp_forwardIN3c108BFloat16EffLi5ELb1ELb0ELi32EEEvPT0_PKT_iiiPKbib
		.amdhsa_group_segment_fixed_size 0
		.amdhsa_private_segment_fixed_size 0
		.amdhsa_kernarg_size 304
		.amdhsa_user_sgpr_count 6
		.amdhsa_user_sgpr_private_segment_buffer 1
		.amdhsa_user_sgpr_dispatch_ptr 0
		.amdhsa_user_sgpr_queue_ptr 0
		.amdhsa_user_sgpr_kernarg_segment_ptr 1
		.amdhsa_user_sgpr_dispatch_id 0
		.amdhsa_user_sgpr_flat_scratch_init 0
		.amdhsa_user_sgpr_private_segment_size 0
		.amdhsa_wavefront_size32 1
		.amdhsa_uses_dynamic_stack 0
		.amdhsa_system_sgpr_private_segment_wavefront_offset 0
		.amdhsa_system_sgpr_workgroup_id_x 1
		.amdhsa_system_sgpr_workgroup_id_y 0
		.amdhsa_system_sgpr_workgroup_id_z 0
		.amdhsa_system_sgpr_workgroup_info 0
		.amdhsa_system_vgpr_workitem_id 1
		.amdhsa_next_free_vgpr 16
		.amdhsa_next_free_sgpr 16
		.amdhsa_reserve_vcc 1
		.amdhsa_reserve_flat_scratch 0
		.amdhsa_float_round_mode_32 0
		.amdhsa_float_round_mode_16_64 0
		.amdhsa_float_denorm_mode_32 3
		.amdhsa_float_denorm_mode_16_64 3
		.amdhsa_dx10_clamp 1
		.amdhsa_ieee_mode 1
		.amdhsa_fp16_overflow 0
		.amdhsa_workgroup_processor_mode 1
		.amdhsa_memory_ordered 1
		.amdhsa_forward_progress 1
		.amdhsa_shared_vgpr_count 0
		.amdhsa_exception_fp_ieee_invalid_op 0
		.amdhsa_exception_fp_denorm_src 0
		.amdhsa_exception_fp_ieee_div_zero 0
		.amdhsa_exception_fp_ieee_overflow 0
		.amdhsa_exception_fp_ieee_underflow 0
		.amdhsa_exception_fp_ieee_inexact 0
		.amdhsa_exception_int_div_zero 0
	.end_amdhsa_kernel
	.section	.text._ZN12_GLOBAL__N_120softmax_warp_forwardIN3c108BFloat16EffLi5ELb1ELb0ELi32EEEvPT0_PKT_iiiPKbib,"axG",@progbits,_ZN12_GLOBAL__N_120softmax_warp_forwardIN3c108BFloat16EffLi5ELb1ELb0ELi32EEEvPT0_PKT_iiiPKbib,comdat
.Lfunc_end177:
	.size	_ZN12_GLOBAL__N_120softmax_warp_forwardIN3c108BFloat16EffLi5ELb1ELb0ELi32EEEvPT0_PKT_iiiPKbib, .Lfunc_end177-_ZN12_GLOBAL__N_120softmax_warp_forwardIN3c108BFloat16EffLi5ELb1ELb0ELi32EEEvPT0_PKT_iiiPKbib
                                        ; -- End function
	.set _ZN12_GLOBAL__N_120softmax_warp_forwardIN3c108BFloat16EffLi5ELb1ELb0ELi32EEEvPT0_PKT_iiiPKbib.num_vgpr, 16
	.set _ZN12_GLOBAL__N_120softmax_warp_forwardIN3c108BFloat16EffLi5ELb1ELb0ELi32EEEvPT0_PKT_iiiPKbib.num_agpr, 0
	.set _ZN12_GLOBAL__N_120softmax_warp_forwardIN3c108BFloat16EffLi5ELb1ELb0ELi32EEEvPT0_PKT_iiiPKbib.numbered_sgpr, 16
	.set _ZN12_GLOBAL__N_120softmax_warp_forwardIN3c108BFloat16EffLi5ELb1ELb0ELi32EEEvPT0_PKT_iiiPKbib.num_named_barrier, 0
	.set _ZN12_GLOBAL__N_120softmax_warp_forwardIN3c108BFloat16EffLi5ELb1ELb0ELi32EEEvPT0_PKT_iiiPKbib.private_seg_size, 0
	.set _ZN12_GLOBAL__N_120softmax_warp_forwardIN3c108BFloat16EffLi5ELb1ELb0ELi32EEEvPT0_PKT_iiiPKbib.uses_vcc, 1
	.set _ZN12_GLOBAL__N_120softmax_warp_forwardIN3c108BFloat16EffLi5ELb1ELb0ELi32EEEvPT0_PKT_iiiPKbib.uses_flat_scratch, 0
	.set _ZN12_GLOBAL__N_120softmax_warp_forwardIN3c108BFloat16EffLi5ELb1ELb0ELi32EEEvPT0_PKT_iiiPKbib.has_dyn_sized_stack, 0
	.set _ZN12_GLOBAL__N_120softmax_warp_forwardIN3c108BFloat16EffLi5ELb1ELb0ELi32EEEvPT0_PKT_iiiPKbib.has_recursion, 0
	.set _ZN12_GLOBAL__N_120softmax_warp_forwardIN3c108BFloat16EffLi5ELb1ELb0ELi32EEEvPT0_PKT_iiiPKbib.has_indirect_call, 0
	.section	.AMDGPU.csdata,"",@progbits
; Kernel info:
; codeLenInByte = 1304
; TotalNumSgprs: 18
; NumVgprs: 16
; ScratchSize: 0
; MemoryBound: 0
; FloatMode: 240
; IeeeMode: 1
; LDSByteSize: 0 bytes/workgroup (compile time only)
; SGPRBlocks: 0
; VGPRBlocks: 1
; NumSGPRsForWavesPerEU: 18
; NumVGPRsForWavesPerEU: 16
; Occupancy: 16
; WaveLimiterHint : 0
; COMPUTE_PGM_RSRC2:SCRATCH_EN: 0
; COMPUTE_PGM_RSRC2:USER_SGPR: 6
; COMPUTE_PGM_RSRC2:TRAP_HANDLER: 0
; COMPUTE_PGM_RSRC2:TGID_X_EN: 1
; COMPUTE_PGM_RSRC2:TGID_Y_EN: 0
; COMPUTE_PGM_RSRC2:TGID_Z_EN: 0
; COMPUTE_PGM_RSRC2:TIDIG_COMP_CNT: 1
	.section	.text._ZN12_GLOBAL__N_120softmax_warp_forwardIN3c108BFloat16EffLi6ELb1ELb0ELi64EEEvPT0_PKT_iiiPKbib,"axG",@progbits,_ZN12_GLOBAL__N_120softmax_warp_forwardIN3c108BFloat16EffLi6ELb1ELb0ELi64EEEvPT0_PKT_iiiPKbib,comdat
	.globl	_ZN12_GLOBAL__N_120softmax_warp_forwardIN3c108BFloat16EffLi6ELb1ELb0ELi64EEEvPT0_PKT_iiiPKbib ; -- Begin function _ZN12_GLOBAL__N_120softmax_warp_forwardIN3c108BFloat16EffLi6ELb1ELb0ELi64EEEvPT0_PKT_iiiPKbib
	.p2align	8
	.type	_ZN12_GLOBAL__N_120softmax_warp_forwardIN3c108BFloat16EffLi6ELb1ELb0ELi64EEEvPT0_PKT_iiiPKbib,@function
_ZN12_GLOBAL__N_120softmax_warp_forwardIN3c108BFloat16EffLi6ELb1ELb0ELi64EEEvPT0_PKT_iiiPKbib: ; @_ZN12_GLOBAL__N_120softmax_warp_forwardIN3c108BFloat16EffLi6ELb1ELb0ELi64EEEvPT0_PKT_iiiPKbib
; %bb.0:
	s_clause 0x1
	s_load_dword s0, s[4:5], 0x3c
	s_load_dwordx8 s[8:15], s[4:5], 0x0
	v_mov_b32_e32 v6, 0xff800000
	s_waitcnt lgkmcnt(0)
	s_lshr_b32 s0, s0, 16
	v_cmp_gt_i32_e32 vcc_lo, s14, v0
	s_and_b32 s0, s0, 0xffff
	s_mul_i32 s6, s6, s0
	v_add_lshl_u32 v3, s6, v1, 1
	v_mad_u64_u32 v[1:2], null, v3, s13, v[0:1]
	v_sub_nc_u32_e32 v5, s12, v3
	v_mov_b32_e32 v0, 0xff800000
	v_cmp_lt_i32_e64 s0, 0, v5
	v_ashrrev_i32_e32 v2, 31, v1
	s_and_b32 s2, vcc_lo, s0
	v_lshlrev_b64 v[3:4], 1, v[1:2]
	v_add_co_u32 v3, s1, s10, v3
	v_add_co_ci_u32_e64 v4, null, s11, v4, s1
	s_and_saveexec_b32 s1, s2
	s_cbranch_execz .LBB178_2
; %bb.1:
	global_load_ushort v0, v[3:4], off
	s_waitcnt vmcnt(0)
	v_lshlrev_b32_e32 v0, 16, v0
.LBB178_2:
	s_or_b32 exec_lo, exec_lo, s1
	v_cmp_lt_i32_e64 s1, 1, v5
	s_and_b32 s1, vcc_lo, s1
	s_and_saveexec_b32 s2, s1
	s_cbranch_execz .LBB178_4
; %bb.3:
	s_mov_b32 s15, 0
	s_lshl_b64 s[4:5], s[14:15], 1
	v_add_co_u32 v3, s1, v3, s4
	v_add_co_ci_u32_e64 v4, null, s5, v4, s1
	global_load_ushort v3, v[3:4], off
	s_waitcnt vmcnt(0)
	v_lshlrev_b32_e32 v6, 16, v3
.LBB178_4:
	s_or_b32 exec_lo, exec_lo, s2
	v_mbcnt_lo_u32_b32 v3, -1, 0
	v_or_b32_e32 v4, 32, v3
	v_xor_b32_e32 v9, 16, v3
	v_xor_b32_e32 v12, 8, v3
	;; [unrolled: 1-line block ×4, first 2 shown]
	v_cmp_gt_i32_e64 s1, 64, v4
	v_xor_b32_e32 v15, 1, v3
	v_cndmask_b32_e64 v4, v3, v4, s1
	v_cmp_gt_i32_e64 s1, 64, v9
	v_lshlrev_b32_e32 v7, 2, v4
	v_cndmask_b32_e64 v9, v3, v9, s1
	ds_bpermute_b32 v4, v7, v0
	ds_bpermute_b32 v8, v7, v6
	v_lshlrev_b32_e32 v9, 2, v9
	s_waitcnt lgkmcnt(1)
	v_cmp_lt_f32_e64 s1, v0, v4
	v_cndmask_b32_e64 v4, v0, v4, s1
	s_waitcnt lgkmcnt(0)
	v_cmp_lt_f32_e64 s1, v6, v8
	ds_bpermute_b32 v10, v9, v4
	v_cndmask_b32_e64 v8, v6, v8, s1
	v_cmp_gt_i32_e64 s1, 64, v12
	ds_bpermute_b32 v11, v9, v8
	v_cndmask_b32_e64 v12, v3, v12, s1
	v_lshlrev_b32_e32 v12, 2, v12
	s_waitcnt lgkmcnt(1)
	v_cmp_lt_f32_e64 s1, v4, v10
	v_cndmask_b32_e64 v4, v4, v10, s1
	s_waitcnt lgkmcnt(0)
	v_cmp_lt_f32_e64 s1, v8, v11
	ds_bpermute_b32 v10, v12, v4
	v_cndmask_b32_e64 v8, v8, v11, s1
	v_cmp_gt_i32_e64 s1, 64, v13
	ds_bpermute_b32 v11, v12, v8
	v_cndmask_b32_e64 v13, v3, v13, s1
	;; [unrolled: 11-line block ×4, first 2 shown]
	v_lshlrev_b32_e32 v15, 2, v3
	s_waitcnt lgkmcnt(1)
	v_cmp_lt_f32_e64 s1, v4, v10
	v_cndmask_b32_e64 v3, v4, v10, s1
	s_waitcnt lgkmcnt(0)
	v_cmp_lt_f32_e64 s1, v8, v11
	v_cndmask_b32_e64 v4, v8, v11, s1
	ds_bpermute_b32 v8, v15, v3
	ds_bpermute_b32 v10, v15, v4
	s_waitcnt lgkmcnt(1)
	v_cmp_lt_f32_e64 s1, v3, v8
	v_cndmask_b32_e64 v3, v3, v8, s1
	s_waitcnt lgkmcnt(0)
	v_cmp_lt_f32_e64 s1, v4, v10
	v_cndmask_b32_e64 v8, v4, v10, s1
	v_sub_f32_e32 v4, v0, v3
	v_sub_f32_e32 v3, v6, v8
	v_mul_f32_e32 v0, 0x3fb8aa3b, v4
	v_cmp_ngt_f32_e64 s1, 0xc2ce8ed0, v4
	v_mul_f32_e32 v6, 0x3fb8aa3b, v3
	v_fma_f32 v8, 0x3fb8aa3b, v4, -v0
	v_rndne_f32_e32 v10, v0
	v_fma_f32 v11, 0x3fb8aa3b, v3, -v6
	v_rndne_f32_e32 v16, v6
	v_fmac_f32_e32 v8, 0x32a5705f, v4
	v_sub_f32_e32 v0, v0, v10
	v_fmac_f32_e32 v11, 0x32a5705f, v3
	v_sub_f32_e32 v6, v6, v16
	v_add_f32_e32 v0, v0, v8
	v_cvt_i32_f32_e32 v8, v10
	v_cvt_i32_f32_e32 v10, v16
	v_add_f32_e32 v6, v6, v11
	v_exp_f32_e32 v0, v0
	v_exp_f32_e32 v6, v6
	v_ldexp_f32 v0, v0, v8
	v_ldexp_f32 v6, v6, v10
	v_cndmask_b32_e64 v0, 0, v0, s1
	v_cmp_ngt_f32_e64 s1, 0xc2ce8ed0, v3
	v_cndmask_b32_e64 v6, 0, v6, s1
	v_cmp_nlt_f32_e64 s1, 0x42b17218, v4
	v_cndmask_b32_e64 v0, 0x7f800000, v0, s1
	v_cmp_nlt_f32_e64 s1, 0x42b17218, v3
	ds_bpermute_b32 v8, v7, v0
	v_cndmask_b32_e64 v6, 0x7f800000, v6, s1
	ds_bpermute_b32 v7, v7, v6
	s_waitcnt lgkmcnt(1)
	v_add_f32_e32 v0, v0, v8
	s_waitcnt lgkmcnt(0)
	v_add_f32_e32 v6, v6, v7
	ds_bpermute_b32 v7, v9, v0
	ds_bpermute_b32 v8, v9, v6
	s_waitcnt lgkmcnt(1)
	v_add_f32_e32 v0, v0, v7
	s_waitcnt lgkmcnt(0)
	v_add_f32_e32 v6, v6, v8
	ds_bpermute_b32 v7, v12, v0
	;; [unrolled: 6-line block ×5, first 2 shown]
	ds_bpermute_b32 v7, v15, v6
	s_and_saveexec_b32 s1, s0
	s_cbranch_execz .LBB178_9
; %bb.5:
	v_lshlrev_b64 v[0:1], 2, v[1:2]
	v_add_co_u32 v0, s0, s8, v0
	v_add_co_ci_u32_e64 v1, null, s9, v1, s0
	s_and_saveexec_b32 s2, vcc_lo
	s_cbranch_execz .LBB178_7
; %bb.6:
	s_waitcnt lgkmcnt(1)
	v_add_f32_e32 v2, v8, v9
	v_cmp_gt_f32_e64 s0, 0x800000, v2
	v_cndmask_b32_e64 v8, 0, 32, s0
	v_ldexp_f32 v2, v2, v8
	v_log_f32_e32 v2, v2
	v_mul_f32_e32 v8, 0x3f317217, v2
	v_cmp_gt_f32_e64 s1, 0x7f800000, |v2|
	v_fma_f32 v8, 0x3f317217, v2, -v8
	v_fmamk_f32 v8, v2, 0x3377d1cf, v8
	v_fmac_f32_e32 v8, 0x3f317217, v2
	v_cndmask_b32_e64 v2, v2, v8, s1
	v_cndmask_b32_e64 v8, 0, 0x41b17218, s0
	v_sub_f32_e32 v2, v2, v8
	v_sub_f32_e32 v2, v4, v2
	global_store_dword v[0:1], v2, off
.LBB178_7:
	s_or_b32 exec_lo, exec_lo, s2
	v_cmp_ne_u32_e64 s0, 1, v5
	s_and_b32 s0, s0, vcc_lo
	s_and_b32 exec_lo, exec_lo, s0
	s_cbranch_execz .LBB178_9
; %bb.8:
	s_waitcnt lgkmcnt(0)
	v_add_f32_e32 v2, v6, v7
	s_mov_b32 s15, 0
	s_lshl_b64 s[0:1], s[14:15], 2
	v_cmp_gt_f32_e32 vcc_lo, 0x800000, v2
	v_cndmask_b32_e64 v4, 0, 32, vcc_lo
	v_cndmask_b32_e64 v5, 0, 0x41b17218, vcc_lo
	v_ldexp_f32 v2, v2, v4
	v_log_f32_e32 v2, v2
	v_mul_f32_e32 v4, 0x3f317217, v2
	v_cmp_gt_f32_e64 vcc_lo, 0x7f800000, |v2|
	v_fma_f32 v4, 0x3f317217, v2, -v4
	v_fmamk_f32 v4, v2, 0x3377d1cf, v4
	v_fmac_f32_e32 v4, 0x3f317217, v2
	v_cndmask_b32_e32 v2, v2, v4, vcc_lo
	v_add_co_u32 v0, vcc_lo, v0, s0
	v_add_co_ci_u32_e64 v1, null, s1, v1, vcc_lo
	v_sub_f32_e32 v2, v2, v5
	v_sub_f32_e32 v2, v3, v2
	global_store_dword v[0:1], v2, off
.LBB178_9:
	s_endpgm
	.section	.rodata,"a",@progbits
	.p2align	6, 0x0
	.amdhsa_kernel _ZN12_GLOBAL__N_120softmax_warp_forwardIN3c108BFloat16EffLi6ELb1ELb0ELi64EEEvPT0_PKT_iiiPKbib
		.amdhsa_group_segment_fixed_size 0
		.amdhsa_private_segment_fixed_size 0
		.amdhsa_kernarg_size 304
		.amdhsa_user_sgpr_count 6
		.amdhsa_user_sgpr_private_segment_buffer 1
		.amdhsa_user_sgpr_dispatch_ptr 0
		.amdhsa_user_sgpr_queue_ptr 0
		.amdhsa_user_sgpr_kernarg_segment_ptr 1
		.amdhsa_user_sgpr_dispatch_id 0
		.amdhsa_user_sgpr_flat_scratch_init 0
		.amdhsa_user_sgpr_private_segment_size 0
		.amdhsa_wavefront_size32 1
		.amdhsa_uses_dynamic_stack 0
		.amdhsa_system_sgpr_private_segment_wavefront_offset 0
		.amdhsa_system_sgpr_workgroup_id_x 1
		.amdhsa_system_sgpr_workgroup_id_y 0
		.amdhsa_system_sgpr_workgroup_id_z 0
		.amdhsa_system_sgpr_workgroup_info 0
		.amdhsa_system_vgpr_workitem_id 1
		.amdhsa_next_free_vgpr 17
		.amdhsa_next_free_sgpr 16
		.amdhsa_reserve_vcc 1
		.amdhsa_reserve_flat_scratch 0
		.amdhsa_float_round_mode_32 0
		.amdhsa_float_round_mode_16_64 0
		.amdhsa_float_denorm_mode_32 3
		.amdhsa_float_denorm_mode_16_64 3
		.amdhsa_dx10_clamp 1
		.amdhsa_ieee_mode 1
		.amdhsa_fp16_overflow 0
		.amdhsa_workgroup_processor_mode 1
		.amdhsa_memory_ordered 1
		.amdhsa_forward_progress 1
		.amdhsa_shared_vgpr_count 0
		.amdhsa_exception_fp_ieee_invalid_op 0
		.amdhsa_exception_fp_denorm_src 0
		.amdhsa_exception_fp_ieee_div_zero 0
		.amdhsa_exception_fp_ieee_overflow 0
		.amdhsa_exception_fp_ieee_underflow 0
		.amdhsa_exception_fp_ieee_inexact 0
		.amdhsa_exception_int_div_zero 0
	.end_amdhsa_kernel
	.section	.text._ZN12_GLOBAL__N_120softmax_warp_forwardIN3c108BFloat16EffLi6ELb1ELb0ELi64EEEvPT0_PKT_iiiPKbib,"axG",@progbits,_ZN12_GLOBAL__N_120softmax_warp_forwardIN3c108BFloat16EffLi6ELb1ELb0ELi64EEEvPT0_PKT_iiiPKbib,comdat
.Lfunc_end178:
	.size	_ZN12_GLOBAL__N_120softmax_warp_forwardIN3c108BFloat16EffLi6ELb1ELb0ELi64EEEvPT0_PKT_iiiPKbib, .Lfunc_end178-_ZN12_GLOBAL__N_120softmax_warp_forwardIN3c108BFloat16EffLi6ELb1ELb0ELi64EEEvPT0_PKT_iiiPKbib
                                        ; -- End function
	.set _ZN12_GLOBAL__N_120softmax_warp_forwardIN3c108BFloat16EffLi6ELb1ELb0ELi64EEEvPT0_PKT_iiiPKbib.num_vgpr, 17
	.set _ZN12_GLOBAL__N_120softmax_warp_forwardIN3c108BFloat16EffLi6ELb1ELb0ELi64EEEvPT0_PKT_iiiPKbib.num_agpr, 0
	.set _ZN12_GLOBAL__N_120softmax_warp_forwardIN3c108BFloat16EffLi6ELb1ELb0ELi64EEEvPT0_PKT_iiiPKbib.numbered_sgpr, 16
	.set _ZN12_GLOBAL__N_120softmax_warp_forwardIN3c108BFloat16EffLi6ELb1ELb0ELi64EEEvPT0_PKT_iiiPKbib.num_named_barrier, 0
	.set _ZN12_GLOBAL__N_120softmax_warp_forwardIN3c108BFloat16EffLi6ELb1ELb0ELi64EEEvPT0_PKT_iiiPKbib.private_seg_size, 0
	.set _ZN12_GLOBAL__N_120softmax_warp_forwardIN3c108BFloat16EffLi6ELb1ELb0ELi64EEEvPT0_PKT_iiiPKbib.uses_vcc, 1
	.set _ZN12_GLOBAL__N_120softmax_warp_forwardIN3c108BFloat16EffLi6ELb1ELb0ELi64EEEvPT0_PKT_iiiPKbib.uses_flat_scratch, 0
	.set _ZN12_GLOBAL__N_120softmax_warp_forwardIN3c108BFloat16EffLi6ELb1ELb0ELi64EEEvPT0_PKT_iiiPKbib.has_dyn_sized_stack, 0
	.set _ZN12_GLOBAL__N_120softmax_warp_forwardIN3c108BFloat16EffLi6ELb1ELb0ELi64EEEvPT0_PKT_iiiPKbib.has_recursion, 0
	.set _ZN12_GLOBAL__N_120softmax_warp_forwardIN3c108BFloat16EffLi6ELb1ELb0ELi64EEEvPT0_PKT_iiiPKbib.has_indirect_call, 0
	.section	.AMDGPU.csdata,"",@progbits
; Kernel info:
; codeLenInByte = 1416
; TotalNumSgprs: 18
; NumVgprs: 17
; ScratchSize: 0
; MemoryBound: 0
; FloatMode: 240
; IeeeMode: 1
; LDSByteSize: 0 bytes/workgroup (compile time only)
; SGPRBlocks: 0
; VGPRBlocks: 2
; NumSGPRsForWavesPerEU: 18
; NumVGPRsForWavesPerEU: 17
; Occupancy: 16
; WaveLimiterHint : 0
; COMPUTE_PGM_RSRC2:SCRATCH_EN: 0
; COMPUTE_PGM_RSRC2:USER_SGPR: 6
; COMPUTE_PGM_RSRC2:TRAP_HANDLER: 0
; COMPUTE_PGM_RSRC2:TGID_X_EN: 1
; COMPUTE_PGM_RSRC2:TGID_Y_EN: 0
; COMPUTE_PGM_RSRC2:TGID_Z_EN: 0
; COMPUTE_PGM_RSRC2:TIDIG_COMP_CNT: 1
	.section	.text._ZN12_GLOBAL__N_120softmax_warp_forwardIN3c108BFloat16EffLi6ELb1ELb0ELi32EEEvPT0_PKT_iiiPKbib,"axG",@progbits,_ZN12_GLOBAL__N_120softmax_warp_forwardIN3c108BFloat16EffLi6ELb1ELb0ELi32EEEvPT0_PKT_iiiPKbib,comdat
	.globl	_ZN12_GLOBAL__N_120softmax_warp_forwardIN3c108BFloat16EffLi6ELb1ELb0ELi32EEEvPT0_PKT_iiiPKbib ; -- Begin function _ZN12_GLOBAL__N_120softmax_warp_forwardIN3c108BFloat16EffLi6ELb1ELb0ELi32EEEvPT0_PKT_iiiPKbib
	.p2align	8
	.type	_ZN12_GLOBAL__N_120softmax_warp_forwardIN3c108BFloat16EffLi6ELb1ELb0ELi32EEEvPT0_PKT_iiiPKbib,@function
_ZN12_GLOBAL__N_120softmax_warp_forwardIN3c108BFloat16EffLi6ELb1ELb0ELi32EEEvPT0_PKT_iiiPKbib: ; @_ZN12_GLOBAL__N_120softmax_warp_forwardIN3c108BFloat16EffLi6ELb1ELb0ELi32EEEvPT0_PKT_iiiPKbib
; %bb.0:
	s_clause 0x1
	s_load_dword s0, s[4:5], 0x3c
	s_load_dwordx8 s[8:15], s[4:5], 0x0
	v_mov_b32_e32 v6, 0xff800000
	v_mov_b32_e32 v7, 0xff800000
	s_waitcnt lgkmcnt(0)
	s_lshr_b32 s0, s0, 16
	s_and_b32 s0, s0, 0xffff
	s_mul_i32 s6, s6, s0
	v_cmp_gt_i32_e64 s0, s14, v0
	v_add_lshl_u32 v3, s6, v1, 1
	v_mad_u64_u32 v[1:2], null, v3, s13, v[0:1]
	v_sub_nc_u32_e32 v5, s12, v3
	v_cmp_lt_i32_e64 s1, 0, v5
	v_ashrrev_i32_e32 v2, 31, v1
	s_and_b32 s3, s1, s0
	v_lshlrev_b64 v[3:4], 1, v[1:2]
	v_add_co_u32 v3, vcc_lo, s10, v3
	v_add_co_ci_u32_e64 v4, null, s11, v4, vcc_lo
	s_and_saveexec_b32 s2, s3
	s_cbranch_execz .LBB179_2
; %bb.1:
	global_load_ushort v7, v[3:4], off
	s_waitcnt vmcnt(0)
	v_lshlrev_b32_e32 v7, 16, v7
.LBB179_2:
	s_or_b32 exec_lo, exec_lo, s2
	v_add_nc_u32_e32 v0, 32, v0
	v_cmp_gt_i32_e32 vcc_lo, s14, v0
	s_and_b32 s3, s1, vcc_lo
	s_and_saveexec_b32 s2, s3
	s_cbranch_execz .LBB179_4
; %bb.3:
	global_load_ushort v0, v[3:4], off offset:64
	s_waitcnt vmcnt(0)
	v_lshlrev_b32_e32 v6, 16, v0
.LBB179_4:
	s_or_b32 exec_lo, exec_lo, s2
	v_cmp_lt_i32_e64 s2, 1, v5
	v_mov_b32_e32 v0, 0xff800000
	v_mov_b32_e32 v8, 0xff800000
	s_and_b32 s3, s2, s0
	s_and_saveexec_b32 s4, s3
	s_cbranch_execz .LBB179_6
; %bb.5:
	s_mov_b32 s15, 0
	s_lshl_b64 s[6:7], s[14:15], 1
	v_add_co_u32 v8, s3, v3, s6
	v_add_co_ci_u32_e64 v9, null, s7, v4, s3
	global_load_ushort v8, v[8:9], off
	s_waitcnt vmcnt(0)
	v_lshlrev_b32_e32 v8, 16, v8
.LBB179_6:
	s_or_b32 exec_lo, exec_lo, s4
	s_and_b32 s2, s2, vcc_lo
	s_and_saveexec_b32 s3, s2
	s_cbranch_execz .LBB179_8
; %bb.7:
	s_mov_b32 s15, 0
	s_lshl_b64 s[4:5], s[14:15], 1
	v_add_co_u32 v3, s2, v3, s4
	v_add_co_ci_u32_e64 v4, null, s5, v4, s2
	global_load_ushort v0, v[3:4], off offset:64
	s_waitcnt vmcnt(0)
	v_lshlrev_b32_e32 v0, 16, v0
.LBB179_8:
	s_or_b32 exec_lo, exec_lo, s3
	v_mbcnt_lo_u32_b32 v3, -1, 0
	v_xor_b32_e32 v4, 16, v3
	v_xor_b32_e32 v13, 8, v3
	;; [unrolled: 1-line block ×5, first 2 shown]
	v_cmp_gt_i32_e64 s2, 32, v4
	v_cndmask_b32_e64 v4, v3, v4, s2
	v_cmp_gt_f32_e64 s2, v7, v6
	v_lshlrev_b32_e32 v10, 2, v4
	v_cndmask_b32_e64 v9, v6, v7, s2
	v_cmp_gt_f32_e64 s2, v8, v0
	ds_bpermute_b32 v11, v10, v9
	v_cndmask_b32_e64 v4, v0, v8, s2
	v_cmp_gt_i32_e64 s2, 32, v13
	ds_bpermute_b32 v12, v10, v4
	v_cndmask_b32_e64 v13, v3, v13, s2
	v_lshlrev_b32_e32 v13, 2, v13
	s_waitcnt lgkmcnt(1)
	v_cmp_lt_f32_e64 s2, v9, v11
	v_cndmask_b32_e64 v9, v9, v11, s2
	s_waitcnt lgkmcnt(0)
	v_cmp_lt_f32_e64 s2, v4, v12
	ds_bpermute_b32 v11, v13, v9
	v_cndmask_b32_e64 v4, v4, v12, s2
	v_cmp_gt_i32_e64 s2, 32, v14
	ds_bpermute_b32 v12, v13, v4
	v_cndmask_b32_e64 v14, v3, v14, s2
	v_lshlrev_b32_e32 v14, 2, v14
	s_waitcnt lgkmcnt(1)
	v_cmp_lt_f32_e64 s2, v9, v11
	v_cndmask_b32_e64 v9, v9, v11, s2
	s_waitcnt lgkmcnt(0)
	v_cmp_lt_f32_e64 s2, v4, v12
	ds_bpermute_b32 v11, v14, v9
	v_cndmask_b32_e64 v4, v4, v12, s2
	v_cmp_gt_i32_e64 s2, 32, v15
	ds_bpermute_b32 v12, v14, v4
	v_cndmask_b32_e64 v15, v3, v15, s2
	v_lshlrev_b32_e32 v15, 2, v15
	s_waitcnt lgkmcnt(1)
	v_cmp_lt_f32_e64 s2, v9, v11
	v_cndmask_b32_e64 v9, v9, v11, s2
	s_waitcnt lgkmcnt(0)
	v_cmp_lt_f32_e64 s2, v4, v12
	ds_bpermute_b32 v11, v15, v9
	v_cndmask_b32_e64 v4, v4, v12, s2
	v_cmp_gt_i32_e64 s2, 32, v16
	ds_bpermute_b32 v12, v15, v4
	v_cndmask_b32_e64 v3, v3, v16, s2
	v_lshlrev_b32_e32 v16, 2, v3
	s_waitcnt lgkmcnt(1)
	v_cmp_lt_f32_e64 s2, v9, v11
	v_cndmask_b32_e64 v3, v9, v11, s2
	s_waitcnt lgkmcnt(0)
	v_cmp_lt_f32_e64 s2, v4, v12
	ds_bpermute_b32 v9, v16, v3
	v_cndmask_b32_e64 v4, v4, v12, s2
	ds_bpermute_b32 v11, v16, v4
	s_waitcnt lgkmcnt(1)
	v_cmp_lt_f32_e64 s2, v3, v9
	v_cndmask_b32_e64 v3, v3, v9, s2
	s_waitcnt lgkmcnt(0)
	v_cmp_lt_f32_e64 s2, v4, v11
	v_sub_f32_e32 v7, v7, v3
	v_cndmask_b32_e64 v4, v4, v11, s2
	v_sub_f32_e32 v6, v6, v3
	v_cmp_ngt_f32_e64 s2, 0xc2ce8ed0, v7
	v_sub_f32_e32 v3, v8, v4
	v_sub_f32_e32 v4, v0, v4
	v_mul_f32_e32 v0, 0x3fb8aa3b, v7
	v_mul_f32_e32 v8, 0x3fb8aa3b, v6
	;; [unrolled: 1-line block ×4, first 2 shown]
	v_fma_f32 v12, 0x3fb8aa3b, v7, -v0
	v_rndne_f32_e32 v17, v0
	v_fma_f32 v18, 0x3fb8aa3b, v6, -v8
	v_rndne_f32_e32 v19, v8
	v_fma_f32 v20, 0x3fb8aa3b, v3, -v9
	v_fmac_f32_e32 v12, 0x32a5705f, v7
	v_sub_f32_e32 v0, v0, v17
	v_rndne_f32_e32 v21, v9
	v_fmac_f32_e32 v18, 0x32a5705f, v6
	v_sub_f32_e32 v8, v8, v19
	v_fma_f32 v22, 0x3fb8aa3b, v4, -v11
	v_add_f32_e32 v0, v0, v12
	v_rndne_f32_e32 v23, v11
	v_fmac_f32_e32 v20, 0x32a5705f, v3
	v_sub_f32_e32 v9, v9, v21
	v_add_f32_e32 v8, v8, v18
	v_exp_f32_e32 v0, v0
	v_fmac_f32_e32 v22, 0x32a5705f, v4
	v_sub_f32_e32 v11, v11, v23
	v_add_f32_e32 v9, v9, v20
	v_exp_f32_e32 v8, v8
	v_cvt_i32_f32_e32 v12, v17
	v_cvt_i32_f32_e32 v17, v19
	v_add_f32_e32 v11, v11, v22
	v_exp_f32_e32 v9, v9
	v_cvt_i32_f32_e32 v18, v21
	v_ldexp_f32 v0, v0, v12
	v_cvt_i32_f32_e32 v19, v23
	v_exp_f32_e32 v11, v11
	v_ldexp_f32 v8, v8, v17
	v_cndmask_b32_e64 v0, 0, v0, s2
	v_cmp_ngt_f32_e64 s2, 0xc2ce8ed0, v6
	v_ldexp_f32 v9, v9, v18
	v_cndmask_b32_e64 v8, 0, v8, s2
	v_cmp_ngt_f32_e64 s2, 0xc2ce8ed0, v3
	;; [unrolled: 3-line block ×3, first 2 shown]
	v_cndmask_b32_e64 v11, 0, v11, s2
	v_cmp_nlt_f32_e64 s2, 0x42b17218, v7
	v_cndmask_b32_e64 v0, 0x7f800000, v0, s2
	v_cmp_nlt_f32_e64 s2, 0x42b17218, v6
	;; [unrolled: 2-line block ×3, first 2 shown]
	v_add_f32_e32 v0, v0, v8
	v_cndmask_b32_e64 v9, 0x7f800000, v9, s2
	v_cmp_nlt_f32_e64 s2, 0x42b17218, v4
	v_cndmask_b32_e64 v11, 0x7f800000, v11, s2
	v_add_f32_e32 v8, v9, v11
	ds_bpermute_b32 v9, v10, v0
	ds_bpermute_b32 v10, v10, v8
	s_waitcnt lgkmcnt(1)
	v_add_f32_e32 v0, v0, v9
	s_waitcnt lgkmcnt(0)
	v_add_f32_e32 v8, v8, v10
	ds_bpermute_b32 v9, v13, v0
	ds_bpermute_b32 v10, v13, v8
	s_waitcnt lgkmcnt(1)
	v_add_f32_e32 v0, v0, v9
	s_waitcnt lgkmcnt(0)
	;; [unrolled: 6-line block ×4, first 2 shown]
	v_add_f32_e32 v8, v8, v11
	ds_bpermute_b32 v11, v16, v10
	ds_bpermute_b32 v9, v16, v8
	s_and_saveexec_b32 s2, s1
	s_cbranch_execz .LBB179_16
; %bb.9:
	v_lshlrev_b64 v[0:1], 2, v[1:2]
	v_add_co_u32 v0, s1, s8, v0
	v_add_co_ci_u32_e64 v1, null, s9, v1, s1
	s_and_saveexec_b32 s3, s0
	s_cbranch_execz .LBB179_12
; %bb.10:
	s_waitcnt lgkmcnt(1)
	v_add_f32_e32 v2, v10, v11
	v_cmp_gt_f32_e64 s1, 0x800000, v2
	v_cndmask_b32_e64 v10, 0, 32, s1
	v_ldexp_f32 v2, v2, v10
	v_log_f32_e32 v2, v2
	v_mul_f32_e32 v10, 0x3f317217, v2
	v_cmp_gt_f32_e64 s2, 0x7f800000, |v2|
	v_fma_f32 v10, 0x3f317217, v2, -v10
	v_fmamk_f32 v10, v2, 0x3377d1cf, v10
	v_fmac_f32_e32 v10, 0x3f317217, v2
	v_cndmask_b32_e64 v2, v2, v10, s2
	v_cndmask_b32_e64 v10, 0, 0x41b17218, s1
	v_sub_f32_e32 v2, v2, v10
	v_sub_f32_e32 v7, v7, v2
	global_store_dword v[0:1], v7, off
	s_and_b32 exec_lo, exec_lo, vcc_lo
	s_cbranch_execz .LBB179_12
; %bb.11:
	v_sub_f32_e32 v2, v6, v2
	global_store_dword v[0:1], v2, off offset:128
.LBB179_12:
	s_or_b32 exec_lo, exec_lo, s3
	v_cmp_ne_u32_e64 s1, 1, v5
	s_and_b32 exec_lo, exec_lo, s1
	s_cbranch_execz .LBB179_16
; %bb.13:
	s_and_b32 exec_lo, exec_lo, s0
	s_cbranch_execz .LBB179_16
; %bb.14:
	s_waitcnt lgkmcnt(0)
	v_add_f32_e32 v2, v8, v9
	s_mov_b32 s15, 0
	v_cmp_gt_f32_e64 s0, 0x800000, v2
	v_cndmask_b32_e64 v5, 0, 32, s0
	v_cndmask_b32_e64 v6, 0, 0x41b17218, s0
	v_ldexp_f32 v2, v2, v5
	v_log_f32_e32 v2, v2
	v_mul_f32_e32 v5, 0x3f317217, v2
	v_cmp_gt_f32_e64 s0, 0x7f800000, |v2|
	v_fma_f32 v5, 0x3f317217, v2, -v5
	v_fmamk_f32 v5, v2, 0x3377d1cf, v5
	v_fmac_f32_e32 v5, 0x3f317217, v2
	v_cndmask_b32_e64 v2, v2, v5, s0
	s_lshl_b64 s[0:1], s[14:15], 2
	v_add_co_u32 v0, s0, v0, s0
	v_sub_f32_e32 v2, v2, v6
	v_add_co_ci_u32_e64 v1, null, s1, v1, s0
	v_sub_f32_e32 v3, v3, v2
	global_store_dword v[0:1], v3, off
	s_and_b32 exec_lo, exec_lo, vcc_lo
	s_cbranch_execz .LBB179_16
; %bb.15:
	v_sub_f32_e32 v2, v4, v2
	global_store_dword v[0:1], v2, off offset:128
.LBB179_16:
	s_endpgm
	.section	.rodata,"a",@progbits
	.p2align	6, 0x0
	.amdhsa_kernel _ZN12_GLOBAL__N_120softmax_warp_forwardIN3c108BFloat16EffLi6ELb1ELb0ELi32EEEvPT0_PKT_iiiPKbib
		.amdhsa_group_segment_fixed_size 0
		.amdhsa_private_segment_fixed_size 0
		.amdhsa_kernarg_size 304
		.amdhsa_user_sgpr_count 6
		.amdhsa_user_sgpr_private_segment_buffer 1
		.amdhsa_user_sgpr_dispatch_ptr 0
		.amdhsa_user_sgpr_queue_ptr 0
		.amdhsa_user_sgpr_kernarg_segment_ptr 1
		.amdhsa_user_sgpr_dispatch_id 0
		.amdhsa_user_sgpr_flat_scratch_init 0
		.amdhsa_user_sgpr_private_segment_size 0
		.amdhsa_wavefront_size32 1
		.amdhsa_uses_dynamic_stack 0
		.amdhsa_system_sgpr_private_segment_wavefront_offset 0
		.amdhsa_system_sgpr_workgroup_id_x 1
		.amdhsa_system_sgpr_workgroup_id_y 0
		.amdhsa_system_sgpr_workgroup_id_z 0
		.amdhsa_system_sgpr_workgroup_info 0
		.amdhsa_system_vgpr_workitem_id 1
		.amdhsa_next_free_vgpr 24
		.amdhsa_next_free_sgpr 16
		.amdhsa_reserve_vcc 1
		.amdhsa_reserve_flat_scratch 0
		.amdhsa_float_round_mode_32 0
		.amdhsa_float_round_mode_16_64 0
		.amdhsa_float_denorm_mode_32 3
		.amdhsa_float_denorm_mode_16_64 3
		.amdhsa_dx10_clamp 1
		.amdhsa_ieee_mode 1
		.amdhsa_fp16_overflow 0
		.amdhsa_workgroup_processor_mode 1
		.amdhsa_memory_ordered 1
		.amdhsa_forward_progress 1
		.amdhsa_shared_vgpr_count 0
		.amdhsa_exception_fp_ieee_invalid_op 0
		.amdhsa_exception_fp_denorm_src 0
		.amdhsa_exception_fp_ieee_div_zero 0
		.amdhsa_exception_fp_ieee_overflow 0
		.amdhsa_exception_fp_ieee_underflow 0
		.amdhsa_exception_fp_ieee_inexact 0
		.amdhsa_exception_int_div_zero 0
	.end_amdhsa_kernel
	.section	.text._ZN12_GLOBAL__N_120softmax_warp_forwardIN3c108BFloat16EffLi6ELb1ELb0ELi32EEEvPT0_PKT_iiiPKbib,"axG",@progbits,_ZN12_GLOBAL__N_120softmax_warp_forwardIN3c108BFloat16EffLi6ELb1ELb0ELi32EEEvPT0_PKT_iiiPKbib,comdat
.Lfunc_end179:
	.size	_ZN12_GLOBAL__N_120softmax_warp_forwardIN3c108BFloat16EffLi6ELb1ELb0ELi32EEEvPT0_PKT_iiiPKbib, .Lfunc_end179-_ZN12_GLOBAL__N_120softmax_warp_forwardIN3c108BFloat16EffLi6ELb1ELb0ELi32EEEvPT0_PKT_iiiPKbib
                                        ; -- End function
	.set _ZN12_GLOBAL__N_120softmax_warp_forwardIN3c108BFloat16EffLi6ELb1ELb0ELi32EEEvPT0_PKT_iiiPKbib.num_vgpr, 24
	.set _ZN12_GLOBAL__N_120softmax_warp_forwardIN3c108BFloat16EffLi6ELb1ELb0ELi32EEEvPT0_PKT_iiiPKbib.num_agpr, 0
	.set _ZN12_GLOBAL__N_120softmax_warp_forwardIN3c108BFloat16EffLi6ELb1ELb0ELi32EEEvPT0_PKT_iiiPKbib.numbered_sgpr, 16
	.set _ZN12_GLOBAL__N_120softmax_warp_forwardIN3c108BFloat16EffLi6ELb1ELb0ELi32EEEvPT0_PKT_iiiPKbib.num_named_barrier, 0
	.set _ZN12_GLOBAL__N_120softmax_warp_forwardIN3c108BFloat16EffLi6ELb1ELb0ELi32EEEvPT0_PKT_iiiPKbib.private_seg_size, 0
	.set _ZN12_GLOBAL__N_120softmax_warp_forwardIN3c108BFloat16EffLi6ELb1ELb0ELi32EEEvPT0_PKT_iiiPKbib.uses_vcc, 1
	.set _ZN12_GLOBAL__N_120softmax_warp_forwardIN3c108BFloat16EffLi6ELb1ELb0ELi32EEEvPT0_PKT_iiiPKbib.uses_flat_scratch, 0
	.set _ZN12_GLOBAL__N_120softmax_warp_forwardIN3c108BFloat16EffLi6ELb1ELb0ELi32EEEvPT0_PKT_iiiPKbib.has_dyn_sized_stack, 0
	.set _ZN12_GLOBAL__N_120softmax_warp_forwardIN3c108BFloat16EffLi6ELb1ELb0ELi32EEEvPT0_PKT_iiiPKbib.has_recursion, 0
	.set _ZN12_GLOBAL__N_120softmax_warp_forwardIN3c108BFloat16EffLi6ELb1ELb0ELi32EEEvPT0_PKT_iiiPKbib.has_indirect_call, 0
	.section	.AMDGPU.csdata,"",@progbits
; Kernel info:
; codeLenInByte = 1720
; TotalNumSgprs: 18
; NumVgprs: 24
; ScratchSize: 0
; MemoryBound: 0
; FloatMode: 240
; IeeeMode: 1
; LDSByteSize: 0 bytes/workgroup (compile time only)
; SGPRBlocks: 0
; VGPRBlocks: 2
; NumSGPRsForWavesPerEU: 18
; NumVGPRsForWavesPerEU: 24
; Occupancy: 16
; WaveLimiterHint : 0
; COMPUTE_PGM_RSRC2:SCRATCH_EN: 0
; COMPUTE_PGM_RSRC2:USER_SGPR: 6
; COMPUTE_PGM_RSRC2:TRAP_HANDLER: 0
; COMPUTE_PGM_RSRC2:TGID_X_EN: 1
; COMPUTE_PGM_RSRC2:TGID_Y_EN: 0
; COMPUTE_PGM_RSRC2:TGID_Z_EN: 0
; COMPUTE_PGM_RSRC2:TIDIG_COMP_CNT: 1
	.section	.text._ZN12_GLOBAL__N_120softmax_warp_forwardIN3c108BFloat16EffLi7ELb1ELb0ELi64EEEvPT0_PKT_iiiPKbib,"axG",@progbits,_ZN12_GLOBAL__N_120softmax_warp_forwardIN3c108BFloat16EffLi7ELb1ELb0ELi64EEEvPT0_PKT_iiiPKbib,comdat
	.globl	_ZN12_GLOBAL__N_120softmax_warp_forwardIN3c108BFloat16EffLi7ELb1ELb0ELi64EEEvPT0_PKT_iiiPKbib ; -- Begin function _ZN12_GLOBAL__N_120softmax_warp_forwardIN3c108BFloat16EffLi7ELb1ELb0ELi64EEEvPT0_PKT_iiiPKbib
	.p2align	8
	.type	_ZN12_GLOBAL__N_120softmax_warp_forwardIN3c108BFloat16EffLi7ELb1ELb0ELi64EEEvPT0_PKT_iiiPKbib,@function
_ZN12_GLOBAL__N_120softmax_warp_forwardIN3c108BFloat16EffLi7ELb1ELb0ELi64EEEvPT0_PKT_iiiPKbib: ; @_ZN12_GLOBAL__N_120softmax_warp_forwardIN3c108BFloat16EffLi7ELb1ELb0ELi64EEEvPT0_PKT_iiiPKbib
; %bb.0:
	s_clause 0x1
	s_load_dword s0, s[4:5], 0x3c
	s_load_dwordx8 s[8:15], s[4:5], 0x0
	v_mov_b32_e32 v6, 0xff800000
	v_mov_b32_e32 v7, 0xff800000
	s_waitcnt lgkmcnt(0)
	s_lshr_b32 s0, s0, 16
	s_and_b32 s0, s0, 0xffff
	s_mul_i32 s6, s6, s0
	v_cmp_gt_i32_e64 s0, s14, v0
	v_add_lshl_u32 v3, s6, v1, 1
	v_mad_u64_u32 v[1:2], null, v3, s13, v[0:1]
	v_sub_nc_u32_e32 v5, s12, v3
	v_cmp_lt_i32_e64 s1, 0, v5
	v_ashrrev_i32_e32 v2, 31, v1
	s_and_b32 s3, s1, s0
	v_lshlrev_b64 v[3:4], 1, v[1:2]
	v_add_co_u32 v3, vcc_lo, s10, v3
	v_add_co_ci_u32_e64 v4, null, s11, v4, vcc_lo
	s_and_saveexec_b32 s2, s3
	s_cbranch_execz .LBB180_2
; %bb.1:
	global_load_ushort v7, v[3:4], off
	s_waitcnt vmcnt(0)
	v_lshlrev_b32_e32 v7, 16, v7
.LBB180_2:
	s_or_b32 exec_lo, exec_lo, s2
	v_add_nc_u32_e32 v0, 64, v0
	v_cmp_gt_i32_e32 vcc_lo, s14, v0
	s_and_b32 s3, s1, vcc_lo
	s_and_saveexec_b32 s2, s3
	s_cbranch_execz .LBB180_4
; %bb.3:
	global_load_ushort v0, v[3:4], off offset:128
	s_waitcnt vmcnt(0)
	v_lshlrev_b32_e32 v6, 16, v0
.LBB180_4:
	s_or_b32 exec_lo, exec_lo, s2
	v_cmp_lt_i32_e64 s2, 1, v5
	v_mov_b32_e32 v0, 0xff800000
	v_mov_b32_e32 v8, 0xff800000
	s_and_b32 s3, s2, s0
	s_and_saveexec_b32 s4, s3
	s_cbranch_execz .LBB180_6
; %bb.5:
	s_mov_b32 s15, 0
	s_lshl_b64 s[6:7], s[14:15], 1
	v_add_co_u32 v8, s3, v3, s6
	v_add_co_ci_u32_e64 v9, null, s7, v4, s3
	global_load_ushort v8, v[8:9], off
	s_waitcnt vmcnt(0)
	v_lshlrev_b32_e32 v8, 16, v8
.LBB180_6:
	s_or_b32 exec_lo, exec_lo, s4
	s_and_b32 s2, s2, vcc_lo
	s_and_saveexec_b32 s3, s2
	s_cbranch_execz .LBB180_8
; %bb.7:
	s_mov_b32 s15, 0
	s_lshl_b64 s[4:5], s[14:15], 1
	v_add_co_u32 v3, s2, v3, s4
	v_add_co_ci_u32_e64 v4, null, s5, v4, s2
	global_load_ushort v0, v[3:4], off offset:128
	s_waitcnt vmcnt(0)
	v_lshlrev_b32_e32 v0, 16, v0
.LBB180_8:
	s_or_b32 exec_lo, exec_lo, s3
	v_mbcnt_lo_u32_b32 v3, -1, 0
	v_or_b32_e32 v4, 32, v3
	v_xor_b32_e32 v13, 16, v3
	v_xor_b32_e32 v14, 8, v3
	;; [unrolled: 1-line block ×4, first 2 shown]
	v_cmp_gt_i32_e64 s2, 64, v4
	v_xor_b32_e32 v17, 1, v3
	v_cndmask_b32_e64 v4, v3, v4, s2
	v_cmp_gt_f32_e64 s2, v7, v6
	v_lshlrev_b32_e32 v10, 2, v4
	v_cndmask_b32_e64 v9, v6, v7, s2
	v_cmp_gt_f32_e64 s2, v8, v0
	ds_bpermute_b32 v11, v10, v9
	v_cndmask_b32_e64 v4, v0, v8, s2
	v_cmp_gt_i32_e64 s2, 64, v13
	ds_bpermute_b32 v12, v10, v4
	v_cndmask_b32_e64 v13, v3, v13, s2
	v_lshlrev_b32_e32 v13, 2, v13
	s_waitcnt lgkmcnt(1)
	v_cmp_lt_f32_e64 s2, v9, v11
	v_cndmask_b32_e64 v9, v9, v11, s2
	s_waitcnt lgkmcnt(0)
	v_cmp_lt_f32_e64 s2, v4, v12
	ds_bpermute_b32 v11, v13, v9
	v_cndmask_b32_e64 v4, v4, v12, s2
	v_cmp_gt_i32_e64 s2, 64, v14
	ds_bpermute_b32 v12, v13, v4
	v_cndmask_b32_e64 v14, v3, v14, s2
	v_lshlrev_b32_e32 v14, 2, v14
	s_waitcnt lgkmcnt(1)
	v_cmp_lt_f32_e64 s2, v9, v11
	v_cndmask_b32_e64 v9, v9, v11, s2
	s_waitcnt lgkmcnt(0)
	v_cmp_lt_f32_e64 s2, v4, v12
	;; [unrolled: 11-line block ×5, first 2 shown]
	ds_bpermute_b32 v9, v17, v3
	v_cndmask_b32_e64 v4, v4, v12, s2
	ds_bpermute_b32 v11, v17, v4
	s_waitcnt lgkmcnt(1)
	v_cmp_lt_f32_e64 s2, v3, v9
	v_cndmask_b32_e64 v3, v3, v9, s2
	s_waitcnt lgkmcnt(0)
	v_cmp_lt_f32_e64 s2, v4, v11
	v_sub_f32_e32 v7, v7, v3
	v_cndmask_b32_e64 v4, v4, v11, s2
	v_sub_f32_e32 v6, v6, v3
	v_cmp_ngt_f32_e64 s2, 0xc2ce8ed0, v7
	v_sub_f32_e32 v3, v8, v4
	v_sub_f32_e32 v4, v0, v4
	v_mul_f32_e32 v0, 0x3fb8aa3b, v7
	v_mul_f32_e32 v8, 0x3fb8aa3b, v6
	;; [unrolled: 1-line block ×4, first 2 shown]
	v_fma_f32 v12, 0x3fb8aa3b, v7, -v0
	v_rndne_f32_e32 v18, v0
	v_fma_f32 v19, 0x3fb8aa3b, v6, -v8
	v_rndne_f32_e32 v20, v8
	v_fma_f32 v21, 0x3fb8aa3b, v3, -v9
	v_fmac_f32_e32 v12, 0x32a5705f, v7
	v_sub_f32_e32 v0, v0, v18
	v_rndne_f32_e32 v22, v9
	v_fmac_f32_e32 v19, 0x32a5705f, v6
	v_sub_f32_e32 v8, v8, v20
	v_fma_f32 v23, 0x3fb8aa3b, v4, -v11
	v_add_f32_e32 v0, v0, v12
	v_rndne_f32_e32 v24, v11
	v_fmac_f32_e32 v21, 0x32a5705f, v3
	v_sub_f32_e32 v9, v9, v22
	v_add_f32_e32 v8, v8, v19
	v_exp_f32_e32 v0, v0
	v_fmac_f32_e32 v23, 0x32a5705f, v4
	v_sub_f32_e32 v11, v11, v24
	v_add_f32_e32 v9, v9, v21
	v_exp_f32_e32 v8, v8
	v_cvt_i32_f32_e32 v12, v18
	v_cvt_i32_f32_e32 v18, v20
	v_add_f32_e32 v11, v11, v23
	v_exp_f32_e32 v9, v9
	v_cvt_i32_f32_e32 v19, v22
	v_ldexp_f32 v0, v0, v12
	v_cvt_i32_f32_e32 v20, v24
	v_exp_f32_e32 v11, v11
	v_ldexp_f32 v8, v8, v18
	v_cndmask_b32_e64 v0, 0, v0, s2
	v_cmp_ngt_f32_e64 s2, 0xc2ce8ed0, v6
	v_ldexp_f32 v9, v9, v19
	v_cndmask_b32_e64 v8, 0, v8, s2
	v_cmp_ngt_f32_e64 s2, 0xc2ce8ed0, v3
	;; [unrolled: 3-line block ×3, first 2 shown]
	v_cndmask_b32_e64 v11, 0, v11, s2
	v_cmp_nlt_f32_e64 s2, 0x42b17218, v7
	v_cndmask_b32_e64 v0, 0x7f800000, v0, s2
	v_cmp_nlt_f32_e64 s2, 0x42b17218, v6
	;; [unrolled: 2-line block ×3, first 2 shown]
	v_add_f32_e32 v0, v0, v8
	v_cndmask_b32_e64 v9, 0x7f800000, v9, s2
	v_cmp_nlt_f32_e64 s2, 0x42b17218, v4
	v_cndmask_b32_e64 v11, 0x7f800000, v11, s2
	v_add_f32_e32 v8, v9, v11
	ds_bpermute_b32 v9, v10, v0
	ds_bpermute_b32 v10, v10, v8
	s_waitcnt lgkmcnt(1)
	v_add_f32_e32 v0, v0, v9
	s_waitcnt lgkmcnt(0)
	v_add_f32_e32 v8, v8, v10
	ds_bpermute_b32 v9, v13, v0
	ds_bpermute_b32 v10, v13, v8
	s_waitcnt lgkmcnt(1)
	v_add_f32_e32 v0, v0, v9
	s_waitcnt lgkmcnt(0)
	;; [unrolled: 6-line block ×5, first 2 shown]
	v_add_f32_e32 v8, v8, v11
	ds_bpermute_b32 v11, v17, v10
	ds_bpermute_b32 v9, v17, v8
	s_and_saveexec_b32 s2, s1
	s_cbranch_execz .LBB180_16
; %bb.9:
	v_lshlrev_b64 v[0:1], 2, v[1:2]
	v_add_co_u32 v0, s1, s8, v0
	v_add_co_ci_u32_e64 v1, null, s9, v1, s1
	s_and_saveexec_b32 s3, s0
	s_cbranch_execz .LBB180_12
; %bb.10:
	s_waitcnt lgkmcnt(1)
	v_add_f32_e32 v2, v10, v11
	v_cmp_gt_f32_e64 s1, 0x800000, v2
	v_cndmask_b32_e64 v10, 0, 32, s1
	v_ldexp_f32 v2, v2, v10
	v_log_f32_e32 v2, v2
	v_mul_f32_e32 v10, 0x3f317217, v2
	v_cmp_gt_f32_e64 s2, 0x7f800000, |v2|
	v_fma_f32 v10, 0x3f317217, v2, -v10
	v_fmamk_f32 v10, v2, 0x3377d1cf, v10
	v_fmac_f32_e32 v10, 0x3f317217, v2
	v_cndmask_b32_e64 v2, v2, v10, s2
	v_cndmask_b32_e64 v10, 0, 0x41b17218, s1
	v_sub_f32_e32 v2, v2, v10
	v_sub_f32_e32 v7, v7, v2
	global_store_dword v[0:1], v7, off
	s_and_b32 exec_lo, exec_lo, vcc_lo
	s_cbranch_execz .LBB180_12
; %bb.11:
	v_sub_f32_e32 v2, v6, v2
	global_store_dword v[0:1], v2, off offset:256
.LBB180_12:
	s_or_b32 exec_lo, exec_lo, s3
	v_cmp_ne_u32_e64 s1, 1, v5
	s_and_b32 exec_lo, exec_lo, s1
	s_cbranch_execz .LBB180_16
; %bb.13:
	s_and_b32 exec_lo, exec_lo, s0
	s_cbranch_execz .LBB180_16
; %bb.14:
	s_waitcnt lgkmcnt(0)
	v_add_f32_e32 v2, v8, v9
	s_mov_b32 s15, 0
	v_cmp_gt_f32_e64 s0, 0x800000, v2
	v_cndmask_b32_e64 v5, 0, 32, s0
	v_cndmask_b32_e64 v6, 0, 0x41b17218, s0
	v_ldexp_f32 v2, v2, v5
	v_log_f32_e32 v2, v2
	v_mul_f32_e32 v5, 0x3f317217, v2
	v_cmp_gt_f32_e64 s0, 0x7f800000, |v2|
	v_fma_f32 v5, 0x3f317217, v2, -v5
	v_fmamk_f32 v5, v2, 0x3377d1cf, v5
	v_fmac_f32_e32 v5, 0x3f317217, v2
	v_cndmask_b32_e64 v2, v2, v5, s0
	s_lshl_b64 s[0:1], s[14:15], 2
	v_add_co_u32 v0, s0, v0, s0
	v_sub_f32_e32 v2, v2, v6
	v_add_co_ci_u32_e64 v1, null, s1, v1, s0
	v_sub_f32_e32 v3, v3, v2
	global_store_dword v[0:1], v3, off
	s_and_b32 exec_lo, exec_lo, vcc_lo
	s_cbranch_execz .LBB180_16
; %bb.15:
	v_sub_f32_e32 v2, v4, v2
	global_store_dword v[0:1], v2, off offset:256
.LBB180_16:
	s_endpgm
	.section	.rodata,"a",@progbits
	.p2align	6, 0x0
	.amdhsa_kernel _ZN12_GLOBAL__N_120softmax_warp_forwardIN3c108BFloat16EffLi7ELb1ELb0ELi64EEEvPT0_PKT_iiiPKbib
		.amdhsa_group_segment_fixed_size 0
		.amdhsa_private_segment_fixed_size 0
		.amdhsa_kernarg_size 304
		.amdhsa_user_sgpr_count 6
		.amdhsa_user_sgpr_private_segment_buffer 1
		.amdhsa_user_sgpr_dispatch_ptr 0
		.amdhsa_user_sgpr_queue_ptr 0
		.amdhsa_user_sgpr_kernarg_segment_ptr 1
		.amdhsa_user_sgpr_dispatch_id 0
		.amdhsa_user_sgpr_flat_scratch_init 0
		.amdhsa_user_sgpr_private_segment_size 0
		.amdhsa_wavefront_size32 1
		.amdhsa_uses_dynamic_stack 0
		.amdhsa_system_sgpr_private_segment_wavefront_offset 0
		.amdhsa_system_sgpr_workgroup_id_x 1
		.amdhsa_system_sgpr_workgroup_id_y 0
		.amdhsa_system_sgpr_workgroup_id_z 0
		.amdhsa_system_sgpr_workgroup_info 0
		.amdhsa_system_vgpr_workitem_id 1
		.amdhsa_next_free_vgpr 25
		.amdhsa_next_free_sgpr 16
		.amdhsa_reserve_vcc 1
		.amdhsa_reserve_flat_scratch 0
		.amdhsa_float_round_mode_32 0
		.amdhsa_float_round_mode_16_64 0
		.amdhsa_float_denorm_mode_32 3
		.amdhsa_float_denorm_mode_16_64 3
		.amdhsa_dx10_clamp 1
		.amdhsa_ieee_mode 1
		.amdhsa_fp16_overflow 0
		.amdhsa_workgroup_processor_mode 1
		.amdhsa_memory_ordered 1
		.amdhsa_forward_progress 1
		.amdhsa_shared_vgpr_count 0
		.amdhsa_exception_fp_ieee_invalid_op 0
		.amdhsa_exception_fp_denorm_src 0
		.amdhsa_exception_fp_ieee_div_zero 0
		.amdhsa_exception_fp_ieee_overflow 0
		.amdhsa_exception_fp_ieee_underflow 0
		.amdhsa_exception_fp_ieee_inexact 0
		.amdhsa_exception_int_div_zero 0
	.end_amdhsa_kernel
	.section	.text._ZN12_GLOBAL__N_120softmax_warp_forwardIN3c108BFloat16EffLi7ELb1ELb0ELi64EEEvPT0_PKT_iiiPKbib,"axG",@progbits,_ZN12_GLOBAL__N_120softmax_warp_forwardIN3c108BFloat16EffLi7ELb1ELb0ELi64EEEvPT0_PKT_iiiPKbib,comdat
.Lfunc_end180:
	.size	_ZN12_GLOBAL__N_120softmax_warp_forwardIN3c108BFloat16EffLi7ELb1ELb0ELi64EEEvPT0_PKT_iiiPKbib, .Lfunc_end180-_ZN12_GLOBAL__N_120softmax_warp_forwardIN3c108BFloat16EffLi7ELb1ELb0ELi64EEEvPT0_PKT_iiiPKbib
                                        ; -- End function
	.set _ZN12_GLOBAL__N_120softmax_warp_forwardIN3c108BFloat16EffLi7ELb1ELb0ELi64EEEvPT0_PKT_iiiPKbib.num_vgpr, 25
	.set _ZN12_GLOBAL__N_120softmax_warp_forwardIN3c108BFloat16EffLi7ELb1ELb0ELi64EEEvPT0_PKT_iiiPKbib.num_agpr, 0
	.set _ZN12_GLOBAL__N_120softmax_warp_forwardIN3c108BFloat16EffLi7ELb1ELb0ELi64EEEvPT0_PKT_iiiPKbib.numbered_sgpr, 16
	.set _ZN12_GLOBAL__N_120softmax_warp_forwardIN3c108BFloat16EffLi7ELb1ELb0ELi64EEEvPT0_PKT_iiiPKbib.num_named_barrier, 0
	.set _ZN12_GLOBAL__N_120softmax_warp_forwardIN3c108BFloat16EffLi7ELb1ELb0ELi64EEEvPT0_PKT_iiiPKbib.private_seg_size, 0
	.set _ZN12_GLOBAL__N_120softmax_warp_forwardIN3c108BFloat16EffLi7ELb1ELb0ELi64EEEvPT0_PKT_iiiPKbib.uses_vcc, 1
	.set _ZN12_GLOBAL__N_120softmax_warp_forwardIN3c108BFloat16EffLi7ELb1ELb0ELi64EEEvPT0_PKT_iiiPKbib.uses_flat_scratch, 0
	.set _ZN12_GLOBAL__N_120softmax_warp_forwardIN3c108BFloat16EffLi7ELb1ELb0ELi64EEEvPT0_PKT_iiiPKbib.has_dyn_sized_stack, 0
	.set _ZN12_GLOBAL__N_120softmax_warp_forwardIN3c108BFloat16EffLi7ELb1ELb0ELi64EEEvPT0_PKT_iiiPKbib.has_recursion, 0
	.set _ZN12_GLOBAL__N_120softmax_warp_forwardIN3c108BFloat16EffLi7ELb1ELb0ELi64EEEvPT0_PKT_iiiPKbib.has_indirect_call, 0
	.section	.AMDGPU.csdata,"",@progbits
; Kernel info:
; codeLenInByte = 1832
; TotalNumSgprs: 18
; NumVgprs: 25
; ScratchSize: 0
; MemoryBound: 0
; FloatMode: 240
; IeeeMode: 1
; LDSByteSize: 0 bytes/workgroup (compile time only)
; SGPRBlocks: 0
; VGPRBlocks: 3
; NumSGPRsForWavesPerEU: 18
; NumVGPRsForWavesPerEU: 25
; Occupancy: 16
; WaveLimiterHint : 0
; COMPUTE_PGM_RSRC2:SCRATCH_EN: 0
; COMPUTE_PGM_RSRC2:USER_SGPR: 6
; COMPUTE_PGM_RSRC2:TRAP_HANDLER: 0
; COMPUTE_PGM_RSRC2:TGID_X_EN: 1
; COMPUTE_PGM_RSRC2:TGID_Y_EN: 0
; COMPUTE_PGM_RSRC2:TGID_Z_EN: 0
; COMPUTE_PGM_RSRC2:TIDIG_COMP_CNT: 1
	.section	.text._ZN12_GLOBAL__N_120softmax_warp_forwardIN3c108BFloat16EffLi7ELb1ELb0ELi32EEEvPT0_PKT_iiiPKbib,"axG",@progbits,_ZN12_GLOBAL__N_120softmax_warp_forwardIN3c108BFloat16EffLi7ELb1ELb0ELi32EEEvPT0_PKT_iiiPKbib,comdat
	.globl	_ZN12_GLOBAL__N_120softmax_warp_forwardIN3c108BFloat16EffLi7ELb1ELb0ELi32EEEvPT0_PKT_iiiPKbib ; -- Begin function _ZN12_GLOBAL__N_120softmax_warp_forwardIN3c108BFloat16EffLi7ELb1ELb0ELi32EEEvPT0_PKT_iiiPKbib
	.p2align	8
	.type	_ZN12_GLOBAL__N_120softmax_warp_forwardIN3c108BFloat16EffLi7ELb1ELb0ELi32EEEvPT0_PKT_iiiPKbib,@function
_ZN12_GLOBAL__N_120softmax_warp_forwardIN3c108BFloat16EffLi7ELb1ELb0ELi32EEEvPT0_PKT_iiiPKbib: ; @_ZN12_GLOBAL__N_120softmax_warp_forwardIN3c108BFloat16EffLi7ELb1ELb0ELi32EEEvPT0_PKT_iiiPKbib
; %bb.0:
	s_clause 0x1
	s_load_dword s0, s[4:5], 0x3c
	s_load_dwordx8 s[8:15], s[4:5], 0x0
	v_mov_b32_e32 v8, 0xff800000
	v_mov_b32_e32 v6, 0xff800000
	s_waitcnt lgkmcnt(0)
	s_lshr_b32 s0, s0, 16
	v_cmp_gt_i32_e64 s1, s14, v0
	s_and_b32 s0, s0, 0xffff
	s_mul_i32 s6, s6, s0
	v_add_lshl_u32 v3, s6, v1, 1
	v_mad_u64_u32 v[1:2], null, v3, s13, v[0:1]
	v_sub_nc_u32_e32 v5, s12, v3
	v_cmp_lt_i32_e64 s3, 0, v5
	v_ashrrev_i32_e32 v2, 31, v1
	s_and_b32 s2, s3, s1
	v_lshlrev_b64 v[3:4], 1, v[1:2]
	v_add_co_u32 v3, vcc_lo, s10, v3
	v_add_co_ci_u32_e64 v4, null, s11, v4, vcc_lo
	s_and_saveexec_b32 s0, s2
	s_cbranch_execz .LBB181_2
; %bb.1:
	global_load_ushort v6, v[3:4], off
	s_waitcnt vmcnt(0)
	v_lshlrev_b32_e32 v6, 16, v6
.LBB181_2:
	s_or_b32 exec_lo, exec_lo, s0
	v_add_nc_u32_e32 v7, 32, v0
	v_cmp_gt_i32_e32 vcc_lo, s14, v7
	s_and_b32 s2, s3, vcc_lo
	s_and_saveexec_b32 s0, s2
	s_cbranch_execz .LBB181_4
; %bb.3:
	global_load_ushort v7, v[3:4], off offset:64
	s_waitcnt vmcnt(0)
	v_lshlrev_b32_e32 v8, 16, v7
.LBB181_4:
	s_or_b32 exec_lo, exec_lo, s0
	v_add_nc_u32_e32 v7, 64, v0
	v_mov_b32_e32 v11, 0xff800000
	v_mov_b32_e32 v12, 0xff800000
	v_cmp_gt_i32_e64 s0, s14, v7
	s_and_b32 s4, s3, s0
	s_and_saveexec_b32 s2, s4
	s_cbranch_execz .LBB181_6
; %bb.5:
	global_load_ushort v7, v[3:4], off offset:128
	s_waitcnt vmcnt(0)
	v_lshlrev_b32_e32 v12, 16, v7
.LBB181_6:
	s_or_b32 exec_lo, exec_lo, s2
	v_add_nc_u32_e32 v0, 0x60, v0
	v_cmp_gt_i32_e64 s2, s14, v0
	s_and_b32 s5, s3, s2
	s_and_saveexec_b32 s4, s5
	s_cbranch_execz .LBB181_8
; %bb.7:
	global_load_ushort v0, v[3:4], off offset:192
	s_waitcnt vmcnt(0)
	v_lshlrev_b32_e32 v11, 16, v0
.LBB181_8:
	s_or_b32 exec_lo, exec_lo, s4
	v_cmp_lt_i32_e64 s4, 1, v5
	v_mov_b32_e32 v13, 0xff800000
	v_mov_b32_e32 v17, 0xff800000
	s_and_b32 s5, s4, s1
	s_and_saveexec_b32 s6, s5
	s_cbranch_execz .LBB181_10
; %bb.9:
	s_mov_b32 s15, 0
	s_lshl_b64 s[10:11], s[14:15], 1
	v_add_co_u32 v9, s5, v3, s10
	v_add_co_ci_u32_e64 v10, null, s11, v4, s5
	global_load_ushort v0, v[9:10], off
	s_waitcnt vmcnt(0)
	v_lshlrev_b32_e32 v17, 16, v0
.LBB181_10:
	s_or_b32 exec_lo, exec_lo, s6
	s_and_b32 s5, s4, vcc_lo
	s_and_saveexec_b32 s6, s5
	s_cbranch_execz .LBB181_12
; %bb.11:
	s_mov_b32 s15, 0
	s_lshl_b64 s[10:11], s[14:15], 1
	v_add_co_u32 v9, s5, v3, s10
	v_add_co_ci_u32_e64 v10, null, s11, v4, s5
	global_load_ushort v0, v[9:10], off offset:64
	s_waitcnt vmcnt(0)
	v_lshlrev_b32_e32 v13, 16, v0
.LBB181_12:
	s_or_b32 exec_lo, exec_lo, s6
	v_mov_b32_e32 v16, 0xff800000
	v_mov_b32_e32 v18, 0xff800000
	s_and_b32 s5, s4, s0
	s_and_saveexec_b32 s6, s5
	s_cbranch_execz .LBB181_14
; %bb.13:
	s_mov_b32 s15, 0
	s_lshl_b64 s[10:11], s[14:15], 1
	v_add_co_u32 v9, s5, v3, s10
	v_add_co_ci_u32_e64 v10, null, s11, v4, s5
	global_load_ushort v0, v[9:10], off offset:128
	s_waitcnt vmcnt(0)
	v_lshlrev_b32_e32 v18, 16, v0
.LBB181_14:
	s_or_b32 exec_lo, exec_lo, s6
	s_and_b32 s4, s4, s2
	s_and_saveexec_b32 s5, s4
	s_cbranch_execz .LBB181_16
; %bb.15:
	s_mov_b32 s15, 0
	s_lshl_b64 s[6:7], s[14:15], 1
	v_add_co_u32 v3, s4, v3, s6
	v_add_co_ci_u32_e64 v4, null, s7, v4, s4
	global_load_ushort v0, v[3:4], off offset:192
	s_waitcnt vmcnt(0)
	v_lshlrev_b32_e32 v16, 16, v0
.LBB181_16:
	s_or_b32 exec_lo, exec_lo, s5
	v_cmp_gt_f32_e64 s4, v6, v8
	v_mbcnt_lo_u32_b32 v4, -1, 0
	v_cndmask_b32_e64 v0, v8, v6, s4
	v_cmp_gt_f32_e64 s4, v17, v13
	v_xor_b32_e32 v3, 16, v4
	v_cndmask_b32_e64 v7, v13, v17, s4
	v_cmp_gt_f32_e64 s4, v0, v12
	v_cndmask_b32_e64 v0, v12, v0, s4
	v_cmp_gt_i32_e64 s4, 32, v3
	v_cndmask_b32_e64 v3, v4, v3, s4
	v_cmp_gt_f32_e64 s4, v7, v18
	v_cndmask_b32_e64 v7, v18, v7, s4
	v_cmp_gt_f32_e64 s4, v0, v11
	v_cndmask_b32_e64 v9, v11, v0, s4
	v_lshlrev_b32_e32 v0, 2, v3
	v_cmp_gt_f32_e64 s4, v7, v16
	v_xor_b32_e32 v3, 8, v4
	ds_bpermute_b32 v10, v0, v9
	v_cndmask_b32_e64 v7, v16, v7, s4
	v_cmp_gt_i32_e64 s4, 32, v3
	ds_bpermute_b32 v14, v0, v7
	v_cndmask_b32_e64 v3, v4, v3, s4
	v_lshlrev_b32_e32 v3, 2, v3
	s_waitcnt lgkmcnt(1)
	v_cmp_lt_f32_e64 s4, v9, v10
	v_cndmask_b32_e64 v9, v9, v10, s4
	s_waitcnt lgkmcnt(0)
	v_cmp_lt_f32_e64 s4, v7, v14
	v_cndmask_b32_e64 v10, v7, v14, s4
	ds_bpermute_b32 v14, v3, v9
	v_xor_b32_e32 v7, 4, v4
	ds_bpermute_b32 v15, v3, v10
	v_cmp_gt_i32_e64 s4, 32, v7
	v_cndmask_b32_e64 v7, v4, v7, s4
	v_lshlrev_b32_e32 v7, 2, v7
	s_waitcnt lgkmcnt(1)
	v_cmp_lt_f32_e64 s4, v9, v14
	v_cndmask_b32_e64 v9, v9, v14, s4
	s_waitcnt lgkmcnt(0)
	v_cmp_lt_f32_e64 s4, v10, v15
	v_cndmask_b32_e64 v14, v10, v15, s4
	ds_bpermute_b32 v15, v7, v9
	v_xor_b32_e32 v10, 2, v4
	ds_bpermute_b32 v19, v7, v14
	v_cmp_gt_i32_e64 s4, 32, v10
	;; [unrolled: 12-line block ×3, first 2 shown]
	v_cndmask_b32_e64 v4, v4, v14, s4
	v_lshlrev_b32_e32 v14, 2, v4
	s_waitcnt lgkmcnt(1)
	v_cmp_lt_f32_e64 s4, v9, v19
	v_cndmask_b32_e64 v4, v9, v19, s4
	s_waitcnt lgkmcnt(0)
	v_cmp_lt_f32_e64 s4, v15, v20
	v_cndmask_b32_e64 v9, v15, v20, s4
	ds_bpermute_b32 v15, v14, v4
	ds_bpermute_b32 v19, v14, v9
	s_waitcnt lgkmcnt(1)
	v_cmp_lt_f32_e64 s4, v4, v15
	v_cndmask_b32_e64 v4, v4, v15, s4
	s_waitcnt lgkmcnt(0)
	v_cmp_lt_f32_e64 s4, v9, v19
	v_sub_f32_e32 v6, v6, v4
	v_cndmask_b32_e64 v19, v9, v19, s4
	v_sub_f32_e32 v9, v8, v4
	v_sub_f32_e32 v12, v12, v4
	;; [unrolled: 1-line block ×3, first 2 shown]
	v_cmp_ngt_f32_e64 s4, 0xc2ce8ed0, v6
	v_sub_f32_e32 v8, v13, v19
	v_sub_f32_e32 v13, v16, v19
	v_mul_f32_e32 v16, 0x3fb8aa3b, v6
	v_sub_f32_e32 v4, v17, v19
	v_mul_f32_e32 v17, 0x3fb8aa3b, v9
	;; [unrolled: 2-line block ×3, first 2 shown]
	v_fma_f32 v24, 0x3fb8aa3b, v6, -v16
	v_rndne_f32_e32 v25, v16
	v_fma_f32 v26, 0x3fb8aa3b, v9, -v17
	v_rndne_f32_e32 v27, v17
	v_mul_f32_e32 v19, 0x3fb8aa3b, v15
	v_fmac_f32_e32 v24, 0x32a5705f, v6
	v_sub_f32_e32 v16, v16, v25
	v_fma_f32 v28, 0x3fb8aa3b, v12, -v18
	v_rndne_f32_e32 v29, v18
	v_fmac_f32_e32 v26, 0x32a5705f, v9
	v_sub_f32_e32 v17, v17, v27
	v_add_f32_e32 v16, v16, v24
	v_mul_f32_e32 v20, 0x3fb8aa3b, v4
	v_fma_f32 v30, 0x3fb8aa3b, v15, -v19
	v_rndne_f32_e32 v31, v19
	v_fmac_f32_e32 v28, 0x32a5705f, v12
	v_sub_f32_e32 v18, v18, v29
	v_add_f32_e32 v17, v17, v26
	v_exp_f32_e32 v16, v16
	v_mul_f32_e32 v21, 0x3fb8aa3b, v8
	v_fma_f32 v32, 0x3fb8aa3b, v4, -v20
	v_rndne_f32_e32 v33, v20
	v_cvt_i32_f32_e32 v25, v25
	v_fmac_f32_e32 v30, 0x32a5705f, v15
	v_sub_f32_e32 v19, v19, v31
	v_add_f32_e32 v18, v18, v28
	v_exp_f32_e32 v17, v17
	v_mul_f32_e32 v22, 0x3fb8aa3b, v11
	v_fma_f32 v34, 0x3fb8aa3b, v8, -v21
	v_rndne_f32_e32 v35, v21
	v_cvt_i32_f32_e32 v27, v27
	v_fmac_f32_e32 v32, 0x32a5705f, v4
	v_sub_f32_e32 v20, v20, v33
	v_add_f32_e32 v19, v19, v30
	v_exp_f32_e32 v18, v18
	v_ldexp_f32 v16, v16, v25
	v_mul_f32_e32 v23, 0x3fb8aa3b, v13
	v_fma_f32 v36, 0x3fb8aa3b, v11, -v22
	v_rndne_f32_e32 v37, v22
	v_cvt_i32_f32_e32 v29, v29
	v_fmac_f32_e32 v34, 0x32a5705f, v8
	v_sub_f32_e32 v21, v21, v35
	v_add_f32_e32 v20, v20, v32
	v_exp_f32_e32 v19, v19
	v_ldexp_f32 v17, v17, v27
	v_cndmask_b32_e64 v16, 0, v16, s4
	v_cmp_ngt_f32_e64 s4, 0xc2ce8ed0, v9
	v_fma_f32 v38, 0x3fb8aa3b, v13, -v23
	v_rndne_f32_e32 v39, v23
	v_cvt_i32_f32_e32 v31, v31
	v_fmac_f32_e32 v36, 0x32a5705f, v11
	v_sub_f32_e32 v22, v22, v37
	v_add_f32_e32 v21, v21, v34
	v_exp_f32_e32 v20, v20
	v_ldexp_f32 v18, v18, v29
	v_cndmask_b32_e64 v17, 0, v17, s4
	v_cmp_ngt_f32_e64 s4, 0xc2ce8ed0, v12
	v_cvt_i32_f32_e32 v33, v33
	v_fmac_f32_e32 v38, 0x32a5705f, v13
	v_sub_f32_e32 v23, v23, v39
	v_add_f32_e32 v22, v22, v36
	v_exp_f32_e32 v21, v21
	v_ldexp_f32 v19, v19, v31
	v_cndmask_b32_e64 v18, 0, v18, s4
	v_cmp_ngt_f32_e64 s4, 0xc2ce8ed0, v15
	v_cvt_i32_f32_e32 v35, v35
	v_add_f32_e32 v23, v23, v38
	v_exp_f32_e32 v22, v22
	v_ldexp_f32 v20, v20, v33
	v_cndmask_b32_e64 v19, 0, v19, s4
	v_cmp_ngt_f32_e64 s4, 0xc2ce8ed0, v4
	v_exp_f32_e32 v23, v23
	v_cvt_i32_f32_e32 v24, v37
	v_ldexp_f32 v21, v21, v35
	v_cvt_i32_f32_e32 v26, v39
	v_cndmask_b32_e64 v20, 0, v20, s4
	v_cmp_ngt_f32_e64 s4, 0xc2ce8ed0, v8
	v_ldexp_f32 v22, v22, v24
	v_cndmask_b32_e64 v21, 0, v21, s4
	v_cmp_ngt_f32_e64 s4, 0xc2ce8ed0, v11
	v_ldexp_f32 v23, v23, v26
	v_cndmask_b32_e64 v22, 0, v22, s4
	v_cmp_ngt_f32_e64 s4, 0xc2ce8ed0, v13
	v_cndmask_b32_e64 v23, 0, v23, s4
	v_cmp_nlt_f32_e64 s4, 0x42b17218, v6
	v_cndmask_b32_e64 v16, 0x7f800000, v16, s4
	v_cmp_nlt_f32_e64 s4, 0x42b17218, v9
	;; [unrolled: 2-line block ×3, first 2 shown]
	v_add_f32_e32 v16, v16, v17
	v_cndmask_b32_e64 v20, 0x7f800000, v20, s4
	v_cmp_nlt_f32_e64 s4, 0x42b17218, v8
	v_cndmask_b32_e64 v21, 0x7f800000, v21, s4
	v_cmp_nlt_f32_e64 s4, 0x42b17218, v12
	v_add_f32_e32 v17, v20, v21
	v_cndmask_b32_e64 v18, 0x7f800000, v18, s4
	v_cmp_nlt_f32_e64 s4, 0x42b17218, v11
	v_add_f32_e32 v16, v16, v18
	;; [unrolled: 3-line block ×4, first 2 shown]
	v_cndmask_b32_e64 v20, 0x7f800000, v23, s4
	ds_bpermute_b32 v18, v0, v16
	v_add_f32_e32 v17, v17, v20
	ds_bpermute_b32 v0, v0, v17
	s_waitcnt lgkmcnt(1)
	v_add_f32_e32 v16, v16, v18
	s_waitcnt lgkmcnt(0)
	v_add_f32_e32 v0, v17, v0
	ds_bpermute_b32 v17, v3, v16
	ds_bpermute_b32 v3, v3, v0
	s_waitcnt lgkmcnt(1)
	v_add_f32_e32 v16, v16, v17
	s_waitcnt lgkmcnt(0)
	v_add_f32_e32 v0, v0, v3
	ds_bpermute_b32 v3, v7, v16
	;; [unrolled: 6-line block ×4, first 2 shown]
	ds_bpermute_b32 v7, v14, v3
	s_and_saveexec_b32 s4, s3
	s_cbranch_execz .LBB181_28
; %bb.17:
	v_lshlrev_b64 v[0:1], 2, v[1:2]
	v_add_co_u32 v0, s3, s8, v0
	v_add_co_ci_u32_e64 v1, null, s9, v1, s3
	s_and_saveexec_b32 s5, s1
	s_cbranch_execz .LBB181_22
; %bb.18:
	s_waitcnt lgkmcnt(1)
	v_add_f32_e32 v2, v10, v16
	v_cmp_gt_f32_e64 s3, 0x800000, v2
	v_cndmask_b32_e64 v10, 0, 32, s3
	v_ldexp_f32 v2, v2, v10
	v_log_f32_e32 v2, v2
	v_mul_f32_e32 v10, 0x3f317217, v2
	v_cmp_gt_f32_e64 s4, 0x7f800000, |v2|
	v_fma_f32 v10, 0x3f317217, v2, -v10
	v_fmamk_f32 v10, v2, 0x3377d1cf, v10
	v_fmac_f32_e32 v10, 0x3f317217, v2
	v_cndmask_b32_e64 v2, v2, v10, s4
	v_cndmask_b32_e64 v10, 0, 0x41b17218, s3
	v_sub_f32_e32 v2, v2, v10
	v_sub_f32_e32 v6, v6, v2
	global_store_dword v[0:1], v6, off
	s_and_b32 exec_lo, exec_lo, vcc_lo
	s_cbranch_execz .LBB181_22
; %bb.19:
	v_sub_f32_e32 v6, v9, v2
	global_store_dword v[0:1], v6, off offset:128
	s_and_b32 exec_lo, exec_lo, s0
	s_cbranch_execz .LBB181_22
; %bb.20:
	v_sub_f32_e32 v6, v12, v2
	global_store_dword v[0:1], v6, off offset:256
	s_and_b32 exec_lo, exec_lo, s2
	s_cbranch_execz .LBB181_22
; %bb.21:
	v_sub_f32_e32 v2, v15, v2
	global_store_dword v[0:1], v2, off offset:384
.LBB181_22:
	s_or_b32 exec_lo, exec_lo, s5
	v_cmp_ne_u32_e64 s3, 1, v5
	s_and_b32 exec_lo, exec_lo, s3
	s_cbranch_execz .LBB181_28
; %bb.23:
	s_and_b32 exec_lo, exec_lo, s1
	s_cbranch_execz .LBB181_28
; %bb.24:
	s_waitcnt lgkmcnt(0)
	v_add_f32_e32 v2, v3, v7
	s_mov_b32 s15, 0
	s_lshl_b64 s[4:5], s[14:15], 2
	v_cmp_gt_f32_e64 s1, 0x800000, v2
	v_cndmask_b32_e64 v3, 0, 32, s1
	v_cndmask_b32_e64 v5, 0, 0x41b17218, s1
	v_ldexp_f32 v2, v2, v3
	v_log_f32_e32 v2, v2
	v_mul_f32_e32 v3, 0x3f317217, v2
	v_cmp_gt_f32_e64 s1, 0x7f800000, |v2|
	v_fma_f32 v3, 0x3f317217, v2, -v3
	v_fmamk_f32 v3, v2, 0x3377d1cf, v3
	v_fmac_f32_e32 v3, 0x3f317217, v2
	v_cndmask_b32_e64 v2, v2, v3, s1
	v_add_co_u32 v0, s1, v0, s4
	v_add_co_ci_u32_e64 v1, null, s5, v1, s1
	v_sub_f32_e32 v2, v2, v5
	v_sub_f32_e32 v3, v4, v2
	global_store_dword v[0:1], v3, off
	s_and_b32 exec_lo, exec_lo, vcc_lo
	s_cbranch_execz .LBB181_28
; %bb.25:
	v_sub_f32_e32 v3, v8, v2
	global_store_dword v[0:1], v3, off offset:128
	s_and_b32 exec_lo, exec_lo, s0
	s_cbranch_execz .LBB181_28
; %bb.26:
	v_sub_f32_e32 v3, v11, v2
	global_store_dword v[0:1], v3, off offset:256
	s_and_b32 exec_lo, exec_lo, s2
	s_cbranch_execz .LBB181_28
; %bb.27:
	v_sub_f32_e32 v2, v13, v2
	global_store_dword v[0:1], v2, off offset:384
.LBB181_28:
	s_endpgm
	.section	.rodata,"a",@progbits
	.p2align	6, 0x0
	.amdhsa_kernel _ZN12_GLOBAL__N_120softmax_warp_forwardIN3c108BFloat16EffLi7ELb1ELb0ELi32EEEvPT0_PKT_iiiPKbib
		.amdhsa_group_segment_fixed_size 0
		.amdhsa_private_segment_fixed_size 0
		.amdhsa_kernarg_size 304
		.amdhsa_user_sgpr_count 6
		.amdhsa_user_sgpr_private_segment_buffer 1
		.amdhsa_user_sgpr_dispatch_ptr 0
		.amdhsa_user_sgpr_queue_ptr 0
		.amdhsa_user_sgpr_kernarg_segment_ptr 1
		.amdhsa_user_sgpr_dispatch_id 0
		.amdhsa_user_sgpr_flat_scratch_init 0
		.amdhsa_user_sgpr_private_segment_size 0
		.amdhsa_wavefront_size32 1
		.amdhsa_uses_dynamic_stack 0
		.amdhsa_system_sgpr_private_segment_wavefront_offset 0
		.amdhsa_system_sgpr_workgroup_id_x 1
		.amdhsa_system_sgpr_workgroup_id_y 0
		.amdhsa_system_sgpr_workgroup_id_z 0
		.amdhsa_system_sgpr_workgroup_info 0
		.amdhsa_system_vgpr_workitem_id 1
		.amdhsa_next_free_vgpr 40
		.amdhsa_next_free_sgpr 16
		.amdhsa_reserve_vcc 1
		.amdhsa_reserve_flat_scratch 0
		.amdhsa_float_round_mode_32 0
		.amdhsa_float_round_mode_16_64 0
		.amdhsa_float_denorm_mode_32 3
		.amdhsa_float_denorm_mode_16_64 3
		.amdhsa_dx10_clamp 1
		.amdhsa_ieee_mode 1
		.amdhsa_fp16_overflow 0
		.amdhsa_workgroup_processor_mode 1
		.amdhsa_memory_ordered 1
		.amdhsa_forward_progress 1
		.amdhsa_shared_vgpr_count 0
		.amdhsa_exception_fp_ieee_invalid_op 0
		.amdhsa_exception_fp_denorm_src 0
		.amdhsa_exception_fp_ieee_div_zero 0
		.amdhsa_exception_fp_ieee_overflow 0
		.amdhsa_exception_fp_ieee_underflow 0
		.amdhsa_exception_fp_ieee_inexact 0
		.amdhsa_exception_int_div_zero 0
	.end_amdhsa_kernel
	.section	.text._ZN12_GLOBAL__N_120softmax_warp_forwardIN3c108BFloat16EffLi7ELb1ELb0ELi32EEEvPT0_PKT_iiiPKbib,"axG",@progbits,_ZN12_GLOBAL__N_120softmax_warp_forwardIN3c108BFloat16EffLi7ELb1ELb0ELi32EEEvPT0_PKT_iiiPKbib,comdat
.Lfunc_end181:
	.size	_ZN12_GLOBAL__N_120softmax_warp_forwardIN3c108BFloat16EffLi7ELb1ELb0ELi32EEEvPT0_PKT_iiiPKbib, .Lfunc_end181-_ZN12_GLOBAL__N_120softmax_warp_forwardIN3c108BFloat16EffLi7ELb1ELb0ELi32EEEvPT0_PKT_iiiPKbib
                                        ; -- End function
	.set _ZN12_GLOBAL__N_120softmax_warp_forwardIN3c108BFloat16EffLi7ELb1ELb0ELi32EEEvPT0_PKT_iiiPKbib.num_vgpr, 40
	.set _ZN12_GLOBAL__N_120softmax_warp_forwardIN3c108BFloat16EffLi7ELb1ELb0ELi32EEEvPT0_PKT_iiiPKbib.num_agpr, 0
	.set _ZN12_GLOBAL__N_120softmax_warp_forwardIN3c108BFloat16EffLi7ELb1ELb0ELi32EEEvPT0_PKT_iiiPKbib.numbered_sgpr, 16
	.set _ZN12_GLOBAL__N_120softmax_warp_forwardIN3c108BFloat16EffLi7ELb1ELb0ELi32EEEvPT0_PKT_iiiPKbib.num_named_barrier, 0
	.set _ZN12_GLOBAL__N_120softmax_warp_forwardIN3c108BFloat16EffLi7ELb1ELb0ELi32EEEvPT0_PKT_iiiPKbib.private_seg_size, 0
	.set _ZN12_GLOBAL__N_120softmax_warp_forwardIN3c108BFloat16EffLi7ELb1ELb0ELi32EEEvPT0_PKT_iiiPKbib.uses_vcc, 1
	.set _ZN12_GLOBAL__N_120softmax_warp_forwardIN3c108BFloat16EffLi7ELb1ELb0ELi32EEEvPT0_PKT_iiiPKbib.uses_flat_scratch, 0
	.set _ZN12_GLOBAL__N_120softmax_warp_forwardIN3c108BFloat16EffLi7ELb1ELb0ELi32EEEvPT0_PKT_iiiPKbib.has_dyn_sized_stack, 0
	.set _ZN12_GLOBAL__N_120softmax_warp_forwardIN3c108BFloat16EffLi7ELb1ELb0ELi32EEEvPT0_PKT_iiiPKbib.has_recursion, 0
	.set _ZN12_GLOBAL__N_120softmax_warp_forwardIN3c108BFloat16EffLi7ELb1ELb0ELi32EEEvPT0_PKT_iiiPKbib.has_indirect_call, 0
	.section	.AMDGPU.csdata,"",@progbits
; Kernel info:
; codeLenInByte = 2532
; TotalNumSgprs: 18
; NumVgprs: 40
; ScratchSize: 0
; MemoryBound: 0
; FloatMode: 240
; IeeeMode: 1
; LDSByteSize: 0 bytes/workgroup (compile time only)
; SGPRBlocks: 0
; VGPRBlocks: 4
; NumSGPRsForWavesPerEU: 18
; NumVGPRsForWavesPerEU: 40
; Occupancy: 16
; WaveLimiterHint : 0
; COMPUTE_PGM_RSRC2:SCRATCH_EN: 0
; COMPUTE_PGM_RSRC2:USER_SGPR: 6
; COMPUTE_PGM_RSRC2:TRAP_HANDLER: 0
; COMPUTE_PGM_RSRC2:TGID_X_EN: 1
; COMPUTE_PGM_RSRC2:TGID_Y_EN: 0
; COMPUTE_PGM_RSRC2:TGID_Z_EN: 0
; COMPUTE_PGM_RSRC2:TIDIG_COMP_CNT: 1
	.section	.text._ZN12_GLOBAL__N_120softmax_warp_forwardIN3c108BFloat16EffLi8ELb1ELb0ELi64EEEvPT0_PKT_iiiPKbib,"axG",@progbits,_ZN12_GLOBAL__N_120softmax_warp_forwardIN3c108BFloat16EffLi8ELb1ELb0ELi64EEEvPT0_PKT_iiiPKbib,comdat
	.globl	_ZN12_GLOBAL__N_120softmax_warp_forwardIN3c108BFloat16EffLi8ELb1ELb0ELi64EEEvPT0_PKT_iiiPKbib ; -- Begin function _ZN12_GLOBAL__N_120softmax_warp_forwardIN3c108BFloat16EffLi8ELb1ELb0ELi64EEEvPT0_PKT_iiiPKbib
	.p2align	8
	.type	_ZN12_GLOBAL__N_120softmax_warp_forwardIN3c108BFloat16EffLi8ELb1ELb0ELi64EEEvPT0_PKT_iiiPKbib,@function
_ZN12_GLOBAL__N_120softmax_warp_forwardIN3c108BFloat16EffLi8ELb1ELb0ELi64EEEvPT0_PKT_iiiPKbib: ; @_ZN12_GLOBAL__N_120softmax_warp_forwardIN3c108BFloat16EffLi8ELb1ELb0ELi64EEEvPT0_PKT_iiiPKbib
; %bb.0:
	s_clause 0x1
	s_load_dword s0, s[4:5], 0x3c
	s_load_dwordx8 s[8:15], s[4:5], 0x0
	v_mov_b32_e32 v6, 0xff800000
	v_mov_b32_e32 v8, 0xff800000
	s_waitcnt lgkmcnt(0)
	s_lshr_b32 s0, s0, 16
	v_cmp_gt_i32_e64 s1, s14, v0
	v_mad_u64_u32 v[3:4], null, s6, s0, v[1:2]
	v_mad_u64_u32 v[1:2], null, v3, s13, v[0:1]
	v_sub_nc_u32_e32 v5, s12, v3
	v_cmp_lt_i32_e64 s3, 0, v5
	v_ashrrev_i32_e32 v2, 31, v1
	s_and_b32 s2, s3, s1
	v_lshlrev_b64 v[3:4], 1, v[1:2]
	v_add_co_u32 v3, vcc_lo, s10, v3
	v_add_co_ci_u32_e64 v4, null, s11, v4, vcc_lo
	s_and_saveexec_b32 s0, s2
	s_cbranch_execz .LBB182_2
; %bb.1:
	global_load_ushort v7, v[3:4], off
	s_waitcnt vmcnt(0)
	v_lshlrev_b32_e32 v8, 16, v7
.LBB182_2:
	s_or_b32 exec_lo, exec_lo, s0
	v_add_nc_u32_e32 v7, 64, v0
	v_cmp_gt_i32_e32 vcc_lo, s14, v7
	s_and_b32 s2, s3, vcc_lo
	s_and_saveexec_b32 s0, s2
	s_cbranch_execz .LBB182_4
; %bb.3:
	global_load_ushort v6, v[3:4], off offset:128
	s_waitcnt vmcnt(0)
	v_lshlrev_b32_e32 v6, 16, v6
.LBB182_4:
	s_or_b32 exec_lo, exec_lo, s0
	v_add_nc_u32_e32 v7, 0x80, v0
	v_mov_b32_e32 v9, 0xff800000
	v_cmp_gt_i32_e64 s0, s14, v7
	v_mov_b32_e32 v7, 0xff800000
	s_and_b32 s4, s3, s0
	s_and_saveexec_b32 s2, s4
	s_cbranch_execz .LBB182_6
; %bb.5:
	global_load_ushort v9, v[3:4], off offset:256
	s_waitcnt vmcnt(0)
	v_lshlrev_b32_e32 v9, 16, v9
.LBB182_6:
	s_or_b32 exec_lo, exec_lo, s2
	v_add_nc_u32_e32 v0, 0xc0, v0
	v_cmp_gt_i32_e64 s2, s14, v0
	s_and_b32 s4, s3, s2
	s_and_saveexec_b32 s3, s4
	s_cbranch_execz .LBB182_8
; %bb.7:
	global_load_ushort v0, v[3:4], off offset:384
	s_waitcnt vmcnt(0)
	v_lshlrev_b32_e32 v7, 16, v0
.LBB182_8:
	s_or_b32 exec_lo, exec_lo, s3
	v_cmp_gt_f32_e64 s3, v8, v6
	v_mbcnt_lo_u32_b32 v0, -1, 0
	s_mov_b32 s4, exec_lo
	v_cndmask_b32_e64 v3, v6, v8, s3
	v_or_b32_e32 v4, 32, v0
	v_xor_b32_e32 v11, 16, v0
	v_xor_b32_e32 v12, 8, v0
	;; [unrolled: 1-line block ×3, first 2 shown]
	v_cmp_gt_f32_e64 s3, v3, v9
	v_xor_b32_e32 v14, 2, v0
	v_xor_b32_e32 v15, 1, v0
	v_cndmask_b32_e64 v3, v9, v3, s3
	v_cmp_gt_i32_e64 s3, 64, v4
	v_cndmask_b32_e64 v4, v0, v4, s3
	v_cmp_gt_f32_e64 s3, v3, v7
	v_lshlrev_b32_e32 v10, 2, v4
	v_cndmask_b32_e64 v3, v7, v3, s3
	v_cmp_gt_i32_e64 s3, 64, v11
	ds_bpermute_b32 v4, v10, v3
	v_cndmask_b32_e64 v11, v0, v11, s3
	v_lshlrev_b32_e32 v11, 2, v11
	s_waitcnt lgkmcnt(0)
	v_cmp_lt_f32_e64 s3, v3, v4
	v_cndmask_b32_e64 v3, v3, v4, s3
	v_cmp_gt_i32_e64 s3, 64, v12
	ds_bpermute_b32 v4, v11, v3
	v_cndmask_b32_e64 v12, v0, v12, s3
	v_lshlrev_b32_e32 v12, 2, v12
	s_waitcnt lgkmcnt(0)
	v_cmp_lt_f32_e64 s3, v3, v4
	;; [unrolled: 7-line block ×5, first 2 shown]
	v_cndmask_b32_e64 v0, v3, v4, s3
	ds_bpermute_b32 v3, v15, v0
	s_waitcnt lgkmcnt(0)
	v_cmp_lt_f32_e64 s3, v0, v3
	v_cndmask_b32_e64 v0, v0, v3, s3
	v_sub_f32_e32 v3, v8, v0
	v_sub_f32_e32 v4, v6, v0
	;; [unrolled: 1-line block ×4, first 2 shown]
	v_mul_f32_e32 v0, 0x3fb8aa3b, v3
	v_mul_f32_e32 v8, 0x3fb8aa3b, v4
	;; [unrolled: 1-line block ×4, first 2 shown]
	v_cmp_ngt_f32_e64 s3, 0xc2ce8ed0, v3
	v_fma_f32 v17, 0x3fb8aa3b, v3, -v0
	v_rndne_f32_e32 v18, v0
	v_fma_f32 v19, 0x3fb8aa3b, v4, -v8
	v_rndne_f32_e32 v20, v8
	v_fma_f32 v21, 0x3fb8aa3b, v6, -v9
	v_fmac_f32_e32 v17, 0x32a5705f, v3
	v_sub_f32_e32 v0, v0, v18
	v_rndne_f32_e32 v22, v9
	v_fmac_f32_e32 v19, 0x32a5705f, v4
	v_sub_f32_e32 v8, v8, v20
	v_fmac_f32_e32 v21, 0x32a5705f, v6
	v_add_f32_e32 v0, v0, v17
	v_sub_f32_e32 v9, v9, v22
	v_cvt_i32_f32_e32 v18, v18
	v_add_f32_e32 v8, v8, v19
	v_cvt_i32_f32_e32 v19, v20
	v_exp_f32_e32 v0, v0
	v_add_f32_e32 v9, v9, v21
	v_fma_f32 v23, 0x3fb8aa3b, v7, -v16
	v_exp_f32_e32 v8, v8
	v_rndne_f32_e32 v17, v16
	v_cvt_i32_f32_e32 v20, v22
	v_exp_f32_e32 v9, v9
	v_fmac_f32_e32 v23, 0x32a5705f, v7
	v_sub_f32_e32 v16, v16, v17
	v_ldexp_f32 v0, v0, v18
	v_cvt_i32_f32_e32 v17, v17
	v_ldexp_f32 v8, v8, v19
	v_add_f32_e32 v16, v16, v23
	v_cndmask_b32_e64 v0, 0, v0, s3
	v_cmp_ngt_f32_e64 s3, 0xc2ce8ed0, v4
	v_ldexp_f32 v9, v9, v20
	v_exp_f32_e32 v16, v16
	v_cndmask_b32_e64 v8, 0, v8, s3
	v_cmp_ngt_f32_e64 s3, 0xc2ce8ed0, v6
	v_cndmask_b32_e64 v9, 0, v9, s3
	v_cmp_nlt_f32_e64 s3, 0x42b17218, v3
	v_ldexp_f32 v16, v16, v17
	v_cndmask_b32_e64 v0, 0x7f800000, v0, s3
	v_cmp_nlt_f32_e64 s3, 0x42b17218, v4
	v_cndmask_b32_e64 v8, 0x7f800000, v8, s3
	v_cmp_nlt_f32_e64 s3, 0x42b17218, v6
	v_add_f32_e32 v0, v0, v8
	v_cndmask_b32_e64 v9, 0x7f800000, v9, s3
	v_cmp_ngt_f32_e64 s3, 0xc2ce8ed0, v7
	v_add_f32_e32 v0, v0, v9
	v_cndmask_b32_e64 v8, 0, v16, s3
	v_cmp_nlt_f32_e64 s3, 0x42b17218, v7
	v_cndmask_b32_e64 v8, 0x7f800000, v8, s3
	v_add_f32_e32 v0, v0, v8
	ds_bpermute_b32 v8, v10, v0
	s_waitcnt lgkmcnt(0)
	v_add_f32_e32 v0, v0, v8
	ds_bpermute_b32 v8, v11, v0
	s_waitcnt lgkmcnt(0)
	;; [unrolled: 3-line block ×5, first 2 shown]
	v_add_f32_e32 v0, v0, v8
	ds_bpermute_b32 v8, v15, v0
	v_cmpx_lt_i32_e32 0, v5
	s_cbranch_execz .LBB182_14
; %bb.9:
	s_and_b32 exec_lo, exec_lo, s1
	s_cbranch_execz .LBB182_14
; %bb.10:
	s_waitcnt lgkmcnt(0)
	v_add_f32_e32 v0, v0, v8
	v_cmp_gt_f32_e64 s1, 0x800000, v0
	v_cndmask_b32_e64 v5, 0, 32, s1
	v_cndmask_b32_e64 v8, 0, 0x41b17218, s1
	v_ldexp_f32 v0, v0, v5
	v_log_f32_e32 v0, v0
	v_mul_f32_e32 v5, 0x3f317217, v0
	v_cmp_gt_f32_e64 s3, 0x7f800000, |v0|
	v_fma_f32 v5, 0x3f317217, v0, -v5
	v_fmamk_f32 v5, v0, 0x3377d1cf, v5
	v_fmac_f32_e32 v5, 0x3f317217, v0
	v_cndmask_b32_e64 v5, v0, v5, s3
	v_lshlrev_b64 v[0:1], 2, v[1:2]
	v_sub_f32_e32 v2, v5, v8
	v_add_co_u32 v0, s1, s8, v0
	v_add_co_ci_u32_e64 v1, null, s9, v1, s1
	v_sub_f32_e32 v3, v3, v2
	global_store_dword v[0:1], v3, off
	s_and_b32 exec_lo, exec_lo, vcc_lo
	s_cbranch_execz .LBB182_14
; %bb.11:
	v_sub_f32_e32 v3, v4, v2
	global_store_dword v[0:1], v3, off offset:256
	s_and_b32 exec_lo, exec_lo, s0
	s_cbranch_execz .LBB182_14
; %bb.12:
	v_sub_f32_e32 v3, v6, v2
	global_store_dword v[0:1], v3, off offset:512
	s_and_b32 exec_lo, exec_lo, s2
	s_cbranch_execz .LBB182_14
; %bb.13:
	v_sub_f32_e32 v2, v7, v2
	global_store_dword v[0:1], v2, off offset:768
.LBB182_14:
	s_endpgm
	.section	.rodata,"a",@progbits
	.p2align	6, 0x0
	.amdhsa_kernel _ZN12_GLOBAL__N_120softmax_warp_forwardIN3c108BFloat16EffLi8ELb1ELb0ELi64EEEvPT0_PKT_iiiPKbib
		.amdhsa_group_segment_fixed_size 0
		.amdhsa_private_segment_fixed_size 0
		.amdhsa_kernarg_size 304
		.amdhsa_user_sgpr_count 6
		.amdhsa_user_sgpr_private_segment_buffer 1
		.amdhsa_user_sgpr_dispatch_ptr 0
		.amdhsa_user_sgpr_queue_ptr 0
		.amdhsa_user_sgpr_kernarg_segment_ptr 1
		.amdhsa_user_sgpr_dispatch_id 0
		.amdhsa_user_sgpr_flat_scratch_init 0
		.amdhsa_user_sgpr_private_segment_size 0
		.amdhsa_wavefront_size32 1
		.amdhsa_uses_dynamic_stack 0
		.amdhsa_system_sgpr_private_segment_wavefront_offset 0
		.amdhsa_system_sgpr_workgroup_id_x 1
		.amdhsa_system_sgpr_workgroup_id_y 0
		.amdhsa_system_sgpr_workgroup_id_z 0
		.amdhsa_system_sgpr_workgroup_info 0
		.amdhsa_system_vgpr_workitem_id 1
		.amdhsa_next_free_vgpr 24
		.amdhsa_next_free_sgpr 16
		.amdhsa_reserve_vcc 1
		.amdhsa_reserve_flat_scratch 0
		.amdhsa_float_round_mode_32 0
		.amdhsa_float_round_mode_16_64 0
		.amdhsa_float_denorm_mode_32 3
		.amdhsa_float_denorm_mode_16_64 3
		.amdhsa_dx10_clamp 1
		.amdhsa_ieee_mode 1
		.amdhsa_fp16_overflow 0
		.amdhsa_workgroup_processor_mode 1
		.amdhsa_memory_ordered 1
		.amdhsa_forward_progress 1
		.amdhsa_shared_vgpr_count 0
		.amdhsa_exception_fp_ieee_invalid_op 0
		.amdhsa_exception_fp_denorm_src 0
		.amdhsa_exception_fp_ieee_div_zero 0
		.amdhsa_exception_fp_ieee_overflow 0
		.amdhsa_exception_fp_ieee_underflow 0
		.amdhsa_exception_fp_ieee_inexact 0
		.amdhsa_exception_int_div_zero 0
	.end_amdhsa_kernel
	.section	.text._ZN12_GLOBAL__N_120softmax_warp_forwardIN3c108BFloat16EffLi8ELb1ELb0ELi64EEEvPT0_PKT_iiiPKbib,"axG",@progbits,_ZN12_GLOBAL__N_120softmax_warp_forwardIN3c108BFloat16EffLi8ELb1ELb0ELi64EEEvPT0_PKT_iiiPKbib,comdat
.Lfunc_end182:
	.size	_ZN12_GLOBAL__N_120softmax_warp_forwardIN3c108BFloat16EffLi8ELb1ELb0ELi64EEEvPT0_PKT_iiiPKbib, .Lfunc_end182-_ZN12_GLOBAL__N_120softmax_warp_forwardIN3c108BFloat16EffLi8ELb1ELb0ELi64EEEvPT0_PKT_iiiPKbib
                                        ; -- End function
	.set _ZN12_GLOBAL__N_120softmax_warp_forwardIN3c108BFloat16EffLi8ELb1ELb0ELi64EEEvPT0_PKT_iiiPKbib.num_vgpr, 24
	.set _ZN12_GLOBAL__N_120softmax_warp_forwardIN3c108BFloat16EffLi8ELb1ELb0ELi64EEEvPT0_PKT_iiiPKbib.num_agpr, 0
	.set _ZN12_GLOBAL__N_120softmax_warp_forwardIN3c108BFloat16EffLi8ELb1ELb0ELi64EEEvPT0_PKT_iiiPKbib.numbered_sgpr, 16
	.set _ZN12_GLOBAL__N_120softmax_warp_forwardIN3c108BFloat16EffLi8ELb1ELb0ELi64EEEvPT0_PKT_iiiPKbib.num_named_barrier, 0
	.set _ZN12_GLOBAL__N_120softmax_warp_forwardIN3c108BFloat16EffLi8ELb1ELb0ELi64EEEvPT0_PKT_iiiPKbib.private_seg_size, 0
	.set _ZN12_GLOBAL__N_120softmax_warp_forwardIN3c108BFloat16EffLi8ELb1ELb0ELi64EEEvPT0_PKT_iiiPKbib.uses_vcc, 1
	.set _ZN12_GLOBAL__N_120softmax_warp_forwardIN3c108BFloat16EffLi8ELb1ELb0ELi64EEEvPT0_PKT_iiiPKbib.uses_flat_scratch, 0
	.set _ZN12_GLOBAL__N_120softmax_warp_forwardIN3c108BFloat16EffLi8ELb1ELb0ELi64EEEvPT0_PKT_iiiPKbib.has_dyn_sized_stack, 0
	.set _ZN12_GLOBAL__N_120softmax_warp_forwardIN3c108BFloat16EffLi8ELb1ELb0ELi64EEEvPT0_PKT_iiiPKbib.has_recursion, 0
	.set _ZN12_GLOBAL__N_120softmax_warp_forwardIN3c108BFloat16EffLi8ELb1ELb0ELi64EEEvPT0_PKT_iiiPKbib.has_indirect_call, 0
	.section	.AMDGPU.csdata,"",@progbits
; Kernel info:
; codeLenInByte = 1408
; TotalNumSgprs: 18
; NumVgprs: 24
; ScratchSize: 0
; MemoryBound: 0
; FloatMode: 240
; IeeeMode: 1
; LDSByteSize: 0 bytes/workgroup (compile time only)
; SGPRBlocks: 0
; VGPRBlocks: 2
; NumSGPRsForWavesPerEU: 18
; NumVGPRsForWavesPerEU: 24
; Occupancy: 16
; WaveLimiterHint : 0
; COMPUTE_PGM_RSRC2:SCRATCH_EN: 0
; COMPUTE_PGM_RSRC2:USER_SGPR: 6
; COMPUTE_PGM_RSRC2:TRAP_HANDLER: 0
; COMPUTE_PGM_RSRC2:TGID_X_EN: 1
; COMPUTE_PGM_RSRC2:TGID_Y_EN: 0
; COMPUTE_PGM_RSRC2:TGID_Z_EN: 0
; COMPUTE_PGM_RSRC2:TIDIG_COMP_CNT: 1
	.section	.text._ZN12_GLOBAL__N_120softmax_warp_forwardIN3c108BFloat16EffLi8ELb1ELb0ELi32EEEvPT0_PKT_iiiPKbib,"axG",@progbits,_ZN12_GLOBAL__N_120softmax_warp_forwardIN3c108BFloat16EffLi8ELb1ELb0ELi32EEEvPT0_PKT_iiiPKbib,comdat
	.globl	_ZN12_GLOBAL__N_120softmax_warp_forwardIN3c108BFloat16EffLi8ELb1ELb0ELi32EEEvPT0_PKT_iiiPKbib ; -- Begin function _ZN12_GLOBAL__N_120softmax_warp_forwardIN3c108BFloat16EffLi8ELb1ELb0ELi32EEEvPT0_PKT_iiiPKbib
	.p2align	8
	.type	_ZN12_GLOBAL__N_120softmax_warp_forwardIN3c108BFloat16EffLi8ELb1ELb0ELi32EEEvPT0_PKT_iiiPKbib,@function
_ZN12_GLOBAL__N_120softmax_warp_forwardIN3c108BFloat16EffLi8ELb1ELb0ELi32EEEvPT0_PKT_iiiPKbib: ; @_ZN12_GLOBAL__N_120softmax_warp_forwardIN3c108BFloat16EffLi8ELb1ELb0ELi32EEEvPT0_PKT_iiiPKbib
; %bb.0:
	s_clause 0x1
	s_load_dword s0, s[4:5], 0x3c
	s_load_dwordx8 s[8:15], s[4:5], 0x0
	v_mov_b32_e32 v7, 0xff800000
	v_mov_b32_e32 v9, 0xff800000
	s_waitcnt lgkmcnt(0)
	s_lshr_b32 s0, s0, 16
	v_cmp_gt_i32_e64 s1, s14, v0
	v_mad_u64_u32 v[3:4], null, s6, s0, v[1:2]
	v_mad_u64_u32 v[1:2], null, v3, s13, v[0:1]
	v_sub_nc_u32_e32 v5, s12, v3
	v_cmp_lt_i32_e64 s7, 0, v5
	v_ashrrev_i32_e32 v2, 31, v1
	s_and_b32 s2, s7, s1
	v_lshlrev_b64 v[3:4], 1, v[1:2]
	v_add_co_u32 v3, vcc_lo, s10, v3
	v_add_co_ci_u32_e64 v4, null, s11, v4, vcc_lo
	s_and_saveexec_b32 s0, s2
	s_cbranch_execz .LBB183_2
; %bb.1:
	global_load_ushort v6, v[3:4], off
	s_waitcnt vmcnt(0)
	v_lshlrev_b32_e32 v9, 16, v6
.LBB183_2:
	s_or_b32 exec_lo, exec_lo, s0
	v_add_nc_u32_e32 v6, 32, v0
	v_cmp_gt_i32_e32 vcc_lo, s14, v6
	s_and_b32 s2, s7, vcc_lo
	s_and_saveexec_b32 s0, s2
	s_cbranch_execz .LBB183_4
; %bb.3:
	global_load_ushort v6, v[3:4], off offset:64
	s_waitcnt vmcnt(0)
	v_lshlrev_b32_e32 v7, 16, v6
.LBB183_4:
	s_or_b32 exec_lo, exec_lo, s0
	v_add_nc_u32_e32 v6, 64, v0
	v_mov_b32_e32 v8, 0xff800000
	v_mov_b32_e32 v11, 0xff800000
	v_cmp_gt_i32_e64 s0, s14, v6
	s_and_b32 s3, s7, s0
	s_and_saveexec_b32 s2, s3
	s_cbranch_execz .LBB183_6
; %bb.5:
	global_load_ushort v6, v[3:4], off offset:128
	s_waitcnt vmcnt(0)
	v_lshlrev_b32_e32 v11, 16, v6
.LBB183_6:
	s_or_b32 exec_lo, exec_lo, s2
	v_add_nc_u32_e32 v6, 0x60, v0
	v_cmp_gt_i32_e64 s2, s14, v6
	s_and_b32 s4, s7, s2
	s_and_saveexec_b32 s3, s4
	s_cbranch_execz .LBB183_8
; %bb.7:
	global_load_ushort v6, v[3:4], off offset:192
	s_waitcnt vmcnt(0)
	v_lshlrev_b32_e32 v8, 16, v6
.LBB183_8:
	s_or_b32 exec_lo, exec_lo, s3
	v_add_nc_u32_e32 v6, 0x80, v0
	v_mov_b32_e32 v10, 0xff800000
	v_mov_b32_e32 v13, 0xff800000
	v_cmp_gt_i32_e64 s3, s14, v6
	s_and_b32 s5, s7, s3
	s_and_saveexec_b32 s4, s5
	s_cbranch_execz .LBB183_10
; %bb.9:
	global_load_ushort v6, v[3:4], off offset:256
	s_waitcnt vmcnt(0)
	v_lshlrev_b32_e32 v13, 16, v6
.LBB183_10:
	s_or_b32 exec_lo, exec_lo, s4
	v_add_nc_u32_e32 v6, 0xa0, v0
	v_cmp_gt_i32_e64 s4, s14, v6
	s_and_b32 s6, s7, s4
	;; [unrolled: 24-line block ×3, first 2 shown]
	s_and_saveexec_b32 s7, s10
	s_cbranch_execz .LBB183_16
; %bb.15:
	global_load_ushort v0, v[3:4], off offset:448
	s_waitcnt vmcnt(0)
	v_lshlrev_b32_e32 v12, 16, v0
.LBB183_16:
	s_or_b32 exec_lo, exec_lo, s7
	v_cmp_gt_f32_e64 s7, v9, v7
	v_mbcnt_lo_u32_b32 v3, -1, 0
	s_mov_b32 s10, exec_lo
	v_cndmask_b32_e64 v0, v7, v9, s7
	v_xor_b32_e32 v4, 16, v3
	v_xor_b32_e32 v16, 4, v3
	;; [unrolled: 1-line block ×4, first 2 shown]
	v_cmp_gt_f32_e64 s7, v0, v11
	v_cndmask_b32_e64 v0, v11, v0, s7
	v_cmp_gt_f32_e64 s7, v0, v8
	v_cndmask_b32_e64 v0, v8, v0, s7
	;; [unrolled: 2-line block ×4, first 2 shown]
	v_cmp_gt_i32_e64 s7, 32, v4
	v_cndmask_b32_e64 v4, v3, v4, s7
	v_cmp_gt_f32_e64 s7, v0, v14
	v_cndmask_b32_e64 v6, v14, v0, s7
	v_lshlrev_b32_e32 v0, 2, v4
	v_cmp_gt_f32_e64 s7, v6, v12
	v_cndmask_b32_e64 v4, v12, v6, s7
	v_xor_b32_e32 v6, 8, v3
	ds_bpermute_b32 v15, v0, v4
	v_cmp_gt_i32_e64 s7, 32, v6
	v_cndmask_b32_e64 v6, v3, v6, s7
	v_lshlrev_b32_e32 v6, 2, v6
	s_waitcnt lgkmcnt(0)
	v_cmp_lt_f32_e64 s7, v4, v15
	v_cndmask_b32_e64 v4, v4, v15, s7
	v_cmp_gt_i32_e64 s7, 32, v16
	ds_bpermute_b32 v15, v6, v4
	v_cndmask_b32_e64 v16, v3, v16, s7
	v_lshlrev_b32_e32 v16, 2, v16
	s_waitcnt lgkmcnt(0)
	v_cmp_lt_f32_e64 s7, v4, v15
	v_cndmask_b32_e64 v4, v4, v15, s7
	v_cmp_gt_i32_e64 s7, 32, v17
	ds_bpermute_b32 v15, v16, v4
	;; [unrolled: 7-line block ×3, first 2 shown]
	v_cndmask_b32_e64 v3, v3, v18, s7
	v_lshlrev_b32_e32 v18, 2, v3
	s_waitcnt lgkmcnt(0)
	v_cmp_lt_f32_e64 s7, v4, v15
	v_cndmask_b32_e64 v3, v4, v15, s7
	ds_bpermute_b32 v4, v18, v3
	s_waitcnt lgkmcnt(0)
	v_cmp_lt_f32_e64 s7, v3, v4
	v_cndmask_b32_e64 v15, v3, v4, s7
	v_sub_f32_e32 v3, v9, v15
	v_sub_f32_e32 v4, v7, v15
	;; [unrolled: 1-line block ×5, first 2 shown]
	v_mul_f32_e32 v13, 0x3fb8aa3b, v3
	v_mul_f32_e32 v14, 0x3fb8aa3b, v4
	v_sub_f32_e32 v8, v8, v15
	v_sub_f32_e32 v10, v10, v15
	;; [unrolled: 1-line block ×3, first 2 shown]
	v_fma_f32 v24, 0x3fb8aa3b, v3, -v13
	v_rndne_f32_e32 v25, v13
	v_mul_f32_e32 v15, 0x3fb8aa3b, v7
	v_fma_f32 v26, 0x3fb8aa3b, v4, -v14
	v_rndne_f32_e32 v27, v14
	v_fmac_f32_e32 v24, 0x32a5705f, v3
	v_sub_f32_e32 v13, v13, v25
	v_fma_f32 v28, 0x3fb8aa3b, v7, -v15
	v_rndne_f32_e32 v29, v15
	v_fmac_f32_e32 v26, 0x32a5705f, v4
	v_sub_f32_e32 v14, v14, v27
	v_add_f32_e32 v13, v13, v24
	v_fmac_f32_e32 v28, 0x32a5705f, v7
	v_sub_f32_e32 v15, v15, v29
	v_mul_f32_e32 v19, 0x3fb8aa3b, v8
	v_add_f32_e32 v14, v14, v26
	v_exp_f32_e32 v13, v13
	v_cvt_i32_f32_e32 v25, v25
	v_add_f32_e32 v15, v15, v28
	v_fma_f32 v30, 0x3fb8aa3b, v8, -v19
	v_exp_f32_e32 v14, v14
	v_rndne_f32_e32 v31, v19
	v_cvt_i32_f32_e32 v27, v27
	v_exp_f32_e32 v15, v15
	v_cmp_ngt_f32_e64 s7, 0xc2ce8ed0, v3
	v_mul_f32_e32 v20, 0x3fb8aa3b, v9
	v_ldexp_f32 v13, v13, v25
	v_cvt_i32_f32_e32 v29, v29
	v_fmac_f32_e32 v30, 0x32a5705f, v8
	v_sub_f32_e32 v19, v19, v31
	v_ldexp_f32 v14, v14, v27
	v_cndmask_b32_e64 v13, 0, v13, s7
	v_cmp_ngt_f32_e64 s7, 0xc2ce8ed0, v4
	v_fma_f32 v32, 0x3fb8aa3b, v9, -v20
	v_rndne_f32_e32 v33, v20
	v_add_f32_e32 v19, v19, v30
	v_ldexp_f32 v15, v15, v29
	v_cndmask_b32_e64 v14, 0, v14, s7
	v_cmp_ngt_f32_e64 s7, 0xc2ce8ed0, v7
	v_mul_f32_e32 v21, 0x3fb8aa3b, v10
	v_fmac_f32_e32 v32, 0x32a5705f, v9
	v_sub_f32_e32 v20, v20, v33
	v_exp_f32_e32 v19, v19
	v_cndmask_b32_e64 v15, 0, v15, s7
	v_cmp_nlt_f32_e64 s7, 0x42b17218, v3
	v_fma_f32 v34, 0x3fb8aa3b, v10, -v21
	v_rndne_f32_e32 v35, v21
	v_cvt_i32_f32_e32 v31, v31
	v_add_f32_e32 v20, v20, v32
	v_cndmask_b32_e64 v13, 0x7f800000, v13, s7
	v_cmp_nlt_f32_e64 s7, 0x42b17218, v4
	v_mul_f32_e32 v22, 0x3fb8aa3b, v11
	v_fmac_f32_e32 v34, 0x32a5705f, v10
	v_sub_f32_e32 v21, v21, v35
	v_exp_f32_e32 v20, v20
	v_ldexp_f32 v19, v19, v31
	v_cndmask_b32_e64 v14, 0x7f800000, v14, s7
	v_cmp_ngt_f32_e64 s7, 0xc2ce8ed0, v8
	v_fma_f32 v36, 0x3fb8aa3b, v11, -v22
	v_rndne_f32_e32 v37, v22
	v_cvt_i32_f32_e32 v33, v33
	v_add_f32_e32 v21, v21, v34
	v_cndmask_b32_e64 v19, 0, v19, s7
	v_cmp_nlt_f32_e64 s7, 0x42b17218, v7
	v_fmac_f32_e32 v36, 0x32a5705f, v11
	v_sub_f32_e32 v22, v22, v37
	v_exp_f32_e32 v21, v21
	v_ldexp_f32 v20, v20, v33
	v_cndmask_b32_e64 v15, 0x7f800000, v15, s7
	v_cmp_ngt_f32_e64 s7, 0xc2ce8ed0, v9
	v_mul_f32_e32 v23, 0x3fb8aa3b, v12
	v_cvt_i32_f32_e32 v35, v35
	v_add_f32_e32 v22, v22, v36
	v_add_f32_e32 v13, v13, v14
	v_cndmask_b32_e64 v14, 0, v20, s7
	v_cmp_nlt_f32_e64 s7, 0x42b17218, v8
	v_fma_f32 v38, 0x3fb8aa3b, v12, -v23
	v_rndne_f32_e32 v39, v23
	v_exp_f32_e32 v22, v22
	v_ldexp_f32 v21, v21, v35
	v_cndmask_b32_e64 v19, 0x7f800000, v19, s7
	v_cmp_ngt_f32_e64 s7, 0xc2ce8ed0, v10
	v_fmac_f32_e32 v38, 0x32a5705f, v12
	v_sub_f32_e32 v23, v23, v39
	v_cvt_i32_f32_e32 v24, v37
	v_add_f32_e32 v13, v13, v15
	v_cndmask_b32_e64 v15, 0, v21, s7
	v_cmp_nlt_f32_e64 s7, 0x42b17218, v9
	v_add_f32_e32 v23, v23, v38
	v_ldexp_f32 v22, v22, v24
	v_add_f32_e32 v13, v13, v19
	v_cvt_i32_f32_e32 v26, v39
	v_cndmask_b32_e64 v14, 0x7f800000, v14, s7
	v_cmp_ngt_f32_e64 s7, 0xc2ce8ed0, v11
	v_exp_f32_e32 v23, v23
	v_add_f32_e32 v13, v13, v14
	v_cndmask_b32_e64 v19, 0, v22, s7
	v_cmp_nlt_f32_e64 s7, 0x42b17218, v10
	v_cndmask_b32_e64 v15, 0x7f800000, v15, s7
	v_cmp_nlt_f32_e64 s7, 0x42b17218, v11
	v_ldexp_f32 v14, v23, v26
	v_add_f32_e32 v13, v13, v15
	v_cndmask_b32_e64 v19, 0x7f800000, v19, s7
	v_cmp_ngt_f32_e64 s7, 0xc2ce8ed0, v12
	v_add_f32_e32 v13, v13, v19
	v_cndmask_b32_e64 v14, 0, v14, s7
	v_cmp_nlt_f32_e64 s7, 0x42b17218, v12
	v_cndmask_b32_e64 v14, 0x7f800000, v14, s7
	v_add_f32_e32 v13, v13, v14
	ds_bpermute_b32 v0, v0, v13
	s_waitcnt lgkmcnt(0)
	v_add_f32_e32 v0, v13, v0
	ds_bpermute_b32 v6, v6, v0
	s_waitcnt lgkmcnt(0)
	;; [unrolled: 3-line block ×4, first 2 shown]
	v_add_f32_e32 v0, v0, v6
	ds_bpermute_b32 v6, v18, v0
	v_cmpx_lt_i32_e32 0, v5
	s_cbranch_execz .LBB183_26
; %bb.17:
	s_and_b32 exec_lo, exec_lo, s1
	s_cbranch_execz .LBB183_26
; %bb.18:
	s_waitcnt lgkmcnt(0)
	v_add_f32_e32 v0, v0, v6
	v_cmp_gt_f32_e64 s1, 0x800000, v0
	v_cndmask_b32_e64 v5, 0, 32, s1
	v_cndmask_b32_e64 v6, 0, 0x41b17218, s1
	v_ldexp_f32 v0, v0, v5
	v_log_f32_e32 v0, v0
	v_mul_f32_e32 v5, 0x3f317217, v0
	v_cmp_gt_f32_e64 s7, 0x7f800000, |v0|
	v_fma_f32 v5, 0x3f317217, v0, -v5
	v_fmamk_f32 v5, v0, 0x3377d1cf, v5
	v_fmac_f32_e32 v5, 0x3f317217, v0
	v_cndmask_b32_e64 v5, v0, v5, s7
	v_lshlrev_b64 v[0:1], 2, v[1:2]
	v_sub_f32_e32 v2, v5, v6
	v_add_co_u32 v0, s1, s8, v0
	v_add_co_ci_u32_e64 v1, null, s9, v1, s1
	v_sub_f32_e32 v3, v3, v2
	global_store_dword v[0:1], v3, off
	s_and_b32 exec_lo, exec_lo, vcc_lo
	s_cbranch_execz .LBB183_26
; %bb.19:
	v_sub_f32_e32 v3, v4, v2
	global_store_dword v[0:1], v3, off offset:128
	s_and_b32 exec_lo, exec_lo, s0
	s_cbranch_execz .LBB183_26
; %bb.20:
	v_sub_f32_e32 v3, v7, v2
	global_store_dword v[0:1], v3, off offset:256
	s_and_b32 exec_lo, exec_lo, s2
	;; [unrolled: 5-line block ×6, first 2 shown]
	s_cbranch_execz .LBB183_26
; %bb.25:
	v_sub_f32_e32 v2, v12, v2
	global_store_dword v[0:1], v2, off offset:896
.LBB183_26:
	s_endpgm
	.section	.rodata,"a",@progbits
	.p2align	6, 0x0
	.amdhsa_kernel _ZN12_GLOBAL__N_120softmax_warp_forwardIN3c108BFloat16EffLi8ELb1ELb0ELi32EEEvPT0_PKT_iiiPKbib
		.amdhsa_group_segment_fixed_size 0
		.amdhsa_private_segment_fixed_size 0
		.amdhsa_kernarg_size 304
		.amdhsa_user_sgpr_count 6
		.amdhsa_user_sgpr_private_segment_buffer 1
		.amdhsa_user_sgpr_dispatch_ptr 0
		.amdhsa_user_sgpr_queue_ptr 0
		.amdhsa_user_sgpr_kernarg_segment_ptr 1
		.amdhsa_user_sgpr_dispatch_id 0
		.amdhsa_user_sgpr_flat_scratch_init 0
		.amdhsa_user_sgpr_private_segment_size 0
		.amdhsa_wavefront_size32 1
		.amdhsa_uses_dynamic_stack 0
		.amdhsa_system_sgpr_private_segment_wavefront_offset 0
		.amdhsa_system_sgpr_workgroup_id_x 1
		.amdhsa_system_sgpr_workgroup_id_y 0
		.amdhsa_system_sgpr_workgroup_id_z 0
		.amdhsa_system_sgpr_workgroup_info 0
		.amdhsa_system_vgpr_workitem_id 1
		.amdhsa_next_free_vgpr 40
		.amdhsa_next_free_sgpr 16
		.amdhsa_reserve_vcc 1
		.amdhsa_reserve_flat_scratch 0
		.amdhsa_float_round_mode_32 0
		.amdhsa_float_round_mode_16_64 0
		.amdhsa_float_denorm_mode_32 3
		.amdhsa_float_denorm_mode_16_64 3
		.amdhsa_dx10_clamp 1
		.amdhsa_ieee_mode 1
		.amdhsa_fp16_overflow 0
		.amdhsa_workgroup_processor_mode 1
		.amdhsa_memory_ordered 1
		.amdhsa_forward_progress 1
		.amdhsa_shared_vgpr_count 0
		.amdhsa_exception_fp_ieee_invalid_op 0
		.amdhsa_exception_fp_denorm_src 0
		.amdhsa_exception_fp_ieee_div_zero 0
		.amdhsa_exception_fp_ieee_overflow 0
		.amdhsa_exception_fp_ieee_underflow 0
		.amdhsa_exception_fp_ieee_inexact 0
		.amdhsa_exception_int_div_zero 0
	.end_amdhsa_kernel
	.section	.text._ZN12_GLOBAL__N_120softmax_warp_forwardIN3c108BFloat16EffLi8ELb1ELb0ELi32EEEvPT0_PKT_iiiPKbib,"axG",@progbits,_ZN12_GLOBAL__N_120softmax_warp_forwardIN3c108BFloat16EffLi8ELb1ELb0ELi32EEEvPT0_PKT_iiiPKbib,comdat
.Lfunc_end183:
	.size	_ZN12_GLOBAL__N_120softmax_warp_forwardIN3c108BFloat16EffLi8ELb1ELb0ELi32EEEvPT0_PKT_iiiPKbib, .Lfunc_end183-_ZN12_GLOBAL__N_120softmax_warp_forwardIN3c108BFloat16EffLi8ELb1ELb0ELi32EEEvPT0_PKT_iiiPKbib
                                        ; -- End function
	.set _ZN12_GLOBAL__N_120softmax_warp_forwardIN3c108BFloat16EffLi8ELb1ELb0ELi32EEEvPT0_PKT_iiiPKbib.num_vgpr, 40
	.set _ZN12_GLOBAL__N_120softmax_warp_forwardIN3c108BFloat16EffLi8ELb1ELb0ELi32EEEvPT0_PKT_iiiPKbib.num_agpr, 0
	.set _ZN12_GLOBAL__N_120softmax_warp_forwardIN3c108BFloat16EffLi8ELb1ELb0ELi32EEEvPT0_PKT_iiiPKbib.numbered_sgpr, 16
	.set _ZN12_GLOBAL__N_120softmax_warp_forwardIN3c108BFloat16EffLi8ELb1ELb0ELi32EEEvPT0_PKT_iiiPKbib.num_named_barrier, 0
	.set _ZN12_GLOBAL__N_120softmax_warp_forwardIN3c108BFloat16EffLi8ELb1ELb0ELi32EEEvPT0_PKT_iiiPKbib.private_seg_size, 0
	.set _ZN12_GLOBAL__N_120softmax_warp_forwardIN3c108BFloat16EffLi8ELb1ELb0ELi32EEEvPT0_PKT_iiiPKbib.uses_vcc, 1
	.set _ZN12_GLOBAL__N_120softmax_warp_forwardIN3c108BFloat16EffLi8ELb1ELb0ELi32EEEvPT0_PKT_iiiPKbib.uses_flat_scratch, 0
	.set _ZN12_GLOBAL__N_120softmax_warp_forwardIN3c108BFloat16EffLi8ELb1ELb0ELi32EEEvPT0_PKT_iiiPKbib.has_dyn_sized_stack, 0
	.set _ZN12_GLOBAL__N_120softmax_warp_forwardIN3c108BFloat16EffLi8ELb1ELb0ELi32EEEvPT0_PKT_iiiPKbib.has_recursion, 0
	.set _ZN12_GLOBAL__N_120softmax_warp_forwardIN3c108BFloat16EffLi8ELb1ELb0ELi32EEEvPT0_PKT_iiiPKbib.has_indirect_call, 0
	.section	.AMDGPU.csdata,"",@progbits
; Kernel info:
; codeLenInByte = 2136
; TotalNumSgprs: 18
; NumVgprs: 40
; ScratchSize: 0
; MemoryBound: 0
; FloatMode: 240
; IeeeMode: 1
; LDSByteSize: 0 bytes/workgroup (compile time only)
; SGPRBlocks: 0
; VGPRBlocks: 4
; NumSGPRsForWavesPerEU: 18
; NumVGPRsForWavesPerEU: 40
; Occupancy: 16
; WaveLimiterHint : 0
; COMPUTE_PGM_RSRC2:SCRATCH_EN: 0
; COMPUTE_PGM_RSRC2:USER_SGPR: 6
; COMPUTE_PGM_RSRC2:TRAP_HANDLER: 0
; COMPUTE_PGM_RSRC2:TGID_X_EN: 1
; COMPUTE_PGM_RSRC2:TGID_Y_EN: 0
; COMPUTE_PGM_RSRC2:TGID_Z_EN: 0
; COMPUTE_PGM_RSRC2:TIDIG_COMP_CNT: 1
	.section	.text._ZN12_GLOBAL__N_120softmax_warp_forwardIN3c108BFloat16EffLi9ELb1ELb0ELi64EEEvPT0_PKT_iiiPKbib,"axG",@progbits,_ZN12_GLOBAL__N_120softmax_warp_forwardIN3c108BFloat16EffLi9ELb1ELb0ELi64EEEvPT0_PKT_iiiPKbib,comdat
	.globl	_ZN12_GLOBAL__N_120softmax_warp_forwardIN3c108BFloat16EffLi9ELb1ELb0ELi64EEEvPT0_PKT_iiiPKbib ; -- Begin function _ZN12_GLOBAL__N_120softmax_warp_forwardIN3c108BFloat16EffLi9ELb1ELb0ELi64EEEvPT0_PKT_iiiPKbib
	.p2align	8
	.type	_ZN12_GLOBAL__N_120softmax_warp_forwardIN3c108BFloat16EffLi9ELb1ELb0ELi64EEEvPT0_PKT_iiiPKbib,@function
_ZN12_GLOBAL__N_120softmax_warp_forwardIN3c108BFloat16EffLi9ELb1ELb0ELi64EEEvPT0_PKT_iiiPKbib: ; @_ZN12_GLOBAL__N_120softmax_warp_forwardIN3c108BFloat16EffLi9ELb1ELb0ELi64EEEvPT0_PKT_iiiPKbib
; %bb.0:
	s_clause 0x1
	s_load_dword s0, s[4:5], 0x3c
	s_load_dwordx8 s[8:15], s[4:5], 0x0
	v_mov_b32_e32 v6, 0xff800000
	v_mov_b32_e32 v8, 0xff800000
	s_waitcnt lgkmcnt(0)
	s_lshr_b32 s0, s0, 16
	v_cmp_gt_i32_e64 s1, s14, v0
	v_mad_u64_u32 v[3:4], null, s6, s0, v[1:2]
	v_mad_u64_u32 v[1:2], null, v3, s13, v[0:1]
	v_sub_nc_u32_e32 v5, s12, v3
	v_cmp_lt_i32_e64 s7, 0, v5
	v_ashrrev_i32_e32 v2, 31, v1
	s_and_b32 s2, s7, s1
	v_lshlrev_b64 v[3:4], 1, v[1:2]
	v_add_co_u32 v3, vcc_lo, s10, v3
	v_add_co_ci_u32_e64 v4, null, s11, v4, vcc_lo
	s_and_saveexec_b32 s0, s2
	s_cbranch_execz .LBB184_2
; %bb.1:
	global_load_ushort v7, v[3:4], off
	s_waitcnt vmcnt(0)
	v_lshlrev_b32_e32 v8, 16, v7
.LBB184_2:
	s_or_b32 exec_lo, exec_lo, s0
	v_add_nc_u32_e32 v7, 64, v0
	v_cmp_gt_i32_e32 vcc_lo, s14, v7
	s_and_b32 s2, s7, vcc_lo
	s_and_saveexec_b32 s0, s2
	s_cbranch_execz .LBB184_4
; %bb.3:
	global_load_ushort v6, v[3:4], off offset:128
	s_waitcnt vmcnt(0)
	v_lshlrev_b32_e32 v6, 16, v6
.LBB184_4:
	s_or_b32 exec_lo, exec_lo, s0
	v_add_nc_u32_e32 v7, 0x80, v0
	v_mov_b32_e32 v9, 0xff800000
	v_mov_b32_e32 v10, 0xff800000
	v_cmp_gt_i32_e64 s0, s14, v7
	s_and_b32 s3, s7, s0
	s_and_saveexec_b32 s2, s3
	s_cbranch_execz .LBB184_6
; %bb.5:
	global_load_ushort v7, v[3:4], off offset:256
	s_waitcnt vmcnt(0)
	v_lshlrev_b32_e32 v10, 16, v7
.LBB184_6:
	s_or_b32 exec_lo, exec_lo, s2
	v_add_nc_u32_e32 v7, 0xc0, v0
	v_cmp_gt_i32_e64 s2, s14, v7
	s_and_b32 s4, s7, s2
	s_and_saveexec_b32 s3, s4
	s_cbranch_execz .LBB184_8
; %bb.7:
	global_load_ushort v7, v[3:4], off offset:384
	s_waitcnt vmcnt(0)
	v_lshlrev_b32_e32 v9, 16, v7
.LBB184_8:
	s_or_b32 exec_lo, exec_lo, s3
	v_add_nc_u32_e32 v7, 0x100, v0
	v_mov_b32_e32 v11, 0xff800000
	v_mov_b32_e32 v12, 0xff800000
	v_cmp_gt_i32_e64 s3, s14, v7
	s_and_b32 s5, s7, s3
	s_and_saveexec_b32 s4, s5
	s_cbranch_execz .LBB184_10
; %bb.9:
	global_load_ushort v7, v[3:4], off offset:512
	s_waitcnt vmcnt(0)
	v_lshlrev_b32_e32 v12, 16, v7
.LBB184_10:
	s_or_b32 exec_lo, exec_lo, s4
	v_add_nc_u32_e32 v7, 0x140, v0
	v_cmp_gt_i32_e64 s4, s14, v7
	s_and_b32 s6, s7, s4
	;; [unrolled: 24-line block ×3, first 2 shown]
	s_and_saveexec_b32 s7, s10
	s_cbranch_execz .LBB184_16
; %bb.15:
	global_load_ushort v0, v[3:4], off offset:896
	s_waitcnt vmcnt(0)
	v_lshlrev_b32_e32 v13, 16, v0
.LBB184_16:
	s_or_b32 exec_lo, exec_lo, s7
	v_cmp_gt_f32_e64 s7, v8, v6
	v_mbcnt_lo_u32_b32 v3, -1, 0
	s_mov_b32 s10, exec_lo
	v_cndmask_b32_e64 v0, v6, v8, s7
	v_or_b32_e32 v4, 32, v3
	v_xor_b32_e32 v17, 4, v3
	v_xor_b32_e32 v18, 2, v3
	;; [unrolled: 1-line block ×3, first 2 shown]
	v_cmp_gt_f32_e64 s7, v0, v10
	v_cndmask_b32_e64 v0, v10, v0, s7
	v_cmp_gt_f32_e64 s7, v0, v9
	v_cndmask_b32_e64 v0, v9, v0, s7
	;; [unrolled: 2-line block ×4, first 2 shown]
	v_cmp_gt_i32_e64 s7, 64, v4
	v_cndmask_b32_e64 v4, v3, v4, s7
	v_cmp_gt_f32_e64 s7, v0, v14
	v_cndmask_b32_e64 v7, v14, v0, s7
	v_lshlrev_b32_e32 v0, 2, v4
	v_xor_b32_e32 v4, 16, v3
	v_cmp_gt_f32_e64 s7, v7, v13
	v_cndmask_b32_e64 v7, v13, v7, s7
	v_cmp_gt_i32_e64 s7, 64, v4
	ds_bpermute_b32 v15, v0, v7
	v_cndmask_b32_e64 v4, v3, v4, s7
	v_lshlrev_b32_e32 v4, 2, v4
	s_waitcnt lgkmcnt(0)
	v_cmp_lt_f32_e64 s7, v7, v15
	v_cndmask_b32_e64 v15, v7, v15, s7
	v_xor_b32_e32 v7, 8, v3
	ds_bpermute_b32 v16, v4, v15
	v_cmp_gt_i32_e64 s7, 64, v7
	v_cndmask_b32_e64 v7, v3, v7, s7
	v_lshlrev_b32_e32 v7, 2, v7
	s_waitcnt lgkmcnt(0)
	v_cmp_lt_f32_e64 s7, v15, v16
	v_cndmask_b32_e64 v15, v15, v16, s7
	v_cmp_gt_i32_e64 s7, 64, v17
	ds_bpermute_b32 v16, v7, v15
	v_cndmask_b32_e64 v17, v3, v17, s7
	v_lshlrev_b32_e32 v17, 2, v17
	s_waitcnt lgkmcnt(0)
	v_cmp_lt_f32_e64 s7, v15, v16
	v_cndmask_b32_e64 v15, v15, v16, s7
	v_cmp_gt_i32_e64 s7, 64, v18
	ds_bpermute_b32 v16, v17, v15
	;; [unrolled: 7-line block ×3, first 2 shown]
	v_cndmask_b32_e64 v3, v3, v19, s7
	v_lshlrev_b32_e32 v19, 2, v3
	s_waitcnt lgkmcnt(0)
	v_cmp_lt_f32_e64 s7, v15, v16
	v_cndmask_b32_e64 v3, v15, v16, s7
	ds_bpermute_b32 v15, v19, v3
	s_waitcnt lgkmcnt(0)
	v_cmp_lt_f32_e64 s7, v3, v15
	v_cndmask_b32_e64 v15, v3, v15, s7
	v_sub_f32_e32 v3, v8, v15
	v_sub_f32_e32 v6, v6, v15
	v_sub_f32_e32 v8, v10, v15
	v_sub_f32_e32 v10, v12, v15
	v_sub_f32_e32 v12, v14, v15
	v_mul_f32_e32 v14, 0x3fb8aa3b, v3
	v_sub_f32_e32 v9, v9, v15
	v_sub_f32_e32 v11, v11, v15
	;; [unrolled: 1-line block ×3, first 2 shown]
	v_mul_f32_e32 v15, 0x3fb8aa3b, v6
	v_fma_f32 v25, 0x3fb8aa3b, v3, -v14
	v_rndne_f32_e32 v26, v14
	v_mul_f32_e32 v16, 0x3fb8aa3b, v8
	v_mul_f32_e32 v20, 0x3fb8aa3b, v9
	v_fma_f32 v27, 0x3fb8aa3b, v6, -v15
	v_rndne_f32_e32 v28, v15
	v_fmac_f32_e32 v25, 0x32a5705f, v3
	v_sub_f32_e32 v14, v14, v26
	v_fma_f32 v29, 0x3fb8aa3b, v8, -v16
	v_rndne_f32_e32 v30, v16
	v_fmac_f32_e32 v27, 0x32a5705f, v6
	v_sub_f32_e32 v15, v15, v28
	v_add_f32_e32 v14, v14, v25
	v_fmac_f32_e32 v29, 0x32a5705f, v8
	v_sub_f32_e32 v16, v16, v30
	v_cvt_i32_f32_e32 v26, v26
	v_add_f32_e32 v15, v15, v27
	v_exp_f32_e32 v14, v14
	v_fma_f32 v31, 0x3fb8aa3b, v9, -v20
	v_add_f32_e32 v16, v16, v29
	v_rndne_f32_e32 v32, v20
	v_exp_f32_e32 v15, v15
	v_cvt_i32_f32_e32 v28, v28
	v_cmp_ngt_f32_e64 s7, 0xc2ce8ed0, v3
	v_exp_f32_e32 v16, v16
	v_mul_f32_e32 v21, 0x3fb8aa3b, v10
	v_cvt_i32_f32_e32 v30, v30
	v_ldexp_f32 v14, v14, v26
	v_fmac_f32_e32 v31, 0x32a5705f, v9
	v_sub_f32_e32 v20, v20, v32
	v_fma_f32 v33, 0x3fb8aa3b, v10, -v21
	v_ldexp_f32 v15, v15, v28
	v_cndmask_b32_e64 v14, 0, v14, s7
	v_cmp_ngt_f32_e64 s7, 0xc2ce8ed0, v6
	v_rndne_f32_e32 v34, v21
	v_add_f32_e32 v20, v20, v31
	v_ldexp_f32 v16, v16, v30
	v_mul_f32_e32 v22, 0x3fb8aa3b, v11
	v_cndmask_b32_e64 v15, 0, v15, s7
	v_cmp_ngt_f32_e64 s7, 0xc2ce8ed0, v8
	v_fmac_f32_e32 v33, 0x32a5705f, v10
	v_sub_f32_e32 v21, v21, v34
	v_exp_f32_e32 v20, v20
	v_fma_f32 v35, 0x3fb8aa3b, v11, -v22
	v_cndmask_b32_e64 v16, 0, v16, s7
	v_cmp_nlt_f32_e64 s7, 0x42b17218, v3
	v_rndne_f32_e32 v36, v22
	v_cvt_i32_f32_e32 v32, v32
	v_add_f32_e32 v21, v21, v33
	v_mul_f32_e32 v23, 0x3fb8aa3b, v12
	v_cndmask_b32_e64 v14, 0x7f800000, v14, s7
	v_cmp_nlt_f32_e64 s7, 0x42b17218, v6
	v_fmac_f32_e32 v35, 0x32a5705f, v11
	v_sub_f32_e32 v22, v22, v36
	v_exp_f32_e32 v21, v21
	v_ldexp_f32 v20, v20, v32
	v_cndmask_b32_e64 v15, 0x7f800000, v15, s7
	v_cmp_ngt_f32_e64 s7, 0xc2ce8ed0, v9
	v_fma_f32 v37, 0x3fb8aa3b, v12, -v23
	v_rndne_f32_e32 v38, v23
	v_cvt_i32_f32_e32 v34, v34
	v_add_f32_e32 v22, v22, v35
	v_cndmask_b32_e64 v20, 0, v20, s7
	v_cmp_nlt_f32_e64 s7, 0x42b17218, v8
	v_fmac_f32_e32 v37, 0x32a5705f, v12
	v_sub_f32_e32 v23, v23, v38
	v_exp_f32_e32 v22, v22
	v_ldexp_f32 v21, v21, v34
	v_cndmask_b32_e64 v16, 0x7f800000, v16, s7
	v_cmp_ngt_f32_e64 s7, 0xc2ce8ed0, v10
	v_mul_f32_e32 v24, 0x3fb8aa3b, v13
	v_cvt_i32_f32_e32 v36, v36
	v_add_f32_e32 v23, v23, v37
	v_add_f32_e32 v14, v14, v15
	v_cndmask_b32_e64 v15, 0, v21, s7
	v_cmp_nlt_f32_e64 s7, 0x42b17218, v9
	v_fma_f32 v39, 0x3fb8aa3b, v13, -v24
	v_rndne_f32_e32 v40, v24
	v_exp_f32_e32 v23, v23
	v_ldexp_f32 v22, v22, v36
	v_cndmask_b32_e64 v20, 0x7f800000, v20, s7
	v_cmp_ngt_f32_e64 s7, 0xc2ce8ed0, v11
	v_fmac_f32_e32 v39, 0x32a5705f, v13
	v_sub_f32_e32 v24, v24, v40
	v_cvt_i32_f32_e32 v25, v38
	v_add_f32_e32 v14, v14, v16
	v_cndmask_b32_e64 v16, 0, v22, s7
	v_cmp_nlt_f32_e64 s7, 0x42b17218, v10
	v_add_f32_e32 v24, v24, v39
	v_ldexp_f32 v23, v23, v25
	v_add_f32_e32 v14, v14, v20
	v_cvt_i32_f32_e32 v27, v40
	v_cndmask_b32_e64 v15, 0x7f800000, v15, s7
	v_cmp_ngt_f32_e64 s7, 0xc2ce8ed0, v12
	v_exp_f32_e32 v24, v24
	v_add_f32_e32 v14, v14, v15
	v_cndmask_b32_e64 v20, 0, v23, s7
	v_cmp_nlt_f32_e64 s7, 0x42b17218, v11
	v_cndmask_b32_e64 v16, 0x7f800000, v16, s7
	v_cmp_nlt_f32_e64 s7, 0x42b17218, v12
	v_ldexp_f32 v15, v24, v27
	v_add_f32_e32 v14, v14, v16
	v_cndmask_b32_e64 v20, 0x7f800000, v20, s7
	v_cmp_ngt_f32_e64 s7, 0xc2ce8ed0, v13
	v_add_f32_e32 v14, v14, v20
	v_cndmask_b32_e64 v15, 0, v15, s7
	v_cmp_nlt_f32_e64 s7, 0x42b17218, v13
	v_cndmask_b32_e64 v15, 0x7f800000, v15, s7
	v_add_f32_e32 v14, v14, v15
	ds_bpermute_b32 v0, v0, v14
	s_waitcnt lgkmcnt(0)
	v_add_f32_e32 v0, v14, v0
	ds_bpermute_b32 v4, v4, v0
	s_waitcnt lgkmcnt(0)
	;; [unrolled: 3-line block ×5, first 2 shown]
	v_add_f32_e32 v0, v0, v4
	ds_bpermute_b32 v4, v19, v0
	v_cmpx_lt_i32_e32 0, v5
	s_cbranch_execz .LBB184_26
; %bb.17:
	s_and_b32 exec_lo, exec_lo, s1
	s_cbranch_execz .LBB184_26
; %bb.18:
	s_waitcnt lgkmcnt(0)
	v_add_f32_e32 v0, v0, v4
	v_cmp_gt_f32_e64 s1, 0x800000, v0
	v_cndmask_b32_e64 v4, 0, 32, s1
	v_cndmask_b32_e64 v5, 0, 0x41b17218, s1
	v_ldexp_f32 v0, v0, v4
	v_log_f32_e32 v0, v0
	v_mul_f32_e32 v4, 0x3f317217, v0
	v_cmp_gt_f32_e64 s7, 0x7f800000, |v0|
	v_fma_f32 v4, 0x3f317217, v0, -v4
	v_fmamk_f32 v4, v0, 0x3377d1cf, v4
	v_fmac_f32_e32 v4, 0x3f317217, v0
	v_cndmask_b32_e64 v4, v0, v4, s7
	v_lshlrev_b64 v[0:1], 2, v[1:2]
	v_sub_f32_e32 v2, v4, v5
	v_add_co_u32 v0, s1, s8, v0
	v_add_co_ci_u32_e64 v1, null, s9, v1, s1
	v_sub_f32_e32 v3, v3, v2
	global_store_dword v[0:1], v3, off
	s_and_b32 exec_lo, exec_lo, vcc_lo
	s_cbranch_execz .LBB184_26
; %bb.19:
	v_sub_f32_e32 v3, v6, v2
	global_store_dword v[0:1], v3, off offset:256
	s_and_b32 exec_lo, exec_lo, s0
	s_cbranch_execz .LBB184_26
; %bb.20:
	v_sub_f32_e32 v3, v8, v2
	global_store_dword v[0:1], v3, off offset:512
	s_and_b32 exec_lo, exec_lo, s2
	;; [unrolled: 5-line block ×6, first 2 shown]
	s_cbranch_execz .LBB184_26
; %bb.25:
	v_sub_f32_e32 v2, v13, v2
	global_store_dword v[0:1], v2, off offset:1792
.LBB184_26:
	s_endpgm
	.section	.rodata,"a",@progbits
	.p2align	6, 0x0
	.amdhsa_kernel _ZN12_GLOBAL__N_120softmax_warp_forwardIN3c108BFloat16EffLi9ELb1ELb0ELi64EEEvPT0_PKT_iiiPKbib
		.amdhsa_group_segment_fixed_size 0
		.amdhsa_private_segment_fixed_size 0
		.amdhsa_kernarg_size 304
		.amdhsa_user_sgpr_count 6
		.amdhsa_user_sgpr_private_segment_buffer 1
		.amdhsa_user_sgpr_dispatch_ptr 0
		.amdhsa_user_sgpr_queue_ptr 0
		.amdhsa_user_sgpr_kernarg_segment_ptr 1
		.amdhsa_user_sgpr_dispatch_id 0
		.amdhsa_user_sgpr_flat_scratch_init 0
		.amdhsa_user_sgpr_private_segment_size 0
		.amdhsa_wavefront_size32 1
		.amdhsa_uses_dynamic_stack 0
		.amdhsa_system_sgpr_private_segment_wavefront_offset 0
		.amdhsa_system_sgpr_workgroup_id_x 1
		.amdhsa_system_sgpr_workgroup_id_y 0
		.amdhsa_system_sgpr_workgroup_id_z 0
		.amdhsa_system_sgpr_workgroup_info 0
		.amdhsa_system_vgpr_workitem_id 1
		.amdhsa_next_free_vgpr 41
		.amdhsa_next_free_sgpr 16
		.amdhsa_reserve_vcc 1
		.amdhsa_reserve_flat_scratch 0
		.amdhsa_float_round_mode_32 0
		.amdhsa_float_round_mode_16_64 0
		.amdhsa_float_denorm_mode_32 3
		.amdhsa_float_denorm_mode_16_64 3
		.amdhsa_dx10_clamp 1
		.amdhsa_ieee_mode 1
		.amdhsa_fp16_overflow 0
		.amdhsa_workgroup_processor_mode 1
		.amdhsa_memory_ordered 1
		.amdhsa_forward_progress 1
		.amdhsa_shared_vgpr_count 0
		.amdhsa_exception_fp_ieee_invalid_op 0
		.amdhsa_exception_fp_denorm_src 0
		.amdhsa_exception_fp_ieee_div_zero 0
		.amdhsa_exception_fp_ieee_overflow 0
		.amdhsa_exception_fp_ieee_underflow 0
		.amdhsa_exception_fp_ieee_inexact 0
		.amdhsa_exception_int_div_zero 0
	.end_amdhsa_kernel
	.section	.text._ZN12_GLOBAL__N_120softmax_warp_forwardIN3c108BFloat16EffLi9ELb1ELb0ELi64EEEvPT0_PKT_iiiPKbib,"axG",@progbits,_ZN12_GLOBAL__N_120softmax_warp_forwardIN3c108BFloat16EffLi9ELb1ELb0ELi64EEEvPT0_PKT_iiiPKbib,comdat
.Lfunc_end184:
	.size	_ZN12_GLOBAL__N_120softmax_warp_forwardIN3c108BFloat16EffLi9ELb1ELb0ELi64EEEvPT0_PKT_iiiPKbib, .Lfunc_end184-_ZN12_GLOBAL__N_120softmax_warp_forwardIN3c108BFloat16EffLi9ELb1ELb0ELi64EEEvPT0_PKT_iiiPKbib
                                        ; -- End function
	.set _ZN12_GLOBAL__N_120softmax_warp_forwardIN3c108BFloat16EffLi9ELb1ELb0ELi64EEEvPT0_PKT_iiiPKbib.num_vgpr, 41
	.set _ZN12_GLOBAL__N_120softmax_warp_forwardIN3c108BFloat16EffLi9ELb1ELb0ELi64EEEvPT0_PKT_iiiPKbib.num_agpr, 0
	.set _ZN12_GLOBAL__N_120softmax_warp_forwardIN3c108BFloat16EffLi9ELb1ELb0ELi64EEEvPT0_PKT_iiiPKbib.numbered_sgpr, 16
	.set _ZN12_GLOBAL__N_120softmax_warp_forwardIN3c108BFloat16EffLi9ELb1ELb0ELi64EEEvPT0_PKT_iiiPKbib.num_named_barrier, 0
	.set _ZN12_GLOBAL__N_120softmax_warp_forwardIN3c108BFloat16EffLi9ELb1ELb0ELi64EEEvPT0_PKT_iiiPKbib.private_seg_size, 0
	.set _ZN12_GLOBAL__N_120softmax_warp_forwardIN3c108BFloat16EffLi9ELb1ELb0ELi64EEEvPT0_PKT_iiiPKbib.uses_vcc, 1
	.set _ZN12_GLOBAL__N_120softmax_warp_forwardIN3c108BFloat16EffLi9ELb1ELb0ELi64EEEvPT0_PKT_iiiPKbib.uses_flat_scratch, 0
	.set _ZN12_GLOBAL__N_120softmax_warp_forwardIN3c108BFloat16EffLi9ELb1ELb0ELi64EEEvPT0_PKT_iiiPKbib.has_dyn_sized_stack, 0
	.set _ZN12_GLOBAL__N_120softmax_warp_forwardIN3c108BFloat16EffLi9ELb1ELb0ELi64EEEvPT0_PKT_iiiPKbib.has_recursion, 0
	.set _ZN12_GLOBAL__N_120softmax_warp_forwardIN3c108BFloat16EffLi9ELb1ELb0ELi64EEEvPT0_PKT_iiiPKbib.has_indirect_call, 0
	.section	.AMDGPU.csdata,"",@progbits
; Kernel info:
; codeLenInByte = 2208
; TotalNumSgprs: 18
; NumVgprs: 41
; ScratchSize: 0
; MemoryBound: 0
; FloatMode: 240
; IeeeMode: 1
; LDSByteSize: 0 bytes/workgroup (compile time only)
; SGPRBlocks: 0
; VGPRBlocks: 5
; NumSGPRsForWavesPerEU: 18
; NumVGPRsForWavesPerEU: 41
; Occupancy: 16
; WaveLimiterHint : 0
; COMPUTE_PGM_RSRC2:SCRATCH_EN: 0
; COMPUTE_PGM_RSRC2:USER_SGPR: 6
; COMPUTE_PGM_RSRC2:TRAP_HANDLER: 0
; COMPUTE_PGM_RSRC2:TGID_X_EN: 1
; COMPUTE_PGM_RSRC2:TGID_Y_EN: 0
; COMPUTE_PGM_RSRC2:TGID_Z_EN: 0
; COMPUTE_PGM_RSRC2:TIDIG_COMP_CNT: 1
	.section	.text._ZN12_GLOBAL__N_120softmax_warp_forwardIN3c108BFloat16EffLi9ELb1ELb0ELi32EEEvPT0_PKT_iiiPKbib,"axG",@progbits,_ZN12_GLOBAL__N_120softmax_warp_forwardIN3c108BFloat16EffLi9ELb1ELb0ELi32EEEvPT0_PKT_iiiPKbib,comdat
	.globl	_ZN12_GLOBAL__N_120softmax_warp_forwardIN3c108BFloat16EffLi9ELb1ELb0ELi32EEEvPT0_PKT_iiiPKbib ; -- Begin function _ZN12_GLOBAL__N_120softmax_warp_forwardIN3c108BFloat16EffLi9ELb1ELb0ELi32EEEvPT0_PKT_iiiPKbib
	.p2align	8
	.type	_ZN12_GLOBAL__N_120softmax_warp_forwardIN3c108BFloat16EffLi9ELb1ELb0ELi32EEEvPT0_PKT_iiiPKbib,@function
_ZN12_GLOBAL__N_120softmax_warp_forwardIN3c108BFloat16EffLi9ELb1ELb0ELi32EEEvPT0_PKT_iiiPKbib: ; @_ZN12_GLOBAL__N_120softmax_warp_forwardIN3c108BFloat16EffLi9ELb1ELb0ELi32EEEvPT0_PKT_iiiPKbib
; %bb.0:
	s_clause 0x1
	s_load_dword s0, s[4:5], 0x3c
	s_load_dwordx8 s[16:23], s[4:5], 0x0
	v_mov_b32_e32 v8, 0xff800000
	v_mov_b32_e32 v12, 0xff800000
	s_waitcnt lgkmcnt(0)
	s_lshr_b32 s0, s0, 16
	v_cmp_gt_i32_e64 s1, s22, v0
	v_mad_u64_u32 v[3:4], null, s6, s0, v[1:2]
	v_mad_u64_u32 v[1:2], null, v3, s21, v[0:1]
	v_sub_nc_u32_e32 v5, s20, v3
	v_cmp_lt_i32_e64 s15, 0, v5
	v_ashrrev_i32_e32 v2, 31, v1
	s_and_b32 s2, s15, s1
	v_lshlrev_b64 v[3:4], 1, v[1:2]
	v_add_co_u32 v3, vcc_lo, s18, v3
	v_add_co_ci_u32_e64 v4, null, s19, v4, vcc_lo
	s_and_saveexec_b32 s0, s2
	s_cbranch_execz .LBB185_2
; %bb.1:
	global_load_ushort v6, v[3:4], off
	s_waitcnt vmcnt(0)
	v_lshlrev_b32_e32 v12, 16, v6
.LBB185_2:
	s_or_b32 exec_lo, exec_lo, s0
	v_add_nc_u32_e32 v6, 32, v0
	v_cmp_gt_i32_e32 vcc_lo, s22, v6
	s_and_b32 s2, s15, vcc_lo
	s_and_saveexec_b32 s0, s2
	s_cbranch_execz .LBB185_4
; %bb.3:
	global_load_ushort v6, v[3:4], off offset:64
	s_waitcnt vmcnt(0)
	v_lshlrev_b32_e32 v8, 16, v6
.LBB185_4:
	s_or_b32 exec_lo, exec_lo, s0
	v_add_nc_u32_e32 v6, 64, v0
	v_mov_b32_e32 v10, 0xff800000
	v_mov_b32_e32 v14, 0xff800000
	v_cmp_gt_i32_e64 s0, s22, v6
	s_and_b32 s3, s15, s0
	s_and_saveexec_b32 s2, s3
	s_cbranch_execz .LBB185_6
; %bb.5:
	global_load_ushort v6, v[3:4], off offset:128
	s_waitcnt vmcnt(0)
	v_lshlrev_b32_e32 v14, 16, v6
.LBB185_6:
	s_or_b32 exec_lo, exec_lo, s2
	v_add_nc_u32_e32 v6, 0x60, v0
	v_cmp_gt_i32_e64 s2, s22, v6
	s_and_b32 s4, s15, s2
	s_and_saveexec_b32 s3, s4
	s_cbranch_execz .LBB185_8
; %bb.7:
	global_load_ushort v6, v[3:4], off offset:192
	s_waitcnt vmcnt(0)
	v_lshlrev_b32_e32 v10, 16, v6
.LBB185_8:
	s_or_b32 exec_lo, exec_lo, s3
	v_add_nc_u32_e32 v6, 0x80, v0
	v_mov_b32_e32 v13, 0xff800000
	v_mov_b32_e32 v16, 0xff800000
	v_cmp_gt_i32_e64 s3, s22, v6
	s_and_b32 s5, s15, s3
	s_and_saveexec_b32 s4, s5
	s_cbranch_execz .LBB185_10
; %bb.9:
	global_load_ushort v6, v[3:4], off offset:256
	s_waitcnt vmcnt(0)
	v_lshlrev_b32_e32 v16, 16, v6
.LBB185_10:
	s_or_b32 exec_lo, exec_lo, s4
	v_add_nc_u32_e32 v6, 0xa0, v0
	v_cmp_gt_i32_e64 s4, s22, v6
	s_and_b32 s6, s15, s4
	;; [unrolled: 24-line block ×7, first 2 shown]
	s_and_saveexec_b32 s15, s18
	s_cbranch_execz .LBB185_32
; %bb.31:
	global_load_ushort v0, v[3:4], off offset:960
	s_waitcnt vmcnt(0)
	v_lshlrev_b32_e32 v23, 16, v0
.LBB185_32:
	s_or_b32 exec_lo, exec_lo, s15
	v_cmp_gt_f32_e64 s15, v12, v8
	v_mbcnt_lo_u32_b32 v3, -1, 0
	s_mov_b32 s18, exec_lo
	v_cndmask_b32_e64 v0, v8, v12, s15
	v_xor_b32_e32 v4, 16, v3
	v_cmp_gt_f32_e64 s15, v0, v14
	v_cndmask_b32_e64 v0, v14, v0, s15
	v_cmp_gt_f32_e64 s15, v0, v10
	v_cndmask_b32_e64 v0, v10, v0, s15
	;; [unrolled: 2-line block ×12, first 2 shown]
	v_cmp_gt_i32_e64 s15, 32, v4
	v_cndmask_b32_e64 v4, v3, v4, s15
	v_cmp_gt_f32_e64 s15, v0, v25
	v_cndmask_b32_e64 v6, v25, v0, s15
	v_lshlrev_b32_e32 v0, 2, v4
	v_cmp_gt_f32_e64 s15, v6, v23
	v_cndmask_b32_e64 v4, v23, v6, s15
	v_xor_b32_e32 v6, 8, v3
	ds_bpermute_b32 v7, v0, v4
	v_cmp_gt_i32_e64 s15, 32, v6
	v_cndmask_b32_e64 v6, v3, v6, s15
	v_lshlrev_b32_e32 v6, 2, v6
	s_waitcnt lgkmcnt(0)
	v_cmp_lt_f32_e64 s15, v4, v7
	v_cndmask_b32_e64 v4, v4, v7, s15
	v_xor_b32_e32 v7, 4, v3
	ds_bpermute_b32 v9, v6, v4
	v_cmp_gt_i32_e64 s15, 32, v7
	v_cndmask_b32_e64 v7, v3, v7, s15
	v_lshlrev_b32_e32 v7, 2, v7
	s_waitcnt lgkmcnt(0)
	v_cmp_lt_f32_e64 s15, v4, v9
	;; [unrolled: 8-line block ×4, first 2 shown]
	v_cndmask_b32_e64 v3, v4, v26, s15
	ds_bpermute_b32 v4, v11, v3
	s_waitcnt lgkmcnt(0)
	v_cmp_lt_f32_e64 s15, v3, v4
	v_cndmask_b32_e64 v26, v3, v4, s15
	v_sub_f32_e32 v3, v12, v26
	v_sub_f32_e32 v4, v8, v26
	;; [unrolled: 1-line block ×5, first 2 shown]
	v_mul_f32_e32 v24, 0x3fb8aa3b, v3
	v_sub_f32_e32 v8, v14, v26
	v_sub_f32_e32 v14, v18, v26
	;; [unrolled: 1-line block ×4, first 2 shown]
	v_mul_f32_e32 v25, 0x3fb8aa3b, v4
	v_fma_f32 v40, 0x3fb8aa3b, v3, -v24
	v_rndne_f32_e32 v41, v24
	v_sub_f32_e32 v10, v10, v26
	v_sub_f32_e32 v13, v13, v26
	;; [unrolled: 1-line block ×7, first 2 shown]
	v_mul_f32_e32 v26, 0x3fb8aa3b, v8
	v_fma_f32 v42, 0x3fb8aa3b, v4, -v25
	v_rndne_f32_e32 v43, v25
	v_fmac_f32_e32 v40, 0x32a5705f, v3
	v_sub_f32_e32 v24, v24, v41
	v_fma_f32 v44, 0x3fb8aa3b, v8, -v26
	v_rndne_f32_e32 v45, v26
	v_fmac_f32_e32 v42, 0x32a5705f, v4
	v_sub_f32_e32 v25, v25, v43
	v_add_f32_e32 v24, v24, v40
	v_fmac_f32_e32 v44, 0x32a5705f, v8
	v_sub_f32_e32 v26, v26, v45
	v_mul_f32_e32 v27, 0x3fb8aa3b, v10
	v_add_f32_e32 v25, v25, v42
	v_exp_f32_e32 v24, v24
	v_cvt_i32_f32_e32 v41, v41
	v_add_f32_e32 v26, v26, v44
	v_fma_f32 v46, 0x3fb8aa3b, v10, -v27
	v_exp_f32_e32 v25, v25
	v_rndne_f32_e32 v47, v27
	v_cvt_i32_f32_e32 v43, v43
	v_exp_f32_e32 v26, v26
	v_cmp_ngt_f32_e64 s15, 0xc2ce8ed0, v3
	v_mul_f32_e32 v28, 0x3fb8aa3b, v12
	v_ldexp_f32 v24, v24, v41
	v_fmac_f32_e32 v46, 0x32a5705f, v10
	v_sub_f32_e32 v27, v27, v47
	v_cvt_i32_f32_e32 v45, v45
	v_ldexp_f32 v25, v25, v43
	v_cndmask_b32_e64 v24, 0, v24, s15
	v_cmp_ngt_f32_e64 s15, 0xc2ce8ed0, v4
	v_fma_f32 v48, 0x3fb8aa3b, v12, -v28
	v_rndne_f32_e32 v49, v28
	v_add_f32_e32 v27, v27, v46
	v_ldexp_f32 v26, v26, v45
	v_cndmask_b32_e64 v25, 0, v25, s15
	v_cmp_ngt_f32_e64 s15, 0xc2ce8ed0, v8
	v_mul_f32_e32 v29, 0x3fb8aa3b, v13
	v_fmac_f32_e32 v48, 0x32a5705f, v12
	v_sub_f32_e32 v28, v28, v49
	v_exp_f32_e32 v27, v27
	v_cndmask_b32_e64 v26, 0, v26, s15
	v_cmp_nlt_f32_e64 s15, 0x42b17218, v3
	v_fma_f32 v50, 0x3fb8aa3b, v13, -v29
	v_rndne_f32_e32 v51, v29
	v_add_f32_e32 v28, v28, v48
	v_cvt_i32_f32_e32 v47, v47
	v_cndmask_b32_e64 v24, 0x7f800000, v24, s15
	v_cmp_nlt_f32_e64 s15, 0x42b17218, v4
	v_mul_f32_e32 v30, 0x3fb8aa3b, v14
	v_fmac_f32_e32 v50, 0x32a5705f, v13
	v_sub_f32_e32 v29, v29, v51
	v_exp_f32_e32 v28, v28
	v_ldexp_f32 v27, v27, v47
	v_cndmask_b32_e64 v25, 0x7f800000, v25, s15
	v_cmp_ngt_f32_e64 s15, 0xc2ce8ed0, v10
	v_fma_f32 v52, 0x3fb8aa3b, v14, -v30
	v_rndne_f32_e32 v53, v30
	v_add_f32_e32 v29, v29, v50
	v_cvt_i32_f32_e32 v49, v49
	v_cndmask_b32_e64 v27, 0, v27, s15
	v_cmp_nlt_f32_e64 s15, 0x42b17218, v8
	v_mul_f32_e32 v31, 0x3fb8aa3b, v15
	v_fmac_f32_e32 v52, 0x32a5705f, v14
	v_sub_f32_e32 v30, v30, v53
	v_exp_f32_e32 v29, v29
	v_ldexp_f32 v28, v28, v49
	v_cndmask_b32_e64 v26, 0x7f800000, v26, s15
	v_cmp_ngt_f32_e64 s15, 0xc2ce8ed0, v12
	v_fma_f32 v54, 0x3fb8aa3b, v15, -v31
	v_rndne_f32_e32 v55, v31
	v_add_f32_e32 v30, v30, v52
	v_cvt_i32_f32_e32 v51, v51
	v_add_f32_e32 v24, v24, v25
	v_cndmask_b32_e64 v25, 0, v28, s15
	v_cmp_nlt_f32_e64 s15, 0x42b17218, v10
	v_mul_f32_e32 v32, 0x3fb8aa3b, v16
	v_fmac_f32_e32 v54, 0x32a5705f, v15
	v_sub_f32_e32 v31, v31, v55
	v_exp_f32_e32 v30, v30
	v_ldexp_f32 v29, v29, v51
	v_cndmask_b32_e64 v27, 0x7f800000, v27, s15
	v_cmp_ngt_f32_e64 s15, 0xc2ce8ed0, v13
	v_fma_f32 v56, 0x3fb8aa3b, v16, -v32
	v_rndne_f32_e32 v57, v32
	v_add_f32_e32 v31, v31, v54
	v_cvt_i32_f32_e32 v53, v53
	v_add_f32_e32 v24, v24, v26
	;; [unrolled: 14-line block ×4, first 2 shown]
	v_cndmask_b32_e64 v25, 0, v31, s15
	v_cmp_nlt_f32_e64 s15, 0x42b17218, v14
	v_mul_f32_e32 v35, 0x3fb8aa3b, v19
	v_fmac_f32_e32 v60, 0x32a5705f, v18
	v_sub_f32_e32 v34, v34, v61
	v_exp_f32_e32 v33, v33
	v_ldexp_f32 v32, v32, v57
	v_cndmask_b32_e64 v27, 0x7f800000, v27, s15
	v_cmp_ngt_f32_e64 s15, 0xc2ce8ed0, v16
	v_fma_f32 v40, 0x3fb8aa3b, v19, -v35
	v_rndne_f32_e32 v42, v35
	v_cvt_i32_f32_e32 v59, v59
	v_add_f32_e32 v34, v34, v60
	v_add_f32_e32 v24, v24, v26
	v_cndmask_b32_e64 v26, 0, v32, s15
	v_cmp_nlt_f32_e64 s15, 0x42b17218, v15
	v_mul_f32_e32 v36, 0x3fb8aa3b, v20
	v_fmac_f32_e32 v40, 0x32a5705f, v19
	v_sub_f32_e32 v35, v35, v42
	v_exp_f32_e32 v34, v34
	v_ldexp_f32 v33, v33, v59
	v_cndmask_b32_e64 v25, 0x7f800000, v25, s15
	v_cmp_ngt_f32_e64 s15, 0xc2ce8ed0, v17
	v_fma_f32 v44, 0x3fb8aa3b, v20, -v36
	v_rndne_f32_e32 v46, v36
	v_cvt_i32_f32_e32 v61, v61
	v_add_f32_e32 v35, v35, v40
	v_add_f32_e32 v24, v24, v27
	;; [unrolled: 14-line block ×4, first 2 shown]
	v_cndmask_b32_e64 v26, 0, v35, s15
	v_cmp_nlt_f32_e64 s15, 0x42b17218, v18
	v_fmac_f32_e32 v52, 0x32a5705f, v22
	v_sub_f32_e32 v38, v38, v54
	v_exp_f32_e32 v37, v37
	v_ldexp_f32 v36, v36, v46
	v_cndmask_b32_e64 v25, 0x7f800000, v25, s15
	v_cmp_ngt_f32_e64 s15, 0xc2ce8ed0, v20
	v_mul_f32_e32 v39, 0x3fb8aa3b, v23
	v_cvt_i32_f32_e32 v50, v50
	v_add_f32_e32 v38, v38, v52
	v_add_f32_e32 v24, v24, v27
	v_cndmask_b32_e64 v27, 0, v36, s15
	v_cmp_nlt_f32_e64 s15, 0x42b17218, v19
	v_fma_f32 v56, 0x3fb8aa3b, v23, -v39
	v_rndne_f32_e32 v58, v39
	v_exp_f32_e32 v38, v38
	v_ldexp_f32 v37, v37, v50
	v_cndmask_b32_e64 v26, 0x7f800000, v26, s15
	v_cmp_ngt_f32_e64 s15, 0xc2ce8ed0, v21
	v_cvt_i32_f32_e32 v54, v54
	v_fmac_f32_e32 v56, 0x32a5705f, v23
	v_sub_f32_e32 v39, v39, v58
	v_add_f32_e32 v24, v24, v25
	v_cndmask_b32_e64 v25, 0, v37, s15
	v_cmp_nlt_f32_e64 s15, 0x42b17218, v20
	v_ldexp_f32 v38, v38, v54
	v_add_f32_e32 v39, v39, v56
	v_add_f32_e32 v24, v24, v26
	v_cvt_i32_f32_e32 v58, v58
	v_cndmask_b32_e64 v27, 0x7f800000, v27, s15
	v_cmp_ngt_f32_e64 s15, 0xc2ce8ed0, v22
	v_exp_f32_e32 v39, v39
	v_add_f32_e32 v24, v24, v27
	v_cndmask_b32_e64 v26, 0, v38, s15
	v_cmp_nlt_f32_e64 s15, 0x42b17218, v21
	v_cndmask_b32_e64 v25, 0x7f800000, v25, s15
	v_cmp_nlt_f32_e64 s15, 0x42b17218, v22
	v_ldexp_f32 v27, v39, v58
	v_add_f32_e32 v24, v24, v25
	v_cndmask_b32_e64 v26, 0x7f800000, v26, s15
	v_cmp_ngt_f32_e64 s15, 0xc2ce8ed0, v23
	v_add_f32_e32 v24, v24, v26
	v_cndmask_b32_e64 v25, 0, v27, s15
	v_cmp_nlt_f32_e64 s15, 0x42b17218, v23
	v_cndmask_b32_e64 v25, 0x7f800000, v25, s15
	v_add_f32_e32 v24, v24, v25
	ds_bpermute_b32 v0, v0, v24
	s_waitcnt lgkmcnt(0)
	v_add_f32_e32 v0, v24, v0
	ds_bpermute_b32 v6, v6, v0
	s_waitcnt lgkmcnt(0)
	;; [unrolled: 3-line block ×4, first 2 shown]
	v_add_f32_e32 v0, v0, v6
	ds_bpermute_b32 v6, v11, v0
	v_cmpx_lt_i32_e32 0, v5
	s_cbranch_execz .LBB185_50
; %bb.33:
	s_and_b32 exec_lo, exec_lo, s1
	s_cbranch_execz .LBB185_50
; %bb.34:
	s_waitcnt lgkmcnt(0)
	v_add_f32_e32 v0, v0, v6
	v_cmp_gt_f32_e64 s1, 0x800000, v0
	v_cndmask_b32_e64 v5, 0, 32, s1
	v_cndmask_b32_e64 v6, 0, 0x41b17218, s1
	v_ldexp_f32 v0, v0, v5
	v_log_f32_e32 v0, v0
	v_mul_f32_e32 v5, 0x3f317217, v0
	v_cmp_gt_f32_e64 s15, 0x7f800000, |v0|
	v_fma_f32 v5, 0x3f317217, v0, -v5
	v_fmamk_f32 v5, v0, 0x3377d1cf, v5
	v_fmac_f32_e32 v5, 0x3f317217, v0
	v_cndmask_b32_e64 v5, v0, v5, s15
	v_lshlrev_b64 v[0:1], 2, v[1:2]
	v_sub_f32_e32 v2, v5, v6
	v_add_co_u32 v0, s1, s16, v0
	v_add_co_ci_u32_e64 v1, null, s17, v1, s1
	v_sub_f32_e32 v3, v3, v2
	global_store_dword v[0:1], v3, off
	s_and_b32 exec_lo, exec_lo, vcc_lo
	s_cbranch_execz .LBB185_50
; %bb.35:
	v_sub_f32_e32 v3, v4, v2
	global_store_dword v[0:1], v3, off offset:128
	s_and_b32 exec_lo, exec_lo, s0
	s_cbranch_execz .LBB185_50
; %bb.36:
	v_sub_f32_e32 v3, v8, v2
	global_store_dword v[0:1], v3, off offset:256
	s_and_b32 exec_lo, exec_lo, s2
	;; [unrolled: 5-line block ×14, first 2 shown]
	s_cbranch_execz .LBB185_50
; %bb.49:
	v_sub_f32_e32 v2, v23, v2
	global_store_dword v[0:1], v2, off offset:1920
.LBB185_50:
	s_endpgm
	.section	.rodata,"a",@progbits
	.p2align	6, 0x0
	.amdhsa_kernel _ZN12_GLOBAL__N_120softmax_warp_forwardIN3c108BFloat16EffLi9ELb1ELb0ELi32EEEvPT0_PKT_iiiPKbib
		.amdhsa_group_segment_fixed_size 0
		.amdhsa_private_segment_fixed_size 0
		.amdhsa_kernarg_size 304
		.amdhsa_user_sgpr_count 6
		.amdhsa_user_sgpr_private_segment_buffer 1
		.amdhsa_user_sgpr_dispatch_ptr 0
		.amdhsa_user_sgpr_queue_ptr 0
		.amdhsa_user_sgpr_kernarg_segment_ptr 1
		.amdhsa_user_sgpr_dispatch_id 0
		.amdhsa_user_sgpr_flat_scratch_init 0
		.amdhsa_user_sgpr_private_segment_size 0
		.amdhsa_wavefront_size32 1
		.amdhsa_uses_dynamic_stack 0
		.amdhsa_system_sgpr_private_segment_wavefront_offset 0
		.amdhsa_system_sgpr_workgroup_id_x 1
		.amdhsa_system_sgpr_workgroup_id_y 0
		.amdhsa_system_sgpr_workgroup_id_z 0
		.amdhsa_system_sgpr_workgroup_info 0
		.amdhsa_system_vgpr_workitem_id 1
		.amdhsa_next_free_vgpr 62
		.amdhsa_next_free_sgpr 24
		.amdhsa_reserve_vcc 1
		.amdhsa_reserve_flat_scratch 0
		.amdhsa_float_round_mode_32 0
		.amdhsa_float_round_mode_16_64 0
		.amdhsa_float_denorm_mode_32 3
		.amdhsa_float_denorm_mode_16_64 3
		.amdhsa_dx10_clamp 1
		.amdhsa_ieee_mode 1
		.amdhsa_fp16_overflow 0
		.amdhsa_workgroup_processor_mode 1
		.amdhsa_memory_ordered 1
		.amdhsa_forward_progress 1
		.amdhsa_shared_vgpr_count 0
		.amdhsa_exception_fp_ieee_invalid_op 0
		.amdhsa_exception_fp_denorm_src 0
		.amdhsa_exception_fp_ieee_div_zero 0
		.amdhsa_exception_fp_ieee_overflow 0
		.amdhsa_exception_fp_ieee_underflow 0
		.amdhsa_exception_fp_ieee_inexact 0
		.amdhsa_exception_int_div_zero 0
	.end_amdhsa_kernel
	.section	.text._ZN12_GLOBAL__N_120softmax_warp_forwardIN3c108BFloat16EffLi9ELb1ELb0ELi32EEEvPT0_PKT_iiiPKbib,"axG",@progbits,_ZN12_GLOBAL__N_120softmax_warp_forwardIN3c108BFloat16EffLi9ELb1ELb0ELi32EEEvPT0_PKT_iiiPKbib,comdat
.Lfunc_end185:
	.size	_ZN12_GLOBAL__N_120softmax_warp_forwardIN3c108BFloat16EffLi9ELb1ELb0ELi32EEEvPT0_PKT_iiiPKbib, .Lfunc_end185-_ZN12_GLOBAL__N_120softmax_warp_forwardIN3c108BFloat16EffLi9ELb1ELb0ELi32EEEvPT0_PKT_iiiPKbib
                                        ; -- End function
	.set _ZN12_GLOBAL__N_120softmax_warp_forwardIN3c108BFloat16EffLi9ELb1ELb0ELi32EEEvPT0_PKT_iiiPKbib.num_vgpr, 62
	.set _ZN12_GLOBAL__N_120softmax_warp_forwardIN3c108BFloat16EffLi9ELb1ELb0ELi32EEEvPT0_PKT_iiiPKbib.num_agpr, 0
	.set _ZN12_GLOBAL__N_120softmax_warp_forwardIN3c108BFloat16EffLi9ELb1ELb0ELi32EEEvPT0_PKT_iiiPKbib.numbered_sgpr, 24
	.set _ZN12_GLOBAL__N_120softmax_warp_forwardIN3c108BFloat16EffLi9ELb1ELb0ELi32EEEvPT0_PKT_iiiPKbib.num_named_barrier, 0
	.set _ZN12_GLOBAL__N_120softmax_warp_forwardIN3c108BFloat16EffLi9ELb1ELb0ELi32EEEvPT0_PKT_iiiPKbib.private_seg_size, 0
	.set _ZN12_GLOBAL__N_120softmax_warp_forwardIN3c108BFloat16EffLi9ELb1ELb0ELi32EEEvPT0_PKT_iiiPKbib.uses_vcc, 1
	.set _ZN12_GLOBAL__N_120softmax_warp_forwardIN3c108BFloat16EffLi9ELb1ELb0ELi32EEEvPT0_PKT_iiiPKbib.uses_flat_scratch, 0
	.set _ZN12_GLOBAL__N_120softmax_warp_forwardIN3c108BFloat16EffLi9ELb1ELb0ELi32EEEvPT0_PKT_iiiPKbib.has_dyn_sized_stack, 0
	.set _ZN12_GLOBAL__N_120softmax_warp_forwardIN3c108BFloat16EffLi9ELb1ELb0ELi32EEEvPT0_PKT_iiiPKbib.has_recursion, 0
	.set _ZN12_GLOBAL__N_120softmax_warp_forwardIN3c108BFloat16EffLi9ELb1ELb0ELi32EEEvPT0_PKT_iiiPKbib.has_indirect_call, 0
	.section	.AMDGPU.csdata,"",@progbits
; Kernel info:
; codeLenInByte = 3736
; TotalNumSgprs: 26
; NumVgprs: 62
; ScratchSize: 0
; MemoryBound: 0
; FloatMode: 240
; IeeeMode: 1
; LDSByteSize: 0 bytes/workgroup (compile time only)
; SGPRBlocks: 0
; VGPRBlocks: 7
; NumSGPRsForWavesPerEU: 26
; NumVGPRsForWavesPerEU: 62
; Occupancy: 16
; WaveLimiterHint : 0
; COMPUTE_PGM_RSRC2:SCRATCH_EN: 0
; COMPUTE_PGM_RSRC2:USER_SGPR: 6
; COMPUTE_PGM_RSRC2:TRAP_HANDLER: 0
; COMPUTE_PGM_RSRC2:TGID_X_EN: 1
; COMPUTE_PGM_RSRC2:TGID_Y_EN: 0
; COMPUTE_PGM_RSRC2:TGID_Z_EN: 0
; COMPUTE_PGM_RSRC2:TIDIG_COMP_CNT: 1
	.section	.text._ZN12_GLOBAL__N_120softmax_warp_forwardIN3c108BFloat16EffLi10ELb1ELb0ELi64EEEvPT0_PKT_iiiPKbib,"axG",@progbits,_ZN12_GLOBAL__N_120softmax_warp_forwardIN3c108BFloat16EffLi10ELb1ELb0ELi64EEEvPT0_PKT_iiiPKbib,comdat
	.globl	_ZN12_GLOBAL__N_120softmax_warp_forwardIN3c108BFloat16EffLi10ELb1ELb0ELi64EEEvPT0_PKT_iiiPKbib ; -- Begin function _ZN12_GLOBAL__N_120softmax_warp_forwardIN3c108BFloat16EffLi10ELb1ELb0ELi64EEEvPT0_PKT_iiiPKbib
	.p2align	8
	.type	_ZN12_GLOBAL__N_120softmax_warp_forwardIN3c108BFloat16EffLi10ELb1ELb0ELi64EEEvPT0_PKT_iiiPKbib,@function
_ZN12_GLOBAL__N_120softmax_warp_forwardIN3c108BFloat16EffLi10ELb1ELb0ELi64EEEvPT0_PKT_iiiPKbib: ; @_ZN12_GLOBAL__N_120softmax_warp_forwardIN3c108BFloat16EffLi10ELb1ELb0ELi64EEEvPT0_PKT_iiiPKbib
; %bb.0:
	s_clause 0x1
	s_load_dword s0, s[4:5], 0x3c
	s_load_dwordx8 s[16:23], s[4:5], 0x0
	v_mov_b32_e32 v6, 0xff800000
	v_mov_b32_e32 v9, 0xff800000
	s_waitcnt lgkmcnt(0)
	s_lshr_b32 s0, s0, 16
	v_cmp_gt_i32_e64 s1, s22, v0
	v_mad_u64_u32 v[3:4], null, s6, s0, v[1:2]
	v_mad_u64_u32 v[1:2], null, v3, s21, v[0:1]
	v_sub_nc_u32_e32 v5, s20, v3
	v_cmp_lt_i32_e64 s15, 0, v5
	v_ashrrev_i32_e32 v2, 31, v1
	s_and_b32 s2, s15, s1
	v_lshlrev_b64 v[3:4], 1, v[1:2]
	v_add_co_u32 v3, vcc_lo, s18, v3
	v_add_co_ci_u32_e64 v4, null, s19, v4, vcc_lo
	s_and_saveexec_b32 s0, s2
	s_cbranch_execz .LBB186_2
; %bb.1:
	global_load_ushort v7, v[3:4], off
	s_waitcnt vmcnt(0)
	v_lshlrev_b32_e32 v9, 16, v7
.LBB186_2:
	s_or_b32 exec_lo, exec_lo, s0
	v_add_nc_u32_e32 v7, 64, v0
	v_cmp_gt_i32_e32 vcc_lo, s22, v7
	s_and_b32 s2, s15, vcc_lo
	s_and_saveexec_b32 s0, s2
	s_cbranch_execz .LBB186_4
; %bb.3:
	global_load_ushort v6, v[3:4], off offset:128
	s_waitcnt vmcnt(0)
	v_lshlrev_b32_e32 v6, 16, v6
.LBB186_4:
	s_or_b32 exec_lo, exec_lo, s0
	v_add_nc_u32_e32 v7, 0x80, v0
	v_mov_b32_e32 v11, 0xff800000
	v_mov_b32_e32 v13, 0xff800000
	v_cmp_gt_i32_e64 s0, s22, v7
	s_and_b32 s3, s15, s0
	s_and_saveexec_b32 s2, s3
	s_cbranch_execz .LBB186_6
; %bb.5:
	global_load_ushort v7, v[3:4], off offset:256
	s_waitcnt vmcnt(0)
	v_lshlrev_b32_e32 v13, 16, v7
.LBB186_6:
	s_or_b32 exec_lo, exec_lo, s2
	v_add_nc_u32_e32 v7, 0xc0, v0
	v_cmp_gt_i32_e64 s2, s22, v7
	s_and_b32 s4, s15, s2
	s_and_saveexec_b32 s3, s4
	s_cbranch_execz .LBB186_8
; %bb.7:
	global_load_ushort v7, v[3:4], off offset:384
	s_waitcnt vmcnt(0)
	v_lshlrev_b32_e32 v11, 16, v7
.LBB186_8:
	s_or_b32 exec_lo, exec_lo, s3
	v_add_nc_u32_e32 v7, 0x100, v0
	v_mov_b32_e32 v14, 0xff800000
	v_mov_b32_e32 v15, 0xff800000
	v_cmp_gt_i32_e64 s3, s22, v7
	s_and_b32 s5, s15, s3
	s_and_saveexec_b32 s4, s5
	s_cbranch_execz .LBB186_10
; %bb.9:
	global_load_ushort v7, v[3:4], off offset:512
	s_waitcnt vmcnt(0)
	v_lshlrev_b32_e32 v15, 16, v7
.LBB186_10:
	s_or_b32 exec_lo, exec_lo, s4
	v_add_nc_u32_e32 v7, 0x140, v0
	v_cmp_gt_i32_e64 s4, s22, v7
	s_and_b32 s6, s15, s4
	;; [unrolled: 24-line block ×7, first 2 shown]
	s_and_saveexec_b32 s15, s18
	s_cbranch_execz .LBB186_32
; %bb.31:
	global_load_ushort v0, v[3:4], off offset:1920
	s_waitcnt vmcnt(0)
	v_lshlrev_b32_e32 v24, 16, v0
.LBB186_32:
	s_or_b32 exec_lo, exec_lo, s15
	v_cmp_gt_f32_e64 s15, v9, v6
	v_mbcnt_lo_u32_b32 v3, -1, 0
	s_mov_b32 s18, exec_lo
	v_cndmask_b32_e64 v0, v6, v9, s15
	v_or_b32_e32 v4, 32, v3
	v_cmp_gt_f32_e64 s15, v0, v13
	v_cndmask_b32_e64 v0, v13, v0, s15
	v_cmp_gt_f32_e64 s15, v0, v11
	v_cndmask_b32_e64 v0, v11, v0, s15
	;; [unrolled: 2-line block ×12, first 2 shown]
	v_cmp_gt_i32_e64 s15, 64, v4
	v_cndmask_b32_e64 v4, v3, v4, s15
	v_cmp_gt_f32_e64 s15, v0, v25
	v_cndmask_b32_e64 v7, v25, v0, s15
	v_lshlrev_b32_e32 v0, 2, v4
	v_xor_b32_e32 v4, 16, v3
	v_cmp_gt_f32_e64 s15, v7, v24
	v_cndmask_b32_e64 v7, v24, v7, s15
	v_cmp_gt_i32_e64 s15, 64, v4
	ds_bpermute_b32 v8, v0, v7
	v_cndmask_b32_e64 v4, v3, v4, s15
	v_lshlrev_b32_e32 v4, 2, v4
	s_waitcnt lgkmcnt(0)
	v_cmp_lt_f32_e64 s15, v7, v8
	v_cndmask_b32_e64 v8, v7, v8, s15
	v_xor_b32_e32 v7, 8, v3
	ds_bpermute_b32 v10, v4, v8
	v_cmp_gt_i32_e64 s15, 64, v7
	v_cndmask_b32_e64 v7, v3, v7, s15
	v_lshlrev_b32_e32 v7, 2, v7
	s_waitcnt lgkmcnt(0)
	v_cmp_lt_f32_e64 s15, v8, v10
	v_cndmask_b32_e64 v10, v8, v10, s15
	v_xor_b32_e32 v8, 4, v3
	ds_bpermute_b32 v12, v7, v10
	v_cmp_gt_i32_e64 s15, 64, v8
	;; [unrolled: 8-line block ×4, first 2 shown]
	v_cndmask_b32_e64 v3, v3, v12, s15
	v_lshlrev_b32_e32 v12, 2, v3
	s_waitcnt lgkmcnt(0)
	v_cmp_lt_f32_e64 s15, v26, v27
	v_cndmask_b32_e64 v3, v26, v27, s15
	ds_bpermute_b32 v26, v12, v3
	s_waitcnt lgkmcnt(0)
	v_cmp_lt_f32_e64 s15, v3, v26
	v_cndmask_b32_e64 v26, v3, v26, s15
	v_sub_f32_e32 v3, v9, v26
	v_sub_f32_e32 v6, v6, v26
	;; [unrolled: 1-line block ×9, first 2 shown]
	v_mul_f32_e32 v25, 0x3fb8aa3b, v3
	v_sub_f32_e32 v11, v11, v26
	v_sub_f32_e32 v14, v14, v26
	;; [unrolled: 1-line block ×7, first 2 shown]
	v_mul_f32_e32 v26, 0x3fb8aa3b, v6
	v_fma_f32 v41, 0x3fb8aa3b, v3, -v25
	v_rndne_f32_e32 v42, v25
	v_mul_f32_e32 v27, 0x3fb8aa3b, v9
	v_mul_f32_e32 v28, 0x3fb8aa3b, v11
	v_fma_f32 v43, 0x3fb8aa3b, v6, -v26
	v_rndne_f32_e32 v44, v26
	v_fmac_f32_e32 v41, 0x32a5705f, v3
	v_sub_f32_e32 v25, v25, v42
	v_fma_f32 v45, 0x3fb8aa3b, v9, -v27
	v_rndne_f32_e32 v46, v27
	v_fmac_f32_e32 v43, 0x32a5705f, v6
	v_sub_f32_e32 v26, v26, v44
	v_add_f32_e32 v25, v25, v41
	v_fmac_f32_e32 v45, 0x32a5705f, v9
	v_sub_f32_e32 v27, v27, v46
	v_cvt_i32_f32_e32 v42, v42
	v_add_f32_e32 v26, v26, v43
	v_exp_f32_e32 v25, v25
	v_fma_f32 v47, 0x3fb8aa3b, v11, -v28
	v_add_f32_e32 v27, v27, v45
	v_rndne_f32_e32 v48, v28
	v_exp_f32_e32 v26, v26
	v_cvt_i32_f32_e32 v44, v44
	v_cmp_ngt_f32_e64 s15, 0xc2ce8ed0, v3
	v_exp_f32_e32 v27, v27
	v_mul_f32_e32 v29, 0x3fb8aa3b, v13
	v_fmac_f32_e32 v47, 0x32a5705f, v11
	v_ldexp_f32 v25, v25, v42
	v_sub_f32_e32 v28, v28, v48
	v_cvt_i32_f32_e32 v46, v46
	v_fma_f32 v49, 0x3fb8aa3b, v13, -v29
	v_ldexp_f32 v26, v26, v44
	v_cndmask_b32_e64 v25, 0, v25, s15
	v_cmp_ngt_f32_e64 s15, 0xc2ce8ed0, v6
	v_rndne_f32_e32 v50, v29
	v_add_f32_e32 v28, v28, v47
	v_ldexp_f32 v27, v27, v46
	v_mul_f32_e32 v30, 0x3fb8aa3b, v14
	v_cndmask_b32_e64 v26, 0, v26, s15
	v_cmp_ngt_f32_e64 s15, 0xc2ce8ed0, v9
	v_fmac_f32_e32 v49, 0x32a5705f, v13
	v_sub_f32_e32 v29, v29, v50
	v_exp_f32_e32 v28, v28
	v_fma_f32 v51, 0x3fb8aa3b, v14, -v30
	v_cndmask_b32_e64 v27, 0, v27, s15
	v_cmp_nlt_f32_e64 s15, 0x42b17218, v3
	v_rndne_f32_e32 v52, v30
	v_add_f32_e32 v29, v29, v49
	v_cvt_i32_f32_e32 v48, v48
	v_mul_f32_e32 v31, 0x3fb8aa3b, v15
	v_cndmask_b32_e64 v25, 0x7f800000, v25, s15
	v_cmp_nlt_f32_e64 s15, 0x42b17218, v6
	v_fmac_f32_e32 v51, 0x32a5705f, v14
	v_sub_f32_e32 v30, v30, v52
	v_exp_f32_e32 v29, v29
	v_ldexp_f32 v28, v28, v48
	v_cndmask_b32_e64 v26, 0x7f800000, v26, s15
	v_cmp_ngt_f32_e64 s15, 0xc2ce8ed0, v11
	v_fma_f32 v53, 0x3fb8aa3b, v15, -v31
	v_rndne_f32_e32 v54, v31
	v_add_f32_e32 v30, v30, v51
	v_cvt_i32_f32_e32 v50, v50
	v_cndmask_b32_e64 v28, 0, v28, s15
	v_cmp_nlt_f32_e64 s15, 0x42b17218, v9
	v_mul_f32_e32 v32, 0x3fb8aa3b, v16
	v_fmac_f32_e32 v53, 0x32a5705f, v15
	v_sub_f32_e32 v31, v31, v54
	v_exp_f32_e32 v30, v30
	v_ldexp_f32 v29, v29, v50
	v_cndmask_b32_e64 v27, 0x7f800000, v27, s15
	v_cmp_ngt_f32_e64 s15, 0xc2ce8ed0, v13
	v_fma_f32 v55, 0x3fb8aa3b, v16, -v32
	v_rndne_f32_e32 v56, v32
	v_add_f32_e32 v31, v31, v53
	v_cvt_i32_f32_e32 v52, v52
	v_add_f32_e32 v25, v25, v26
	v_cndmask_b32_e64 v26, 0, v29, s15
	v_cmp_nlt_f32_e64 s15, 0x42b17218, v11
	v_mul_f32_e32 v33, 0x3fb8aa3b, v17
	v_fmac_f32_e32 v55, 0x32a5705f, v16
	v_sub_f32_e32 v32, v32, v56
	v_exp_f32_e32 v31, v31
	v_ldexp_f32 v30, v30, v52
	v_cndmask_b32_e64 v28, 0x7f800000, v28, s15
	v_cmp_ngt_f32_e64 s15, 0xc2ce8ed0, v14
	v_fma_f32 v57, 0x3fb8aa3b, v17, -v33
	v_rndne_f32_e32 v58, v33
	v_add_f32_e32 v32, v32, v55
	v_cvt_i32_f32_e32 v54, v54
	v_add_f32_e32 v25, v25, v27
	v_cndmask_b32_e64 v27, 0, v30, s15
	v_cmp_nlt_f32_e64 s15, 0x42b17218, v13
	v_mul_f32_e32 v34, 0x3fb8aa3b, v18
	v_fmac_f32_e32 v57, 0x32a5705f, v17
	v_sub_f32_e32 v33, v33, v58
	v_exp_f32_e32 v32, v32
	v_ldexp_f32 v31, v31, v54
	v_cndmask_b32_e64 v26, 0x7f800000, v26, s15
	v_cmp_ngt_f32_e64 s15, 0xc2ce8ed0, v15
	v_fma_f32 v59, 0x3fb8aa3b, v18, -v34
	v_rndne_f32_e32 v60, v34
	v_add_f32_e32 v33, v33, v57
	v_cvt_i32_f32_e32 v56, v56
	v_add_f32_e32 v25, v25, v28
	v_cndmask_b32_e64 v28, 0, v31, s15
	v_cmp_nlt_f32_e64 s15, 0x42b17218, v14
	v_mul_f32_e32 v35, 0x3fb8aa3b, v19
	v_fmac_f32_e32 v59, 0x32a5705f, v18
	v_sub_f32_e32 v34, v34, v60
	v_exp_f32_e32 v33, v33
	v_ldexp_f32 v32, v32, v56
	v_cndmask_b32_e64 v27, 0x7f800000, v27, s15
	v_cmp_ngt_f32_e64 s15, 0xc2ce8ed0, v16
	v_fma_f32 v61, 0x3fb8aa3b, v19, -v35
	v_rndne_f32_e32 v41, v35
	v_add_f32_e32 v34, v34, v59
	v_cvt_i32_f32_e32 v58, v58
	v_add_f32_e32 v25, v25, v26
	v_cndmask_b32_e64 v26, 0, v32, s15
	v_cmp_nlt_f32_e64 s15, 0x42b17218, v15
	v_mul_f32_e32 v36, 0x3fb8aa3b, v20
	v_fmac_f32_e32 v61, 0x32a5705f, v19
	v_sub_f32_e32 v35, v35, v41
	v_exp_f32_e32 v34, v34
	v_ldexp_f32 v33, v33, v58
	v_cndmask_b32_e64 v28, 0x7f800000, v28, s15
	v_cmp_ngt_f32_e64 s15, 0xc2ce8ed0, v17
	v_fma_f32 v43, 0x3fb8aa3b, v20, -v36
	v_rndne_f32_e32 v45, v36
	v_add_f32_e32 v35, v35, v61
	v_cvt_i32_f32_e32 v60, v60
	v_add_f32_e32 v25, v25, v27
	v_cndmask_b32_e64 v27, 0, v33, s15
	v_cmp_nlt_f32_e64 s15, 0x42b17218, v16
	v_mul_f32_e32 v37, 0x3fb8aa3b, v21
	v_fmac_f32_e32 v43, 0x32a5705f, v20
	v_sub_f32_e32 v36, v36, v45
	v_exp_f32_e32 v35, v35
	v_ldexp_f32 v34, v34, v60
	v_cndmask_b32_e64 v26, 0x7f800000, v26, s15
	v_cmp_ngt_f32_e64 s15, 0xc2ce8ed0, v18
	v_fma_f32 v47, 0x3fb8aa3b, v21, -v37
	v_rndne_f32_e32 v49, v37
	v_cvt_i32_f32_e32 v41, v41
	v_add_f32_e32 v36, v36, v43
	v_add_f32_e32 v25, v25, v28
	v_cndmask_b32_e64 v28, 0, v34, s15
	v_cmp_nlt_f32_e64 s15, 0x42b17218, v17
	v_mul_f32_e32 v38, 0x3fb8aa3b, v22
	v_fmac_f32_e32 v47, 0x32a5705f, v21
	v_sub_f32_e32 v37, v37, v49
	v_exp_f32_e32 v36, v36
	v_ldexp_f32 v35, v35, v41
	v_cndmask_b32_e64 v27, 0x7f800000, v27, s15
	v_cmp_ngt_f32_e64 s15, 0xc2ce8ed0, v19
	v_fma_f32 v51, 0x3fb8aa3b, v22, -v38
	v_rndne_f32_e32 v53, v38
	v_cvt_i32_f32_e32 v45, v45
	v_add_f32_e32 v37, v37, v47
	v_add_f32_e32 v25, v25, v26
	;; [unrolled: 14-line block ×3, first 2 shown]
	v_cndmask_b32_e64 v27, 0, v36, s15
	v_cmp_nlt_f32_e64 s15, 0x42b17218, v19
	v_fmac_f32_e32 v55, 0x32a5705f, v23
	v_sub_f32_e32 v39, v39, v57
	v_exp_f32_e32 v38, v38
	v_ldexp_f32 v37, v37, v49
	v_cndmask_b32_e64 v26, 0x7f800000, v26, s15
	v_cmp_ngt_f32_e64 s15, 0xc2ce8ed0, v21
	v_mul_f32_e32 v40, 0x3fb8aa3b, v24
	v_cvt_i32_f32_e32 v53, v53
	v_add_f32_e32 v39, v39, v55
	v_add_f32_e32 v25, v25, v28
	v_cndmask_b32_e64 v28, 0, v37, s15
	v_cmp_nlt_f32_e64 s15, 0x42b17218, v20
	v_fma_f32 v59, 0x3fb8aa3b, v24, -v40
	v_rndne_f32_e32 v61, v40
	v_exp_f32_e32 v39, v39
	v_ldexp_f32 v38, v38, v53
	v_cndmask_b32_e64 v27, 0x7f800000, v27, s15
	v_cmp_ngt_f32_e64 s15, 0xc2ce8ed0, v22
	v_cvt_i32_f32_e32 v57, v57
	v_fmac_f32_e32 v59, 0x32a5705f, v24
	v_sub_f32_e32 v40, v40, v61
	v_add_f32_e32 v25, v25, v26
	v_cndmask_b32_e64 v26, 0, v38, s15
	v_cmp_nlt_f32_e64 s15, 0x42b17218, v21
	v_ldexp_f32 v39, v39, v57
	v_add_f32_e32 v40, v40, v59
	v_add_f32_e32 v25, v25, v27
	v_cvt_i32_f32_e32 v61, v61
	v_cndmask_b32_e64 v28, 0x7f800000, v28, s15
	v_cmp_ngt_f32_e64 s15, 0xc2ce8ed0, v23
	v_exp_f32_e32 v40, v40
	v_add_f32_e32 v25, v25, v28
	v_cndmask_b32_e64 v27, 0, v39, s15
	v_cmp_nlt_f32_e64 s15, 0x42b17218, v22
	v_cndmask_b32_e64 v26, 0x7f800000, v26, s15
	v_cmp_nlt_f32_e64 s15, 0x42b17218, v23
	v_ldexp_f32 v28, v40, v61
	v_add_f32_e32 v25, v25, v26
	v_cndmask_b32_e64 v27, 0x7f800000, v27, s15
	v_cmp_ngt_f32_e64 s15, 0xc2ce8ed0, v24
	v_add_f32_e32 v25, v25, v27
	v_cndmask_b32_e64 v26, 0, v28, s15
	v_cmp_nlt_f32_e64 s15, 0x42b17218, v24
	v_cndmask_b32_e64 v26, 0x7f800000, v26, s15
	v_add_f32_e32 v25, v25, v26
	ds_bpermute_b32 v0, v0, v25
	s_waitcnt lgkmcnt(0)
	v_add_f32_e32 v0, v25, v0
	ds_bpermute_b32 v4, v4, v0
	s_waitcnt lgkmcnt(0)
	;; [unrolled: 3-line block ×5, first 2 shown]
	v_add_f32_e32 v0, v0, v4
	ds_bpermute_b32 v4, v12, v0
	v_cmpx_lt_i32_e32 0, v5
	s_cbranch_execz .LBB186_50
; %bb.33:
	s_and_b32 exec_lo, exec_lo, s1
	s_cbranch_execz .LBB186_50
; %bb.34:
	s_waitcnt lgkmcnt(0)
	v_add_f32_e32 v0, v0, v4
	v_cmp_gt_f32_e64 s1, 0x800000, v0
	v_cndmask_b32_e64 v4, 0, 32, s1
	v_cndmask_b32_e64 v5, 0, 0x41b17218, s1
	v_ldexp_f32 v0, v0, v4
	v_log_f32_e32 v0, v0
	v_mul_f32_e32 v4, 0x3f317217, v0
	v_cmp_gt_f32_e64 s15, 0x7f800000, |v0|
	v_fma_f32 v4, 0x3f317217, v0, -v4
	v_fmamk_f32 v4, v0, 0x3377d1cf, v4
	v_fmac_f32_e32 v4, 0x3f317217, v0
	v_cndmask_b32_e64 v4, v0, v4, s15
	v_lshlrev_b64 v[0:1], 2, v[1:2]
	v_sub_f32_e32 v2, v4, v5
	v_add_co_u32 v0, s1, s16, v0
	v_add_co_ci_u32_e64 v1, null, s17, v1, s1
	v_sub_f32_e32 v3, v3, v2
	global_store_dword v[0:1], v3, off
	s_and_b32 exec_lo, exec_lo, vcc_lo
	s_cbranch_execz .LBB186_50
; %bb.35:
	v_sub_f32_e32 v3, v6, v2
	global_store_dword v[0:1], v3, off offset:256
	s_and_b32 exec_lo, exec_lo, s0
	s_cbranch_execz .LBB186_50
; %bb.36:
	v_sub_f32_e32 v3, v9, v2
	global_store_dword v[0:1], v3, off offset:512
	s_and_b32 exec_lo, exec_lo, s2
	;; [unrolled: 5-line block ×7, first 2 shown]
	s_cbranch_execz .LBB186_50
; %bb.42:
	v_add_co_u32 v0, vcc_lo, 0x800, v0
	v_sub_f32_e32 v3, v17, v2
	v_add_co_ci_u32_e64 v1, null, 0, v1, vcc_lo
	global_store_dword v[0:1], v3, off
	s_and_b32 exec_lo, exec_lo, s8
	s_cbranch_execz .LBB186_50
; %bb.43:
	v_sub_f32_e32 v3, v18, v2
	global_store_dword v[0:1], v3, off offset:256
	s_and_b32 exec_lo, exec_lo, s9
	s_cbranch_execz .LBB186_50
; %bb.44:
	v_sub_f32_e32 v3, v19, v2
	global_store_dword v[0:1], v3, off offset:512
	;; [unrolled: 5-line block ×7, first 2 shown]
.LBB186_50:
	s_endpgm
	.section	.rodata,"a",@progbits
	.p2align	6, 0x0
	.amdhsa_kernel _ZN12_GLOBAL__N_120softmax_warp_forwardIN3c108BFloat16EffLi10ELb1ELb0ELi64EEEvPT0_PKT_iiiPKbib
		.amdhsa_group_segment_fixed_size 0
		.amdhsa_private_segment_fixed_size 0
		.amdhsa_kernarg_size 304
		.amdhsa_user_sgpr_count 6
		.amdhsa_user_sgpr_private_segment_buffer 1
		.amdhsa_user_sgpr_dispatch_ptr 0
		.amdhsa_user_sgpr_queue_ptr 0
		.amdhsa_user_sgpr_kernarg_segment_ptr 1
		.amdhsa_user_sgpr_dispatch_id 0
		.amdhsa_user_sgpr_flat_scratch_init 0
		.amdhsa_user_sgpr_private_segment_size 0
		.amdhsa_wavefront_size32 1
		.amdhsa_uses_dynamic_stack 0
		.amdhsa_system_sgpr_private_segment_wavefront_offset 0
		.amdhsa_system_sgpr_workgroup_id_x 1
		.amdhsa_system_sgpr_workgroup_id_y 0
		.amdhsa_system_sgpr_workgroup_id_z 0
		.amdhsa_system_sgpr_workgroup_info 0
		.amdhsa_system_vgpr_workitem_id 1
		.amdhsa_next_free_vgpr 62
		.amdhsa_next_free_sgpr 24
		.amdhsa_reserve_vcc 1
		.amdhsa_reserve_flat_scratch 0
		.amdhsa_float_round_mode_32 0
		.amdhsa_float_round_mode_16_64 0
		.amdhsa_float_denorm_mode_32 3
		.amdhsa_float_denorm_mode_16_64 3
		.amdhsa_dx10_clamp 1
		.amdhsa_ieee_mode 1
		.amdhsa_fp16_overflow 0
		.amdhsa_workgroup_processor_mode 1
		.amdhsa_memory_ordered 1
		.amdhsa_forward_progress 1
		.amdhsa_shared_vgpr_count 0
		.amdhsa_exception_fp_ieee_invalid_op 0
		.amdhsa_exception_fp_denorm_src 0
		.amdhsa_exception_fp_ieee_div_zero 0
		.amdhsa_exception_fp_ieee_overflow 0
		.amdhsa_exception_fp_ieee_underflow 0
		.amdhsa_exception_fp_ieee_inexact 0
		.amdhsa_exception_int_div_zero 0
	.end_amdhsa_kernel
	.section	.text._ZN12_GLOBAL__N_120softmax_warp_forwardIN3c108BFloat16EffLi10ELb1ELb0ELi64EEEvPT0_PKT_iiiPKbib,"axG",@progbits,_ZN12_GLOBAL__N_120softmax_warp_forwardIN3c108BFloat16EffLi10ELb1ELb0ELi64EEEvPT0_PKT_iiiPKbib,comdat
.Lfunc_end186:
	.size	_ZN12_GLOBAL__N_120softmax_warp_forwardIN3c108BFloat16EffLi10ELb1ELb0ELi64EEEvPT0_PKT_iiiPKbib, .Lfunc_end186-_ZN12_GLOBAL__N_120softmax_warp_forwardIN3c108BFloat16EffLi10ELb1ELb0ELi64EEEvPT0_PKT_iiiPKbib
                                        ; -- End function
	.set _ZN12_GLOBAL__N_120softmax_warp_forwardIN3c108BFloat16EffLi10ELb1ELb0ELi64EEEvPT0_PKT_iiiPKbib.num_vgpr, 62
	.set _ZN12_GLOBAL__N_120softmax_warp_forwardIN3c108BFloat16EffLi10ELb1ELb0ELi64EEEvPT0_PKT_iiiPKbib.num_agpr, 0
	.set _ZN12_GLOBAL__N_120softmax_warp_forwardIN3c108BFloat16EffLi10ELb1ELb0ELi64EEEvPT0_PKT_iiiPKbib.numbered_sgpr, 24
	.set _ZN12_GLOBAL__N_120softmax_warp_forwardIN3c108BFloat16EffLi10ELb1ELb0ELi64EEEvPT0_PKT_iiiPKbib.num_named_barrier, 0
	.set _ZN12_GLOBAL__N_120softmax_warp_forwardIN3c108BFloat16EffLi10ELb1ELb0ELi64EEEvPT0_PKT_iiiPKbib.private_seg_size, 0
	.set _ZN12_GLOBAL__N_120softmax_warp_forwardIN3c108BFloat16EffLi10ELb1ELb0ELi64EEEvPT0_PKT_iiiPKbib.uses_vcc, 1
	.set _ZN12_GLOBAL__N_120softmax_warp_forwardIN3c108BFloat16EffLi10ELb1ELb0ELi64EEEvPT0_PKT_iiiPKbib.uses_flat_scratch, 0
	.set _ZN12_GLOBAL__N_120softmax_warp_forwardIN3c108BFloat16EffLi10ELb1ELb0ELi64EEEvPT0_PKT_iiiPKbib.has_dyn_sized_stack, 0
	.set _ZN12_GLOBAL__N_120softmax_warp_forwardIN3c108BFloat16EffLi10ELb1ELb0ELi64EEEvPT0_PKT_iiiPKbib.has_recursion, 0
	.set _ZN12_GLOBAL__N_120softmax_warp_forwardIN3c108BFloat16EffLi10ELb1ELb0ELi64EEEvPT0_PKT_iiiPKbib.has_indirect_call, 0
	.section	.AMDGPU.csdata,"",@progbits
; Kernel info:
; codeLenInByte = 3828
; TotalNumSgprs: 26
; NumVgprs: 62
; ScratchSize: 0
; MemoryBound: 0
; FloatMode: 240
; IeeeMode: 1
; LDSByteSize: 0 bytes/workgroup (compile time only)
; SGPRBlocks: 0
; VGPRBlocks: 7
; NumSGPRsForWavesPerEU: 26
; NumVGPRsForWavesPerEU: 62
; Occupancy: 16
; WaveLimiterHint : 0
; COMPUTE_PGM_RSRC2:SCRATCH_EN: 0
; COMPUTE_PGM_RSRC2:USER_SGPR: 6
; COMPUTE_PGM_RSRC2:TRAP_HANDLER: 0
; COMPUTE_PGM_RSRC2:TGID_X_EN: 1
; COMPUTE_PGM_RSRC2:TGID_Y_EN: 0
; COMPUTE_PGM_RSRC2:TGID_Z_EN: 0
; COMPUTE_PGM_RSRC2:TIDIG_COMP_CNT: 1
	.section	.text._ZN12_GLOBAL__N_120softmax_warp_forwardIN3c108BFloat16EffLi10ELb1ELb0ELi32EEEvPT0_PKT_iiiPKbib,"axG",@progbits,_ZN12_GLOBAL__N_120softmax_warp_forwardIN3c108BFloat16EffLi10ELb1ELb0ELi32EEEvPT0_PKT_iiiPKbib,comdat
	.globl	_ZN12_GLOBAL__N_120softmax_warp_forwardIN3c108BFloat16EffLi10ELb1ELb0ELi32EEEvPT0_PKT_iiiPKbib ; -- Begin function _ZN12_GLOBAL__N_120softmax_warp_forwardIN3c108BFloat16EffLi10ELb1ELb0ELi32EEEvPT0_PKT_iiiPKbib
	.p2align	8
	.type	_ZN12_GLOBAL__N_120softmax_warp_forwardIN3c108BFloat16EffLi10ELb1ELb0ELi32EEEvPT0_PKT_iiiPKbib,@function
_ZN12_GLOBAL__N_120softmax_warp_forwardIN3c108BFloat16EffLi10ELb1ELb0ELi32EEEvPT0_PKT_iiiPKbib: ; @_ZN12_GLOBAL__N_120softmax_warp_forwardIN3c108BFloat16EffLi10ELb1ELb0ELi32EEEvPT0_PKT_iiiPKbib
; %bb.0:
	s_clause 0x1
	s_load_dword s0, s[4:5], 0x3c
	s_load_dwordx8 s[36:43], s[4:5], 0x0
	v_mov_b32_e32 v13, 0xff800000
	v_mov_b32_e32 v41, 0xff800000
	s_waitcnt lgkmcnt(0)
	s_lshr_b32 s0, s0, 16
	v_cmp_gt_i32_e64 s1, s42, v0
	v_mad_u64_u32 v[3:4], null, s6, s0, v[1:2]
	v_mad_u64_u32 v[1:2], null, v3, s41, v[0:1]
	v_sub_nc_u32_e32 v5, s40, v3
	v_cmp_lt_i32_e64 s31, 0, v5
	v_ashrrev_i32_e32 v2, 31, v1
	s_and_b32 s2, s31, s1
	v_lshlrev_b64 v[3:4], 1, v[1:2]
	v_add_co_u32 v3, vcc_lo, s38, v3
	v_add_co_ci_u32_e64 v4, null, s39, v4, vcc_lo
	s_and_saveexec_b32 s0, s2
	s_cbranch_execz .LBB187_2
; %bb.1:
	global_load_ushort v6, v[3:4], off
	s_waitcnt vmcnt(0)
	v_lshlrev_b32_e32 v41, 16, v6
.LBB187_2:
	s_or_b32 exec_lo, exec_lo, s0
	v_add_nc_u32_e32 v6, 32, v0
	v_cmp_gt_i32_e32 vcc_lo, s42, v6
	s_and_b32 s2, s31, vcc_lo
	s_and_saveexec_b32 s0, s2
	s_cbranch_execz .LBB187_4
; %bb.3:
	global_load_ushort v6, v[3:4], off offset:64
	s_waitcnt vmcnt(0)
	v_lshlrev_b32_e32 v13, 16, v6
.LBB187_4:
	s_or_b32 exec_lo, exec_lo, s0
	v_add_nc_u32_e32 v6, 64, v0
	v_mov_b32_e32 v18, 0xff800000
	v_mov_b32_e32 v15, 0xff800000
	v_cmp_gt_i32_e64 s0, s42, v6
	s_and_b32 s3, s31, s0
	s_and_saveexec_b32 s2, s3
	s_cbranch_execz .LBB187_6
; %bb.5:
	global_load_ushort v6, v[3:4], off offset:128
	s_waitcnt vmcnt(0)
	v_lshlrev_b32_e32 v15, 16, v6
.LBB187_6:
	s_or_b32 exec_lo, exec_lo, s2
	v_add_nc_u32_e32 v6, 0x60, v0
	v_cmp_gt_i32_e64 s2, s42, v6
	s_and_b32 s4, s31, s2
	s_and_saveexec_b32 s3, s4
	s_cbranch_execz .LBB187_8
; %bb.7:
	global_load_ushort v6, v[3:4], off offset:192
	s_waitcnt vmcnt(0)
	v_lshlrev_b32_e32 v18, 16, v6
.LBB187_8:
	s_or_b32 exec_lo, exec_lo, s3
	v_add_nc_u32_e32 v6, 0x80, v0
	v_mov_b32_e32 v23, 0xff800000
	v_mov_b32_e32 v19, 0xff800000
	v_cmp_gt_i32_e64 s3, s42, v6
	s_and_b32 s5, s31, s3
	s_and_saveexec_b32 s4, s5
	s_cbranch_execz .LBB187_10
; %bb.9:
	global_load_ushort v6, v[3:4], off offset:256
	s_waitcnt vmcnt(0)
	v_lshlrev_b32_e32 v19, 16, v6
.LBB187_10:
	s_or_b32 exec_lo, exec_lo, s4
	v_add_nc_u32_e32 v6, 0xa0, v0
	v_cmp_gt_i32_e64 s4, s42, v6
	s_and_b32 s6, s31, s4
	;; [unrolled: 24-line block ×14, first 2 shown]
	s_and_saveexec_b32 s29, s30
	s_cbranch_execz .LBB187_60
; %bb.59:
	global_load_ushort v6, v[3:4], off offset:1856
	s_waitcnt vmcnt(0)
	v_lshlrev_b32_e32 v7, 16, v6
.LBB187_60:
	s_or_b32 exec_lo, exec_lo, s29
	v_add_nc_u32_e32 v6, 0x3c0, v0
	v_mov_b32_e32 v8, 0xff800000
	v_cmp_gt_i32_e64 s29, s42, v6
	v_mov_b32_e32 v6, 0xff800000
	s_and_b32 s33, s31, s29
	s_and_saveexec_b32 s30, s33
	s_cbranch_execz .LBB187_62
; %bb.61:
	global_load_ushort v8, v[3:4], off offset:1920
	s_waitcnt vmcnt(0)
	v_lshlrev_b32_e32 v8, 16, v8
.LBB187_62:
	s_or_b32 exec_lo, exec_lo, s30
	v_add_nc_u32_e32 v0, 0x3e0, v0
	v_cmp_gt_i32_e64 s30, s42, v0
	s_and_b32 s33, s31, s30
	s_and_saveexec_b32 s31, s33
	s_cbranch_execz .LBB187_64
; %bb.63:
	global_load_ushort v0, v[3:4], off offset:1984
	s_waitcnt vmcnt(0)
	v_lshlrev_b32_e32 v6, 16, v0
.LBB187_64:
	s_or_b32 exec_lo, exec_lo, s31
	v_cmp_gt_f32_e64 s31, v41, v13
	v_mbcnt_lo_u32_b32 v14, -1, 0
	s_mov_b32 s33, exec_lo
	v_cndmask_b32_e64 v0, v13, v41, s31
	v_cmp_gt_f32_e64 s31, v0, v15
	v_cndmask_b32_e64 v0, v15, v0, s31
	v_cmp_gt_f32_e64 s31, v0, v18
	;; [unrolled: 2-line block ×30, first 2 shown]
	v_cndmask_b32_e64 v3, v6, v0, s31
	v_xor_b32_e32 v0, 16, v14
	v_cmp_gt_i32_e64 s31, 32, v0
	v_cndmask_b32_e64 v0, v14, v0, s31
	v_lshlrev_b32_e32 v0, 2, v0
	ds_bpermute_b32 v4, v0, v3
	s_waitcnt lgkmcnt(0)
	v_cmp_lt_f32_e64 s31, v3, v4
	v_cndmask_b32_e64 v3, v3, v4, s31
	v_xor_b32_e32 v4, 8, v14
	v_cmp_gt_i32_e64 s31, 32, v4
	v_cndmask_b32_e64 v4, v14, v4, s31
	v_lshlrev_b32_e32 v4, 2, v4
	ds_bpermute_b32 v10, v4, v3
	s_waitcnt lgkmcnt(0)
	v_cmp_lt_f32_e64 s31, v3, v10
	;; [unrolled: 8-line block ×5, first 2 shown]
	v_cndmask_b32_e64 v21, v3, v21, s31
	v_sub_f32_e32 v3, v41, v21
	v_sub_f32_e32 v13, v13, v21
	;; [unrolled: 1-line block ×5, first 2 shown]
	v_mul_f32_e32 v41, 0x3fb8aa3b, v3
	v_cmp_ngt_f32_e64 s31, 0xc2ce8ed0, v3
	v_sub_f32_e32 v23, v23, v21
	v_sub_f32_e32 v24, v24, v21
	;; [unrolled: 1-line block ×3, first 2 shown]
	v_fma_f32 v42, 0x3fb8aa3b, v3, -v41
	v_rndne_f32_e32 v43, v41
	v_sub_f32_e32 v26, v26, v21
	v_sub_f32_e32 v27, v27, v21
	;; [unrolled: 1-line block ×3, first 2 shown]
	v_fmac_f32_e32 v42, 0x32a5705f, v3
	v_sub_f32_e32 v41, v41, v43
	v_sub_f32_e32 v31, v31, v21
	;; [unrolled: 1-line block ×5, first 2 shown]
	v_add_f32_e32 v41, v41, v42
	v_cvt_i32_f32_e32 v42, v43
	v_sub_f32_e32 v38, v38, v21
	v_sub_f32_e32 v40, v40, v21
	;; [unrolled: 1-line block ×3, first 2 shown]
	v_exp_f32_e32 v41, v41
	v_sub_f32_e32 v37, v37, v21
	v_sub_f32_e32 v32, v32, v21
	;; [unrolled: 1-line block ×9, first 2 shown]
	v_ldexp_f32 v41, v41, v42
	v_mul_f32_e32 v42, 0x3fb8aa3b, v13
	v_sub_f32_e32 v11, v11, v21
	v_sub_f32_e32 v9, v9, v21
	;; [unrolled: 1-line block ×3, first 2 shown]
	v_cndmask_b32_e64 v41, 0, v41, s31
	v_fma_f32 v43, 0x3fb8aa3b, v13, -v42
	v_rndne_f32_e32 v44, v42
	v_cmp_nlt_f32_e64 s31, 0x42b17218, v3
	v_sub_f32_e32 v8, v8, v21
	v_sub_f32_e32 v6, v6, v21
	v_fmac_f32_e32 v43, 0x32a5705f, v13
	v_sub_f32_e32 v42, v42, v44
	v_cndmask_b32_e64 v41, 0x7f800000, v41, s31
	v_cmp_ngt_f32_e64 s31, 0xc2ce8ed0, v13
	v_mul_f32_e32 v21, 0x3fb8aa3b, v6
	v_add_f32_e32 v42, v42, v43
	v_cvt_i32_f32_e32 v43, v44
	v_exp_f32_e32 v42, v42
	v_ldexp_f32 v42, v42, v43
	v_cndmask_b32_e64 v42, 0, v42, s31
	v_cmp_nlt_f32_e64 s31, 0x42b17218, v13
	v_cndmask_b32_e64 v42, 0x7f800000, v42, s31
	v_cmp_ngt_f32_e64 s31, 0xc2ce8ed0, v15
	v_add_f32_e32 v41, v41, v42
	v_mul_f32_e32 v42, 0x3fb8aa3b, v15
	v_fma_f32 v43, 0x3fb8aa3b, v15, -v42
	v_rndne_f32_e32 v44, v42
	v_fmac_f32_e32 v43, 0x32a5705f, v15
	v_sub_f32_e32 v42, v42, v44
	v_add_f32_e32 v42, v42, v43
	v_cvt_i32_f32_e32 v43, v44
	v_exp_f32_e32 v42, v42
	v_ldexp_f32 v42, v42, v43
	v_cndmask_b32_e64 v42, 0, v42, s31
	v_cmp_nlt_f32_e64 s31, 0x42b17218, v15
	v_cndmask_b32_e64 v42, 0x7f800000, v42, s31
	v_cmp_ngt_f32_e64 s31, 0xc2ce8ed0, v18
	v_add_f32_e32 v41, v41, v42
	v_mul_f32_e32 v42, 0x3fb8aa3b, v18
	v_fma_f32 v43, 0x3fb8aa3b, v18, -v42
	v_rndne_f32_e32 v44, v42
	v_fmac_f32_e32 v43, 0x32a5705f, v18
	v_sub_f32_e32 v42, v42, v44
	;; [unrolled: 14-line block ×29, first 2 shown]
	v_add_f32_e32 v42, v42, v43
	v_cvt_i32_f32_e32 v43, v44
	v_exp_f32_e32 v42, v42
	v_ldexp_f32 v42, v42, v43
	v_rndne_f32_e32 v43, v21
	v_cndmask_b32_e64 v42, 0, v42, s31
	v_cmp_nlt_f32_e64 s31, 0x42b17218, v8
	v_cndmask_b32_e64 v42, 0x7f800000, v42, s31
	v_cmp_ngt_f32_e64 s31, 0xc2ce8ed0, v6
	v_add_f32_e32 v41, v41, v42
	v_fma_f32 v42, 0x3fb8aa3b, v6, -v21
	v_sub_f32_e32 v21, v21, v43
	v_fmac_f32_e32 v42, 0x32a5705f, v6
	v_add_f32_e32 v21, v21, v42
	v_cvt_i32_f32_e32 v42, v43
	v_exp_f32_e32 v21, v21
	v_ldexp_f32 v21, v21, v42
	v_cndmask_b32_e64 v21, 0, v21, s31
	v_cmp_nlt_f32_e64 s31, 0x42b17218, v6
	v_cndmask_b32_e64 v21, 0x7f800000, v21, s31
	v_add_f32_e32 v21, v41, v21
	ds_bpermute_b32 v0, v0, v21
	s_waitcnt lgkmcnt(0)
	v_add_f32_e32 v0, v21, v0
	ds_bpermute_b32 v4, v4, v0
	s_waitcnt lgkmcnt(0)
	;; [unrolled: 3-line block ×4, first 2 shown]
	v_add_f32_e32 v0, v0, v4
	ds_bpermute_b32 v4, v14, v0
	v_cmpx_lt_i32_e32 0, v5
	s_cbranch_execz .LBB187_98
; %bb.65:
	s_and_b32 exec_lo, exec_lo, s1
	s_cbranch_execz .LBB187_98
; %bb.66:
	s_waitcnt lgkmcnt(0)
	v_add_f32_e32 v0, v0, v4
	v_cmp_gt_f32_e64 s1, 0x800000, v0
	v_cndmask_b32_e64 v4, 0, 32, s1
	v_cndmask_b32_e64 v5, 0, 0x41b17218, s1
	v_ldexp_f32 v0, v0, v4
	v_log_f32_e32 v0, v0
	v_mul_f32_e32 v4, 0x3f317217, v0
	v_cmp_gt_f32_e64 s31, 0x7f800000, |v0|
	v_fma_f32 v4, 0x3f317217, v0, -v4
	v_fmamk_f32 v4, v0, 0x3377d1cf, v4
	v_fmac_f32_e32 v4, 0x3f317217, v0
	v_cndmask_b32_e64 v4, v0, v4, s31
	v_lshlrev_b64 v[0:1], 2, v[1:2]
	v_sub_f32_e32 v2, v4, v5
	v_add_co_u32 v0, s1, s36, v0
	v_add_co_ci_u32_e64 v1, null, s37, v1, s1
	v_sub_f32_e32 v3, v3, v2
	global_store_dword v[0:1], v3, off
	s_and_b32 exec_lo, exec_lo, vcc_lo
	s_cbranch_execz .LBB187_98
; %bb.67:
	v_sub_f32_e32 v3, v13, v2
	global_store_dword v[0:1], v3, off offset:128
	s_and_b32 exec_lo, exec_lo, s0
	s_cbranch_execz .LBB187_98
; %bb.68:
	v_sub_f32_e32 v3, v15, v2
	global_store_dword v[0:1], v3, off offset:256
	s_and_b32 exec_lo, exec_lo, s2
	;; [unrolled: 5-line block ×15, first 2 shown]
	s_cbranch_execz .LBB187_98
; %bb.82:
	v_add_co_u32 v0, vcc_lo, 0x800, v0
	v_sub_f32_e32 v3, v40, v2
	v_add_co_ci_u32_e64 v1, null, 0, v1, vcc_lo
	global_store_dword v[0:1], v3, off
	s_and_b32 exec_lo, exec_lo, s16
	s_cbranch_execz .LBB187_98
; %bb.83:
	v_sub_f32_e32 v3, v35, v2
	global_store_dword v[0:1], v3, off offset:128
	s_and_b32 exec_lo, exec_lo, s17
	s_cbranch_execz .LBB187_98
; %bb.84:
	v_sub_f32_e32 v3, v37, v2
	global_store_dword v[0:1], v3, off offset:256
	;; [unrolled: 5-line block ×15, first 2 shown]
.LBB187_98:
	s_endpgm
	.section	.rodata,"a",@progbits
	.p2align	6, 0x0
	.amdhsa_kernel _ZN12_GLOBAL__N_120softmax_warp_forwardIN3c108BFloat16EffLi10ELb1ELb0ELi32EEEvPT0_PKT_iiiPKbib
		.amdhsa_group_segment_fixed_size 0
		.amdhsa_private_segment_fixed_size 0
		.amdhsa_kernarg_size 304
		.amdhsa_user_sgpr_count 6
		.amdhsa_user_sgpr_private_segment_buffer 1
		.amdhsa_user_sgpr_dispatch_ptr 0
		.amdhsa_user_sgpr_queue_ptr 0
		.amdhsa_user_sgpr_kernarg_segment_ptr 1
		.amdhsa_user_sgpr_dispatch_id 0
		.amdhsa_user_sgpr_flat_scratch_init 0
		.amdhsa_user_sgpr_private_segment_size 0
		.amdhsa_wavefront_size32 1
		.amdhsa_uses_dynamic_stack 0
		.amdhsa_system_sgpr_private_segment_wavefront_offset 0
		.amdhsa_system_sgpr_workgroup_id_x 1
		.amdhsa_system_sgpr_workgroup_id_y 0
		.amdhsa_system_sgpr_workgroup_id_z 0
		.amdhsa_system_sgpr_workgroup_info 0
		.amdhsa_system_vgpr_workitem_id 1
		.amdhsa_next_free_vgpr 45
		.amdhsa_next_free_sgpr 44
		.amdhsa_reserve_vcc 1
		.amdhsa_reserve_flat_scratch 0
		.amdhsa_float_round_mode_32 0
		.amdhsa_float_round_mode_16_64 0
		.amdhsa_float_denorm_mode_32 3
		.amdhsa_float_denorm_mode_16_64 3
		.amdhsa_dx10_clamp 1
		.amdhsa_ieee_mode 1
		.amdhsa_fp16_overflow 0
		.amdhsa_workgroup_processor_mode 1
		.amdhsa_memory_ordered 1
		.amdhsa_forward_progress 1
		.amdhsa_shared_vgpr_count 0
		.amdhsa_exception_fp_ieee_invalid_op 0
		.amdhsa_exception_fp_denorm_src 0
		.amdhsa_exception_fp_ieee_div_zero 0
		.amdhsa_exception_fp_ieee_overflow 0
		.amdhsa_exception_fp_ieee_underflow 0
		.amdhsa_exception_fp_ieee_inexact 0
		.amdhsa_exception_int_div_zero 0
	.end_amdhsa_kernel
	.section	.text._ZN12_GLOBAL__N_120softmax_warp_forwardIN3c108BFloat16EffLi10ELb1ELb0ELi32EEEvPT0_PKT_iiiPKbib,"axG",@progbits,_ZN12_GLOBAL__N_120softmax_warp_forwardIN3c108BFloat16EffLi10ELb1ELb0ELi32EEEvPT0_PKT_iiiPKbib,comdat
.Lfunc_end187:
	.size	_ZN12_GLOBAL__N_120softmax_warp_forwardIN3c108BFloat16EffLi10ELb1ELb0ELi32EEEvPT0_PKT_iiiPKbib, .Lfunc_end187-_ZN12_GLOBAL__N_120softmax_warp_forwardIN3c108BFloat16EffLi10ELb1ELb0ELi32EEEvPT0_PKT_iiiPKbib
                                        ; -- End function
	.set _ZN12_GLOBAL__N_120softmax_warp_forwardIN3c108BFloat16EffLi10ELb1ELb0ELi32EEEvPT0_PKT_iiiPKbib.num_vgpr, 45
	.set _ZN12_GLOBAL__N_120softmax_warp_forwardIN3c108BFloat16EffLi10ELb1ELb0ELi32EEEvPT0_PKT_iiiPKbib.num_agpr, 0
	.set _ZN12_GLOBAL__N_120softmax_warp_forwardIN3c108BFloat16EffLi10ELb1ELb0ELi32EEEvPT0_PKT_iiiPKbib.numbered_sgpr, 44
	.set _ZN12_GLOBAL__N_120softmax_warp_forwardIN3c108BFloat16EffLi10ELb1ELb0ELi32EEEvPT0_PKT_iiiPKbib.num_named_barrier, 0
	.set _ZN12_GLOBAL__N_120softmax_warp_forwardIN3c108BFloat16EffLi10ELb1ELb0ELi32EEEvPT0_PKT_iiiPKbib.private_seg_size, 0
	.set _ZN12_GLOBAL__N_120softmax_warp_forwardIN3c108BFloat16EffLi10ELb1ELb0ELi32EEEvPT0_PKT_iiiPKbib.uses_vcc, 1
	.set _ZN12_GLOBAL__N_120softmax_warp_forwardIN3c108BFloat16EffLi10ELb1ELb0ELi32EEEvPT0_PKT_iiiPKbib.uses_flat_scratch, 0
	.set _ZN12_GLOBAL__N_120softmax_warp_forwardIN3c108BFloat16EffLi10ELb1ELb0ELi32EEEvPT0_PKT_iiiPKbib.has_dyn_sized_stack, 0
	.set _ZN12_GLOBAL__N_120softmax_warp_forwardIN3c108BFloat16EffLi10ELb1ELb0ELi32EEEvPT0_PKT_iiiPKbib.has_recursion, 0
	.set _ZN12_GLOBAL__N_120softmax_warp_forwardIN3c108BFloat16EffLi10ELb1ELb0ELi32EEEvPT0_PKT_iiiPKbib.has_indirect_call, 0
	.section	.AMDGPU.csdata,"",@progbits
; Kernel info:
; codeLenInByte = 6956
; TotalNumSgprs: 46
; NumVgprs: 45
; ScratchSize: 0
; MemoryBound: 0
; FloatMode: 240
; IeeeMode: 1
; LDSByteSize: 0 bytes/workgroup (compile time only)
; SGPRBlocks: 0
; VGPRBlocks: 5
; NumSGPRsForWavesPerEU: 46
; NumVGPRsForWavesPerEU: 45
; Occupancy: 16
; WaveLimiterHint : 0
; COMPUTE_PGM_RSRC2:SCRATCH_EN: 0
; COMPUTE_PGM_RSRC2:USER_SGPR: 6
; COMPUTE_PGM_RSRC2:TRAP_HANDLER: 0
; COMPUTE_PGM_RSRC2:TGID_X_EN: 1
; COMPUTE_PGM_RSRC2:TGID_Y_EN: 0
; COMPUTE_PGM_RSRC2:TGID_Z_EN: 0
; COMPUTE_PGM_RSRC2:TIDIG_COMP_CNT: 1
	.section	.text._ZN12_GLOBAL__N_120softmax_warp_forwardIN3c108BFloat16EffLi11ELb1ELb0ELi64EEEvPT0_PKT_iiiPKbib,"axG",@progbits,_ZN12_GLOBAL__N_120softmax_warp_forwardIN3c108BFloat16EffLi11ELb1ELb0ELi64EEEvPT0_PKT_iiiPKbib,comdat
	.globl	_ZN12_GLOBAL__N_120softmax_warp_forwardIN3c108BFloat16EffLi11ELb1ELb0ELi64EEEvPT0_PKT_iiiPKbib ; -- Begin function _ZN12_GLOBAL__N_120softmax_warp_forwardIN3c108BFloat16EffLi11ELb1ELb0ELi64EEEvPT0_PKT_iiiPKbib
	.p2align	8
	.type	_ZN12_GLOBAL__N_120softmax_warp_forwardIN3c108BFloat16EffLi11ELb1ELb0ELi64EEEvPT0_PKT_iiiPKbib,@function
_ZN12_GLOBAL__N_120softmax_warp_forwardIN3c108BFloat16EffLi11ELb1ELb0ELi64EEEvPT0_PKT_iiiPKbib: ; @_ZN12_GLOBAL__N_120softmax_warp_forwardIN3c108BFloat16EffLi11ELb1ELb0ELi64EEEvPT0_PKT_iiiPKbib
; %bb.0:
	s_clause 0x1
	s_load_dword s0, s[4:5], 0x3c
	s_load_dwordx8 s[36:43], s[4:5], 0x0
	v_mov_b32_e32 v15, 0xff800000
	v_mov_b32_e32 v42, 0xff800000
	s_waitcnt lgkmcnt(0)
	s_lshr_b32 s0, s0, 16
	v_cmp_gt_i32_e64 s1, s42, v0
	v_mad_u64_u32 v[3:4], null, s6, s0, v[1:2]
	v_mad_u64_u32 v[1:2], null, v3, s41, v[0:1]
	v_sub_nc_u32_e32 v5, s40, v3
	v_cmp_lt_i32_e64 s31, 0, v5
	v_ashrrev_i32_e32 v2, 31, v1
	s_and_b32 s2, s31, s1
	v_lshlrev_b64 v[3:4], 1, v[1:2]
	v_add_co_u32 v3, vcc_lo, s38, v3
	v_add_co_ci_u32_e64 v4, null, s39, v4, vcc_lo
	s_and_saveexec_b32 s0, s2
	s_cbranch_execz .LBB188_2
; %bb.1:
	global_load_ushort v6, v[3:4], off
	s_waitcnt vmcnt(0)
	v_lshlrev_b32_e32 v42, 16, v6
.LBB188_2:
	s_or_b32 exec_lo, exec_lo, s0
	v_add_nc_u32_e32 v6, 64, v0
	v_cmp_gt_i32_e32 vcc_lo, s42, v6
	s_and_b32 s2, s31, vcc_lo
	s_and_saveexec_b32 s0, s2
	s_cbranch_execz .LBB188_4
; %bb.3:
	global_load_ushort v6, v[3:4], off offset:128
	s_waitcnt vmcnt(0)
	v_lshlrev_b32_e32 v15, 16, v6
.LBB188_4:
	s_or_b32 exec_lo, exec_lo, s0
	v_add_nc_u32_e32 v6, 0x80, v0
	v_mov_b32_e32 v19, 0xff800000
	v_mov_b32_e32 v18, 0xff800000
	v_cmp_gt_i32_e64 s0, s42, v6
	s_and_b32 s3, s31, s0
	s_and_saveexec_b32 s2, s3
	s_cbranch_execz .LBB188_6
; %bb.5:
	global_load_ushort v6, v[3:4], off offset:256
	s_waitcnt vmcnt(0)
	v_lshlrev_b32_e32 v18, 16, v6
.LBB188_6:
	s_or_b32 exec_lo, exec_lo, s2
	v_add_nc_u32_e32 v6, 0xc0, v0
	v_cmp_gt_i32_e64 s2, s42, v6
	s_and_b32 s4, s31, s2
	s_and_saveexec_b32 s3, s4
	s_cbranch_execz .LBB188_8
; %bb.7:
	global_load_ushort v6, v[3:4], off offset:384
	s_waitcnt vmcnt(0)
	v_lshlrev_b32_e32 v19, 16, v6
.LBB188_8:
	s_or_b32 exec_lo, exec_lo, s3
	v_add_nc_u32_e32 v6, 0x100, v0
	v_mov_b32_e32 v22, 0xff800000
	v_mov_b32_e32 v20, 0xff800000
	v_cmp_gt_i32_e64 s3, s42, v6
	s_and_b32 s5, s31, s3
	s_and_saveexec_b32 s4, s5
	s_cbranch_execz .LBB188_10
; %bb.9:
	global_load_ushort v6, v[3:4], off offset:512
	s_waitcnt vmcnt(0)
	v_lshlrev_b32_e32 v20, 16, v6
.LBB188_10:
	s_or_b32 exec_lo, exec_lo, s4
	v_add_nc_u32_e32 v6, 0x140, v0
	v_cmp_gt_i32_e64 s4, s42, v6
	s_and_b32 s6, s31, s4
	;; [unrolled: 24-line block ×7, first 2 shown]
	s_and_saveexec_b32 s15, s16
	s_cbranch_execz .LBB188_32
; %bb.31:
	global_load_ushort v6, v[3:4], off offset:1920
	s_waitcnt vmcnt(0)
	v_lshlrev_b32_e32 v33, 16, v6
.LBB188_32:
	s_or_b32 exec_lo, exec_lo, s15
	v_or_b32_e32 v6, 0x400, v0
	v_mov_b32_e32 v30, 0xff800000
	v_mov_b32_e32 v38, 0xff800000
	v_cmp_gt_i32_e64 s15, s42, v6
	s_and_b32 s16, s31, s15
	s_and_saveexec_b32 s17, s16
	s_cbranch_execz .LBB188_34
; %bb.33:
	v_add_co_u32 v6, s16, 0x800, v3
	v_add_co_ci_u32_e64 v7, null, 0, v4, s16
	global_load_ushort v6, v[6:7], off
	s_waitcnt vmcnt(0)
	v_lshlrev_b32_e32 v38, 16, v6
.LBB188_34:
	s_or_b32 exec_lo, exec_lo, s17
	v_add_nc_u32_e32 v6, 0x440, v0
	v_cmp_gt_i32_e64 s16, s42, v6
	s_and_b32 s17, s31, s16
	s_and_saveexec_b32 s18, s17
	s_cbranch_execz .LBB188_36
; %bb.35:
	v_add_co_u32 v6, s17, 0x800, v3
	v_add_co_ci_u32_e64 v7, null, 0, v4, s17
	global_load_ushort v6, v[6:7], off offset:128
	s_waitcnt vmcnt(0)
	v_lshlrev_b32_e32 v30, 16, v6
.LBB188_36:
	s_or_b32 exec_lo, exec_lo, s18
	v_add_nc_u32_e32 v6, 0x480, v0
	v_mov_b32_e32 v29, 0xff800000
	v_mov_b32_e32 v35, 0xff800000
	v_cmp_gt_i32_e64 s17, s42, v6
	s_and_b32 s18, s31, s17
	s_and_saveexec_b32 s19, s18
	s_cbranch_execz .LBB188_38
; %bb.37:
	v_add_co_u32 v6, s18, 0x800, v3
	v_add_co_ci_u32_e64 v7, null, 0, v4, s18
	global_load_ushort v6, v[6:7], off offset:256
	s_waitcnt vmcnt(0)
	v_lshlrev_b32_e32 v35, 16, v6
.LBB188_38:
	s_or_b32 exec_lo, exec_lo, s19
	v_add_nc_u32_e32 v6, 0x4c0, v0
	v_cmp_gt_i32_e64 s18, s42, v6
	s_and_b32 s19, s31, s18
	s_and_saveexec_b32 s20, s19
	s_cbranch_execz .LBB188_40
; %bb.39:
	v_add_co_u32 v6, s19, 0x800, v3
	v_add_co_ci_u32_e64 v7, null, 0, v4, s19
	global_load_ushort v6, v[6:7], off offset:384
	s_waitcnt vmcnt(0)
	v_lshlrev_b32_e32 v29, 16, v6
.LBB188_40:
	s_or_b32 exec_lo, exec_lo, s20
	v_add_nc_u32_e32 v6, 0x500, v0
	v_mov_b32_e32 v28, 0xff800000
	v_mov_b32_e32 v34, 0xff800000
	v_cmp_gt_i32_e64 s19, s42, v6
	s_and_b32 s20, s31, s19
	s_and_saveexec_b32 s21, s20
	s_cbranch_execz .LBB188_42
; %bb.41:
	v_add_co_u32 v6, s20, 0x800, v3
	v_add_co_ci_u32_e64 v7, null, 0, v4, s20
	global_load_ushort v6, v[6:7], off offset:512
	s_waitcnt vmcnt(0)
	v_lshlrev_b32_e32 v34, 16, v6
.LBB188_42:
	;; [unrolled: 28-line block ×6, first 2 shown]
	s_or_b32 exec_lo, exec_lo, s29
	v_add_nc_u32_e32 v6, 0x740, v0
	v_cmp_gt_i32_e64 s28, s42, v6
	s_and_b32 s29, s31, s28
	s_and_saveexec_b32 s30, s29
	s_cbranch_execz .LBB188_60
; %bb.59:
	v_add_co_u32 v6, s29, 0x800, v3
	v_add_co_ci_u32_e64 v7, null, 0, v4, s29
	global_load_ushort v6, v[6:7], off offset:1664
	s_waitcnt vmcnt(0)
	v_lshlrev_b32_e32 v7, 16, v6
.LBB188_60:
	s_or_b32 exec_lo, exec_lo, s30
	v_add_nc_u32_e32 v6, 0x780, v0
	v_mov_b32_e32 v8, 0xff800000
	v_cmp_gt_i32_e64 s29, s42, v6
	v_mov_b32_e32 v6, 0xff800000
	s_and_b32 s30, s31, s29
	s_and_saveexec_b32 s33, s30
	s_cbranch_execz .LBB188_62
; %bb.61:
	v_add_co_u32 v11, s30, 0x800, v3
	v_add_co_ci_u32_e64 v12, null, 0, v4, s30
	global_load_ushort v8, v[11:12], off offset:1792
	s_waitcnt vmcnt(0)
	v_lshlrev_b32_e32 v8, 16, v8
.LBB188_62:
	s_or_b32 exec_lo, exec_lo, s33
	v_add_nc_u32_e32 v0, 0x7c0, v0
	v_cmp_gt_i32_e64 s30, s42, v0
	s_and_b32 s31, s31, s30
	s_and_saveexec_b32 s33, s31
	s_cbranch_execz .LBB188_64
; %bb.63:
	v_add_co_u32 v3, s31, 0x800, v3
	v_add_co_ci_u32_e64 v4, null, 0, v4, s31
	global_load_ushort v0, v[3:4], off offset:1920
	s_waitcnt vmcnt(0)
	v_lshlrev_b32_e32 v6, 16, v0
.LBB188_64:
	s_or_b32 exec_lo, exec_lo, s33
	v_cmp_gt_f32_e64 s31, v42, v15
	v_mbcnt_lo_u32_b32 v4, -1, 0
	s_mov_b32 s33, exec_lo
	v_cndmask_b32_e64 v0, v15, v42, s31
	v_cmp_gt_f32_e64 s31, v0, v18
	v_cndmask_b32_e64 v0, v18, v0, s31
	v_cmp_gt_f32_e64 s31, v0, v19
	;; [unrolled: 2-line block ×30, first 2 shown]
	v_cndmask_b32_e64 v3, v6, v0, s31
	v_or_b32_e32 v0, 32, v4
	v_cmp_gt_i32_e64 s31, 64, v0
	v_cndmask_b32_e64 v0, v4, v0, s31
	v_lshlrev_b32_e32 v0, 2, v0
	ds_bpermute_b32 v11, v0, v3
	s_waitcnt lgkmcnt(0)
	v_cmp_lt_f32_e64 s31, v3, v11
	v_cndmask_b32_e64 v11, v3, v11, s31
	v_xor_b32_e32 v3, 16, v4
	v_cmp_gt_i32_e64 s31, 64, v3
	v_cndmask_b32_e64 v3, v4, v3, s31
	v_lshlrev_b32_e32 v3, 2, v3
	ds_bpermute_b32 v12, v3, v11
	s_waitcnt lgkmcnt(0)
	v_cmp_lt_f32_e64 s31, v11, v12
	v_cndmask_b32_e64 v12, v11, v12, s31
	v_xor_b32_e32 v11, 8, v4
	;; [unrolled: 8-line block ×5, first 2 shown]
	v_cmp_gt_i32_e64 s31, 64, v17
	v_cndmask_b32_e64 v4, v4, v17, s31
	v_lshlrev_b32_e32 v17, 2, v4
	ds_bpermute_b32 v4, v17, v21
	s_waitcnt lgkmcnt(0)
	v_cmp_lt_f32_e64 s31, v21, v4
	v_cndmask_b32_e64 v21, v21, v4, s31
	v_sub_f32_e32 v4, v42, v21
	v_sub_f32_e32 v15, v15, v21
	;; [unrolled: 1-line block ×5, first 2 shown]
	v_mul_f32_e32 v42, 0x3fb8aa3b, v4
	v_cmp_ngt_f32_e64 s31, 0xc2ce8ed0, v4
	v_sub_f32_e32 v22, v22, v21
	v_sub_f32_e32 v25, v25, v21
	;; [unrolled: 1-line block ×3, first 2 shown]
	v_fma_f32 v43, 0x3fb8aa3b, v4, -v42
	v_rndne_f32_e32 v44, v42
	v_sub_f32_e32 v27, v27, v21
	v_sub_f32_e32 v31, v31, v21
	;; [unrolled: 1-line block ×3, first 2 shown]
	v_fmac_f32_e32 v43, 0x32a5705f, v4
	v_sub_f32_e32 v42, v42, v44
	v_sub_f32_e32 v40, v40, v21
	;; [unrolled: 1-line block ×5, first 2 shown]
	v_add_f32_e32 v42, v42, v43
	v_cvt_i32_f32_e32 v43, v44
	v_sub_f32_e32 v33, v33, v21
	v_sub_f32_e32 v38, v38, v21
	;; [unrolled: 1-line block ×3, first 2 shown]
	v_exp_f32_e32 v42, v42
	v_sub_f32_e32 v35, v35, v21
	v_sub_f32_e32 v29, v29, v21
	;; [unrolled: 1-line block ×9, first 2 shown]
	v_ldexp_f32 v42, v42, v43
	v_mul_f32_e32 v43, 0x3fb8aa3b, v15
	v_sub_f32_e32 v10, v10, v21
	v_sub_f32_e32 v9, v9, v21
	;; [unrolled: 1-line block ×3, first 2 shown]
	v_cndmask_b32_e64 v42, 0, v42, s31
	v_fma_f32 v44, 0x3fb8aa3b, v15, -v43
	v_rndne_f32_e32 v45, v43
	v_cmp_nlt_f32_e64 s31, 0x42b17218, v4
	v_sub_f32_e32 v8, v8, v21
	v_sub_f32_e32 v6, v6, v21
	v_fmac_f32_e32 v44, 0x32a5705f, v15
	v_sub_f32_e32 v43, v43, v45
	v_cndmask_b32_e64 v42, 0x7f800000, v42, s31
	v_cmp_ngt_f32_e64 s31, 0xc2ce8ed0, v15
	v_mul_f32_e32 v21, 0x3fb8aa3b, v6
	v_add_f32_e32 v43, v43, v44
	v_cvt_i32_f32_e32 v44, v45
	v_exp_f32_e32 v43, v43
	v_ldexp_f32 v43, v43, v44
	v_cndmask_b32_e64 v43, 0, v43, s31
	v_cmp_nlt_f32_e64 s31, 0x42b17218, v15
	v_cndmask_b32_e64 v43, 0x7f800000, v43, s31
	v_cmp_ngt_f32_e64 s31, 0xc2ce8ed0, v18
	v_add_f32_e32 v42, v42, v43
	v_mul_f32_e32 v43, 0x3fb8aa3b, v18
	v_fma_f32 v44, 0x3fb8aa3b, v18, -v43
	v_rndne_f32_e32 v45, v43
	v_fmac_f32_e32 v44, 0x32a5705f, v18
	v_sub_f32_e32 v43, v43, v45
	v_add_f32_e32 v43, v43, v44
	v_cvt_i32_f32_e32 v44, v45
	v_exp_f32_e32 v43, v43
	v_ldexp_f32 v43, v43, v44
	v_cndmask_b32_e64 v43, 0, v43, s31
	v_cmp_nlt_f32_e64 s31, 0x42b17218, v18
	v_cndmask_b32_e64 v43, 0x7f800000, v43, s31
	v_cmp_ngt_f32_e64 s31, 0xc2ce8ed0, v19
	v_add_f32_e32 v42, v42, v43
	v_mul_f32_e32 v43, 0x3fb8aa3b, v19
	v_fma_f32 v44, 0x3fb8aa3b, v19, -v43
	v_rndne_f32_e32 v45, v43
	v_fmac_f32_e32 v44, 0x32a5705f, v19
	v_sub_f32_e32 v43, v43, v45
	;; [unrolled: 14-line block ×29, first 2 shown]
	v_add_f32_e32 v43, v43, v44
	v_cvt_i32_f32_e32 v44, v45
	v_exp_f32_e32 v43, v43
	v_ldexp_f32 v43, v43, v44
	v_rndne_f32_e32 v44, v21
	v_cndmask_b32_e64 v43, 0, v43, s31
	v_cmp_nlt_f32_e64 s31, 0x42b17218, v8
	v_cndmask_b32_e64 v43, 0x7f800000, v43, s31
	v_cmp_ngt_f32_e64 s31, 0xc2ce8ed0, v6
	v_add_f32_e32 v42, v42, v43
	v_fma_f32 v43, 0x3fb8aa3b, v6, -v21
	v_sub_f32_e32 v21, v21, v44
	v_fmac_f32_e32 v43, 0x32a5705f, v6
	v_add_f32_e32 v21, v21, v43
	v_cvt_i32_f32_e32 v43, v44
	v_exp_f32_e32 v21, v21
	v_ldexp_f32 v21, v21, v43
	v_cndmask_b32_e64 v21, 0, v21, s31
	v_cmp_nlt_f32_e64 s31, 0x42b17218, v6
	v_cndmask_b32_e64 v21, 0x7f800000, v21, s31
	v_add_f32_e32 v21, v42, v21
	ds_bpermute_b32 v0, v0, v21
	s_waitcnt lgkmcnt(0)
	v_add_f32_e32 v0, v21, v0
	ds_bpermute_b32 v3, v3, v0
	s_waitcnt lgkmcnt(0)
	;; [unrolled: 3-line block ×5, first 2 shown]
	v_add_f32_e32 v0, v0, v3
	ds_bpermute_b32 v3, v17, v0
	v_cmpx_lt_i32_e32 0, v5
	s_cbranch_execz .LBB188_98
; %bb.65:
	s_and_b32 exec_lo, exec_lo, s1
	s_cbranch_execz .LBB188_98
; %bb.66:
	s_waitcnt lgkmcnt(0)
	v_add_f32_e32 v0, v0, v3
	v_cmp_gt_f32_e64 s1, 0x800000, v0
	v_cndmask_b32_e64 v3, 0, 32, s1
	v_cndmask_b32_e64 v5, 0, 0x41b17218, s1
	v_ldexp_f32 v0, v0, v3
	v_log_f32_e32 v0, v0
	v_mul_f32_e32 v3, 0x3f317217, v0
	v_cmp_gt_f32_e64 s31, 0x7f800000, |v0|
	v_fma_f32 v3, 0x3f317217, v0, -v3
	v_fmamk_f32 v3, v0, 0x3377d1cf, v3
	v_fmac_f32_e32 v3, 0x3f317217, v0
	v_cndmask_b32_e64 v3, v0, v3, s31
	v_lshlrev_b64 v[0:1], 2, v[1:2]
	v_sub_f32_e32 v5, v3, v5
	v_add_co_u32 v0, s1, s36, v0
	v_add_co_ci_u32_e64 v1, null, s37, v1, s1
	v_sub_f32_e32 v2, v4, v5
	global_store_dword v[0:1], v2, off
	s_and_b32 exec_lo, exec_lo, vcc_lo
	s_cbranch_execz .LBB188_98
; %bb.67:
	v_sub_f32_e32 v2, v15, v5
	global_store_dword v[0:1], v2, off offset:256
	s_and_b32 exec_lo, exec_lo, s0
	s_cbranch_execz .LBB188_98
; %bb.68:
	v_sub_f32_e32 v2, v18, v5
	global_store_dword v[0:1], v2, off offset:512
	s_and_b32 exec_lo, exec_lo, s2
	s_cbranch_execz .LBB188_98
; %bb.69:
	v_sub_f32_e32 v2, v19, v5
	global_store_dword v[0:1], v2, off offset:768
	s_and_b32 exec_lo, exec_lo, s3
	s_cbranch_execz .LBB188_98
; %bb.70:
	v_sub_f32_e32 v2, v20, v5
	global_store_dword v[0:1], v2, off offset:1024
	s_and_b32 exec_lo, exec_lo, s4
	s_cbranch_execz .LBB188_98
; %bb.71:
	v_sub_f32_e32 v2, v22, v5
	global_store_dword v[0:1], v2, off offset:1280
	s_and_b32 exec_lo, exec_lo, s5
	s_cbranch_execz .LBB188_98
; %bb.72:
	v_sub_f32_e32 v2, v25, v5
	global_store_dword v[0:1], v2, off offset:1536
	s_and_b32 exec_lo, exec_lo, s6
	s_cbranch_execz .LBB188_98
; %bb.73:
	v_sub_f32_e32 v2, v26, v5
	global_store_dword v[0:1], v2, off offset:1792
	s_and_b32 exec_lo, exec_lo, s7
	s_cbranch_execz .LBB188_98
; %bb.74:
	v_add_co_u32 v2, vcc_lo, 0x800, v0
	v_sub_f32_e32 v4, v27, v5
	v_add_co_ci_u32_e64 v3, null, 0, v1, vcc_lo
	global_store_dword v[2:3], v4, off
	s_and_b32 exec_lo, exec_lo, s8
	s_cbranch_execz .LBB188_98
; %bb.75:
	v_sub_f32_e32 v4, v31, v5
	global_store_dword v[2:3], v4, off offset:256
	s_and_b32 exec_lo, exec_lo, s9
	s_cbranch_execz .LBB188_98
; %bb.76:
	v_sub_f32_e32 v4, v37, v5
	global_store_dword v[2:3], v4, off offset:512
	s_and_b32 exec_lo, exec_lo, s10
	s_cbranch_execz .LBB188_98
; %bb.77:
	v_sub_f32_e32 v4, v40, v5
	global_store_dword v[2:3], v4, off offset:768
	s_and_b32 exec_lo, exec_lo, s11
	s_cbranch_execz .LBB188_98
; %bb.78:
	v_sub_f32_e32 v4, v41, v5
	global_store_dword v[2:3], v4, off offset:1024
	s_and_b32 exec_lo, exec_lo, s12
	s_cbranch_execz .LBB188_98
; %bb.79:
	v_sub_f32_e32 v4, v36, v5
	global_store_dword v[2:3], v4, off offset:1280
	s_and_b32 exec_lo, exec_lo, s13
	s_cbranch_execz .LBB188_98
; %bb.80:
	v_sub_f32_e32 v4, v39, v5
	global_store_dword v[2:3], v4, off offset:1536
	s_and_b32 exec_lo, exec_lo, s14
	s_cbranch_execz .LBB188_98
; %bb.81:
	v_sub_f32_e32 v4, v33, v5
	global_store_dword v[2:3], v4, off offset:1792
	s_and_b32 exec_lo, exec_lo, s15
	s_cbranch_execz .LBB188_98
; %bb.82:
	v_add_co_u32 v2, vcc_lo, 0x1000, v0
	v_sub_f32_e32 v4, v38, v5
	v_add_co_ci_u32_e64 v3, null, 0, v1, vcc_lo
	global_store_dword v[2:3], v4, off
	s_and_b32 exec_lo, exec_lo, s16
	;; [unrolled: 42-line block ×3, first 2 shown]
	s_cbranch_execz .LBB188_98
; %bb.91:
	v_sub_f32_e32 v2, v13, v5
	global_store_dword v[0:1], v2, off offset:256
	s_and_b32 exec_lo, exec_lo, s25
	s_cbranch_execz .LBB188_98
; %bb.92:
	v_sub_f32_e32 v2, v16, v5
	global_store_dword v[0:1], v2, off offset:512
	s_and_b32 exec_lo, exec_lo, s26
	;; [unrolled: 5-line block ×6, first 2 shown]
	s_cbranch_execz .LBB188_98
; %bb.97:
	v_sub_f32_e32 v2, v6, v5
	global_store_dword v[0:1], v2, off offset:1792
.LBB188_98:
	s_endpgm
	.section	.rodata,"a",@progbits
	.p2align	6, 0x0
	.amdhsa_kernel _ZN12_GLOBAL__N_120softmax_warp_forwardIN3c108BFloat16EffLi11ELb1ELb0ELi64EEEvPT0_PKT_iiiPKbib
		.amdhsa_group_segment_fixed_size 0
		.amdhsa_private_segment_fixed_size 0
		.amdhsa_kernarg_size 304
		.amdhsa_user_sgpr_count 6
		.amdhsa_user_sgpr_private_segment_buffer 1
		.amdhsa_user_sgpr_dispatch_ptr 0
		.amdhsa_user_sgpr_queue_ptr 0
		.amdhsa_user_sgpr_kernarg_segment_ptr 1
		.amdhsa_user_sgpr_dispatch_id 0
		.amdhsa_user_sgpr_flat_scratch_init 0
		.amdhsa_user_sgpr_private_segment_size 0
		.amdhsa_wavefront_size32 1
		.amdhsa_uses_dynamic_stack 0
		.amdhsa_system_sgpr_private_segment_wavefront_offset 0
		.amdhsa_system_sgpr_workgroup_id_x 1
		.amdhsa_system_sgpr_workgroup_id_y 0
		.amdhsa_system_sgpr_workgroup_id_z 0
		.amdhsa_system_sgpr_workgroup_info 0
		.amdhsa_system_vgpr_workitem_id 1
		.amdhsa_next_free_vgpr 46
		.amdhsa_next_free_sgpr 44
		.amdhsa_reserve_vcc 1
		.amdhsa_reserve_flat_scratch 0
		.amdhsa_float_round_mode_32 0
		.amdhsa_float_round_mode_16_64 0
		.amdhsa_float_denorm_mode_32 3
		.amdhsa_float_denorm_mode_16_64 3
		.amdhsa_dx10_clamp 1
		.amdhsa_ieee_mode 1
		.amdhsa_fp16_overflow 0
		.amdhsa_workgroup_processor_mode 1
		.amdhsa_memory_ordered 1
		.amdhsa_forward_progress 1
		.amdhsa_shared_vgpr_count 0
		.amdhsa_exception_fp_ieee_invalid_op 0
		.amdhsa_exception_fp_denorm_src 0
		.amdhsa_exception_fp_ieee_div_zero 0
		.amdhsa_exception_fp_ieee_overflow 0
		.amdhsa_exception_fp_ieee_underflow 0
		.amdhsa_exception_fp_ieee_inexact 0
		.amdhsa_exception_int_div_zero 0
	.end_amdhsa_kernel
	.section	.text._ZN12_GLOBAL__N_120softmax_warp_forwardIN3c108BFloat16EffLi11ELb1ELb0ELi64EEEvPT0_PKT_iiiPKbib,"axG",@progbits,_ZN12_GLOBAL__N_120softmax_warp_forwardIN3c108BFloat16EffLi11ELb1ELb0ELi64EEEvPT0_PKT_iiiPKbib,comdat
.Lfunc_end188:
	.size	_ZN12_GLOBAL__N_120softmax_warp_forwardIN3c108BFloat16EffLi11ELb1ELb0ELi64EEEvPT0_PKT_iiiPKbib, .Lfunc_end188-_ZN12_GLOBAL__N_120softmax_warp_forwardIN3c108BFloat16EffLi11ELb1ELb0ELi64EEEvPT0_PKT_iiiPKbib
                                        ; -- End function
	.set _ZN12_GLOBAL__N_120softmax_warp_forwardIN3c108BFloat16EffLi11ELb1ELb0ELi64EEEvPT0_PKT_iiiPKbib.num_vgpr, 46
	.set _ZN12_GLOBAL__N_120softmax_warp_forwardIN3c108BFloat16EffLi11ELb1ELb0ELi64EEEvPT0_PKT_iiiPKbib.num_agpr, 0
	.set _ZN12_GLOBAL__N_120softmax_warp_forwardIN3c108BFloat16EffLi11ELb1ELb0ELi64EEEvPT0_PKT_iiiPKbib.numbered_sgpr, 44
	.set _ZN12_GLOBAL__N_120softmax_warp_forwardIN3c108BFloat16EffLi11ELb1ELb0ELi64EEEvPT0_PKT_iiiPKbib.num_named_barrier, 0
	.set _ZN12_GLOBAL__N_120softmax_warp_forwardIN3c108BFloat16EffLi11ELb1ELb0ELi64EEEvPT0_PKT_iiiPKbib.private_seg_size, 0
	.set _ZN12_GLOBAL__N_120softmax_warp_forwardIN3c108BFloat16EffLi11ELb1ELb0ELi64EEEvPT0_PKT_iiiPKbib.uses_vcc, 1
	.set _ZN12_GLOBAL__N_120softmax_warp_forwardIN3c108BFloat16EffLi11ELb1ELb0ELi64EEEvPT0_PKT_iiiPKbib.uses_flat_scratch, 0
	.set _ZN12_GLOBAL__N_120softmax_warp_forwardIN3c108BFloat16EffLi11ELb1ELb0ELi64EEEvPT0_PKT_iiiPKbib.has_dyn_sized_stack, 0
	.set _ZN12_GLOBAL__N_120softmax_warp_forwardIN3c108BFloat16EffLi11ELb1ELb0ELi64EEEvPT0_PKT_iiiPKbib.has_recursion, 0
	.set _ZN12_GLOBAL__N_120softmax_warp_forwardIN3c108BFloat16EffLi11ELb1ELb0ELi64EEEvPT0_PKT_iiiPKbib.has_indirect_call, 0
	.section	.AMDGPU.csdata,"",@progbits
; Kernel info:
; codeLenInByte = 7388
; TotalNumSgprs: 46
; NumVgprs: 46
; ScratchSize: 0
; MemoryBound: 0
; FloatMode: 240
; IeeeMode: 1
; LDSByteSize: 0 bytes/workgroup (compile time only)
; SGPRBlocks: 0
; VGPRBlocks: 5
; NumSGPRsForWavesPerEU: 46
; NumVGPRsForWavesPerEU: 46
; Occupancy: 16
; WaveLimiterHint : 0
; COMPUTE_PGM_RSRC2:SCRATCH_EN: 0
; COMPUTE_PGM_RSRC2:USER_SGPR: 6
; COMPUTE_PGM_RSRC2:TRAP_HANDLER: 0
; COMPUTE_PGM_RSRC2:TGID_X_EN: 1
; COMPUTE_PGM_RSRC2:TGID_Y_EN: 0
; COMPUTE_PGM_RSRC2:TGID_Z_EN: 0
; COMPUTE_PGM_RSRC2:TIDIG_COMP_CNT: 1
	.section	.text._ZN12_GLOBAL__N_120softmax_warp_forwardIN3c108BFloat16EffLi11ELb1ELb0ELi32EEEvPT0_PKT_iiiPKbib,"axG",@progbits,_ZN12_GLOBAL__N_120softmax_warp_forwardIN3c108BFloat16EffLi11ELb1ELb0ELi32EEEvPT0_PKT_iiiPKbib,comdat
	.globl	_ZN12_GLOBAL__N_120softmax_warp_forwardIN3c108BFloat16EffLi11ELb1ELb0ELi32EEEvPT0_PKT_iiiPKbib ; -- Begin function _ZN12_GLOBAL__N_120softmax_warp_forwardIN3c108BFloat16EffLi11ELb1ELb0ELi32EEEvPT0_PKT_iiiPKbib
	.p2align	8
	.type	_ZN12_GLOBAL__N_120softmax_warp_forwardIN3c108BFloat16EffLi11ELb1ELb0ELi32EEEvPT0_PKT_iiiPKbib,@function
_ZN12_GLOBAL__N_120softmax_warp_forwardIN3c108BFloat16EffLi11ELb1ELb0ELi32EEEvPT0_PKT_iiiPKbib: ; @_ZN12_GLOBAL__N_120softmax_warp_forwardIN3c108BFloat16EffLi11ELb1ELb0ELi32EEEvPT0_PKT_iiiPKbib
; %bb.0:
	s_clause 0x1
	s_load_dword s0, s[4:5], 0x3c
	s_load_dwordx8 s[68:75], s[4:5], 0x0
	v_mov_b32_e32 v9, 0xff800000
	v_mov_b32_e32 v7, 0xff800000
	s_waitcnt lgkmcnt(0)
	s_lshr_b32 s0, s0, 16
	v_cmp_gt_i32_e64 s1, s74, v0
	v_mad_u64_u32 v[3:4], null, s6, s0, v[1:2]
	v_mad_u64_u32 v[1:2], null, v3, s73, v[0:1]
	v_sub_nc_u32_e32 v5, s72, v3
	v_cmp_lt_i32_e64 s64, 0, v5
	v_ashrrev_i32_e32 v2, 31, v1
	s_and_b32 s2, s64, s1
	v_lshlrev_b64 v[3:4], 1, v[1:2]
	v_add_co_u32 v3, vcc_lo, s70, v3
	v_add_co_ci_u32_e64 v4, null, s71, v4, vcc_lo
	s_and_saveexec_b32 s0, s2
	s_cbranch_execz .LBB189_2
; %bb.1:
	global_load_ushort v6, v[3:4], off
	s_waitcnt vmcnt(0)
	v_lshlrev_b32_e32 v7, 16, v6
.LBB189_2:
	s_or_b32 exec_lo, exec_lo, s0
	v_add_nc_u32_e32 v6, 32, v0
	v_cmp_gt_i32_e32 vcc_lo, s74, v6
	s_and_b32 s2, s64, vcc_lo
	s_and_saveexec_b32 s0, s2
	s_cbranch_execz .LBB189_4
; %bb.3:
	global_load_ushort v6, v[3:4], off offset:64
	s_waitcnt vmcnt(0)
	v_lshlrev_b32_e32 v9, 16, v6
.LBB189_4:
	s_or_b32 exec_lo, exec_lo, s0
	v_add_nc_u32_e32 v6, 64, v0
	v_mov_b32_e32 v11, 0xff800000
	v_mov_b32_e32 v10, 0xff800000
	v_cmp_gt_i32_e64 s0, s74, v6
	s_and_b32 s3, s64, s0
	s_and_saveexec_b32 s2, s3
	s_cbranch_execz .LBB189_6
; %bb.5:
	global_load_ushort v6, v[3:4], off offset:128
	s_waitcnt vmcnt(0)
	v_lshlrev_b32_e32 v10, 16, v6
.LBB189_6:
	s_or_b32 exec_lo, exec_lo, s2
	v_add_nc_u32_e32 v6, 0x60, v0
	v_cmp_gt_i32_e64 s2, s74, v6
	s_and_b32 s4, s64, s2
	s_and_saveexec_b32 s3, s4
	s_cbranch_execz .LBB189_8
; %bb.7:
	global_load_ushort v6, v[3:4], off offset:192
	s_waitcnt vmcnt(0)
	v_lshlrev_b32_e32 v11, 16, v6
.LBB189_8:
	s_or_b32 exec_lo, exec_lo, s3
	v_add_nc_u32_e32 v6, 0x80, v0
	v_mov_b32_e32 v14, 0xff800000
	v_mov_b32_e32 v12, 0xff800000
	v_cmp_gt_i32_e64 s3, s74, v6
	s_and_b32 s5, s64, s3
	s_and_saveexec_b32 s4, s5
	s_cbranch_execz .LBB189_10
; %bb.9:
	global_load_ushort v6, v[3:4], off offset:256
	s_waitcnt vmcnt(0)
	v_lshlrev_b32_e32 v12, 16, v6
.LBB189_10:
	s_or_b32 exec_lo, exec_lo, s4
	v_add_nc_u32_e32 v6, 0xa0, v0
	v_cmp_gt_i32_e64 s4, s74, v6
	s_and_b32 s6, s64, s4
	s_and_saveexec_b32 s5, s6
	s_cbranch_execz .LBB189_12
; %bb.11:
	global_load_ushort v6, v[3:4], off offset:320
	s_waitcnt vmcnt(0)
	v_lshlrev_b32_e32 v14, 16, v6
.LBB189_12:
	s_or_b32 exec_lo, exec_lo, s5
	v_add_nc_u32_e32 v6, 0xc0, v0
	v_mov_b32_e32 v18, 0xff800000
	v_mov_b32_e32 v16, 0xff800000
	v_cmp_gt_i32_e64 s5, s74, v6
	s_and_b32 s7, s64, s5
	s_and_saveexec_b32 s6, s7
	s_cbranch_execz .LBB189_14
; %bb.13:
	global_load_ushort v6, v[3:4], off offset:384
	s_waitcnt vmcnt(0)
	v_lshlrev_b32_e32 v16, 16, v6
.LBB189_14:
	s_or_b32 exec_lo, exec_lo, s6
	v_add_nc_u32_e32 v6, 0xe0, v0
	v_cmp_gt_i32_e64 s6, s74, v6
	s_and_b32 s8, s64, s6
	s_and_saveexec_b32 s7, s8
	s_cbranch_execz .LBB189_16
; %bb.15:
	global_load_ushort v6, v[3:4], off offset:448
	s_waitcnt vmcnt(0)
	v_lshlrev_b32_e32 v18, 16, v6
.LBB189_16:
	s_or_b32 exec_lo, exec_lo, s7
	v_add_nc_u32_e32 v6, 0x100, v0
	v_mov_b32_e32 v22, 0xff800000
	v_mov_b32_e32 v20, 0xff800000
	v_cmp_gt_i32_e64 s7, s74, v6
	s_and_b32 s9, s64, s7
	s_and_saveexec_b32 s8, s9
	s_cbranch_execz .LBB189_18
; %bb.17:
	global_load_ushort v6, v[3:4], off offset:512
	s_waitcnt vmcnt(0)
	v_lshlrev_b32_e32 v20, 16, v6
.LBB189_18:
	s_or_b32 exec_lo, exec_lo, s8
	v_add_nc_u32_e32 v6, 0x120, v0
	v_cmp_gt_i32_e64 s8, s74, v6
	s_and_b32 s10, s64, s8
	s_and_saveexec_b32 s9, s10
	s_cbranch_execz .LBB189_20
; %bb.19:
	global_load_ushort v6, v[3:4], off offset:576
	s_waitcnt vmcnt(0)
	v_lshlrev_b32_e32 v22, 16, v6
.LBB189_20:
	s_or_b32 exec_lo, exec_lo, s9
	v_add_nc_u32_e32 v6, 0x140, v0
	v_mov_b32_e32 v26, 0xff800000
	v_mov_b32_e32 v25, 0xff800000
	v_cmp_gt_i32_e64 s9, s74, v6
	s_and_b32 s11, s64, s9
	s_and_saveexec_b32 s10, s11
	s_cbranch_execz .LBB189_22
; %bb.21:
	global_load_ushort v6, v[3:4], off offset:640
	s_waitcnt vmcnt(0)
	v_lshlrev_b32_e32 v25, 16, v6
.LBB189_22:
	s_or_b32 exec_lo, exec_lo, s10
	v_add_nc_u32_e32 v6, 0x160, v0
	v_cmp_gt_i32_e64 s10, s74, v6
	s_and_b32 s12, s64, s10
	s_and_saveexec_b32 s11, s12
	s_cbranch_execz .LBB189_24
; %bb.23:
	global_load_ushort v6, v[3:4], off offset:704
	s_waitcnt vmcnt(0)
	v_lshlrev_b32_e32 v26, 16, v6
.LBB189_24:
	s_or_b32 exec_lo, exec_lo, s11
	v_add_nc_u32_e32 v6, 0x180, v0
	v_mov_b32_e32 v31, 0xff800000
	v_mov_b32_e32 v29, 0xff800000
	v_cmp_gt_i32_e64 s11, s74, v6
	s_and_b32 s13, s64, s11
	s_and_saveexec_b32 s12, s13
	s_cbranch_execz .LBB189_26
; %bb.25:
	global_load_ushort v6, v[3:4], off offset:768
	s_waitcnt vmcnt(0)
	v_lshlrev_b32_e32 v29, 16, v6
.LBB189_26:
	s_or_b32 exec_lo, exec_lo, s12
	v_add_nc_u32_e32 v6, 0x1a0, v0
	v_cmp_gt_i32_e64 s12, s74, v6
	s_and_b32 s14, s64, s12
	s_and_saveexec_b32 s13, s14
	s_cbranch_execz .LBB189_28
; %bb.27:
	global_load_ushort v6, v[3:4], off offset:832
	s_waitcnt vmcnt(0)
	v_lshlrev_b32_e32 v31, 16, v6
.LBB189_28:
	s_or_b32 exec_lo, exec_lo, s13
	v_add_nc_u32_e32 v6, 0x1c0, v0
	v_mov_b32_e32 v36, 0xff800000
	v_mov_b32_e32 v33, 0xff800000
	v_cmp_gt_i32_e64 s13, s74, v6
	s_and_b32 s15, s64, s13
	s_and_saveexec_b32 s14, s15
	s_cbranch_execz .LBB189_30
; %bb.29:
	global_load_ushort v6, v[3:4], off offset:896
	s_waitcnt vmcnt(0)
	v_lshlrev_b32_e32 v33, 16, v6
.LBB189_30:
	s_or_b32 exec_lo, exec_lo, s14
	v_add_nc_u32_e32 v6, 0x1e0, v0
	v_cmp_gt_i32_e64 s14, s74, v6
	s_and_b32 s16, s64, s14
	s_and_saveexec_b32 s15, s16
	s_cbranch_execz .LBB189_32
; %bb.31:
	global_load_ushort v6, v[3:4], off offset:960
	s_waitcnt vmcnt(0)
	v_lshlrev_b32_e32 v36, 16, v6
.LBB189_32:
	s_or_b32 exec_lo, exec_lo, s15
	v_add_nc_u32_e32 v6, 0x200, v0
	v_mov_b32_e32 v40, 0xff800000
	v_mov_b32_e32 v37, 0xff800000
	v_cmp_gt_i32_e64 s15, s74, v6
	s_and_b32 s17, s64, s15
	s_and_saveexec_b32 s16, s17
	s_cbranch_execz .LBB189_34
; %bb.33:
	global_load_ushort v6, v[3:4], off offset:1024
	s_waitcnt vmcnt(0)
	v_lshlrev_b32_e32 v37, 16, v6
.LBB189_34:
	s_or_b32 exec_lo, exec_lo, s16
	v_add_nc_u32_e32 v6, 0x220, v0
	v_cmp_gt_i32_e64 s16, s74, v6
	s_and_b32 s18, s64, s16
	s_and_saveexec_b32 s17, s18
	s_cbranch_execz .LBB189_36
; %bb.35:
	global_load_ushort v6, v[3:4], off offset:1088
	s_waitcnt vmcnt(0)
	v_lshlrev_b32_e32 v40, 16, v6
.LBB189_36:
	s_or_b32 exec_lo, exec_lo, s17
	v_add_nc_u32_e32 v6, 0x240, v0
	v_mov_b32_e32 v44, 0xff800000
	v_mov_b32_e32 v41, 0xff800000
	v_cmp_gt_i32_e64 s17, s74, v6
	s_and_b32 s19, s64, s17
	s_and_saveexec_b32 s18, s19
	s_cbranch_execz .LBB189_38
; %bb.37:
	global_load_ushort v6, v[3:4], off offset:1152
	s_waitcnt vmcnt(0)
	v_lshlrev_b32_e32 v41, 16, v6
.LBB189_38:
	s_or_b32 exec_lo, exec_lo, s18
	v_add_nc_u32_e32 v6, 0x260, v0
	v_cmp_gt_i32_e64 s18, s74, v6
	s_and_b32 s20, s64, s18
	s_and_saveexec_b32 s19, s20
	s_cbranch_execz .LBB189_40
; %bb.39:
	global_load_ushort v6, v[3:4], off offset:1216
	s_waitcnt vmcnt(0)
	v_lshlrev_b32_e32 v44, 16, v6
.LBB189_40:
	s_or_b32 exec_lo, exec_lo, s19
	v_add_nc_u32_e32 v6, 0x280, v0
	v_mov_b32_e32 v48, 0xff800000
	v_mov_b32_e32 v45, 0xff800000
	v_cmp_gt_i32_e64 s19, s74, v6
	s_and_b32 s21, s64, s19
	s_and_saveexec_b32 s20, s21
	s_cbranch_execz .LBB189_42
; %bb.41:
	global_load_ushort v6, v[3:4], off offset:1280
	s_waitcnt vmcnt(0)
	v_lshlrev_b32_e32 v45, 16, v6
.LBB189_42:
	s_or_b32 exec_lo, exec_lo, s20
	v_add_nc_u32_e32 v6, 0x2a0, v0
	v_cmp_gt_i32_e64 s20, s74, v6
	s_and_b32 s22, s64, s20
	s_and_saveexec_b32 s21, s22
	s_cbranch_execz .LBB189_44
; %bb.43:
	global_load_ushort v6, v[3:4], off offset:1344
	s_waitcnt vmcnt(0)
	v_lshlrev_b32_e32 v48, 16, v6
.LBB189_44:
	s_or_b32 exec_lo, exec_lo, s21
	v_add_nc_u32_e32 v6, 0x2c0, v0
	v_mov_b32_e32 v52, 0xff800000
	v_mov_b32_e32 v50, 0xff800000
	v_cmp_gt_i32_e64 s21, s74, v6
	s_and_b32 s23, s64, s21
	s_and_saveexec_b32 s22, s23
	s_cbranch_execz .LBB189_46
; %bb.45:
	global_load_ushort v6, v[3:4], off offset:1408
	s_waitcnt vmcnt(0)
	v_lshlrev_b32_e32 v50, 16, v6
.LBB189_46:
	s_or_b32 exec_lo, exec_lo, s22
	v_add_nc_u32_e32 v6, 0x2e0, v0
	v_cmp_gt_i32_e64 s22, s74, v6
	s_and_b32 s24, s64, s22
	s_and_saveexec_b32 s23, s24
	s_cbranch_execz .LBB189_48
; %bb.47:
	global_load_ushort v6, v[3:4], off offset:1472
	s_waitcnt vmcnt(0)
	v_lshlrev_b32_e32 v52, 16, v6
.LBB189_48:
	s_or_b32 exec_lo, exec_lo, s23
	v_add_nc_u32_e32 v6, 0x300, v0
	v_mov_b32_e32 v56, 0xff800000
	v_mov_b32_e32 v55, 0xff800000
	v_cmp_gt_i32_e64 s23, s74, v6
	s_and_b32 s25, s64, s23
	s_and_saveexec_b32 s24, s25
	s_cbranch_execz .LBB189_50
; %bb.49:
	global_load_ushort v6, v[3:4], off offset:1536
	s_waitcnt vmcnt(0)
	v_lshlrev_b32_e32 v55, 16, v6
.LBB189_50:
	s_or_b32 exec_lo, exec_lo, s24
	v_add_nc_u32_e32 v6, 0x320, v0
	v_cmp_gt_i32_e64 s24, s74, v6
	s_and_b32 s26, s64, s24
	s_and_saveexec_b32 s25, s26
	s_cbranch_execz .LBB189_52
; %bb.51:
	global_load_ushort v6, v[3:4], off offset:1600
	s_waitcnt vmcnt(0)
	v_lshlrev_b32_e32 v56, 16, v6
.LBB189_52:
	s_or_b32 exec_lo, exec_lo, s25
	v_add_nc_u32_e32 v6, 0x340, v0
	v_mov_b32_e32 v61, 0xff800000
	v_mov_b32_e32 v60, 0xff800000
	v_cmp_gt_i32_e64 s25, s74, v6
	s_and_b32 s27, s64, s25
	s_and_saveexec_b32 s26, s27
	s_cbranch_execz .LBB189_54
; %bb.53:
	global_load_ushort v6, v[3:4], off offset:1664
	s_waitcnt vmcnt(0)
	v_lshlrev_b32_e32 v60, 16, v6
.LBB189_54:
	s_or_b32 exec_lo, exec_lo, s26
	v_add_nc_u32_e32 v6, 0x360, v0
	v_cmp_gt_i32_e64 s26, s74, v6
	s_and_b32 s28, s64, s26
	s_and_saveexec_b32 s27, s28
	s_cbranch_execz .LBB189_56
; %bb.55:
	global_load_ushort v6, v[3:4], off offset:1728
	s_waitcnt vmcnt(0)
	v_lshlrev_b32_e32 v61, 16, v6
.LBB189_56:
	s_or_b32 exec_lo, exec_lo, s27
	v_add_nc_u32_e32 v6, 0x380, v0
	v_mov_b32_e32 v65, 0xff800000
	v_mov_b32_e32 v64, 0xff800000
	v_cmp_gt_i32_e64 s27, s74, v6
	s_and_b32 s29, s64, s27
	s_and_saveexec_b32 s28, s29
	s_cbranch_execz .LBB189_58
; %bb.57:
	global_load_ushort v6, v[3:4], off offset:1792
	s_waitcnt vmcnt(0)
	v_lshlrev_b32_e32 v64, 16, v6
.LBB189_58:
	s_or_b32 exec_lo, exec_lo, s28
	v_add_nc_u32_e32 v6, 0x3a0, v0
	v_cmp_gt_i32_e64 s28, s74, v6
	s_and_b32 s30, s64, s28
	s_and_saveexec_b32 s29, s30
	s_cbranch_execz .LBB189_60
; %bb.59:
	global_load_ushort v6, v[3:4], off offset:1856
	s_waitcnt vmcnt(0)
	v_lshlrev_b32_e32 v65, 16, v6
.LBB189_60:
	s_or_b32 exec_lo, exec_lo, s29
	v_add_nc_u32_e32 v6, 0x3c0, v0
	v_mov_b32_e32 v70, 0xff800000
	v_mov_b32_e32 v68, 0xff800000
	v_cmp_gt_i32_e64 s29, s74, v6
	s_and_b32 s31, s64, s29
	s_and_saveexec_b32 s30, s31
	s_cbranch_execz .LBB189_62
; %bb.61:
	global_load_ushort v6, v[3:4], off offset:1920
	s_waitcnt vmcnt(0)
	v_lshlrev_b32_e32 v68, 16, v6
.LBB189_62:
	s_or_b32 exec_lo, exec_lo, s30
	v_add_nc_u32_e32 v6, 0x3e0, v0
	v_cmp_gt_i32_e64 s30, s74, v6
	s_and_b32 s33, s64, s30
	s_and_saveexec_b32 s31, s33
	s_cbranch_execz .LBB189_64
; %bb.63:
	global_load_ushort v6, v[3:4], off offset:1984
	s_waitcnt vmcnt(0)
	v_lshlrev_b32_e32 v70, 16, v6
.LBB189_64:
	s_or_b32 exec_lo, exec_lo, s31
	v_or_b32_e32 v6, 0x400, v0
	v_mov_b32_e32 v71, 0xff800000
	v_mov_b32_e32 v72, 0xff800000
	v_cmp_gt_i32_e64 s31, s74, v6
	s_and_b32 s33, s64, s31
	s_and_saveexec_b32 s34, s33
	s_cbranch_execz .LBB189_66
; %bb.65:
	v_add_co_u32 v23, s33, 0x800, v3
	v_add_co_ci_u32_e64 v24, null, 0, v4, s33
	global_load_ushort v6, v[23:24], off
	s_waitcnt vmcnt(0)
	v_lshlrev_b32_e32 v72, 16, v6
.LBB189_66:
	s_or_b32 exec_lo, exec_lo, s34
	v_add_nc_u32_e32 v6, 0x420, v0
	v_cmp_gt_i32_e64 s33, s74, v6
	s_and_b32 s34, s64, s33
	s_and_saveexec_b32 s35, s34
	s_cbranch_execz .LBB189_68
; %bb.67:
	v_add_co_u32 v23, s34, 0x800, v3
	v_add_co_ci_u32_e64 v24, null, 0, v4, s34
	global_load_ushort v6, v[23:24], off offset:64
	s_waitcnt vmcnt(0)
	v_lshlrev_b32_e32 v71, 16, v6
.LBB189_68:
	s_or_b32 exec_lo, exec_lo, s35
	v_add_nc_u32_e32 v6, 0x440, v0
	v_mov_b32_e32 v67, 0xff800000
	v_mov_b32_e32 v69, 0xff800000
	v_cmp_gt_i32_e64 s34, s74, v6
	s_and_b32 s35, s64, s34
	s_and_saveexec_b32 s36, s35
	s_cbranch_execz .LBB189_70
; %bb.69:
	v_add_co_u32 v23, s35, 0x800, v3
	v_add_co_ci_u32_e64 v24, null, 0, v4, s35
	global_load_ushort v6, v[23:24], off offset:128
	s_waitcnt vmcnt(0)
	v_lshlrev_b32_e32 v69, 16, v6
.LBB189_70:
	s_or_b32 exec_lo, exec_lo, s36
	v_add_nc_u32_e32 v6, 0x460, v0
	v_cmp_gt_i32_e64 s35, s74, v6
	s_and_b32 s36, s64, s35
	s_and_saveexec_b32 s37, s36
	s_cbranch_execz .LBB189_72
; %bb.71:
	v_add_co_u32 v23, s36, 0x800, v3
	v_add_co_ci_u32_e64 v24, null, 0, v4, s36
	global_load_ushort v6, v[23:24], off offset:192
	s_waitcnt vmcnt(0)
	v_lshlrev_b32_e32 v67, 16, v6
.LBB189_72:
	s_or_b32 exec_lo, exec_lo, s37
	v_add_nc_u32_e32 v6, 0x480, v0
	v_mov_b32_e32 v63, 0xff800000
	v_mov_b32_e32 v66, 0xff800000
	v_cmp_gt_i32_e64 s36, s74, v6
	s_and_b32 s37, s64, s36
	s_and_saveexec_b32 s38, s37
	s_cbranch_execz .LBB189_74
; %bb.73:
	v_add_co_u32 v23, s37, 0x800, v3
	v_add_co_ci_u32_e64 v24, null, 0, v4, s37
	global_load_ushort v6, v[23:24], off offset:256
	s_waitcnt vmcnt(0)
	v_lshlrev_b32_e32 v66, 16, v6
.LBB189_74:
	;; [unrolled: 28-line block ×15, first 2 shown]
	s_or_b32 exec_lo, exec_lo, s65
	v_add_nc_u32_e32 v0, 0x7e0, v0
	v_cmp_gt_i32_e64 s63, s74, v0
	s_and_b32 s64, s64, s63
	s_and_saveexec_b32 s65, s64
	s_cbranch_execz .LBB189_128
; %bb.127:
	v_add_co_u32 v3, s64, 0x800, v3
	v_add_co_ci_u32_e64 v4, null, 0, v4, s64
	global_load_ushort v0, v[3:4], off offset:1984
	s_waitcnt vmcnt(0)
	v_lshlrev_b32_e32 v13, 16, v0
.LBB189_128:
	s_or_b32 exec_lo, exec_lo, s65
	v_cmp_gt_f32_e64 s64, v7, v9
	v_mbcnt_lo_u32_b32 v8, -1, 0
	s_mov_b32 s65, exec_lo
	v_cndmask_b32_e64 v0, v9, v7, s64
	v_cmp_gt_f32_e64 s64, v0, v10
	v_cndmask_b32_e64 v0, v10, v0, s64
	v_cmp_gt_f32_e64 s64, v0, v11
	;; [unrolled: 2-line block ×62, first 2 shown]
	v_cndmask_b32_e64 v3, v13, v0, s64
	v_xor_b32_e32 v0, 16, v8
	v_cmp_gt_i32_e64 s64, 32, v0
	v_cndmask_b32_e64 v0, v8, v0, s64
	v_lshlrev_b32_e32 v0, 2, v0
	ds_bpermute_b32 v4, v0, v3
	s_waitcnt lgkmcnt(0)
	v_cmp_lt_f32_e64 s64, v3, v4
	v_cndmask_b32_e64 v4, v3, v4, s64
	v_xor_b32_e32 v3, 8, v8
	v_cmp_gt_i32_e64 s64, 32, v3
	v_cndmask_b32_e64 v3, v8, v3, s64
	v_lshlrev_b32_e32 v3, 2, v3
	ds_bpermute_b32 v6, v3, v4
	s_waitcnt lgkmcnt(0)
	v_cmp_lt_f32_e64 s64, v4, v6
	;; [unrolled: 8-line block ×5, first 2 shown]
	v_cndmask_b32_e64 v59, v59, v73, s64
	v_sub_f32_e32 v7, v7, v59
	v_sub_f32_e32 v9, v9, v59
	;; [unrolled: 1-line block ×5, first 2 shown]
	v_mul_f32_e32 v73, 0x3fb8aa3b, v7
	v_cmp_ngt_f32_e64 s64, 0xc2ce8ed0, v7
	v_sub_f32_e32 v14, v14, v59
	v_sub_f32_e32 v16, v16, v59
	;; [unrolled: 1-line block ×3, first 2 shown]
	v_fma_f32 v74, 0x3fb8aa3b, v7, -v73
	v_rndne_f32_e32 v75, v73
	v_sub_f32_e32 v20, v20, v59
	v_sub_f32_e32 v22, v22, v59
	;; [unrolled: 1-line block ×3, first 2 shown]
	v_fmac_f32_e32 v74, 0x32a5705f, v7
	v_sub_f32_e32 v73, v73, v75
	v_sub_f32_e32 v26, v26, v59
	;; [unrolled: 1-line block ×5, first 2 shown]
	v_add_f32_e32 v73, v73, v74
	v_cvt_i32_f32_e32 v74, v75
	v_sub_f32_e32 v36, v36, v59
	v_sub_f32_e32 v37, v37, v59
	;; [unrolled: 1-line block ×3, first 2 shown]
	v_exp_f32_e32 v73, v73
	v_sub_f32_e32 v41, v41, v59
	v_sub_f32_e32 v44, v44, v59
	;; [unrolled: 1-line block ×9, first 2 shown]
	v_ldexp_f32 v73, v73, v74
	v_mul_f32_e32 v74, 0x3fb8aa3b, v9
	v_sub_f32_e32 v61, v61, v59
	v_sub_f32_e32 v64, v64, v59
	;; [unrolled: 1-line block ×3, first 2 shown]
	v_cndmask_b32_e64 v73, 0, v73, s64
	v_fma_f32 v75, 0x3fb8aa3b, v9, -v74
	v_rndne_f32_e32 v76, v74
	v_cmp_nlt_f32_e64 s64, 0x42b17218, v7
	v_sub_f32_e32 v68, v68, v59
	v_sub_f32_e32 v70, v70, v59
	v_fmac_f32_e32 v75, 0x32a5705f, v9
	v_sub_f32_e32 v74, v74, v76
	v_cndmask_b32_e64 v73, 0x7f800000, v73, s64
	v_cmp_ngt_f32_e64 s64, 0xc2ce8ed0, v9
	v_sub_f32_e32 v72, v72, v59
	v_sub_f32_e32 v71, v71, v59
	v_add_f32_e32 v74, v74, v75
	v_cvt_i32_f32_e32 v75, v76
	v_sub_f32_e32 v69, v69, v59
	v_sub_f32_e32 v67, v67, v59
	;; [unrolled: 1-line block ×3, first 2 shown]
	v_exp_f32_e32 v74, v74
	v_sub_f32_e32 v63, v63, v59
	v_sub_f32_e32 v62, v62, v59
	;; [unrolled: 1-line block ×9, first 2 shown]
	v_ldexp_f32 v74, v74, v75
	v_sub_f32_e32 v46, v46, v59
	v_sub_f32_e32 v43, v43, v59
	;; [unrolled: 1-line block ×4, first 2 shown]
	v_cndmask_b32_e64 v74, 0, v74, s64
	v_cmp_nlt_f32_e64 s64, 0x42b17218, v9
	v_sub_f32_e32 v38, v38, v59
	v_sub_f32_e32 v35, v35, v59
	;; [unrolled: 1-line block ×4, first 2 shown]
	v_cndmask_b32_e64 v74, 0x7f800000, v74, s64
	v_cmp_ngt_f32_e64 s64, 0xc2ce8ed0, v10
	v_sub_f32_e32 v30, v30, v59
	v_sub_f32_e32 v28, v28, v59
	;; [unrolled: 1-line block ×3, first 2 shown]
	v_add_f32_e32 v73, v73, v74
	v_mul_f32_e32 v74, 0x3fb8aa3b, v10
	v_sub_f32_e32 v24, v24, v59
	v_sub_f32_e32 v23, v23, v59
	;; [unrolled: 1-line block ×4, first 2 shown]
	v_fma_f32 v75, 0x3fb8aa3b, v10, -v74
	v_rndne_f32_e32 v76, v74
	v_sub_f32_e32 v17, v17, v59
	v_sub_f32_e32 v15, v15, v59
	;; [unrolled: 1-line block ×3, first 2 shown]
	v_fmac_f32_e32 v75, 0x32a5705f, v10
	v_sub_f32_e32 v74, v74, v76
	v_mul_f32_e32 v59, 0x3fb8aa3b, v13
	v_add_f32_e32 v74, v74, v75
	v_cvt_i32_f32_e32 v75, v76
	v_exp_f32_e32 v74, v74
	v_ldexp_f32 v74, v74, v75
	v_cndmask_b32_e64 v74, 0, v74, s64
	v_cmp_nlt_f32_e64 s64, 0x42b17218, v10
	v_cndmask_b32_e64 v74, 0x7f800000, v74, s64
	v_cmp_ngt_f32_e64 s64, 0xc2ce8ed0, v11
	v_add_f32_e32 v73, v73, v74
	v_mul_f32_e32 v74, 0x3fb8aa3b, v11
	v_fma_f32 v75, 0x3fb8aa3b, v11, -v74
	v_rndne_f32_e32 v76, v74
	v_fmac_f32_e32 v75, 0x32a5705f, v11
	v_sub_f32_e32 v74, v74, v76
	v_add_f32_e32 v74, v74, v75
	v_cvt_i32_f32_e32 v75, v76
	v_exp_f32_e32 v74, v74
	v_ldexp_f32 v74, v74, v75
	v_cndmask_b32_e64 v74, 0, v74, s64
	v_cmp_nlt_f32_e64 s64, 0x42b17218, v11
	v_cndmask_b32_e64 v74, 0x7f800000, v74, s64
	v_cmp_ngt_f32_e64 s64, 0xc2ce8ed0, v12
	v_add_f32_e32 v73, v73, v74
	v_mul_f32_e32 v74, 0x3fb8aa3b, v12
	v_fma_f32 v75, 0x3fb8aa3b, v12, -v74
	v_rndne_f32_e32 v76, v74
	v_fmac_f32_e32 v75, 0x32a5705f, v12
	v_sub_f32_e32 v74, v74, v76
	;; [unrolled: 14-line block ×60, first 2 shown]
	v_add_f32_e32 v74, v74, v75
	v_cvt_i32_f32_e32 v75, v76
	v_exp_f32_e32 v74, v74
	v_ldexp_f32 v74, v74, v75
	v_rndne_f32_e32 v75, v59
	v_cndmask_b32_e64 v74, 0, v74, s64
	v_cmp_nlt_f32_e64 s64, 0x42b17218, v15
	v_cndmask_b32_e64 v74, 0x7f800000, v74, s64
	v_cmp_ngt_f32_e64 s64, 0xc2ce8ed0, v13
	v_add_f32_e32 v73, v73, v74
	v_fma_f32 v74, 0x3fb8aa3b, v13, -v59
	v_sub_f32_e32 v59, v59, v75
	v_fmac_f32_e32 v74, 0x32a5705f, v13
	v_add_f32_e32 v59, v59, v74
	v_cvt_i32_f32_e32 v74, v75
	v_exp_f32_e32 v59, v59
	v_ldexp_f32 v59, v59, v74
	v_cndmask_b32_e64 v59, 0, v59, s64
	v_cmp_nlt_f32_e64 s64, 0x42b17218, v13
	v_cndmask_b32_e64 v59, 0x7f800000, v59, s64
	v_add_f32_e32 v59, v73, v59
	ds_bpermute_b32 v0, v0, v59
	s_waitcnt lgkmcnt(0)
	v_add_f32_e32 v0, v59, v0
	ds_bpermute_b32 v3, v3, v0
	s_waitcnt lgkmcnt(0)
	;; [unrolled: 3-line block ×4, first 2 shown]
	v_add_f32_e32 v0, v0, v3
	ds_bpermute_b32 v3, v8, v0
	v_cmpx_lt_i32_e32 0, v5
	s_cbranch_execz .LBB189_194
; %bb.129:
	s_and_b32 exec_lo, exec_lo, s1
	s_cbranch_execz .LBB189_194
; %bb.130:
	s_waitcnt lgkmcnt(0)
	v_add_f32_e32 v0, v0, v3
	v_cmp_gt_f32_e64 s1, 0x800000, v0
	v_cndmask_b32_e64 v3, 0, 32, s1
	v_cndmask_b32_e64 v4, 0, 0x41b17218, s1
	v_ldexp_f32 v0, v0, v3
	v_log_f32_e32 v0, v0
	v_mul_f32_e32 v3, 0x3f317217, v0
	v_cmp_gt_f32_e64 s64, 0x7f800000, |v0|
	v_fma_f32 v3, 0x3f317217, v0, -v3
	v_fmamk_f32 v3, v0, 0x3377d1cf, v3
	v_fmac_f32_e32 v3, 0x3f317217, v0
	v_cndmask_b32_e64 v3, v0, v3, s64
	v_lshlrev_b64 v[0:1], 2, v[1:2]
	v_sub_f32_e32 v4, v3, v4
	v_add_co_u32 v0, s1, s68, v0
	v_add_co_ci_u32_e64 v1, null, s69, v1, s1
	v_sub_f32_e32 v2, v7, v4
	global_store_dword v[0:1], v2, off
	s_and_b32 exec_lo, exec_lo, vcc_lo
	s_cbranch_execz .LBB189_194
; %bb.131:
	v_sub_f32_e32 v2, v9, v4
	global_store_dword v[0:1], v2, off offset:128
	s_and_b32 exec_lo, exec_lo, s0
	s_cbranch_execz .LBB189_194
; %bb.132:
	v_sub_f32_e32 v2, v10, v4
	global_store_dword v[0:1], v2, off offset:256
	s_and_b32 exec_lo, exec_lo, s2
	;; [unrolled: 5-line block ×15, first 2 shown]
	s_cbranch_execz .LBB189_194
; %bb.146:
	v_add_co_u32 v2, vcc_lo, 0x800, v0
	v_sub_f32_e32 v5, v37, v4
	v_add_co_ci_u32_e64 v3, null, 0, v1, vcc_lo
	global_store_dword v[2:3], v5, off
	s_and_b32 exec_lo, exec_lo, s16
	s_cbranch_execz .LBB189_194
; %bb.147:
	v_sub_f32_e32 v5, v40, v4
	global_store_dword v[2:3], v5, off offset:128
	s_and_b32 exec_lo, exec_lo, s17
	s_cbranch_execz .LBB189_194
; %bb.148:
	v_sub_f32_e32 v5, v41, v4
	global_store_dword v[2:3], v5, off offset:256
	;; [unrolled: 5-line block ×15, first 2 shown]
	s_and_b32 exec_lo, exec_lo, s31
	s_cbranch_execz .LBB189_194
; %bb.162:
	v_add_co_u32 v2, vcc_lo, 0x1000, v0
	v_sub_f32_e32 v5, v72, v4
	v_add_co_ci_u32_e64 v3, null, 0, v1, vcc_lo
	global_store_dword v[2:3], v5, off
	s_and_b32 exec_lo, exec_lo, s33
	s_cbranch_execz .LBB189_194
; %bb.163:
	v_sub_f32_e32 v5, v71, v4
	global_store_dword v[2:3], v5, off offset:128
	s_and_b32 exec_lo, exec_lo, s34
	s_cbranch_execz .LBB189_194
; %bb.164:
	v_sub_f32_e32 v5, v69, v4
	global_store_dword v[2:3], v5, off offset:256
	;; [unrolled: 5-line block ×15, first 2 shown]
	s_and_b32 exec_lo, exec_lo, s48
	s_cbranch_execz .LBB189_194
; %bb.178:
	v_add_co_u32 v0, vcc_lo, 0x1800, v0
	v_sub_f32_e32 v2, v42, v4
	v_add_co_ci_u32_e64 v1, null, 0, v1, vcc_lo
	global_store_dword v[0:1], v2, off
	s_and_b32 exec_lo, exec_lo, s49
	s_cbranch_execz .LBB189_194
; %bb.179:
	v_sub_f32_e32 v2, v39, v4
	global_store_dword v[0:1], v2, off offset:128
	s_and_b32 exec_lo, exec_lo, s50
	s_cbranch_execz .LBB189_194
; %bb.180:
	v_sub_f32_e32 v2, v38, v4
	global_store_dword v[0:1], v2, off offset:256
	;; [unrolled: 5-line block ×15, first 2 shown]
.LBB189_194:
	s_endpgm
	.section	.rodata,"a",@progbits
	.p2align	6, 0x0
	.amdhsa_kernel _ZN12_GLOBAL__N_120softmax_warp_forwardIN3c108BFloat16EffLi11ELb1ELb0ELi32EEEvPT0_PKT_iiiPKbib
		.amdhsa_group_segment_fixed_size 0
		.amdhsa_private_segment_fixed_size 0
		.amdhsa_kernarg_size 304
		.amdhsa_user_sgpr_count 6
		.amdhsa_user_sgpr_private_segment_buffer 1
		.amdhsa_user_sgpr_dispatch_ptr 0
		.amdhsa_user_sgpr_queue_ptr 0
		.amdhsa_user_sgpr_kernarg_segment_ptr 1
		.amdhsa_user_sgpr_dispatch_id 0
		.amdhsa_user_sgpr_flat_scratch_init 0
		.amdhsa_user_sgpr_private_segment_size 0
		.amdhsa_wavefront_size32 1
		.amdhsa_uses_dynamic_stack 0
		.amdhsa_system_sgpr_private_segment_wavefront_offset 0
		.amdhsa_system_sgpr_workgroup_id_x 1
		.amdhsa_system_sgpr_workgroup_id_y 0
		.amdhsa_system_sgpr_workgroup_id_z 0
		.amdhsa_system_sgpr_workgroup_info 0
		.amdhsa_system_vgpr_workitem_id 1
		.amdhsa_next_free_vgpr 77
		.amdhsa_next_free_sgpr 76
		.amdhsa_reserve_vcc 1
		.amdhsa_reserve_flat_scratch 0
		.amdhsa_float_round_mode_32 0
		.amdhsa_float_round_mode_16_64 0
		.amdhsa_float_denorm_mode_32 3
		.amdhsa_float_denorm_mode_16_64 3
		.amdhsa_dx10_clamp 1
		.amdhsa_ieee_mode 1
		.amdhsa_fp16_overflow 0
		.amdhsa_workgroup_processor_mode 1
		.amdhsa_memory_ordered 1
		.amdhsa_forward_progress 1
		.amdhsa_shared_vgpr_count 0
		.amdhsa_exception_fp_ieee_invalid_op 0
		.amdhsa_exception_fp_denorm_src 0
		.amdhsa_exception_fp_ieee_div_zero 0
		.amdhsa_exception_fp_ieee_overflow 0
		.amdhsa_exception_fp_ieee_underflow 0
		.amdhsa_exception_fp_ieee_inexact 0
		.amdhsa_exception_int_div_zero 0
	.end_amdhsa_kernel
	.section	.text._ZN12_GLOBAL__N_120softmax_warp_forwardIN3c108BFloat16EffLi11ELb1ELb0ELi32EEEvPT0_PKT_iiiPKbib,"axG",@progbits,_ZN12_GLOBAL__N_120softmax_warp_forwardIN3c108BFloat16EffLi11ELb1ELb0ELi32EEEvPT0_PKT_iiiPKbib,comdat
.Lfunc_end189:
	.size	_ZN12_GLOBAL__N_120softmax_warp_forwardIN3c108BFloat16EffLi11ELb1ELb0ELi32EEEvPT0_PKT_iiiPKbib, .Lfunc_end189-_ZN12_GLOBAL__N_120softmax_warp_forwardIN3c108BFloat16EffLi11ELb1ELb0ELi32EEEvPT0_PKT_iiiPKbib
                                        ; -- End function
	.set _ZN12_GLOBAL__N_120softmax_warp_forwardIN3c108BFloat16EffLi11ELb1ELb0ELi32EEEvPT0_PKT_iiiPKbib.num_vgpr, 77
	.set _ZN12_GLOBAL__N_120softmax_warp_forwardIN3c108BFloat16EffLi11ELb1ELb0ELi32EEEvPT0_PKT_iiiPKbib.num_agpr, 0
	.set _ZN12_GLOBAL__N_120softmax_warp_forwardIN3c108BFloat16EffLi11ELb1ELb0ELi32EEEvPT0_PKT_iiiPKbib.numbered_sgpr, 76
	.set _ZN12_GLOBAL__N_120softmax_warp_forwardIN3c108BFloat16EffLi11ELb1ELb0ELi32EEEvPT0_PKT_iiiPKbib.num_named_barrier, 0
	.set _ZN12_GLOBAL__N_120softmax_warp_forwardIN3c108BFloat16EffLi11ELb1ELb0ELi32EEEvPT0_PKT_iiiPKbib.private_seg_size, 0
	.set _ZN12_GLOBAL__N_120softmax_warp_forwardIN3c108BFloat16EffLi11ELb1ELb0ELi32EEEvPT0_PKT_iiiPKbib.uses_vcc, 1
	.set _ZN12_GLOBAL__N_120softmax_warp_forwardIN3c108BFloat16EffLi11ELb1ELb0ELi32EEEvPT0_PKT_iiiPKbib.uses_flat_scratch, 0
	.set _ZN12_GLOBAL__N_120softmax_warp_forwardIN3c108BFloat16EffLi11ELb1ELb0ELi32EEEvPT0_PKT_iiiPKbib.has_dyn_sized_stack, 0
	.set _ZN12_GLOBAL__N_120softmax_warp_forwardIN3c108BFloat16EffLi11ELb1ELb0ELi32EEEvPT0_PKT_iiiPKbib.has_recursion, 0
	.set _ZN12_GLOBAL__N_120softmax_warp_forwardIN3c108BFloat16EffLi11ELb1ELb0ELi32EEEvPT0_PKT_iiiPKbib.has_indirect_call, 0
	.section	.AMDGPU.csdata,"",@progbits
; Kernel info:
; codeLenInByte = 14036
; TotalNumSgprs: 78
; NumVgprs: 77
; ScratchSize: 0
; MemoryBound: 0
; FloatMode: 240
; IeeeMode: 1
; LDSByteSize: 0 bytes/workgroup (compile time only)
; SGPRBlocks: 0
; VGPRBlocks: 9
; NumSGPRsForWavesPerEU: 78
; NumVGPRsForWavesPerEU: 77
; Occupancy: 12
; WaveLimiterHint : 0
; COMPUTE_PGM_RSRC2:SCRATCH_EN: 0
; COMPUTE_PGM_RSRC2:USER_SGPR: 6
; COMPUTE_PGM_RSRC2:TRAP_HANDLER: 0
; COMPUTE_PGM_RSRC2:TGID_X_EN: 1
; COMPUTE_PGM_RSRC2:TGID_Y_EN: 0
; COMPUTE_PGM_RSRC2:TGID_Z_EN: 0
; COMPUTE_PGM_RSRC2:TIDIG_COMP_CNT: 1
	.section	.text._ZN2at6native12_GLOBAL__N_123cunn_SoftMaxForwardSmemILi8EN3c108BFloat16EffNS1_25LogSoftMaxForwardEpilogueElEEvPT2_PKT0_T4_,"axG",@progbits,_ZN2at6native12_GLOBAL__N_123cunn_SoftMaxForwardSmemILi8EN3c108BFloat16EffNS1_25LogSoftMaxForwardEpilogueElEEvPT2_PKT0_T4_,comdat
	.globl	_ZN2at6native12_GLOBAL__N_123cunn_SoftMaxForwardSmemILi8EN3c108BFloat16EffNS1_25LogSoftMaxForwardEpilogueElEEvPT2_PKT0_T4_ ; -- Begin function _ZN2at6native12_GLOBAL__N_123cunn_SoftMaxForwardSmemILi8EN3c108BFloat16EffNS1_25LogSoftMaxForwardEpilogueElEEvPT2_PKT0_T4_
	.p2align	8
	.type	_ZN2at6native12_GLOBAL__N_123cunn_SoftMaxForwardSmemILi8EN3c108BFloat16EffNS1_25LogSoftMaxForwardEpilogueElEEvPT2_PKT0_T4_,@function
_ZN2at6native12_GLOBAL__N_123cunn_SoftMaxForwardSmemILi8EN3c108BFloat16EffNS1_25LogSoftMaxForwardEpilogueElEEvPT2_PKT0_T4_: ; @_ZN2at6native12_GLOBAL__N_123cunn_SoftMaxForwardSmemILi8EN3c108BFloat16EffNS1_25LogSoftMaxForwardEpilogueElEEvPT2_PKT0_T4_
; %bb.0:
	s_clause 0x1
	s_load_dwordx2 s[12:13], s[4:5], 0x10
	s_load_dwordx4 s[8:11], s[4:5], 0x0
	v_mov_b32_e32 v1, 0
	v_lshlrev_b32_e32 v2, 3, v0
	v_mov_b32_e32 v8, 0xff7fffff
	s_mov_b32 s2, 0
	v_mov_b32_e32 v3, v1
	s_waitcnt lgkmcnt(0)
	v_cmp_gt_i64_e32 vcc_lo, s[12:13], v[2:3]
	s_mul_i32 s14, s13, s6
	s_mul_hi_u32 s15, s12, s6
	s_mul_i32 s6, s12, s6
	s_and_saveexec_b32 s3, vcc_lo
	s_cbranch_execz .LBB190_4
; %bb.1:
	s_load_dword s0, s[4:5], 0x24
	s_add_i32 s7, s15, s14
	v_lshlrev_b32_e32 v2, 4, v0
	v_mov_b32_e32 v8, 0xff7fffff
	v_add_nc_u32_e32 v6, 0, v2
	s_waitcnt lgkmcnt(0)
	s_and_b32 s16, s0, 0xffff
	s_lshl_b64 s[0:1], s[6:7], 1
	s_lshl_b32 s7, s16, 4
	s_add_u32 s0, s10, s0
	s_addc_u32 s1, s11, s1
	v_add_co_u32 v3, s0, s0, v2
	v_add_co_ci_u32_e64 v4, null, s1, 0, s0
	v_add_co_u32 v2, s0, v3, 8
	v_add_co_ci_u32_e64 v3, null, 0, v4, s0
	v_mov_b32_e32 v5, v1
	v_mov_b32_e32 v4, v0
	s_inst_prefetch 0x1
	.p2align	6
.LBB190_2:                              ; =>This Inner Loop Header: Depth=1
	global_load_dwordx4 v[9:12], v[2:3], off offset:-8
	v_add_co_u32 v4, s0, v4, s16
	v_add_co_ci_u32_e64 v5, null, 0, v5, s0
	v_add_co_u32 v2, s0, v2, s7
	v_add_co_ci_u32_e64 v3, null, 0, v3, s0
	s_waitcnt vmcnt(0)
	v_lshlrev_b32_e32 v7, 16, v9
	v_and_b32_e32 v13, 0xffff0000, v9
	v_lshlrev_b32_e32 v14, 16, v10
	v_and_b32_e32 v15, 0xffff0000, v10
	v_lshlrev_b32_e32 v16, 16, v11
	v_and_b32_e32 v17, 0xffff0000, v11
	v_max3_f32 v13, v8, v7, v13
	v_lshlrev_b64 v[7:8], 3, v[4:5]
	ds_write_b128 v6, v[9:12]
	v_add_nc_u32_e32 v6, s7, v6
	v_max3_f32 v13, v13, v14, v15
	v_cmp_le_i64_e64 s1, s[12:13], v[7:8]
	v_lshlrev_b32_e32 v7, 16, v12
	v_and_b32_e32 v8, 0xffff0000, v12
	v_max3_f32 v13, v13, v16, v17
	s_or_b32 s2, s1, s2
	v_max3_f32 v8, v13, v7, v8
	s_andn2_b32 exec_lo, exec_lo, s2
	s_cbranch_execnz .LBB190_2
; %bb.3:
	s_inst_prefetch 0x2
	s_or_b32 exec_lo, exec_lo, s2
.LBB190_4:
	s_or_b32 exec_lo, exec_lo, s3
	v_mbcnt_lo_u32_b32 v2, -1, 0
	v_lshrrev_b32_e32 v11, 3, v0
	s_lshl_b32 s1, s12, 1
	s_waitcnt lgkmcnt(0)
	s_add_i32 s7, s1, 0
	v_lshl_or_b32 v6, v2, 2, 64
	v_cmp_gt_u32_e64 s0, 24, v2
	s_barrier
	buffer_gl0_inv
	ds_bpermute_b32 v3, v6, v8
	v_cndmask_b32_e64 v4, 0, 8, s0
	v_add_lshl_u32 v7, v4, v2, 2
	s_waitcnt lgkmcnt(0)
	v_cmp_lt_f32_e64 s0, v8, v3
	v_cndmask_b32_e64 v3, v8, v3, s0
	v_cmp_gt_u32_e64 s0, 28, v2
	ds_bpermute_b32 v4, v7, v3
	v_cndmask_b32_e64 v5, 0, 4, s0
	v_add_lshl_u32 v8, v5, v2, 2
	s_waitcnt lgkmcnt(0)
	v_cmp_lt_f32_e64 s0, v3, v4
	v_cndmask_b32_e64 v3, v3, v4, s0
	v_cmp_gt_u32_e64 s0, 30, v2
	ds_bpermute_b32 v4, v8, v3
	v_cndmask_b32_e64 v5, 0, 2, s0
	v_add_lshl_u32 v9, v5, v2, 2
	s_waitcnt lgkmcnt(0)
	v_cmp_lt_f32_e64 s0, v3, v4
	v_cndmask_b32_e64 v3, v3, v4, s0
	v_cmp_ne_u32_e64 s0, 31, v2
	ds_bpermute_b32 v4, v9, v3
	v_add_co_ci_u32_e64 v5, null, 0, v2, s0
	v_lshlrev_b32_e32 v10, 2, v5
	s_waitcnt lgkmcnt(0)
	v_cmp_lt_f32_e64 s0, v3, v4
	v_cndmask_b32_e64 v2, v3, v4, s0
	v_and_b32_e32 v3, 31, v0
	ds_bpermute_b32 v4, v10, v2
	v_cmp_eq_u32_e64 s0, 0, v3
	s_and_saveexec_b32 s2, s0
	s_cbranch_execz .LBB190_6
; %bb.5:
	s_waitcnt lgkmcnt(0)
	v_cmp_lt_f32_e64 s1, v2, v4
	v_add_nc_u32_e32 v5, s7, v11
	v_cndmask_b32_e64 v2, v2, v4, s1
	ds_write_b32 v5, v2
.LBB190_6:
	s_or_b32 exec_lo, exec_lo, s2
	s_waitcnt lgkmcnt(0)
	s_barrier
	buffer_gl0_inv
	s_load_dword s4, s[4:5], 0x24
	v_mov_b32_e32 v2, 0xff7fffff
	v_lshl_add_u32 v12, v3, 2, s7
	s_waitcnt lgkmcnt(0)
	s_bfe_u32 s1, s4, 0xb0005
	v_cmp_gt_u32_e64 s1, s1, v0
	s_and_saveexec_b32 s2, s1
	s_cbranch_execnz .LBB190_24
; %bb.7:
	s_or_b32 exec_lo, exec_lo, s2
	v_cmp_gt_u32_e64 s2, 32, v0
	s_and_saveexec_b32 s5, s2
	s_cbranch_execnz .LBB190_25
.LBB190_8:
	s_or_b32 exec_lo, exec_lo, s5
	v_cmp_eq_u32_e64 s3, 0, v0
	s_and_saveexec_b32 s5, s3
	s_cbranch_execz .LBB190_10
.LBB190_9:
	v_mov_b32_e32 v3, s7
	s_waitcnt lgkmcnt(0)
	ds_write_b32 v3, v2
.LBB190_10:
	s_or_b32 exec_lo, exec_lo, s5
	s_waitcnt lgkmcnt(0)
	v_mov_b32_e32 v2, s7
	s_barrier
	buffer_gl0_inv
	v_mov_b32_e32 v14, 0
	ds_read_b32 v4, v2
	v_lshl_add_u32 v5, v0, 4, 0
	s_and_b32 s5, 0xffff, s4
	s_and_saveexec_b32 s10, vcc_lo
	s_cbranch_execz .LBB190_14
; %bb.11:
	v_mov_b32_e32 v3, v1
	v_lshl_add_u32 v13, v0, 4, 0
	v_mov_b32_e32 v14, 0
	v_mov_b32_e32 v2, v0
	s_mov_b32 s11, 0
	s_lshl_b32 s16, s5, 4
.LBB190_12:                             ; =>This Inner Loop Header: Depth=1
	ds_read_b128 v[15:18], v13
	v_add_co_u32 v2, s4, v2, s5
	v_add_co_ci_u32_e64 v3, null, 0, v3, s4
	v_add_nc_u32_e32 v13, s16, v13
	v_lshlrev_b64 v[19:20], 3, v[2:3]
	s_waitcnt lgkmcnt(0)
	v_lshlrev_b32_e32 v21, 16, v15
	v_and_b32_e32 v15, 0xffff0000, v15
	v_lshlrev_b32_e32 v22, 16, v16
	v_and_b32_e32 v16, 0xffff0000, v16
	v_lshlrev_b32_e32 v23, 16, v17
	v_sub_f32_e32 v21, v21, v4
	v_sub_f32_e32 v15, v15, v4
	;; [unrolled: 1-line block ×5, first 2 shown]
	v_mul_f32_e32 v25, 0x3fb8aa3b, v21
	v_mul_f32_e32 v26, 0x3fb8aa3b, v15
	;; [unrolled: 1-line block ×4, first 2 shown]
	v_cmp_ngt_f32_e64 s4, 0xc2ce8ed0, v21
	v_fma_f32 v33, 0x3fb8aa3b, v21, -v25
	v_rndne_f32_e32 v34, v25
	v_fma_f32 v35, 0x3fb8aa3b, v15, -v26
	v_rndne_f32_e32 v36, v26
	v_fma_f32 v37, 0x3fb8aa3b, v22, -v27
	v_fmac_f32_e32 v33, 0x32a5705f, v21
	v_sub_f32_e32 v25, v25, v34
	v_fmac_f32_e32 v35, 0x32a5705f, v15
	v_sub_f32_e32 v26, v26, v36
	v_rndne_f32_e32 v38, v27
	v_cvt_i32_f32_e32 v34, v34
	v_add_f32_e32 v25, v25, v33
	v_fmac_f32_e32 v37, 0x32a5705f, v22
	v_add_f32_e32 v26, v26, v35
	v_sub_f32_e32 v27, v27, v38
	v_fma_f32 v39, 0x3fb8aa3b, v16, -v28
	v_exp_f32_e32 v25, v25
	v_rndne_f32_e32 v40, v28
	v_exp_f32_e32 v26, v26
	v_cvt_i32_f32_e32 v36, v36
	v_add_f32_e32 v27, v27, v37
	v_and_b32_e32 v17, 0xffff0000, v17
	v_mul_f32_e32 v29, 0x3fb8aa3b, v23
	v_fmac_f32_e32 v39, 0x32a5705f, v16
	v_sub_f32_e32 v28, v28, v40
	v_exp_f32_e32 v27, v27
	v_ldexp_f32 v25, v25, v34
	v_sub_f32_e32 v17, v17, v4
	v_ldexp_f32 v26, v26, v36
	v_fma_f32 v41, 0x3fb8aa3b, v23, -v29
	v_rndne_f32_e32 v42, v29
	v_cndmask_b32_e64 v25, 0, v25, s4
	v_cmp_ngt_f32_e64 s4, 0xc2ce8ed0, v15
	v_cvt_i32_f32_e32 v38, v38
	v_add_f32_e32 v28, v28, v39
	v_lshlrev_b32_e32 v24, 16, v18
	v_mul_f32_e32 v30, 0x3fb8aa3b, v17
	v_cndmask_b32_e64 v26, 0, v26, s4
	v_cmp_nlt_f32_e64 s4, 0x42b17218, v21
	v_fmac_f32_e32 v41, 0x32a5705f, v23
	v_sub_f32_e32 v29, v29, v42
	v_exp_f32_e32 v28, v28
	v_ldexp_f32 v27, v27, v38
	v_cndmask_b32_e64 v21, 0x7f800000, v25, s4
	v_cmp_ngt_f32_e64 s4, 0xc2ce8ed0, v22
	v_sub_f32_e32 v24, v24, v4
	v_fma_f32 v43, 0x3fb8aa3b, v17, -v30
	v_rndne_f32_e32 v44, v30
	v_cvt_i32_f32_e32 v40, v40
	v_add_f32_e32 v29, v29, v41
	v_cndmask_b32_e64 v25, 0, v27, s4
	v_cmp_nlt_f32_e64 s4, 0x42b17218, v15
	v_and_b32_e32 v18, 0xffff0000, v18
	v_mul_f32_e32 v31, 0x3fb8aa3b, v24
	v_fmac_f32_e32 v43, 0x32a5705f, v17
	v_sub_f32_e32 v30, v30, v44
	v_exp_f32_e32 v29, v29
	v_ldexp_f32 v28, v28, v40
	v_cndmask_b32_e64 v15, 0x7f800000, v26, s4
	v_cmp_ngt_f32_e64 s4, 0xc2ce8ed0, v16
	v_sub_f32_e32 v18, v18, v4
	v_fma_f32 v45, 0x3fb8aa3b, v24, -v31
	v_rndne_f32_e32 v46, v31
	v_cvt_i32_f32_e32 v42, v42
	v_add_f32_e32 v30, v30, v43
	v_add_f32_e32 v14, v14, v21
	v_cndmask_b32_e64 v21, 0, v28, s4
	v_cmp_nlt_f32_e64 s4, 0x42b17218, v22
	v_mul_f32_e32 v32, 0x3fb8aa3b, v18
	v_fmac_f32_e32 v45, 0x32a5705f, v24
	v_sub_f32_e32 v31, v31, v46
	v_exp_f32_e32 v30, v30
	v_ldexp_f32 v29, v29, v42
	v_cndmask_b32_e64 v22, 0x7f800000, v25, s4
	v_cmp_ngt_f32_e64 s4, 0xc2ce8ed0, v23
	v_fma_f32 v47, 0x3fb8aa3b, v18, -v32
	v_rndne_f32_e32 v48, v32
	v_cvt_i32_f32_e32 v44, v44
	v_add_f32_e32 v31, v31, v45
	v_add_f32_e32 v14, v14, v15
	v_cndmask_b32_e64 v15, 0, v29, s4
	v_cmp_nlt_f32_e64 s4, 0x42b17218, v16
	v_fmac_f32_e32 v47, 0x32a5705f, v18
	v_sub_f32_e32 v32, v32, v48
	v_exp_f32_e32 v31, v31
	v_ldexp_f32 v30, v30, v44
	v_cndmask_b32_e64 v16, 0x7f800000, v21, s4
	v_cmp_ngt_f32_e64 s4, 0xc2ce8ed0, v17
	v_cvt_i32_f32_e32 v46, v46
	v_add_f32_e32 v32, v32, v47
	v_add_f32_e32 v14, v14, v22
	v_cvt_i32_f32_e32 v48, v48
	v_cndmask_b32_e64 v21, 0, v30, s4
	v_cmp_nlt_f32_e64 s4, 0x42b17218, v23
	v_exp_f32_e32 v32, v32
	v_ldexp_f32 v31, v31, v46
	v_add_f32_e32 v14, v14, v16
	v_cndmask_b32_e64 v15, 0x7f800000, v15, s4
	v_cmp_ngt_f32_e64 s4, 0xc2ce8ed0, v24
	v_add_f32_e32 v14, v14, v15
	v_cndmask_b32_e64 v16, 0, v31, s4
	v_cmp_nlt_f32_e64 s4, 0x42b17218, v17
	v_ldexp_f32 v32, v32, v48
	v_cndmask_b32_e64 v17, 0x7f800000, v21, s4
	v_cmp_ngt_f32_e64 s4, 0xc2ce8ed0, v18
	v_add_f32_e32 v14, v14, v17
	v_cndmask_b32_e64 v15, 0, v32, s4
	v_cmp_nlt_f32_e64 s4, 0x42b17218, v24
	v_cndmask_b32_e64 v16, 0x7f800000, v16, s4
	v_cmp_nlt_f32_e64 s4, 0x42b17218, v18
	v_add_f32_e32 v14, v14, v16
	v_cndmask_b32_e64 v15, 0x7f800000, v15, s4
	v_cmp_le_i64_e64 s4, s[12:13], v[19:20]
	v_add_f32_e32 v14, v14, v15
	s_or_b32 s11, s4, s11
	s_andn2_b32 exec_lo, exec_lo, s11
	s_cbranch_execnz .LBB190_12
; %bb.13:
	s_or_b32 exec_lo, exec_lo, s11
.LBB190_14:
	s_or_b32 exec_lo, exec_lo, s10
	ds_bpermute_b32 v2, v6, v14
	s_waitcnt lgkmcnt(0)
	s_barrier
	buffer_gl0_inv
	v_add_f32_e32 v2, v14, v2
	ds_bpermute_b32 v3, v7, v2
	s_waitcnt lgkmcnt(0)
	v_add_f32_e32 v2, v2, v3
	ds_bpermute_b32 v3, v8, v2
	s_waitcnt lgkmcnt(0)
	;; [unrolled: 3-line block ×3, first 2 shown]
	v_add_f32_e32 v2, v2, v3
	ds_bpermute_b32 v3, v10, v2
	s_and_saveexec_b32 s4, s0
	s_cbranch_execz .LBB190_16
; %bb.15:
	v_add_nc_u32_e32 v11, s7, v11
	s_waitcnt lgkmcnt(0)
	v_add_f32_e32 v2, v2, v3
	ds_write_b32 v11, v2
.LBB190_16:
	s_or_b32 exec_lo, exec_lo, s4
	v_mov_b32_e32 v2, 0
	s_waitcnt lgkmcnt(0)
	s_barrier
	buffer_gl0_inv
	s_and_saveexec_b32 s0, s1
	s_cbranch_execnz .LBB190_26
; %bb.17:
	s_or_b32 exec_lo, exec_lo, s0
	s_and_saveexec_b32 s0, s2
	s_cbranch_execnz .LBB190_27
.LBB190_18:
	s_or_b32 exec_lo, exec_lo, s0
	s_and_saveexec_b32 s0, s3
	s_cbranch_execz .LBB190_20
.LBB190_19:
	v_mov_b32_e32 v3, s7
	s_waitcnt lgkmcnt(0)
	ds_write_b32 v3, v2
.LBB190_20:
	s_or_b32 exec_lo, exec_lo, s0
	s_waitcnt lgkmcnt(0)
	s_barrier
	buffer_gl0_inv
	s_and_saveexec_b32 s0, vcc_lo
	s_cbranch_execz .LBB190_23
; %bb.21:
	v_mov_b32_e32 v2, s7
	v_lshlrev_b32_e32 v7, 5, v0
	ds_read_b32 v2, v2
	s_waitcnt lgkmcnt(0)
	v_cmp_gt_f32_e32 vcc_lo, 0x800000, v2
	s_and_b32 s0, vcc_lo, exec_lo
	s_cselect_b32 s0, 32, 0
	s_add_i32 s7, s15, s14
	v_ldexp_f32 v2, v2, s0
	v_cndmask_b32_e64 v3, 0, 0x41b17218, vcc_lo
	s_lshl_b64 s[2:3], s[6:7], 2
	s_lshl_b32 s1, s5, 4
	s_add_u32 s0, s8, s2
	v_log_f32_e32 v2, v2
	s_addc_u32 s2, s9, s3
	v_add_co_u32 v7, s0, s0, v7
	v_add_co_ci_u32_e64 v8, null, s2, 0, s0
	s_mov_b32 s2, 0
	s_lshl_b32 s3, s5, 5
	v_mul_f32_e32 v6, 0x3f317217, v2
	v_cmp_gt_f32_e64 vcc_lo, 0x7f800000, |v2|
	v_fma_f32 v6, 0x3f317217, v2, -v6
	v_fmamk_f32 v6, v2, 0x3377d1cf, v6
	v_fmac_f32_e32 v6, 0x3f317217, v2
	v_cndmask_b32_e32 v2, v2, v6, vcc_lo
	v_sub_f32_e32 v6, v2, v3
	v_add_co_u32 v2, vcc_lo, v7, 28
	v_add_co_ci_u32_e64 v3, null, 0, v8, vcc_lo
.LBB190_22:                             ; =>This Inner Loop Header: Depth=1
	ds_read_b128 v[7:10], v5
	v_add_co_u32 v0, vcc_lo, v0, s5
	v_add_co_ci_u32_e64 v1, null, 0, v1, vcc_lo
	v_add_nc_u32_e32 v5, s1, v5
	v_lshlrev_b64 v[11:12], 3, v[0:1]
	v_cmp_le_i64_e32 vcc_lo, s[12:13], v[11:12]
	s_or_b32 s2, vcc_lo, s2
	s_waitcnt lgkmcnt(0)
	v_lshlrev_b32_e32 v11, 16, v7
	v_and_b32_e32 v7, 0xffff0000, v7
	v_lshlrev_b32_e32 v12, 16, v8
	v_and_b32_e32 v8, 0xffff0000, v8
	;; [unrolled: 2-line block ×4, first 2 shown]
	v_sub_f32_e32 v11, v11, v4
	v_sub_f32_e32 v15, v7, v4
	;; [unrolled: 1-line block ×16, first 2 shown]
	global_store_dwordx4 v[2:3], v[7:10], off offset:-28
	global_store_dwordx4 v[2:3], v[11:14], off offset:-12
	v_add_co_u32 v2, s0, v2, s3
	v_add_co_ci_u32_e64 v3, null, 0, v3, s0
	s_andn2_b32 exec_lo, exec_lo, s2
	s_cbranch_execnz .LBB190_22
.LBB190_23:
	s_endpgm
.LBB190_24:
	ds_read_b32 v2, v12
	s_or_b32 exec_lo, exec_lo, s2
	v_cmp_gt_u32_e64 s2, 32, v0
	s_and_saveexec_b32 s5, s2
	s_cbranch_execz .LBB190_8
.LBB190_25:
	s_waitcnt lgkmcnt(0)
	ds_bpermute_b32 v3, v6, v2
	s_waitcnt lgkmcnt(0)
	v_cmp_lt_f32_e64 s3, v2, v3
	v_cndmask_b32_e64 v2, v2, v3, s3
	ds_bpermute_b32 v3, v7, v2
	s_waitcnt lgkmcnt(0)
	v_cmp_lt_f32_e64 s3, v2, v3
	v_cndmask_b32_e64 v2, v2, v3, s3
	;; [unrolled: 4-line block ×5, first 2 shown]
	s_or_b32 exec_lo, exec_lo, s5
	v_cmp_eq_u32_e64 s3, 0, v0
	s_and_saveexec_b32 s5, s3
	s_cbranch_execnz .LBB190_9
	s_branch .LBB190_10
.LBB190_26:
	ds_read_b32 v2, v12
	s_or_b32 exec_lo, exec_lo, s0
	s_and_saveexec_b32 s0, s2
	s_cbranch_execz .LBB190_18
.LBB190_27:
	s_waitcnt lgkmcnt(0)
	ds_bpermute_b32 v3, v6, v2
	s_waitcnt lgkmcnt(0)
	v_add_f32_e32 v2, v2, v3
	ds_bpermute_b32 v3, v7, v2
	s_waitcnt lgkmcnt(0)
	v_add_f32_e32 v2, v2, v3
	;; [unrolled: 3-line block ×5, first 2 shown]
	s_or_b32 exec_lo, exec_lo, s0
	s_and_saveexec_b32 s0, s3
	s_cbranch_execnz .LBB190_19
	s_branch .LBB190_20
	.section	.rodata,"a",@progbits
	.p2align	6, 0x0
	.amdhsa_kernel _ZN2at6native12_GLOBAL__N_123cunn_SoftMaxForwardSmemILi8EN3c108BFloat16EffNS1_25LogSoftMaxForwardEpilogueElEEvPT2_PKT0_T4_
		.amdhsa_group_segment_fixed_size 0
		.amdhsa_private_segment_fixed_size 0
		.amdhsa_kernarg_size 280
		.amdhsa_user_sgpr_count 6
		.amdhsa_user_sgpr_private_segment_buffer 1
		.amdhsa_user_sgpr_dispatch_ptr 0
		.amdhsa_user_sgpr_queue_ptr 0
		.amdhsa_user_sgpr_kernarg_segment_ptr 1
		.amdhsa_user_sgpr_dispatch_id 0
		.amdhsa_user_sgpr_flat_scratch_init 0
		.amdhsa_user_sgpr_private_segment_size 0
		.amdhsa_wavefront_size32 1
		.amdhsa_uses_dynamic_stack 0
		.amdhsa_system_sgpr_private_segment_wavefront_offset 0
		.amdhsa_system_sgpr_workgroup_id_x 1
		.amdhsa_system_sgpr_workgroup_id_y 0
		.amdhsa_system_sgpr_workgroup_id_z 0
		.amdhsa_system_sgpr_workgroup_info 0
		.amdhsa_system_vgpr_workitem_id 0
		.amdhsa_next_free_vgpr 49
		.amdhsa_next_free_sgpr 17
		.amdhsa_reserve_vcc 1
		.amdhsa_reserve_flat_scratch 0
		.amdhsa_float_round_mode_32 0
		.amdhsa_float_round_mode_16_64 0
		.amdhsa_float_denorm_mode_32 3
		.amdhsa_float_denorm_mode_16_64 3
		.amdhsa_dx10_clamp 1
		.amdhsa_ieee_mode 1
		.amdhsa_fp16_overflow 0
		.amdhsa_workgroup_processor_mode 1
		.amdhsa_memory_ordered 1
		.amdhsa_forward_progress 1
		.amdhsa_shared_vgpr_count 0
		.amdhsa_exception_fp_ieee_invalid_op 0
		.amdhsa_exception_fp_denorm_src 0
		.amdhsa_exception_fp_ieee_div_zero 0
		.amdhsa_exception_fp_ieee_overflow 0
		.amdhsa_exception_fp_ieee_underflow 0
		.amdhsa_exception_fp_ieee_inexact 0
		.amdhsa_exception_int_div_zero 0
	.end_amdhsa_kernel
	.section	.text._ZN2at6native12_GLOBAL__N_123cunn_SoftMaxForwardSmemILi8EN3c108BFloat16EffNS1_25LogSoftMaxForwardEpilogueElEEvPT2_PKT0_T4_,"axG",@progbits,_ZN2at6native12_GLOBAL__N_123cunn_SoftMaxForwardSmemILi8EN3c108BFloat16EffNS1_25LogSoftMaxForwardEpilogueElEEvPT2_PKT0_T4_,comdat
.Lfunc_end190:
	.size	_ZN2at6native12_GLOBAL__N_123cunn_SoftMaxForwardSmemILi8EN3c108BFloat16EffNS1_25LogSoftMaxForwardEpilogueElEEvPT2_PKT0_T4_, .Lfunc_end190-_ZN2at6native12_GLOBAL__N_123cunn_SoftMaxForwardSmemILi8EN3c108BFloat16EffNS1_25LogSoftMaxForwardEpilogueElEEvPT2_PKT0_T4_
                                        ; -- End function
	.set _ZN2at6native12_GLOBAL__N_123cunn_SoftMaxForwardSmemILi8EN3c108BFloat16EffNS1_25LogSoftMaxForwardEpilogueElEEvPT2_PKT0_T4_.num_vgpr, 49
	.set _ZN2at6native12_GLOBAL__N_123cunn_SoftMaxForwardSmemILi8EN3c108BFloat16EffNS1_25LogSoftMaxForwardEpilogueElEEvPT2_PKT0_T4_.num_agpr, 0
	.set _ZN2at6native12_GLOBAL__N_123cunn_SoftMaxForwardSmemILi8EN3c108BFloat16EffNS1_25LogSoftMaxForwardEpilogueElEEvPT2_PKT0_T4_.numbered_sgpr, 17
	.set _ZN2at6native12_GLOBAL__N_123cunn_SoftMaxForwardSmemILi8EN3c108BFloat16EffNS1_25LogSoftMaxForwardEpilogueElEEvPT2_PKT0_T4_.num_named_barrier, 0
	.set _ZN2at6native12_GLOBAL__N_123cunn_SoftMaxForwardSmemILi8EN3c108BFloat16EffNS1_25LogSoftMaxForwardEpilogueElEEvPT2_PKT0_T4_.private_seg_size, 0
	.set _ZN2at6native12_GLOBAL__N_123cunn_SoftMaxForwardSmemILi8EN3c108BFloat16EffNS1_25LogSoftMaxForwardEpilogueElEEvPT2_PKT0_T4_.uses_vcc, 1
	.set _ZN2at6native12_GLOBAL__N_123cunn_SoftMaxForwardSmemILi8EN3c108BFloat16EffNS1_25LogSoftMaxForwardEpilogueElEEvPT2_PKT0_T4_.uses_flat_scratch, 0
	.set _ZN2at6native12_GLOBAL__N_123cunn_SoftMaxForwardSmemILi8EN3c108BFloat16EffNS1_25LogSoftMaxForwardEpilogueElEEvPT2_PKT0_T4_.has_dyn_sized_stack, 0
	.set _ZN2at6native12_GLOBAL__N_123cunn_SoftMaxForwardSmemILi8EN3c108BFloat16EffNS1_25LogSoftMaxForwardEpilogueElEEvPT2_PKT0_T4_.has_recursion, 0
	.set _ZN2at6native12_GLOBAL__N_123cunn_SoftMaxForwardSmemILi8EN3c108BFloat16EffNS1_25LogSoftMaxForwardEpilogueElEEvPT2_PKT0_T4_.has_indirect_call, 0
	.section	.AMDGPU.csdata,"",@progbits
; Kernel info:
; codeLenInByte = 2780
; TotalNumSgprs: 19
; NumVgprs: 49
; ScratchSize: 0
; MemoryBound: 0
; FloatMode: 240
; IeeeMode: 1
; LDSByteSize: 0 bytes/workgroup (compile time only)
; SGPRBlocks: 0
; VGPRBlocks: 6
; NumSGPRsForWavesPerEU: 19
; NumVGPRsForWavesPerEU: 49
; Occupancy: 16
; WaveLimiterHint : 0
; COMPUTE_PGM_RSRC2:SCRATCH_EN: 0
; COMPUTE_PGM_RSRC2:USER_SGPR: 6
; COMPUTE_PGM_RSRC2:TRAP_HANDLER: 0
; COMPUTE_PGM_RSRC2:TGID_X_EN: 1
; COMPUTE_PGM_RSRC2:TGID_Y_EN: 0
; COMPUTE_PGM_RSRC2:TGID_Z_EN: 0
; COMPUTE_PGM_RSRC2:TIDIG_COMP_CNT: 0
	.section	.text._ZN2at6native12_GLOBAL__N_119cunn_SoftMaxForwardILi8EN3c108BFloat16EffNS1_25LogSoftMaxForwardEpilogueEEEvPT2_PKT0_i,"axG",@progbits,_ZN2at6native12_GLOBAL__N_119cunn_SoftMaxForwardILi8EN3c108BFloat16EffNS1_25LogSoftMaxForwardEpilogueEEEvPT2_PKT0_i,comdat
	.globl	_ZN2at6native12_GLOBAL__N_119cunn_SoftMaxForwardILi8EN3c108BFloat16EffNS1_25LogSoftMaxForwardEpilogueEEEvPT2_PKT0_i ; -- Begin function _ZN2at6native12_GLOBAL__N_119cunn_SoftMaxForwardILi8EN3c108BFloat16EffNS1_25LogSoftMaxForwardEpilogueEEEvPT2_PKT0_i
	.p2align	8
	.type	_ZN2at6native12_GLOBAL__N_119cunn_SoftMaxForwardILi8EN3c108BFloat16EffNS1_25LogSoftMaxForwardEpilogueEEEvPT2_PKT0_i,@function
_ZN2at6native12_GLOBAL__N_119cunn_SoftMaxForwardILi8EN3c108BFloat16EffNS1_25LogSoftMaxForwardEpilogueEEEvPT2_PKT0_i: ; @_ZN2at6native12_GLOBAL__N_119cunn_SoftMaxForwardILi8EN3c108BFloat16EffNS1_25LogSoftMaxForwardEpilogueEEEvPT2_PKT0_i
; %bb.0:
	s_clause 0x1
	s_load_dword s7, s[4:5], 0x10
	s_load_dwordx4 s[8:11], s[4:5], 0x0
	s_mov_b32 s13, 0
	s_waitcnt lgkmcnt(0)
	s_ashr_i32 s0, s7, 31
	s_mul_hi_u32 s1, s7, s6
	s_mul_i32 s0, s0, s6
	s_mul_i32 s14, s7, s6
	s_add_i32 s15, s1, s0
	s_lshl_b64 s[0:1], s[14:15], 1
	s_add_u32 s10, s10, s0
	s_addc_u32 s11, s11, s1
	s_bfe_u32 s12, s10, 0x30001
	s_cmp_lg_u32 s12, 0
	s_cselect_b32 s18, -1, 0
	s_add_u32 s2, s4, 24
	s_addc_u32 s3, s5, 0
	s_and_b32 vcc_lo, exec_lo, s18
	s_cbranch_vccz .LBB191_25
; %bb.1:
	s_lshl_b64 s[0:1], s[12:13], 1
	v_cmp_le_u32_e32 vcc_lo, s12, v0
	s_sub_u32 s16, s10, s0
	s_subb_u32 s17, s11, s1
	s_add_i32 s1, s12, s7
	v_mov_b32_e32 v4, 0xff7fffff
	v_cmp_gt_i32_e64 s0, s1, v0
	s_and_b32 s2, vcc_lo, s0
	s_and_saveexec_b32 s0, s2
	s_cbranch_execz .LBB191_3
; %bb.2:
	v_lshlrev_b32_e32 v1, 1, v0
	global_load_ushort v1, v1, s[16:17]
	s_waitcnt vmcnt(0)
	v_lshlrev_b32_e32 v1, 16, v1
	v_max_f32_e32 v1, v1, v1
	v_max_f32_e32 v4, 0xff7fffff, v1
.LBB191_3:
	s_or_b32 exec_lo, exec_lo, s0
	s_load_dword s0, s[4:5], 0x24
	s_add_u32 s2, s4, 24
	s_addc_u32 s3, s5, 0
	s_waitcnt lgkmcnt(0)
	s_and_b32 s0, s0, 0xffff
	v_sub_nc_u32_e64 v1, s1, s0 clamp
	s_lshl_b32 s0, s0, 1
	s_add_u32 s0, s16, s0
	s_addc_u32 s1, s17, 0
	v_readfirstlane_b32 s13, v1
	s_branch .LBB191_5
.LBB191_4:
	v_mov_b32_e32 v4, 0xff7fffff
	s_mov_b32 s13, s7
	s_mov_b64 s[0:1], s[10:11]
.LBB191_5:
	s_load_dword s16, s[2:3], 0x0
	v_mov_b32_e32 v1, 0
	v_lshlrev_b32_e32 v3, 3, v0
	s_waitcnt lgkmcnt(0)
	s_cmp_lt_u32 s6, s16
	s_cselect_b32 s16, 12, 18
	s_add_u32 s2, s2, s16
	s_addc_u32 s3, s3, 0
	global_load_ushort v5, v1, s[2:3]
	s_waitcnt vmcnt(0)
	v_readfirstlane_b32 s2, v5
	s_lshl_b32 s2, s2, 3
	v_cvt_f32_u32_e32 v1, s2
	s_sub_i32 s16, 0, s2
	v_rcp_iflag_f32_e32 v1, v1
	v_mul_f32_e32 v1, 0x4f7ffffe, v1
	v_cvt_u32_f32_e32 v1, v1
	v_readfirstlane_b32 s3, v1
	s_mul_i32 s16, s16, s3
	s_mul_hi_u32 s16, s3, s16
	s_add_i32 s3, s3, s16
	s_mul_hi_u32 s3, s13, s3
	s_mul_i32 s3, s3, s2
	s_sub_i32 s3, s13, s3
	s_sub_i32 s16, s3, s2
	s_cmp_ge_u32 s3, s2
	s_cselect_b32 s3, s16, s3
	s_sub_i32 s16, s3, s2
	s_cmp_ge_u32 s3, s2
	s_cselect_b32 s2, s16, s3
	s_mov_b32 s16, 0
	s_sub_i32 s2, s13, s2
	s_mov_b32 s3, exec_lo
	v_cmpx_gt_i32_e64 s2, v3
	s_cbranch_execz .LBB191_9
; %bb.6:
	v_mov_b32_e32 v1, v0
	s_inst_prefetch 0x1
	.p2align	6
.LBB191_7:                              ; =>This Inner Loop Header: Depth=1
	v_ashrrev_i32_e32 v2, 31, v1
	v_lshlrev_b64 v[6:7], 4, v[1:2]
	v_add_nc_u32_e32 v1, v1, v5
	v_add_co_u32 v6, vcc_lo, s0, v6
	v_add_co_ci_u32_e64 v7, null, s1, v7, vcc_lo
	global_load_dwordx4 v[6:9], v[6:7], off
	s_waitcnt vmcnt(0)
	v_lshlrev_b32_e32 v2, 16, v6
	v_and_b32_e32 v6, 0xffff0000, v6
	v_lshlrev_b32_e32 v10, 16, v7
	v_and_b32_e32 v7, 0xffff0000, v7
	v_max3_f32 v2, v4, v2, v6
	v_lshlrev_b32_e32 v4, 16, v8
	v_and_b32_e32 v6, 0xffff0000, v8
	v_lshlrev_b32_e32 v8, 16, v9
	v_and_b32_e32 v9, 0xffff0000, v9
	v_max3_f32 v2, v2, v10, v7
	v_lshlrev_b32_e32 v7, 3, v1
	v_max3_f32 v2, v2, v4, v6
	v_cmp_le_i32_e32 vcc_lo, s2, v7
	v_max3_f32 v4, v2, v8, v9
	s_or_b32 s16, vcc_lo, s16
	s_andn2_b32 exec_lo, exec_lo, s16
	s_cbranch_execnz .LBB191_7
; %bb.8:
	s_inst_prefetch 0x2
	s_or_b32 exec_lo, exec_lo, s16
.LBB191_9:
	s_or_b32 exec_lo, exec_lo, s3
	v_add_nc_u32_e32 v1, s2, v0
	s_mov_b32 s2, exec_lo
	v_cmpx_gt_i32_e64 s13, v1
	s_cbranch_execz .LBB191_13
; %bb.10:
	s_mov_b32 s3, 0
	.p2align	6
.LBB191_11:                             ; =>This Inner Loop Header: Depth=1
	v_ashrrev_i32_e32 v2, 31, v1
	v_max_f32_e32 v4, v4, v4
	v_lshlrev_b64 v[6:7], 1, v[1:2]
	v_add_nc_u32_e32 v1, v1, v5
	v_add_co_u32 v6, vcc_lo, s0, v6
	v_add_co_ci_u32_e64 v7, null, s1, v7, vcc_lo
	v_cmp_le_i32_e32 vcc_lo, s13, v1
	global_load_ushort v2, v[6:7], off
	s_or_b32 s3, vcc_lo, s3
	s_waitcnt vmcnt(0)
	v_lshlrev_b32_e32 v2, 16, v2
	v_max_f32_e32 v2, v2, v2
	v_max_f32_e32 v4, v4, v2
	s_andn2_b32 exec_lo, exec_lo, s3
	s_cbranch_execnz .LBB191_11
; %bb.12:
	s_or_b32 exec_lo, exec_lo, s3
.LBB191_13:
	s_or_b32 exec_lo, exec_lo, s2
	v_mbcnt_lo_u32_b32 v1, -1, 0
	v_lshrrev_b32_e32 v12, 3, v0
	s_barrier
	buffer_gl0_inv
	v_lshl_or_b32 v7, v1, 2, 64
	v_cmp_gt_u32_e32 vcc_lo, 24, v1
	ds_bpermute_b32 v2, v7, v4
	v_cndmask_b32_e64 v5, 0, 8, vcc_lo
	v_add_lshl_u32 v8, v5, v1, 2
	s_waitcnt lgkmcnt(0)
	v_cmp_lt_f32_e32 vcc_lo, v4, v2
	v_cndmask_b32_e32 v2, v4, v2, vcc_lo
	v_cmp_gt_u32_e32 vcc_lo, 28, v1
	ds_bpermute_b32 v4, v8, v2
	v_cndmask_b32_e64 v5, 0, 4, vcc_lo
	v_add_lshl_u32 v9, v5, v1, 2
	s_waitcnt lgkmcnt(0)
	v_cmp_lt_f32_e32 vcc_lo, v2, v4
	v_cndmask_b32_e32 v2, v2, v4, vcc_lo
	;; [unrolled: 7-line block ×3, first 2 shown]
	v_cmp_ne_u32_e32 vcc_lo, 31, v1
	ds_bpermute_b32 v4, v10, v2
	v_add_co_ci_u32_e64 v5, null, 0, v1, vcc_lo
	v_lshlrev_b32_e32 v11, 2, v5
	s_waitcnt lgkmcnt(0)
	v_cmp_lt_f32_e32 vcc_lo, v2, v4
	v_cndmask_b32_e32 v1, v2, v4, vcc_lo
	v_and_b32_e32 v2, 31, v0
	ds_bpermute_b32 v4, v11, v1
	v_cmp_eq_u32_e64 s0, 0, v2
	s_and_saveexec_b32 s1, s0
	s_cbranch_execz .LBB191_15
; %bb.14:
	s_waitcnt lgkmcnt(0)
	v_cmp_lt_f32_e32 vcc_lo, v1, v4
	v_add_nc_u32_e32 v5, 0, v12
	v_cndmask_b32_e32 v1, v1, v4, vcc_lo
	ds_write_b32 v5, v1
.LBB191_15:
	s_or_b32 exec_lo, exec_lo, s1
	s_waitcnt lgkmcnt(0)
	s_barrier
	buffer_gl0_inv
	s_load_dword s20, s[4:5], 0x24
	s_add_u32 s16, s4, 24
	s_addc_u32 s17, s5, 0
	v_mov_b32_e32 v1, 0xff7fffff
	v_lshl_add_u32 v13, v2, 2, 0
	s_waitcnt lgkmcnt(0)
	s_bfe_u32 s1, s20, 0xb0005
	v_cmp_gt_u32_e64 s1, s1, v0
	s_and_saveexec_b32 s2, s1
	s_cbranch_execnz .LBB191_23
; %bb.16:
	s_or_b32 exec_lo, exec_lo, s2
	v_cmp_gt_u32_e64 s2, 32, v0
	s_and_saveexec_b32 s3, s2
	s_cbranch_execnz .LBB191_24
.LBB191_17:
	s_or_b32 exec_lo, exec_lo, s3
	v_cmp_eq_u32_e64 s3, 0, v0
	s_and_saveexec_b32 s4, s3
	s_cbranch_execz .LBB191_19
.LBB191_18:
	v_mov_b32_e32 v2, 0
	s_waitcnt lgkmcnt(0)
	ds_write_b32 v2, v1
.LBB191_19:
	s_or_b32 exec_lo, exec_lo, s4
	v_mov_b32_e32 v14, 0
	s_waitcnt lgkmcnt(0)
	s_barrier
	buffer_gl0_inv
	v_cndmask_b32_e64 v6, 0, 1, s18
	ds_read_b32 v4, v14
	s_andn2_b32 vcc_lo, exec_lo, s18
	s_mov_b32 s13, 0
	s_cbranch_vccnz .LBB191_26
; %bb.20:
	s_lshl_b64 s[4:5], s[12:13], 1
	v_cmp_le_u32_e32 vcc_lo, s12, v0
	s_sub_u32 s18, s10, s4
	s_subb_u32 s19, s11, s5
	s_add_i32 s5, s12, s7
	v_mov_b32_e32 v14, 0
	v_cmp_gt_i32_e64 s4, s5, v0
	s_and_b32 s13, vcc_lo, s4
	s_and_saveexec_b32 s4, s13
	s_cbranch_execz .LBB191_22
; %bb.21:
	v_lshlrev_b32_e32 v1, 1, v0
	global_load_ushort v1, v1, s[18:19]
	s_waitcnt vmcnt(0)
	v_lshlrev_b32_e32 v1, 16, v1
	s_waitcnt lgkmcnt(0)
	v_sub_f32_e32 v1, v1, v4
	v_mul_f32_e32 v2, 0x3fb8aa3b, v1
	v_cmp_ngt_f32_e32 vcc_lo, 0xc2ce8ed0, v1
	v_fma_f32 v5, 0x3fb8aa3b, v1, -v2
	v_rndne_f32_e32 v14, v2
	v_fmamk_f32 v5, v1, 0x32a5705f, v5
	v_sub_f32_e32 v2, v2, v14
	v_add_f32_e32 v2, v2, v5
	v_cvt_i32_f32_e32 v5, v14
	v_exp_f32_e32 v2, v2
	v_ldexp_f32 v2, v2, v5
	v_cndmask_b32_e32 v2, 0, v2, vcc_lo
	v_cmp_nlt_f32_e32 vcc_lo, 0x42b17218, v1
	v_cndmask_b32_e32 v14, 0x7f800000, v2, vcc_lo
.LBB191_22:
	s_or_b32 exec_lo, exec_lo, s4
	s_and_b32 s4, 0xffff, s20
	v_sub_nc_u32_e64 v1, s5, s4 clamp
	s_lshl_b32 s4, s4, 1
	s_add_u32 s4, s18, s4
	s_addc_u32 s5, s19, 0
	v_readfirstlane_b32 s13, v1
	s_branch .LBB191_27
.LBB191_23:
	ds_read_b32 v1, v13
	s_or_b32 exec_lo, exec_lo, s2
	v_cmp_gt_u32_e64 s2, 32, v0
	s_and_saveexec_b32 s3, s2
	s_cbranch_execz .LBB191_17
.LBB191_24:
	s_waitcnt lgkmcnt(0)
	ds_bpermute_b32 v2, v7, v1
	s_waitcnt lgkmcnt(0)
	v_cmp_lt_f32_e32 vcc_lo, v1, v2
	v_cndmask_b32_e32 v1, v1, v2, vcc_lo
	ds_bpermute_b32 v2, v8, v1
	s_waitcnt lgkmcnt(0)
	v_cmp_lt_f32_e32 vcc_lo, v1, v2
	v_cndmask_b32_e32 v1, v1, v2, vcc_lo
	;; [unrolled: 4-line block ×5, first 2 shown]
	s_or_b32 exec_lo, exec_lo, s3
	v_cmp_eq_u32_e64 s3, 0, v0
	s_and_saveexec_b32 s4, s3
	s_cbranch_execnz .LBB191_18
	s_branch .LBB191_19
.LBB191_25:
                                        ; implicit-def: $sgpr0_sgpr1
                                        ; implicit-def: $sgpr13
                                        ; implicit-def: $vgpr4
	s_cbranch_execnz .LBB191_4
	s_branch .LBB191_5
.LBB191_26:
	s_mov_b64 s[4:5], s[10:11]
	s_mov_b32 s13, s7
.LBB191_27:
	s_load_dword s18, s[16:17], 0x0
	v_mov_b32_e32 v1, 0
	s_mov_b32 s19, 0
	s_waitcnt lgkmcnt(0)
	s_cmp_lt_u32 s6, s18
	s_cselect_b32 s6, 12, 18
	s_add_u32 s16, s16, s6
	s_addc_u32 s17, s17, 0
	global_load_ushort v5, v1, s[16:17]
	s_waitcnt vmcnt(0)
	v_readfirstlane_b32 s6, v5
	s_lshl_b32 s6, s6, 3
	v_cvt_f32_u32_e32 v1, s6
	s_sub_i32 s17, 0, s6
	v_rcp_iflag_f32_e32 v1, v1
	v_mul_f32_e32 v1, 0x4f7ffffe, v1
	v_cvt_u32_f32_e32 v1, v1
	v_readfirstlane_b32 s16, v1
	s_mul_i32 s17, s17, s16
	s_mul_hi_u32 s17, s16, s17
	s_add_i32 s16, s16, s17
	s_mul_hi_u32 s17, s13, s16
	s_mul_i32 s17, s17, s6
	s_sub_i32 s17, s13, s17
	s_sub_i32 s18, s17, s6
	s_cmp_ge_u32 s17, s6
	s_cselect_b32 s17, s18, s17
	s_sub_i32 s18, s17, s6
	s_cmp_ge_u32 s17, s6
	s_cselect_b32 s17, s18, s17
	s_mov_b32 s18, exec_lo
	s_sub_i32 s17, s13, s17
	v_cmpx_gt_i32_e64 s17, v3
	s_cbranch_execz .LBB191_31
; %bb.28:
	v_mov_b32_e32 v1, v0
.LBB191_29:                             ; =>This Inner Loop Header: Depth=1
	v_ashrrev_i32_e32 v2, 31, v1
	v_lshlrev_b64 v[15:16], 4, v[1:2]
	v_add_nc_u32_e32 v1, v1, v5
	v_add_co_u32 v15, vcc_lo, s4, v15
	v_add_co_ci_u32_e64 v16, null, s5, v16, vcc_lo
	global_load_dwordx4 v[15:18], v[15:16], off
	s_waitcnt vmcnt(0)
	v_lshlrev_b32_e32 v2, 16, v15
	v_and_b32_e32 v15, 0xffff0000, v15
	v_lshlrev_b32_e32 v19, 16, v16
	v_and_b32_e32 v16, 0xffff0000, v16
	v_lshlrev_b32_e32 v20, 16, v17
	v_sub_f32_e32 v2, v2, v4
	v_sub_f32_e32 v15, v15, v4
	;; [unrolled: 1-line block ×5, first 2 shown]
	v_mul_f32_e32 v22, 0x3fb8aa3b, v2
	v_mul_f32_e32 v23, 0x3fb8aa3b, v15
	;; [unrolled: 1-line block ×4, first 2 shown]
	v_cmp_ngt_f32_e32 vcc_lo, 0xc2ce8ed0, v2
	v_fma_f32 v30, 0x3fb8aa3b, v2, -v22
	v_rndne_f32_e32 v31, v22
	v_fma_f32 v32, 0x3fb8aa3b, v15, -v23
	v_rndne_f32_e32 v33, v23
	v_fma_f32 v34, 0x3fb8aa3b, v19, -v24
	v_fmac_f32_e32 v30, 0x32a5705f, v2
	v_sub_f32_e32 v22, v22, v31
	v_fmac_f32_e32 v32, 0x32a5705f, v15
	v_sub_f32_e32 v23, v23, v33
	v_rndne_f32_e32 v35, v24
	v_cvt_i32_f32_e32 v31, v31
	v_add_f32_e32 v22, v22, v30
	v_fmac_f32_e32 v34, 0x32a5705f, v19
	v_add_f32_e32 v23, v23, v32
	v_sub_f32_e32 v24, v24, v35
	v_fma_f32 v36, 0x3fb8aa3b, v16, -v25
	v_exp_f32_e32 v22, v22
	v_rndne_f32_e32 v37, v25
	v_exp_f32_e32 v23, v23
	v_cvt_i32_f32_e32 v33, v33
	v_add_f32_e32 v24, v24, v34
	v_and_b32_e32 v17, 0xffff0000, v17
	v_mul_f32_e32 v26, 0x3fb8aa3b, v20
	v_fmac_f32_e32 v36, 0x32a5705f, v16
	v_sub_f32_e32 v25, v25, v37
	v_exp_f32_e32 v24, v24
	v_ldexp_f32 v22, v22, v31
	v_sub_f32_e32 v17, v17, v4
	v_ldexp_f32 v23, v23, v33
	v_fma_f32 v38, 0x3fb8aa3b, v20, -v26
	v_rndne_f32_e32 v39, v26
	v_cndmask_b32_e32 v22, 0, v22, vcc_lo
	v_cmp_ngt_f32_e32 vcc_lo, 0xc2ce8ed0, v15
	v_cvt_i32_f32_e32 v35, v35
	v_add_f32_e32 v25, v25, v36
	v_lshlrev_b32_e32 v21, 16, v18
	v_mul_f32_e32 v27, 0x3fb8aa3b, v17
	v_cndmask_b32_e32 v23, 0, v23, vcc_lo
	v_cmp_nlt_f32_e32 vcc_lo, 0x42b17218, v2
	v_fmac_f32_e32 v38, 0x32a5705f, v20
	v_sub_f32_e32 v26, v26, v39
	v_exp_f32_e32 v25, v25
	v_ldexp_f32 v24, v24, v35
	v_cndmask_b32_e32 v2, 0x7f800000, v22, vcc_lo
	v_cmp_ngt_f32_e32 vcc_lo, 0xc2ce8ed0, v19
	v_sub_f32_e32 v21, v21, v4
	v_fma_f32 v40, 0x3fb8aa3b, v17, -v27
	v_rndne_f32_e32 v41, v27
	v_cvt_i32_f32_e32 v37, v37
	v_add_f32_e32 v26, v26, v38
	v_cndmask_b32_e32 v22, 0, v24, vcc_lo
	v_cmp_nlt_f32_e32 vcc_lo, 0x42b17218, v15
	v_and_b32_e32 v18, 0xffff0000, v18
	v_mul_f32_e32 v28, 0x3fb8aa3b, v21
	v_fmac_f32_e32 v40, 0x32a5705f, v17
	v_sub_f32_e32 v27, v27, v41
	v_exp_f32_e32 v26, v26
	v_ldexp_f32 v25, v25, v37
	v_cndmask_b32_e32 v15, 0x7f800000, v23, vcc_lo
	v_cmp_ngt_f32_e32 vcc_lo, 0xc2ce8ed0, v16
	v_sub_f32_e32 v18, v18, v4
	v_fma_f32 v42, 0x3fb8aa3b, v21, -v28
	v_rndne_f32_e32 v43, v28
	v_cvt_i32_f32_e32 v39, v39
	v_add_f32_e32 v27, v27, v40
	v_add_f32_e32 v2, v14, v2
	v_cndmask_b32_e32 v14, 0, v25, vcc_lo
	v_cmp_nlt_f32_e32 vcc_lo, 0x42b17218, v19
	v_mul_f32_e32 v29, 0x3fb8aa3b, v18
	v_fmac_f32_e32 v42, 0x32a5705f, v21
	v_sub_f32_e32 v28, v28, v43
	v_exp_f32_e32 v27, v27
	v_ldexp_f32 v26, v26, v39
	v_cndmask_b32_e32 v19, 0x7f800000, v22, vcc_lo
	v_cmp_ngt_f32_e32 vcc_lo, 0xc2ce8ed0, v20
	v_fma_f32 v44, 0x3fb8aa3b, v18, -v29
	v_rndne_f32_e32 v45, v29
	v_cvt_i32_f32_e32 v41, v41
	v_add_f32_e32 v28, v28, v42
	v_add_f32_e32 v2, v2, v15
	v_cndmask_b32_e32 v15, 0, v26, vcc_lo
	v_cmp_nlt_f32_e32 vcc_lo, 0x42b17218, v16
	v_fmac_f32_e32 v44, 0x32a5705f, v18
	v_sub_f32_e32 v29, v29, v45
	v_exp_f32_e32 v28, v28
	v_ldexp_f32 v27, v27, v41
	v_cndmask_b32_e32 v14, 0x7f800000, v14, vcc_lo
	v_cmp_ngt_f32_e32 vcc_lo, 0xc2ce8ed0, v17
	v_cvt_i32_f32_e32 v43, v43
	v_add_f32_e32 v29, v29, v44
	v_add_f32_e32 v2, v2, v19
	v_cvt_i32_f32_e32 v45, v45
	v_cndmask_b32_e32 v16, 0, v27, vcc_lo
	v_cmp_nlt_f32_e32 vcc_lo, 0x42b17218, v20
	v_exp_f32_e32 v29, v29
	v_ldexp_f32 v28, v28, v43
	v_add_f32_e32 v2, v2, v14
	v_cndmask_b32_e32 v15, 0x7f800000, v15, vcc_lo
	v_cmp_ngt_f32_e32 vcc_lo, 0xc2ce8ed0, v21
	v_add_f32_e32 v2, v2, v15
	v_cndmask_b32_e32 v14, 0, v28, vcc_lo
	v_cmp_nlt_f32_e32 vcc_lo, 0x42b17218, v17
	v_ldexp_f32 v29, v29, v45
	v_cndmask_b32_e32 v16, 0x7f800000, v16, vcc_lo
	v_cmp_ngt_f32_e32 vcc_lo, 0xc2ce8ed0, v18
	v_add_f32_e32 v2, v2, v16
	v_cndmask_b32_e32 v15, 0, v29, vcc_lo
	v_cmp_nlt_f32_e32 vcc_lo, 0x42b17218, v21
	v_lshlrev_b32_e32 v16, 3, v1
	v_cndmask_b32_e32 v14, 0x7f800000, v14, vcc_lo
	v_cmp_nlt_f32_e32 vcc_lo, 0x42b17218, v18
	v_add_f32_e32 v2, v2, v14
	v_cndmask_b32_e32 v15, 0x7f800000, v15, vcc_lo
	v_cmp_le_i32_e32 vcc_lo, s17, v16
	v_add_f32_e32 v14, v2, v15
	s_or_b32 s19, vcc_lo, s19
	s_andn2_b32 exec_lo, exec_lo, s19
	s_cbranch_execnz .LBB191_29
; %bb.30:
	s_or_b32 exec_lo, exec_lo, s19
.LBB191_31:
	s_or_b32 exec_lo, exec_lo, s18
	v_add_nc_u32_e32 v1, s17, v0
	s_mov_b32 s17, exec_lo
	v_cmpx_gt_i32_e64 s13, v1
	s_cbranch_execz .LBB191_35
; %bb.32:
	s_mov_b32 s18, 0
	s_inst_prefetch 0x1
	.p2align	6
.LBB191_33:                             ; =>This Inner Loop Header: Depth=1
	v_ashrrev_i32_e32 v2, 31, v1
	v_lshlrev_b64 v[15:16], 1, v[1:2]
	v_add_nc_u32_e32 v1, v1, v5
	v_add_co_u32 v15, vcc_lo, s4, v15
	v_add_co_ci_u32_e64 v16, null, s5, v16, vcc_lo
	global_load_ushort v2, v[15:16], off
	s_waitcnt vmcnt(0)
	v_lshlrev_b32_e32 v2, 16, v2
	v_sub_f32_e32 v2, v2, v4
	v_mul_f32_e32 v15, 0x3fb8aa3b, v2
	v_cmp_ngt_f32_e32 vcc_lo, 0xc2ce8ed0, v2
	v_fma_f32 v16, 0x3fb8aa3b, v2, -v15
	v_rndne_f32_e32 v17, v15
	v_fmac_f32_e32 v16, 0x32a5705f, v2
	v_sub_f32_e32 v15, v15, v17
	v_add_f32_e32 v15, v15, v16
	v_cvt_i32_f32_e32 v16, v17
	v_exp_f32_e32 v15, v15
	v_ldexp_f32 v15, v15, v16
	v_cndmask_b32_e32 v15, 0, v15, vcc_lo
	v_cmp_nlt_f32_e32 vcc_lo, 0x42b17218, v2
	v_cndmask_b32_e32 v2, 0x7f800000, v15, vcc_lo
	v_cmp_le_i32_e32 vcc_lo, s13, v1
	v_add_f32_e32 v14, v14, v2
	s_or_b32 s18, vcc_lo, s18
	s_andn2_b32 exec_lo, exec_lo, s18
	s_cbranch_execnz .LBB191_33
; %bb.34:
	s_inst_prefetch 0x2
	s_or_b32 exec_lo, exec_lo, s18
.LBB191_35:
	s_or_b32 exec_lo, exec_lo, s17
	ds_bpermute_b32 v1, v7, v14
	s_waitcnt lgkmcnt(0)
	s_barrier
	buffer_gl0_inv
	v_add_f32_e32 v1, v14, v1
	ds_bpermute_b32 v2, v8, v1
	s_waitcnt lgkmcnt(0)
	v_add_f32_e32 v1, v1, v2
	ds_bpermute_b32 v2, v9, v1
	s_waitcnt lgkmcnt(0)
	;; [unrolled: 3-line block ×3, first 2 shown]
	v_add_f32_e32 v1, v1, v2
	ds_bpermute_b32 v2, v11, v1
	s_and_saveexec_b32 s4, s0
	s_cbranch_execz .LBB191_37
; %bb.36:
	v_add_nc_u32_e32 v12, 0, v12
	s_waitcnt lgkmcnt(0)
	v_add_f32_e32 v1, v1, v2
	ds_write_b32 v12, v1
.LBB191_37:
	s_or_b32 exec_lo, exec_lo, s4
	v_mov_b32_e32 v1, 0
	s_waitcnt lgkmcnt(0)
	s_barrier
	buffer_gl0_inv
	s_and_saveexec_b32 s0, s1
	s_cbranch_execnz .LBB191_58
; %bb.38:
	s_or_b32 exec_lo, exec_lo, s0
	s_and_saveexec_b32 s0, s2
	s_cbranch_execnz .LBB191_59
.LBB191_39:
	s_or_b32 exec_lo, exec_lo, s0
	s_and_saveexec_b32 s0, s3
	s_cbranch_execz .LBB191_41
.LBB191_40:
	v_mov_b32_e32 v2, 0
	s_waitcnt lgkmcnt(0)
	ds_write_b32 v2, v1
.LBB191_41:
	s_or_b32 exec_lo, exec_lo, s0
	s_waitcnt lgkmcnt(0)
	v_mov_b32_e32 v1, 0
	s_barrier
	buffer_gl0_inv
	s_lshl_b64 s[2:3], s[14:15], 2
	ds_read_b32 v1, v1
	s_and_b32 s17, 0xffff, s20
	s_add_u32 s1, s8, s2
	s_addc_u32 s3, s9, s3
	s_bfe_u32 s0, s1, 0x20002
	s_waitcnt lgkmcnt(0)
	v_cmp_gt_f32_e32 vcc_lo, 0x800000, v1
	s_and_b32 s2, vcc_lo, exec_lo
	s_cselect_b32 s2, 32, 0
	v_cndmask_b32_e64 v2, 0, 0x41b17218, vcc_lo
	v_ldexp_f32 v1, v1, s2
	s_cmp_lg_u32 s12, s0
	s_mov_b32 s0, -1
	v_log_f32_e32 v1, v1
	v_mul_f32_e32 v7, 0x3f317217, v1
	v_cmp_gt_f32_e64 vcc_lo, 0x7f800000, |v1|
	v_fma_f32 v7, 0x3f317217, v1, -v7
	v_fmamk_f32 v7, v1, 0x3377d1cf, v7
	v_fmac_f32_e32 v7, 0x3f317217, v1
	v_cndmask_b32_e32 v1, v1, v7, vcc_lo
	v_sub_f32_e32 v7, v1, v2
	s_cbranch_scc0 .LBB191_46
; %bb.42:
	s_mov_b32 s2, exec_lo
	v_cmpx_gt_i32_e64 s7, v0
	s_cbranch_execz .LBB191_45
; %bb.43:
	v_mov_b32_e32 v1, v0
	s_mov_b32 s4, 0
	.p2align	6
.LBB191_44:                             ; =>This Inner Loop Header: Depth=1
	v_ashrrev_i32_e32 v2, 31, v1
	v_lshlrev_b64 v[8:9], 1, v[1:2]
	v_add_co_u32 v8, vcc_lo, s10, v8
	v_add_co_ci_u32_e64 v9, null, s11, v9, vcc_lo
	global_load_ushort v8, v[8:9], off
	s_waitcnt vmcnt(0)
	v_lshlrev_b32_e32 v10, 16, v8
	v_lshlrev_b64 v[8:9], 2, v[1:2]
	v_add_nc_u32_e32 v1, s17, v1
	v_sub_f32_e32 v2, v10, v4
	v_cmp_le_i32_e32 vcc_lo, s7, v1
	v_add_co_u32 v8, s0, s1, v8
	v_sub_f32_e32 v2, v2, v7
	v_add_co_ci_u32_e64 v9, null, s3, v9, s0
	s_or_b32 s4, vcc_lo, s4
	global_store_dword v[8:9], v2, off
	s_andn2_b32 exec_lo, exec_lo, s4
	s_cbranch_execnz .LBB191_44
.LBB191_45:
	s_or_b32 exec_lo, exec_lo, s2
	s_mov_b32 s0, 0
.LBB191_46:
	s_andn2_b32 vcc_lo, exec_lo, s0
	s_cbranch_vccnz .LBB191_57
; %bb.47:
	v_cmp_ne_u32_e32 vcc_lo, 1, v6
	s_cbranch_vccnz .LBB191_51
; %bb.48:
	s_mov_b32 s13, 0
	v_cmp_le_u32_e32 vcc_lo, s12, v0
	s_lshl_b64 s[4:5], s[12:13], 1
	s_sub_u32 s4, s10, s4
	s_subb_u32 s5, s11, s5
	s_lshl_b64 s[8:9], s[12:13], 2
	s_sub_u32 s2, s1, s8
	s_subb_u32 s3, s3, s9
	s_add_i32 s1, s12, s7
	v_cmp_gt_i32_e64 s0, s1, v0
	s_and_b32 s7, vcc_lo, s0
	s_and_saveexec_b32 s0, s7
	s_cbranch_execz .LBB191_50
; %bb.49:
	v_lshlrev_b32_e32 v1, 1, v0
	v_lshlrev_b32_e32 v2, 2, v0
	global_load_ushort v1, v1, s[4:5]
	s_waitcnt vmcnt(0)
	v_lshlrev_b32_e32 v1, 16, v1
	v_sub_f32_e32 v1, v1, v4
	v_sub_f32_e32 v1, v1, v7
	global_store_dword v2, v1, s[2:3]
.LBB191_50:
	s_or_b32 exec_lo, exec_lo, s0
	v_sub_nc_u32_e64 v1, s1, s17 clamp
	s_lshl_b32 s0, s17, 1
	s_add_u32 s10, s4, s0
	s_addc_u32 s11, s5, 0
	v_readfirstlane_b32 s7, v1
	s_lshl_b32 s0, s17, 2
	s_add_u32 s1, s2, s0
	s_addc_u32 s3, s3, 0
.LBB191_51:
	s_mul_hi_u32 s0, s7, s16
	s_mul_i32 s0, s0, s6
	s_sub_i32 s0, s7, s0
	s_sub_i32 s2, s0, s6
	s_cmp_ge_u32 s0, s6
	s_cselect_b32 s0, s2, s0
	s_sub_i32 s2, s0, s6
	s_cmp_ge_u32 s0, s6
	s_cselect_b32 s0, s2, s0
	s_mov_b32 s2, exec_lo
	s_sub_i32 s0, s7, s0
	v_cmpx_gt_i32_e64 s0, v3
	s_cbranch_execz .LBB191_54
; %bb.52:
	v_mov_b32_e32 v1, v0
	s_mov_b32 s4, 0
.LBB191_53:                             ; =>This Inner Loop Header: Depth=1
	v_ashrrev_i32_e32 v2, 31, v1
	v_lshlrev_b64 v[8:9], 4, v[1:2]
	v_lshlrev_b64 v[2:3], 5, v[1:2]
	v_add_nc_u32_e32 v1, v1, v5
	v_add_co_u32 v8, vcc_lo, s10, v8
	v_add_co_ci_u32_e64 v9, null, s11, v9, vcc_lo
	v_lshlrev_b32_e32 v6, 3, v1
	v_add_co_u32 v2, vcc_lo, s1, v2
	global_load_dwordx4 v[8:11], v[8:9], off
	v_add_co_ci_u32_e64 v3, null, s3, v3, vcc_lo
	v_cmp_le_i32_e32 vcc_lo, s0, v6
	s_or_b32 s4, vcc_lo, s4
	s_waitcnt vmcnt(0)
	v_lshlrev_b32_e32 v6, 16, v8
	v_and_b32_e32 v8, 0xffff0000, v8
	v_lshlrev_b32_e32 v12, 16, v9
	v_and_b32_e32 v9, 0xffff0000, v9
	;; [unrolled: 2-line block ×4, first 2 shown]
	v_sub_f32_e32 v6, v6, v4
	v_sub_f32_e32 v15, v8, v4
	;; [unrolled: 1-line block ×16, first 2 shown]
	global_store_dwordx4 v[2:3], v[8:11], off
	global_store_dwordx4 v[2:3], v[12:15], off offset:16
	s_andn2_b32 exec_lo, exec_lo, s4
	s_cbranch_execnz .LBB191_53
.LBB191_54:
	s_or_b32 exec_lo, exec_lo, s2
	v_add_nc_u32_e32 v0, s0, v0
	s_mov_b32 s0, exec_lo
	v_cmpx_gt_i32_e64 s7, v0
	s_cbranch_execz .LBB191_57
; %bb.55:
	s_mov_b32 s2, 0
	.p2align	6
.LBB191_56:                             ; =>This Inner Loop Header: Depth=1
	v_ashrrev_i32_e32 v1, 31, v0
	v_lshlrev_b64 v[2:3], 1, v[0:1]
	v_add_co_u32 v2, vcc_lo, s10, v2
	v_add_co_ci_u32_e64 v3, null, s11, v3, vcc_lo
	global_load_ushort v2, v[2:3], off
	s_waitcnt vmcnt(0)
	v_lshlrev_b32_e32 v3, 16, v2
	v_lshlrev_b64 v[1:2], 2, v[0:1]
	v_add_nc_u32_e32 v0, v0, v5
	v_sub_f32_e32 v3, v3, v4
	v_cmp_le_i32_e32 vcc_lo, s7, v0
	v_add_co_u32 v1, s0, s1, v1
	v_sub_f32_e32 v3, v3, v7
	v_add_co_ci_u32_e64 v2, null, s3, v2, s0
	s_or_b32 s2, vcc_lo, s2
	global_store_dword v[1:2], v3, off
	s_andn2_b32 exec_lo, exec_lo, s2
	s_cbranch_execnz .LBB191_56
.LBB191_57:
	s_endpgm
.LBB191_58:
	ds_read_b32 v1, v13
	s_or_b32 exec_lo, exec_lo, s0
	s_and_saveexec_b32 s0, s2
	s_cbranch_execz .LBB191_39
.LBB191_59:
	s_waitcnt lgkmcnt(0)
	ds_bpermute_b32 v2, v7, v1
	s_waitcnt lgkmcnt(0)
	v_add_f32_e32 v1, v1, v2
	ds_bpermute_b32 v2, v8, v1
	s_waitcnt lgkmcnt(0)
	v_add_f32_e32 v1, v1, v2
	;; [unrolled: 3-line block ×5, first 2 shown]
	s_or_b32 exec_lo, exec_lo, s0
	s_and_saveexec_b32 s0, s3
	s_cbranch_execnz .LBB191_40
	s_branch .LBB191_41
	.section	.rodata,"a",@progbits
	.p2align	6, 0x0
	.amdhsa_kernel _ZN2at6native12_GLOBAL__N_119cunn_SoftMaxForwardILi8EN3c108BFloat16EffNS1_25LogSoftMaxForwardEpilogueEEEvPT2_PKT0_i
		.amdhsa_group_segment_fixed_size 0
		.amdhsa_private_segment_fixed_size 0
		.amdhsa_kernarg_size 280
		.amdhsa_user_sgpr_count 6
		.amdhsa_user_sgpr_private_segment_buffer 1
		.amdhsa_user_sgpr_dispatch_ptr 0
		.amdhsa_user_sgpr_queue_ptr 0
		.amdhsa_user_sgpr_kernarg_segment_ptr 1
		.amdhsa_user_sgpr_dispatch_id 0
		.amdhsa_user_sgpr_flat_scratch_init 0
		.amdhsa_user_sgpr_private_segment_size 0
		.amdhsa_wavefront_size32 1
		.amdhsa_uses_dynamic_stack 0
		.amdhsa_system_sgpr_private_segment_wavefront_offset 0
		.amdhsa_system_sgpr_workgroup_id_x 1
		.amdhsa_system_sgpr_workgroup_id_y 0
		.amdhsa_system_sgpr_workgroup_id_z 0
		.amdhsa_system_sgpr_workgroup_info 0
		.amdhsa_system_vgpr_workitem_id 0
		.amdhsa_next_free_vgpr 46
		.amdhsa_next_free_sgpr 21
		.amdhsa_reserve_vcc 1
		.amdhsa_reserve_flat_scratch 0
		.amdhsa_float_round_mode_32 0
		.amdhsa_float_round_mode_16_64 0
		.amdhsa_float_denorm_mode_32 3
		.amdhsa_float_denorm_mode_16_64 3
		.amdhsa_dx10_clamp 1
		.amdhsa_ieee_mode 1
		.amdhsa_fp16_overflow 0
		.amdhsa_workgroup_processor_mode 1
		.amdhsa_memory_ordered 1
		.amdhsa_forward_progress 1
		.amdhsa_shared_vgpr_count 0
		.amdhsa_exception_fp_ieee_invalid_op 0
		.amdhsa_exception_fp_denorm_src 0
		.amdhsa_exception_fp_ieee_div_zero 0
		.amdhsa_exception_fp_ieee_overflow 0
		.amdhsa_exception_fp_ieee_underflow 0
		.amdhsa_exception_fp_ieee_inexact 0
		.amdhsa_exception_int_div_zero 0
	.end_amdhsa_kernel
	.section	.text._ZN2at6native12_GLOBAL__N_119cunn_SoftMaxForwardILi8EN3c108BFloat16EffNS1_25LogSoftMaxForwardEpilogueEEEvPT2_PKT0_i,"axG",@progbits,_ZN2at6native12_GLOBAL__N_119cunn_SoftMaxForwardILi8EN3c108BFloat16EffNS1_25LogSoftMaxForwardEpilogueEEEvPT2_PKT0_i,comdat
.Lfunc_end191:
	.size	_ZN2at6native12_GLOBAL__N_119cunn_SoftMaxForwardILi8EN3c108BFloat16EffNS1_25LogSoftMaxForwardEpilogueEEEvPT2_PKT0_i, .Lfunc_end191-_ZN2at6native12_GLOBAL__N_119cunn_SoftMaxForwardILi8EN3c108BFloat16EffNS1_25LogSoftMaxForwardEpilogueEEEvPT2_PKT0_i
                                        ; -- End function
	.set _ZN2at6native12_GLOBAL__N_119cunn_SoftMaxForwardILi8EN3c108BFloat16EffNS1_25LogSoftMaxForwardEpilogueEEEvPT2_PKT0_i.num_vgpr, 46
	.set _ZN2at6native12_GLOBAL__N_119cunn_SoftMaxForwardILi8EN3c108BFloat16EffNS1_25LogSoftMaxForwardEpilogueEEEvPT2_PKT0_i.num_agpr, 0
	.set _ZN2at6native12_GLOBAL__N_119cunn_SoftMaxForwardILi8EN3c108BFloat16EffNS1_25LogSoftMaxForwardEpilogueEEEvPT2_PKT0_i.numbered_sgpr, 21
	.set _ZN2at6native12_GLOBAL__N_119cunn_SoftMaxForwardILi8EN3c108BFloat16EffNS1_25LogSoftMaxForwardEpilogueEEEvPT2_PKT0_i.num_named_barrier, 0
	.set _ZN2at6native12_GLOBAL__N_119cunn_SoftMaxForwardILi8EN3c108BFloat16EffNS1_25LogSoftMaxForwardEpilogueEEEvPT2_PKT0_i.private_seg_size, 0
	.set _ZN2at6native12_GLOBAL__N_119cunn_SoftMaxForwardILi8EN3c108BFloat16EffNS1_25LogSoftMaxForwardEpilogueEEEvPT2_PKT0_i.uses_vcc, 1
	.set _ZN2at6native12_GLOBAL__N_119cunn_SoftMaxForwardILi8EN3c108BFloat16EffNS1_25LogSoftMaxForwardEpilogueEEEvPT2_PKT0_i.uses_flat_scratch, 0
	.set _ZN2at6native12_GLOBAL__N_119cunn_SoftMaxForwardILi8EN3c108BFloat16EffNS1_25LogSoftMaxForwardEpilogueEEEvPT2_PKT0_i.has_dyn_sized_stack, 0
	.set _ZN2at6native12_GLOBAL__N_119cunn_SoftMaxForwardILi8EN3c108BFloat16EffNS1_25LogSoftMaxForwardEpilogueEEEvPT2_PKT0_i.has_recursion, 0
	.set _ZN2at6native12_GLOBAL__N_119cunn_SoftMaxForwardILi8EN3c108BFloat16EffNS1_25LogSoftMaxForwardEpilogueEEEvPT2_PKT0_i.has_indirect_call, 0
	.section	.AMDGPU.csdata,"",@progbits
; Kernel info:
; codeLenInByte = 3940
; TotalNumSgprs: 23
; NumVgprs: 46
; ScratchSize: 0
; MemoryBound: 0
; FloatMode: 240
; IeeeMode: 1
; LDSByteSize: 0 bytes/workgroup (compile time only)
; SGPRBlocks: 0
; VGPRBlocks: 5
; NumSGPRsForWavesPerEU: 23
; NumVGPRsForWavesPerEU: 46
; Occupancy: 16
; WaveLimiterHint : 0
; COMPUTE_PGM_RSRC2:SCRATCH_EN: 0
; COMPUTE_PGM_RSRC2:USER_SGPR: 6
; COMPUTE_PGM_RSRC2:TRAP_HANDLER: 0
; COMPUTE_PGM_RSRC2:TGID_X_EN: 1
; COMPUTE_PGM_RSRC2:TGID_Y_EN: 0
; COMPUTE_PGM_RSRC2:TGID_Z_EN: 0
; COMPUTE_PGM_RSRC2:TIDIG_COMP_CNT: 0
	.section	.text._ZN2at6native12_GLOBAL__N_126cunn_SpatialSoftMaxForwardIdddiNS1_25LogSoftMaxForwardEpilogueEEEvPT1_PKT_T2_S9_S9_,"axG",@progbits,_ZN2at6native12_GLOBAL__N_126cunn_SpatialSoftMaxForwardIdddiNS1_25LogSoftMaxForwardEpilogueEEEvPT1_PKT_T2_S9_S9_,comdat
	.globl	_ZN2at6native12_GLOBAL__N_126cunn_SpatialSoftMaxForwardIdddiNS1_25LogSoftMaxForwardEpilogueEEEvPT1_PKT_T2_S9_S9_ ; -- Begin function _ZN2at6native12_GLOBAL__N_126cunn_SpatialSoftMaxForwardIdddiNS1_25LogSoftMaxForwardEpilogueEEEvPT1_PKT_T2_S9_S9_
	.p2align	8
	.type	_ZN2at6native12_GLOBAL__N_126cunn_SpatialSoftMaxForwardIdddiNS1_25LogSoftMaxForwardEpilogueEEEvPT1_PKT_T2_S9_S9_,@function
_ZN2at6native12_GLOBAL__N_126cunn_SpatialSoftMaxForwardIdddiNS1_25LogSoftMaxForwardEpilogueEEEvPT1_PKT_T2_S9_S9_: ; @_ZN2at6native12_GLOBAL__N_126cunn_SpatialSoftMaxForwardIdddiNS1_25LogSoftMaxForwardEpilogueEEEvPT1_PKT_T2_S9_S9_
; %bb.0:
	s_load_dwordx4 s[8:11], s[4:5], 0x10
	s_waitcnt lgkmcnt(0)
	s_cmp_ge_i32 s6, s8
	s_cbranch_scc1 .LBB192_40
; %bb.1:
	s_clause 0x2
	s_load_dword s1, s[4:5], 0x2c
	s_load_dwordx4 s[12:15], s[4:5], 0x0
	s_load_dwordx2 s[18:19], s[4:5], 0x20
	v_mad_u64_u32 v[2:3], null, s6, s9, v[0:1]
	s_add_u32 s16, s4, 32
	s_addc_u32 s17, s5, 0
	v_cmp_gt_i32_e64 s0, s9, v0
	v_mov_b32_e32 v3, 0xffefffff
	s_mov_b32 s20, 0x652b82fe
	s_mov_b32 s22, 0xfefa39ef
	v_mul_lo_u32 v2, s10, v2
	s_mov_b32 s24, 0x3b39803f
	s_mov_b32 s26, 0xfca7ab0c
	;; [unrolled: 1-line block ×9, first 2 shown]
	s_waitcnt lgkmcnt(0)
	s_lshr_b32 s1, s1, 16
	s_mul_i32 s11, s18, s10
	s_mul_i32 s2, s7, s1
	;; [unrolled: 1-line block ×3, first 2 shown]
	v_add_nc_u32_e32 v12, s2, v1
	v_add3_u32 v13, v1, v2, s2
	v_mov_b32_e32 v2, -1
	s_mov_b32 s42, 0x55555511
	s_mov_b32 s44, 11
	v_cmp_gt_i32_e64 s1, s10, v12
	s_mov_b32 s46, 0x55555555
	s_mov_b32 s48, 0x6b47b09a
	;; [unrolled: 1-line block ×14, first 2 shown]
	s_mul_i32 s11, s11, s9
	s_mov_b32 s35, 0x3f2a01a0
	s_mov_b32 s37, 0x3f56c16c
	;; [unrolled: 1-line block ×16, first 2 shown]
	s_branch .LBB192_3
.LBB192_2:                              ;   in Loop: Header=BB192_3 Depth=1
	s_or_b32 exec_lo, exec_lo, s19
	v_add_nc_u32_e32 v13, s11, v13
	s_add_i32 s6, s18, s6
	s_cmp_ge_i32 s6, s8
	s_cbranch_scc1 .LBB192_40
.LBB192_3:                              ; =>This Loop Header: Depth=1
                                        ;     Child Loop BB192_7 Depth 2
                                        ;       Child Loop BB192_10 Depth 3
                                        ;       Child Loop BB192_14 Depth 3
	;; [unrolled: 1-line block ×8, first 2 shown]
	s_and_saveexec_b32 s19, s1
	s_cbranch_execz .LBB192_2
; %bb.4:                                ;   in Loop: Header=BB192_3 Depth=1
	s_load_dword s2, s[16:17], 0xc
	v_mov_b32_e32 v15, v13
	v_mov_b32_e32 v17, v12
	s_mov_b32 s66, 0
	s_waitcnt lgkmcnt(0)
	s_and_b32 s33, s2, 0xffff
	v_mul_u32_u24_e32 v4, s33, v1
	s_cmp_lt_u32 s33, 2
	s_mul_i32 s65, s10, s33
	s_cselect_b32 s64, -1, 0
	v_lshl_add_u32 v14, v4, 3, 0
	v_lshl_add_u32 v16, v0, 3, v14
	s_branch .LBB192_7
.LBB192_5:                              ;   in Loop: Header=BB192_7 Depth=2
	s_or_b32 exec_lo, exec_lo, s67
.LBB192_6:                              ;   in Loop: Header=BB192_7 Depth=2
	v_add_nc_u32_e32 v17, s7, v17
	v_add_nc_u32_e32 v15, s7, v15
	v_cmp_le_i32_e32 vcc_lo, s10, v17
	s_or_b32 s66, vcc_lo, s66
	s_andn2_b32 exec_lo, exec_lo, s66
	s_cbranch_execz .LBB192_2
.LBB192_7:                              ;   Parent Loop BB192_3 Depth=1
                                        ; =>  This Loop Header: Depth=2
                                        ;       Child Loop BB192_10 Depth 3
                                        ;       Child Loop BB192_14 Depth 3
                                        ;       Child Loop BB192_18 Depth 3
                                        ;       Child Loop BB192_23 Depth 3
                                        ;       Child Loop BB192_27 Depth 3
                                        ;       Child Loop BB192_31 Depth 3
                                        ;       Child Loop BB192_35 Depth 3
                                        ;       Child Loop BB192_39 Depth 3
	s_and_b32 vcc_lo, exec_lo, s64
	s_mov_b32 s2, -1
	s_cbranch_vccz .LBB192_20
; %bb.8:                                ;   in Loop: Header=BB192_7 Depth=2
	v_mov_b32_e32 v5, v3
	v_mov_b32_e32 v4, v2
	s_and_saveexec_b32 s61, s0
	s_cbranch_execz .LBB192_12
; %bb.9:                                ;   in Loop: Header=BB192_7 Depth=2
	v_mov_b32_e32 v5, v3
	v_mov_b32_e32 v6, v15
	;; [unrolled: 1-line block ×4, first 2 shown]
	s_mov_b32 s62, 0
	.p2align	6
.LBB192_10:                             ;   Parent Loop BB192_3 Depth=1
                                        ;     Parent Loop BB192_7 Depth=2
                                        ; =>    This Inner Loop Header: Depth=3
	v_ashrrev_i32_e32 v7, 31, v6
	v_add_nc_u32_e32 v8, s33, v8
	v_lshlrev_b64 v[9:10], 3, v[6:7]
	v_cmp_le_i32_e64 s2, s9, v8
	v_add_nc_u32_e32 v6, s65, v6
	s_or_b32 s62, s2, s62
	v_add_co_u32 v9, vcc_lo, s14, v9
	v_add_co_ci_u32_e64 v10, null, s15, v10, vcc_lo
	global_load_dwordx2 v[9:10], v[9:10], off
	s_waitcnt vmcnt(0)
	v_cmp_lt_f64_e32 vcc_lo, v[4:5], v[9:10]
	v_cndmask_b32_e32 v5, v5, v10, vcc_lo
	v_cndmask_b32_e32 v4, v4, v9, vcc_lo
	s_andn2_b32 exec_lo, exec_lo, s62
	s_cbranch_execnz .LBB192_10
; %bb.11:                               ;   in Loop: Header=BB192_7 Depth=2
	s_or_b32 exec_lo, exec_lo, s62
.LBB192_12:                             ;   in Loop: Header=BB192_7 Depth=2
	s_or_b32 exec_lo, exec_lo, s61
	v_mov_b32_e32 v6, 0
	v_mov_b32_e32 v7, 0
	s_and_saveexec_b32 s61, s0
	s_cbranch_execz .LBB192_16
; %bb.13:                               ;   in Loop: Header=BB192_7 Depth=2
	v_mov_b32_e32 v6, 0
	v_mov_b32_e32 v7, 0
	;; [unrolled: 1-line block ×4, first 2 shown]
	s_mov_b32 s62, 0
.LBB192_14:                             ;   Parent Loop BB192_3 Depth=1
                                        ;     Parent Loop BB192_7 Depth=2
                                        ; =>    This Inner Loop Header: Depth=3
	v_ashrrev_i32_e32 v9, 31, v8
	v_add_nc_u32_e32 v10, s33, v10
	v_lshlrev_b64 v[18:19], 3, v[8:9]
	v_add_nc_u32_e32 v8, s65, v8
	v_add_co_u32 v18, vcc_lo, s14, v18
	v_add_co_ci_u32_e64 v19, null, s15, v19, vcc_lo
	global_load_dwordx2 v[18:19], v[18:19], off
	s_waitcnt vmcnt(0)
	v_add_f64 v[18:19], v[18:19], -v[4:5]
	v_mul_f64 v[20:21], v[18:19], s[20:21]
	v_cmp_nlt_f64_e32 vcc_lo, 0x40900000, v[18:19]
	v_cmp_ngt_f64_e64 s2, 0xc090cc00, v[18:19]
	v_rndne_f64_e32 v[20:21], v[20:21]
	v_fma_f64 v[22:23], v[20:21], s[22:23], v[18:19]
	v_cvt_i32_f64_e32 v9, v[20:21]
	v_fma_f64 v[22:23], v[20:21], s[24:25], v[22:23]
	v_fma_f64 v[24:25], v[22:23], s[28:29], s[26:27]
	;; [unrolled: 1-line block ×10, first 2 shown]
	v_fma_f64 v[24:25], v[22:23], v[24:25], 1.0
	v_fma_f64 v[20:21], v[22:23], v[24:25], 1.0
	v_ldexp_f64 v[20:21], v[20:21], v9
	v_cndmask_b32_e32 v9, 0x7ff00000, v21, vcc_lo
	s_and_b32 vcc_lo, s2, vcc_lo
	v_cndmask_b32_e32 v18, 0, v20, vcc_lo
	v_cmp_le_i32_e32 vcc_lo, s9, v10
	v_cndmask_b32_e64 v19, 0, v9, s2
	s_or_b32 s62, vcc_lo, s62
	v_add_f64 v[6:7], v[6:7], v[18:19]
	s_andn2_b32 exec_lo, exec_lo, s62
	s_cbranch_execnz .LBB192_14
; %bb.15:                               ;   in Loop: Header=BB192_7 Depth=2
	s_or_b32 exec_lo, exec_lo, s62
.LBB192_16:                             ;   in Loop: Header=BB192_7 Depth=2
	s_or_b32 exec_lo, exec_lo, s61
	s_and_saveexec_b32 s67, s0
	s_cbranch_execz .LBB192_19
; %bb.17:                               ;   in Loop: Header=BB192_7 Depth=2
	v_frexp_mant_f64_e32 v[8:9], v[6:7]
	s_mov_b32 s61, s47
	s_mov_b32 s2, s22
	;; [unrolled: 1-line block ×3, first 2 shown]
	v_cmp_gt_f64_e32 vcc_lo, s[46:47], v[8:9]
	v_cndmask_b32_e64 v10, 0, 1, vcc_lo
	v_ldexp_f64 v[8:9], v[8:9], v10
	v_add_f64 v[10:11], v[8:9], 1.0
	v_add_f64 v[22:23], v[8:9], -1.0
	v_rcp_f64_e32 v[18:19], v[10:11]
	v_add_f64 v[24:25], v[10:11], -1.0
	v_add_f64 v[8:9], v[8:9], -v[24:25]
	v_fma_f64 v[20:21], -v[10:11], v[18:19], 1.0
	v_fma_f64 v[18:19], v[20:21], v[18:19], v[18:19]
	v_fma_f64 v[20:21], -v[10:11], v[18:19], 1.0
	v_fma_f64 v[18:19], v[20:21], v[18:19], v[18:19]
	v_mul_f64 v[20:21], v[22:23], v[18:19]
	v_mul_f64 v[26:27], v[10:11], v[20:21]
	v_fma_f64 v[10:11], v[20:21], v[10:11], -v[26:27]
	v_fma_f64 v[8:9], v[20:21], v[8:9], v[10:11]
	v_add_f64 v[10:11], v[26:27], v[8:9]
	v_add_f64 v[24:25], v[22:23], -v[10:11]
	v_add_f64 v[26:27], v[10:11], -v[26:27]
	;; [unrolled: 1-line block ×4, first 2 shown]
	v_frexp_exp_i32_f64_e32 v26, v[6:7]
	v_add_f64 v[10:11], v[22:23], -v[10:11]
	v_add_f64 v[8:9], v[8:9], v[10:11]
	v_add_f64 v[8:9], v[24:25], v[8:9]
	v_mul_f64 v[8:9], v[18:19], v[8:9]
	v_add_f64 v[10:11], v[20:21], v[8:9]
	v_mul_f64 v[18:19], v[10:11], v[10:11]
	v_fma_f64 v[22:23], v[18:19], s[50:51], s[48:49]
	v_mul_f64 v[24:25], v[10:11], v[18:19]
	v_fma_f64 v[22:23], v[18:19], v[22:23], s[52:53]
	v_fma_f64 v[22:23], v[18:19], v[22:23], s[54:55]
	;; [unrolled: 1-line block ×5, first 2 shown]
	v_ldexp_f64 v[22:23], v[10:11], 1
	v_add_f64 v[10:11], v[10:11], -v[20:21]
	s_mov_b32 s61, 0
	v_mul_f64 v[18:19], v[24:25], v[18:19]
	v_subrev_co_ci_u32_e64 v24, null, 0, v26, vcc_lo
	v_add_f64 v[8:9], v[8:9], -v[10:11]
	v_cmp_class_f64_e64 vcc_lo, v[6:7], 0x204
	v_cvt_f64_i32_e32 v[24:25], v24
	v_add_f64 v[20:21], v[22:23], v[18:19]
	v_ldexp_f64 v[8:9], v[8:9], 1
	v_mul_f64 v[26:27], v[24:25], s[2:3]
	v_add_f64 v[10:11], v[20:21], -v[22:23]
	v_fma_f64 v[22:23], v[24:25], s[2:3], -v[26:27]
	v_add_f64 v[10:11], v[18:19], -v[10:11]
	v_fma_f64 v[18:19], v[24:25], s[62:63], v[22:23]
	v_add_f64 v[8:9], v[8:9], v[10:11]
	v_add_f64 v[10:11], v[26:27], v[18:19]
	;; [unrolled: 1-line block ×3, first 2 shown]
	v_add_f64 v[26:27], v[10:11], -v[26:27]
	v_add_f64 v[24:25], v[10:11], v[22:23]
	v_add_f64 v[20:21], v[22:23], -v[20:21]
	v_add_f64 v[18:19], v[18:19], -v[26:27]
	v_add_f64 v[28:29], v[24:25], -v[10:11]
	v_add_f64 v[8:9], v[8:9], -v[20:21]
	v_add_f64 v[30:31], v[24:25], -v[28:29]
	v_add_f64 v[20:21], v[22:23], -v[28:29]
	v_add_f64 v[22:23], v[18:19], v[8:9]
	v_add_f64 v[10:11], v[10:11], -v[30:31]
	v_add_f64 v[10:11], v[20:21], v[10:11]
	v_add_f64 v[20:21], v[22:23], -v[18:19]
	;; [unrolled: 2-line block ×3, first 2 shown]
	v_add_f64 v[8:9], v[8:9], -v[20:21]
	v_add_f64 v[26:27], v[24:25], v[10:11]
	v_add_f64 v[18:19], v[18:19], -v[22:23]
	v_add_f64 v[20:21], v[26:27], -v[24:25]
	v_add_f64 v[8:9], v[8:9], v[18:19]
	v_add_f64 v[10:11], v[10:11], -v[20:21]
	v_add_f64 v[8:9], v[8:9], v[10:11]
	v_add_f64 v[8:9], v[26:27], v[8:9]
	v_cndmask_b32_e32 v10, v8, v6, vcc_lo
	v_cndmask_b32_e32 v8, v9, v7, vcc_lo
	v_cmp_ngt_f64_e32 vcc_lo, 0, v[6:7]
	v_cndmask_b32_e32 v9, 0x7ff80000, v8, vcc_lo
	v_cmp_nge_f64_e32 vcc_lo, 0, v[6:7]
	v_mov_b32_e32 v8, v15
	v_cndmask_b32_e32 v10, 0, v10, vcc_lo
	v_cmp_neq_f64_e32 vcc_lo, 0, v[6:7]
	v_mov_b32_e32 v6, v0
	v_cndmask_b32_e32 v11, 0xfff00000, v9, vcc_lo
	.p2align	6
.LBB192_18:                             ;   Parent Loop BB192_3 Depth=1
                                        ;     Parent Loop BB192_7 Depth=2
                                        ; =>    This Inner Loop Header: Depth=3
	v_ashrrev_i32_e32 v9, 31, v8
	v_add_nc_u32_e32 v6, s33, v6
	v_lshlrev_b64 v[18:19], 3, v[8:9]
	v_add_nc_u32_e32 v8, s65, v8
	v_add_co_u32 v20, vcc_lo, s14, v18
	v_add_co_ci_u32_e64 v21, null, s15, v19, vcc_lo
	v_cmp_le_i32_e32 vcc_lo, s9, v6
	v_add_co_u32 v18, s2, s12, v18
	global_load_dwordx2 v[20:21], v[20:21], off
	v_add_co_ci_u32_e64 v19, null, s13, v19, s2
	s_or_b32 s61, vcc_lo, s61
	s_waitcnt vmcnt(0)
	v_add_f64 v[20:21], v[20:21], -v[4:5]
	v_add_f64 v[20:21], v[20:21], -v[10:11]
	global_store_dwordx2 v[18:19], v[20:21], off
	s_andn2_b32 exec_lo, exec_lo, s61
	s_cbranch_execnz .LBB192_18
.LBB192_19:                             ;   in Loop: Header=BB192_7 Depth=2
	s_or_b32 exec_lo, exec_lo, s67
	s_mov_b32 s2, 0
.LBB192_20:                             ;   in Loop: Header=BB192_7 Depth=2
	s_and_b32 vcc_lo, exec_lo, s2
	s_cbranch_vccz .LBB192_6
; %bb.21:                               ;   in Loop: Header=BB192_7 Depth=2
	v_mov_b32_e32 v5, v3
	v_mov_b32_e32 v4, v2
	s_and_saveexec_b32 s61, s0
	s_cbranch_execz .LBB192_25
; %bb.22:                               ;   in Loop: Header=BB192_7 Depth=2
	v_mov_b32_e32 v5, v3
	v_mov_b32_e32 v6, v15
	;; [unrolled: 1-line block ×4, first 2 shown]
	s_mov_b32 s62, 0
	.p2align	6
.LBB192_23:                             ;   Parent Loop BB192_3 Depth=1
                                        ;     Parent Loop BB192_7 Depth=2
                                        ; =>    This Inner Loop Header: Depth=3
	v_ashrrev_i32_e32 v7, 31, v6
	v_add_nc_u32_e32 v8, s33, v8
	v_lshlrev_b64 v[9:10], 3, v[6:7]
	v_cmp_le_i32_e64 s2, s9, v8
	v_add_nc_u32_e32 v6, s65, v6
	s_or_b32 s62, s2, s62
	v_add_co_u32 v9, vcc_lo, s14, v9
	v_add_co_ci_u32_e64 v10, null, s15, v10, vcc_lo
	global_load_dwordx2 v[9:10], v[9:10], off
	s_waitcnt vmcnt(0)
	v_cmp_lt_f64_e32 vcc_lo, v[4:5], v[9:10]
	v_cndmask_b32_e32 v5, v5, v10, vcc_lo
	v_cndmask_b32_e32 v4, v4, v9, vcc_lo
	s_andn2_b32 exec_lo, exec_lo, s62
	s_cbranch_execnz .LBB192_23
; %bb.24:                               ;   in Loop: Header=BB192_7 Depth=2
	s_or_b32 exec_lo, exec_lo, s62
.LBB192_25:                             ;   in Loop: Header=BB192_7 Depth=2
	s_or_b32 exec_lo, exec_lo, s61
	s_mov_b32 s2, s33
	s_waitcnt_vscnt null, 0x0
	s_barrier
	buffer_gl0_inv
	ds_write_b64 v16, v[4:5]
	s_branch .LBB192_27
	.p2align	6
.LBB192_26:                             ;   in Loop: Header=BB192_27 Depth=3
	s_or_b32 exec_lo, exec_lo, s62
	s_cmp_gt_u32 s2, 3
	s_mov_b32 s2, s61
	s_cbranch_scc0 .LBB192_29
.LBB192_27:                             ;   Parent Loop BB192_3 Depth=1
                                        ;     Parent Loop BB192_7 Depth=2
                                        ; =>    This Inner Loop Header: Depth=3
	s_lshr_b32 s61, s2, 1
	s_mov_b32 s62, exec_lo
	s_waitcnt lgkmcnt(0)
	s_barrier
	buffer_gl0_inv
	v_cmpx_gt_u32_e64 s61, v0
	s_cbranch_execz .LBB192_26
; %bb.28:                               ;   in Loop: Header=BB192_27 Depth=3
	v_lshl_add_u32 v6, s61, 3, v16
	ds_read_b64 v[4:5], v16
	ds_read_b64 v[6:7], v6
	s_waitcnt lgkmcnt(0)
	v_cmp_lt_f64_e32 vcc_lo, v[4:5], v[6:7]
	v_cndmask_b32_e32 v5, v5, v7, vcc_lo
	v_cndmask_b32_e32 v4, v4, v6, vcc_lo
	ds_write_b64 v16, v[4:5]
	s_branch .LBB192_26
.LBB192_29:                             ;   in Loop: Header=BB192_7 Depth=2
	s_waitcnt lgkmcnt(0)
	s_barrier
	buffer_gl0_inv
	ds_read_b64 v[4:5], v14
	v_mov_b32_e32 v6, 0
	v_mov_b32_e32 v7, 0
	s_and_saveexec_b32 s61, s0
	s_cbranch_execz .LBB192_33
; %bb.30:                               ;   in Loop: Header=BB192_7 Depth=2
	v_mov_b32_e32 v6, 0
	v_mov_b32_e32 v7, 0
	;; [unrolled: 1-line block ×4, first 2 shown]
	s_mov_b32 s62, 0
.LBB192_31:                             ;   Parent Loop BB192_3 Depth=1
                                        ;     Parent Loop BB192_7 Depth=2
                                        ; =>    This Inner Loop Header: Depth=3
	v_ashrrev_i32_e32 v9, 31, v8
	v_add_nc_u32_e32 v10, s33, v10
	v_lshlrev_b64 v[18:19], 3, v[8:9]
	v_add_nc_u32_e32 v8, s65, v8
	v_add_co_u32 v18, vcc_lo, s14, v18
	v_add_co_ci_u32_e64 v19, null, s15, v19, vcc_lo
	global_load_dwordx2 v[18:19], v[18:19], off
	s_waitcnt vmcnt(0) lgkmcnt(0)
	v_add_f64 v[18:19], v[18:19], -v[4:5]
	v_mul_f64 v[20:21], v[18:19], s[20:21]
	v_cmp_nlt_f64_e32 vcc_lo, 0x40900000, v[18:19]
	v_cmp_ngt_f64_e64 s2, 0xc090cc00, v[18:19]
	v_rndne_f64_e32 v[20:21], v[20:21]
	v_fma_f64 v[22:23], v[20:21], s[22:23], v[18:19]
	v_cvt_i32_f64_e32 v9, v[20:21]
	v_fma_f64 v[22:23], v[20:21], s[24:25], v[22:23]
	v_fma_f64 v[24:25], v[22:23], s[28:29], s[26:27]
	;; [unrolled: 1-line block ×10, first 2 shown]
	v_fma_f64 v[24:25], v[22:23], v[24:25], 1.0
	v_fma_f64 v[20:21], v[22:23], v[24:25], 1.0
	v_ldexp_f64 v[20:21], v[20:21], v9
	v_cndmask_b32_e32 v9, 0x7ff00000, v21, vcc_lo
	s_and_b32 vcc_lo, s2, vcc_lo
	v_cndmask_b32_e32 v18, 0, v20, vcc_lo
	v_cmp_le_i32_e32 vcc_lo, s9, v10
	v_cndmask_b32_e64 v19, 0, v9, s2
	s_or_b32 s62, vcc_lo, s62
	v_add_f64 v[6:7], v[6:7], v[18:19]
	s_andn2_b32 exec_lo, exec_lo, s62
	s_cbranch_execnz .LBB192_31
; %bb.32:                               ;   in Loop: Header=BB192_7 Depth=2
	s_or_b32 exec_lo, exec_lo, s62
.LBB192_33:                             ;   in Loop: Header=BB192_7 Depth=2
	s_or_b32 exec_lo, exec_lo, s61
	s_mov_b32 s2, s33
	s_waitcnt lgkmcnt(0)
	s_barrier
	buffer_gl0_inv
	ds_write_b64 v16, v[6:7]
	s_branch .LBB192_35
	.p2align	6
.LBB192_34:                             ;   in Loop: Header=BB192_35 Depth=3
	s_or_b32 exec_lo, exec_lo, s62
	s_cmp_gt_u32 s2, 3
	s_mov_b32 s2, s61
	s_cbranch_scc0 .LBB192_37
.LBB192_35:                             ;   Parent Loop BB192_3 Depth=1
                                        ;     Parent Loop BB192_7 Depth=2
                                        ; =>    This Inner Loop Header: Depth=3
	s_lshr_b32 s61, s2, 1
	s_mov_b32 s62, exec_lo
	s_waitcnt lgkmcnt(0)
	s_barrier
	buffer_gl0_inv
	v_cmpx_gt_u32_e64 s61, v0
	s_cbranch_execz .LBB192_34
; %bb.36:                               ;   in Loop: Header=BB192_35 Depth=3
	v_lshl_add_u32 v8, s61, 3, v16
	ds_read_b64 v[6:7], v16
	ds_read_b64 v[8:9], v8
	s_waitcnt lgkmcnt(0)
	v_add_f64 v[6:7], v[6:7], v[8:9]
	ds_write_b64 v16, v[6:7]
	s_branch .LBB192_34
.LBB192_37:                             ;   in Loop: Header=BB192_7 Depth=2
	s_waitcnt lgkmcnt(0)
	s_barrier
	buffer_gl0_inv
	s_and_saveexec_b32 s67, s0
	s_cbranch_execz .LBB192_5
; %bb.38:                               ;   in Loop: Header=BB192_7 Depth=2
	ds_read_b64 v[9:10], v14
	s_mov_b32 s61, s47
	s_mov_b32 s2, s22
	;; [unrolled: 1-line block ×3, first 2 shown]
	s_waitcnt lgkmcnt(0)
	v_frexp_mant_f64_e32 v[6:7], v[9:10]
	v_cmp_gt_f64_e32 vcc_lo, s[46:47], v[6:7]
	v_cndmask_b32_e64 v8, 0, 1, vcc_lo
	v_ldexp_f64 v[6:7], v[6:7], v8
	v_frexp_exp_i32_f64_e32 v8, v[9:10]
	v_add_f64 v[18:19], v[6:7], 1.0
	v_add_f64 v[24:25], v[6:7], -1.0
	v_subrev_co_ci_u32_e64 v8, null, 0, v8, vcc_lo
	v_cmp_class_f64_e64 vcc_lo, v[9:10], 0x204
	v_rcp_f64_e32 v[20:21], v[18:19]
	v_add_f64 v[26:27], v[18:19], -1.0
	v_add_f64 v[6:7], v[6:7], -v[26:27]
	v_fma_f64 v[22:23], -v[18:19], v[20:21], 1.0
	v_fma_f64 v[20:21], v[22:23], v[20:21], v[20:21]
	v_fma_f64 v[22:23], -v[18:19], v[20:21], 1.0
	v_fma_f64 v[20:21], v[22:23], v[20:21], v[20:21]
	v_mul_f64 v[22:23], v[24:25], v[20:21]
	v_mul_f64 v[28:29], v[18:19], v[22:23]
	v_fma_f64 v[18:19], v[22:23], v[18:19], -v[28:29]
	v_fma_f64 v[6:7], v[22:23], v[6:7], v[18:19]
	v_add_f64 v[18:19], v[28:29], v[6:7]
	v_add_f64 v[26:27], v[24:25], -v[18:19]
	v_add_f64 v[28:29], v[18:19], -v[28:29]
	;; [unrolled: 1-line block ×5, first 2 shown]
	v_add_f64 v[6:7], v[6:7], v[18:19]
	v_add_f64 v[6:7], v[26:27], v[6:7]
	v_mul_f64 v[6:7], v[20:21], v[6:7]
	v_add_f64 v[18:19], v[22:23], v[6:7]
	v_mul_f64 v[20:21], v[18:19], v[18:19]
	v_fma_f64 v[24:25], v[20:21], s[50:51], s[48:49]
	v_mul_f64 v[26:27], v[18:19], v[20:21]
	v_fma_f64 v[24:25], v[20:21], v[24:25], s[52:53]
	v_fma_f64 v[24:25], v[20:21], v[24:25], s[54:55]
	;; [unrolled: 1-line block ×5, first 2 shown]
	v_ldexp_f64 v[24:25], v[18:19], 1
	v_add_f64 v[18:19], v[18:19], -v[22:23]
	s_mov_b32 s61, 0
	v_mul_f64 v[20:21], v[26:27], v[20:21]
	v_cvt_f64_i32_e32 v[26:27], v8
	v_add_f64 v[6:7], v[6:7], -v[18:19]
	v_add_f64 v[22:23], v[24:25], v[20:21]
	v_mul_f64 v[28:29], v[26:27], s[2:3]
	v_ldexp_f64 v[6:7], v[6:7], 1
	v_add_f64 v[18:19], v[22:23], -v[24:25]
	v_fma_f64 v[24:25], v[26:27], s[2:3], -v[28:29]
	v_add_f64 v[18:19], v[20:21], -v[18:19]
	v_fma_f64 v[20:21], v[26:27], s[62:63], v[24:25]
	v_add_f64 v[6:7], v[6:7], v[18:19]
	v_add_f64 v[18:19], v[28:29], v[20:21]
	;; [unrolled: 1-line block ×3, first 2 shown]
	v_add_f64 v[28:29], v[18:19], -v[28:29]
	v_add_f64 v[26:27], v[18:19], v[24:25]
	v_add_f64 v[22:23], v[24:25], -v[22:23]
	v_add_f64 v[20:21], v[20:21], -v[28:29]
	;; [unrolled: 1-line block ×6, first 2 shown]
	v_add_f64 v[24:25], v[20:21], v[6:7]
	v_add_f64 v[18:19], v[18:19], -v[32:33]
	v_add_f64 v[18:19], v[22:23], v[18:19]
	v_add_f64 v[22:23], v[24:25], -v[20:21]
	;; [unrolled: 2-line block ×3, first 2 shown]
	v_add_f64 v[6:7], v[6:7], -v[22:23]
	v_add_f64 v[28:29], v[26:27], v[18:19]
	v_add_f64 v[20:21], v[20:21], -v[24:25]
	v_add_f64 v[22:23], v[28:29], -v[26:27]
	v_add_f64 v[6:7], v[6:7], v[20:21]
	v_add_f64 v[18:19], v[18:19], -v[22:23]
	v_add_f64 v[6:7], v[6:7], v[18:19]
	v_add_f64 v[6:7], v[28:29], v[6:7]
	v_cndmask_b32_e32 v8, v6, v9, vcc_lo
	v_cndmask_b32_e32 v6, v7, v10, vcc_lo
	v_cmp_ngt_f64_e32 vcc_lo, 0, v[9:10]
	v_cndmask_b32_e32 v7, 0x7ff80000, v6, vcc_lo
	v_cmp_nge_f64_e32 vcc_lo, 0, v[9:10]
	v_mov_b32_e32 v6, v15
	v_cndmask_b32_e32 v8, 0, v8, vcc_lo
	v_cmp_neq_f64_e32 vcc_lo, 0, v[9:10]
	v_mov_b32_e32 v10, v0
	v_cndmask_b32_e32 v9, 0xfff00000, v7, vcc_lo
	.p2align	6
.LBB192_39:                             ;   Parent Loop BB192_3 Depth=1
                                        ;     Parent Loop BB192_7 Depth=2
                                        ; =>    This Inner Loop Header: Depth=3
	v_ashrrev_i32_e32 v7, 31, v6
	v_add_nc_u32_e32 v10, s33, v10
	v_lshlrev_b64 v[18:19], 3, v[6:7]
	v_add_nc_u32_e32 v6, s65, v6
	v_add_co_u32 v20, vcc_lo, s14, v18
	v_add_co_ci_u32_e64 v21, null, s15, v19, vcc_lo
	v_cmp_le_i32_e32 vcc_lo, s9, v10
	v_add_co_u32 v18, s2, s12, v18
	global_load_dwordx2 v[20:21], v[20:21], off
	v_add_co_ci_u32_e64 v19, null, s13, v19, s2
	s_or_b32 s61, vcc_lo, s61
	s_waitcnt vmcnt(0)
	v_add_f64 v[20:21], v[20:21], -v[4:5]
	v_add_f64 v[20:21], v[20:21], -v[8:9]
	global_store_dwordx2 v[18:19], v[20:21], off
	s_andn2_b32 exec_lo, exec_lo, s61
	s_cbranch_execnz .LBB192_39
	s_branch .LBB192_5
.LBB192_40:
	s_endpgm
	.section	.rodata,"a",@progbits
	.p2align	6, 0x0
	.amdhsa_kernel _ZN2at6native12_GLOBAL__N_126cunn_SpatialSoftMaxForwardIdddiNS1_25LogSoftMaxForwardEpilogueEEEvPT1_PKT_T2_S9_S9_
		.amdhsa_group_segment_fixed_size 0
		.amdhsa_private_segment_fixed_size 0
		.amdhsa_kernarg_size 288
		.amdhsa_user_sgpr_count 6
		.amdhsa_user_sgpr_private_segment_buffer 1
		.amdhsa_user_sgpr_dispatch_ptr 0
		.amdhsa_user_sgpr_queue_ptr 0
		.amdhsa_user_sgpr_kernarg_segment_ptr 1
		.amdhsa_user_sgpr_dispatch_id 0
		.amdhsa_user_sgpr_flat_scratch_init 0
		.amdhsa_user_sgpr_private_segment_size 0
		.amdhsa_wavefront_size32 1
		.amdhsa_uses_dynamic_stack 0
		.amdhsa_system_sgpr_private_segment_wavefront_offset 0
		.amdhsa_system_sgpr_workgroup_id_x 1
		.amdhsa_system_sgpr_workgroup_id_y 1
		.amdhsa_system_sgpr_workgroup_id_z 0
		.amdhsa_system_sgpr_workgroup_info 0
		.amdhsa_system_vgpr_workitem_id 1
		.amdhsa_next_free_vgpr 34
		.amdhsa_next_free_sgpr 68
		.amdhsa_reserve_vcc 1
		.amdhsa_reserve_flat_scratch 0
		.amdhsa_float_round_mode_32 0
		.amdhsa_float_round_mode_16_64 0
		.amdhsa_float_denorm_mode_32 3
		.amdhsa_float_denorm_mode_16_64 3
		.amdhsa_dx10_clamp 1
		.amdhsa_ieee_mode 1
		.amdhsa_fp16_overflow 0
		.amdhsa_workgroup_processor_mode 1
		.amdhsa_memory_ordered 1
		.amdhsa_forward_progress 1
		.amdhsa_shared_vgpr_count 0
		.amdhsa_exception_fp_ieee_invalid_op 0
		.amdhsa_exception_fp_denorm_src 0
		.amdhsa_exception_fp_ieee_div_zero 0
		.amdhsa_exception_fp_ieee_overflow 0
		.amdhsa_exception_fp_ieee_underflow 0
		.amdhsa_exception_fp_ieee_inexact 0
		.amdhsa_exception_int_div_zero 0
	.end_amdhsa_kernel
	.section	.text._ZN2at6native12_GLOBAL__N_126cunn_SpatialSoftMaxForwardIdddiNS1_25LogSoftMaxForwardEpilogueEEEvPT1_PKT_T2_S9_S9_,"axG",@progbits,_ZN2at6native12_GLOBAL__N_126cunn_SpatialSoftMaxForwardIdddiNS1_25LogSoftMaxForwardEpilogueEEEvPT1_PKT_T2_S9_S9_,comdat
.Lfunc_end192:
	.size	_ZN2at6native12_GLOBAL__N_126cunn_SpatialSoftMaxForwardIdddiNS1_25LogSoftMaxForwardEpilogueEEEvPT1_PKT_T2_S9_S9_, .Lfunc_end192-_ZN2at6native12_GLOBAL__N_126cunn_SpatialSoftMaxForwardIdddiNS1_25LogSoftMaxForwardEpilogueEEEvPT1_PKT_T2_S9_S9_
                                        ; -- End function
	.set _ZN2at6native12_GLOBAL__N_126cunn_SpatialSoftMaxForwardIdddiNS1_25LogSoftMaxForwardEpilogueEEEvPT1_PKT_T2_S9_S9_.num_vgpr, 34
	.set _ZN2at6native12_GLOBAL__N_126cunn_SpatialSoftMaxForwardIdddiNS1_25LogSoftMaxForwardEpilogueEEEvPT1_PKT_T2_S9_S9_.num_agpr, 0
	.set _ZN2at6native12_GLOBAL__N_126cunn_SpatialSoftMaxForwardIdddiNS1_25LogSoftMaxForwardEpilogueEEEvPT1_PKT_T2_S9_S9_.numbered_sgpr, 68
	.set _ZN2at6native12_GLOBAL__N_126cunn_SpatialSoftMaxForwardIdddiNS1_25LogSoftMaxForwardEpilogueEEEvPT1_PKT_T2_S9_S9_.num_named_barrier, 0
	.set _ZN2at6native12_GLOBAL__N_126cunn_SpatialSoftMaxForwardIdddiNS1_25LogSoftMaxForwardEpilogueEEEvPT1_PKT_T2_S9_S9_.private_seg_size, 0
	.set _ZN2at6native12_GLOBAL__N_126cunn_SpatialSoftMaxForwardIdddiNS1_25LogSoftMaxForwardEpilogueEEEvPT1_PKT_T2_S9_S9_.uses_vcc, 1
	.set _ZN2at6native12_GLOBAL__N_126cunn_SpatialSoftMaxForwardIdddiNS1_25LogSoftMaxForwardEpilogueEEEvPT1_PKT_T2_S9_S9_.uses_flat_scratch, 0
	.set _ZN2at6native12_GLOBAL__N_126cunn_SpatialSoftMaxForwardIdddiNS1_25LogSoftMaxForwardEpilogueEEEvPT1_PKT_T2_S9_S9_.has_dyn_sized_stack, 0
	.set _ZN2at6native12_GLOBAL__N_126cunn_SpatialSoftMaxForwardIdddiNS1_25LogSoftMaxForwardEpilogueEEEvPT1_PKT_T2_S9_S9_.has_recursion, 0
	.set _ZN2at6native12_GLOBAL__N_126cunn_SpatialSoftMaxForwardIdddiNS1_25LogSoftMaxForwardEpilogueEEEvPT1_PKT_T2_S9_S9_.has_indirect_call, 0
	.section	.AMDGPU.csdata,"",@progbits
; Kernel info:
; codeLenInByte = 3568
; TotalNumSgprs: 70
; NumVgprs: 34
; ScratchSize: 0
; MemoryBound: 0
; FloatMode: 240
; IeeeMode: 1
; LDSByteSize: 0 bytes/workgroup (compile time only)
; SGPRBlocks: 0
; VGPRBlocks: 4
; NumSGPRsForWavesPerEU: 70
; NumVGPRsForWavesPerEU: 34
; Occupancy: 16
; WaveLimiterHint : 0
; COMPUTE_PGM_RSRC2:SCRATCH_EN: 0
; COMPUTE_PGM_RSRC2:USER_SGPR: 6
; COMPUTE_PGM_RSRC2:TRAP_HANDLER: 0
; COMPUTE_PGM_RSRC2:TGID_X_EN: 1
; COMPUTE_PGM_RSRC2:TGID_Y_EN: 1
; COMPUTE_PGM_RSRC2:TGID_Z_EN: 0
; COMPUTE_PGM_RSRC2:TIDIG_COMP_CNT: 1
	.section	.text._ZN2at6native12_GLOBAL__N_126cunn_SpatialSoftMaxForwardIdddlNS1_25LogSoftMaxForwardEpilogueEEEvPT1_PKT_T2_S9_S9_,"axG",@progbits,_ZN2at6native12_GLOBAL__N_126cunn_SpatialSoftMaxForwardIdddlNS1_25LogSoftMaxForwardEpilogueEEEvPT1_PKT_T2_S9_S9_,comdat
	.globl	_ZN2at6native12_GLOBAL__N_126cunn_SpatialSoftMaxForwardIdddlNS1_25LogSoftMaxForwardEpilogueEEEvPT1_PKT_T2_S9_S9_ ; -- Begin function _ZN2at6native12_GLOBAL__N_126cunn_SpatialSoftMaxForwardIdddlNS1_25LogSoftMaxForwardEpilogueEEEvPT1_PKT_T2_S9_S9_
	.p2align	8
	.type	_ZN2at6native12_GLOBAL__N_126cunn_SpatialSoftMaxForwardIdddlNS1_25LogSoftMaxForwardEpilogueEEEvPT1_PKT_T2_S9_S9_,@function
_ZN2at6native12_GLOBAL__N_126cunn_SpatialSoftMaxForwardIdddlNS1_25LogSoftMaxForwardEpilogueEEEvPT1_PKT_T2_S9_S9_: ; @_ZN2at6native12_GLOBAL__N_126cunn_SpatialSoftMaxForwardIdddlNS1_25LogSoftMaxForwardEpilogueEEEvPT1_PKT_T2_S9_S9_
; %bb.0:
	s_load_dwordx8 s[8:15], s[4:5], 0x0
	s_mov_b32 s0, s7
	s_mov_b32 s7, 0
	s_waitcnt lgkmcnt(0)
	v_cmp_le_i64_e64 s1, s[12:13], s[6:7]
	s_and_b32 vcc_lo, exec_lo, s1
	s_cbranch_vccnz .LBB193_40
; %bb.1:
	s_clause 0x1
	s_load_dword s1, s[4:5], 0x34
	s_load_dwordx4 s[16:19], s[4:5], 0x20
	v_mov_b32_e32 v2, v0
	s_add_u32 s4, s4, 40
	s_addc_u32 s5, s5, 0
	s_mov_b32 s21, s7
	s_mov_b32 s22, 0x652b82fe
	;; [unrolled: 1-line block ×15, first 2 shown]
	s_waitcnt lgkmcnt(0)
	s_lshr_b32 s1, s1, 16
	v_mad_u64_u32 v[6:7], null, s16, v2, 0
	v_mad_u64_u32 v[4:5], null, s0, s1, v[1:2]
	v_mov_b32_e32 v5, 0
	s_mul_i32 s33, s16, s14
	s_mul_i32 s0, s16, s15
	s_mul_hi_u32 s2, s16, s14
	v_mov_b32_e32 v0, v7
	v_mov_b32_e32 v3, v5
	v_mad_u64_u32 v[8:9], null, s33, s6, v[4:5]
	s_mul_i32 s3, s17, s14
	s_add_i32 s0, s2, s0
	v_mad_u64_u32 v[10:11], null, s14, s6, v[2:3]
	v_mad_u64_u32 v[12:13], null, s17, v2, v[0:1]
	v_mov_b32_e32 v7, v9
	s_add_i32 s0, s0, s3
	s_mul_i32 s20, s19, s1
	s_mul_hi_u32 s1, s33, s18
	v_mov_b32_e32 v0, v11
	v_mad_u64_u32 v[13:14], null, s0, s6, v[7:8]
	v_mov_b32_e32 v7, v12
	v_mad_u64_u32 v[11:12], null, s16, v10, v[4:5]
	v_mad_u64_u32 v[14:15], null, s15, s6, v[0:1]
	v_mul_lo_u32 v0, s17, v10
	v_mov_b32_e32 v9, v13
	v_lshlrev_b64 v[6:7], 3, v[6:7]
	s_mul_i32 s0, s0, s18
	v_mov_b32_e32 v13, 0xffefffff
	s_add_i32 s3, s1, s0
	v_mul_lo_u32 v10, s16, v14
	v_lshlrev_b64 v[8:9], 3, v[8:9]
	v_cmp_gt_i64_e64 s0, s[16:17], v[4:5]
	v_cmp_gt_i64_e64 s1, s[14:15], v[2:3]
	s_mul_i32 s2, s33, s18
	s_mov_b32 s58, 0xd7f4df2e
	s_mov_b32 s60, 0x16291751
	s_mov_b32 s62, 0x9b27acf1
	v_add3_u32 v12, v0, v12, v10
	v_add_co_u32 v0, vcc_lo, v6, v8
	v_add_co_ci_u32_e64 v7, null, v7, v9, vcc_lo
	v_lshlrev_b64 v[10:11], 3, v[11:12]
	v_add_co_u32 v6, vcc_lo, s10, v0
	v_add_co_ci_u32_e64 v7, null, s11, v7, vcc_lo
	v_mov_b32_e32 v12, -1
	v_add_co_u32 v8, vcc_lo, s10, v10
	v_add_co_ci_u32_e64 v9, null, s11, v11, vcc_lo
	v_add_co_u32 v10, vcc_lo, s8, v10
	v_add_co_ci_u32_e64 v11, null, s9, v11, vcc_lo
	s_mov_b32 s8, 0x6a5dcb37
	s_mov_b32 s10, 0x623fde64
	;; [unrolled: 1-line block ×7, first 2 shown]
	s_lshl_b64 s[30:31], s[16:17], 3
	s_lshl_b64 s[34:35], s[20:21], 3
	s_lshl_b64 s[36:37], s[2:3], 3
	s_mov_b32 s9, 0x3e5ade15
	s_mov_b32 s11, 0x3ec71dee
	;; [unrolled: 1-line block ×19, first 2 shown]
	s_branch .LBB193_3
.LBB193_2:                              ;   in Loop: Header=BB193_3 Depth=1
	s_or_b32 exec_lo, exec_lo, s19
	s_add_u32 s6, s6, s18
	v_add_co_u32 v6, vcc_lo, v6, s36
	s_addc_u32 s7, s7, 0
	v_add_co_ci_u32_e64 v7, null, s37, v7, vcc_lo
	v_add_co_u32 v8, vcc_lo, v8, s36
	v_cmp_ge_i64_e64 s2, s[6:7], s[12:13]
	v_add_co_ci_u32_e64 v9, null, s37, v9, vcc_lo
	v_add_co_u32 v10, vcc_lo, v10, s36
	v_add_co_ci_u32_e64 v11, null, s37, v11, vcc_lo
	s_and_b32 vcc_lo, exec_lo, s2
	s_cbranch_vccnz .LBB193_40
.LBB193_3:                              ; =>This Loop Header: Depth=1
                                        ;     Child Loop BB193_7 Depth 2
                                        ;       Child Loop BB193_10 Depth 3
                                        ;       Child Loop BB193_14 Depth 3
	;; [unrolled: 1-line block ×8, first 2 shown]
	s_and_saveexec_b32 s19, s0
	s_cbranch_execz .LBB193_2
; %bb.4:                                ;   in Loop: Header=BB193_3 Depth=1
	s_load_dword s2, s[4:5], 0xc
	v_mov_b32_e32 v15, v11
	v_mov_b32_e32 v17, v9
	;; [unrolled: 1-line block ×8, first 2 shown]
	s_mov_b32 s76, 0
	s_waitcnt lgkmcnt(0)
	s_and_b32 s21, s2, 0xffff
	v_mul_u32_u24_e32 v0, s21, v1
	s_cmp_lt_u32 s21, 2
	s_mul_i32 s2, s31, s21
	s_mul_hi_u32 s3, s30, s21
	s_cselect_b32 s33, -1, 0
	v_lshl_add_u32 v0, v0, 3, 0
	s_add_i32 s74, s3, s2
	s_mul_i32 s75, s30, s21
	v_lshl_add_u32 v30, v2, 3, v0
	s_branch .LBB193_7
.LBB193_5:                              ;   in Loop: Header=BB193_7 Depth=2
	s_or_b32 exec_lo, exec_lo, s3
.LBB193_6:                              ;   in Loop: Header=BB193_7 Depth=2
	v_add_co_u32 v20, vcc_lo, v20, s20
	v_add_co_ci_u32_e64 v21, null, 0, v21, vcc_lo
	v_add_co_u32 v18, vcc_lo, v18, s34
	v_add_co_ci_u32_e64 v19, null, s35, v19, vcc_lo
	;; [unrolled: 2-line block ×3, first 2 shown]
	v_cmp_le_i64_e32 vcc_lo, s[16:17], v[20:21]
	v_add_co_u32 v14, s2, v14, s34
	v_add_co_ci_u32_e64 v15, null, s35, v15, s2
	s_or_b32 s76, vcc_lo, s76
	s_andn2_b32 exec_lo, exec_lo, s76
	s_cbranch_execz .LBB193_2
.LBB193_7:                              ;   Parent Loop BB193_3 Depth=1
                                        ; =>  This Loop Header: Depth=2
                                        ;       Child Loop BB193_10 Depth 3
                                        ;       Child Loop BB193_14 Depth 3
                                        ;       Child Loop BB193_18 Depth 3
                                        ;       Child Loop BB193_23 Depth 3
                                        ;       Child Loop BB193_27 Depth 3
                                        ;       Child Loop BB193_31 Depth 3
                                        ;       Child Loop BB193_35 Depth 3
                                        ;       Child Loop BB193_39 Depth 3
	s_and_b32 vcc_lo, exec_lo, s33
	s_mov_b32 s2, -1
	s_cbranch_vccz .LBB193_20
; %bb.8:                                ;   in Loop: Header=BB193_7 Depth=2
	v_mov_b32_e32 v23, v13
	v_mov_b32_e32 v22, v12
	s_and_saveexec_b32 s67, s1
	s_cbranch_execz .LBB193_12
; %bb.9:                                ;   in Loop: Header=BB193_7 Depth=2
	v_mov_b32_e32 v25, v19
	v_mov_b32_e32 v27, v3
	;; [unrolled: 1-line block ×6, first 2 shown]
	s_mov_b32 s68, 0
	.p2align	6
.LBB193_10:                             ;   Parent Loop BB193_3 Depth=1
                                        ;     Parent Loop BB193_7 Depth=2
                                        ; =>    This Inner Loop Header: Depth=3
	global_load_dwordx2 v[28:29], v[24:25], off
	v_add_co_u32 v26, s2, v26, s21
	v_add_co_ci_u32_e64 v27, null, 0, v27, s2
	v_add_co_u32 v24, s2, v24, s75
	v_add_co_ci_u32_e64 v25, null, s74, v25, s2
	v_cmp_le_i64_e64 s3, s[14:15], v[26:27]
	s_or_b32 s68, s3, s68
	s_waitcnt vmcnt(0)
	v_cmp_lt_f64_e32 vcc_lo, v[22:23], v[28:29]
	v_cndmask_b32_e32 v23, v23, v29, vcc_lo
	v_cndmask_b32_e32 v22, v22, v28, vcc_lo
	s_andn2_b32 exec_lo, exec_lo, s68
	s_cbranch_execnz .LBB193_10
; %bb.11:                               ;   in Loop: Header=BB193_7 Depth=2
	s_or_b32 exec_lo, exec_lo, s68
.LBB193_12:                             ;   in Loop: Header=BB193_7 Depth=2
	s_or_b32 exec_lo, exec_lo, s67
	v_mov_b32_e32 v24, 0
	v_mov_b32_e32 v25, 0
	s_and_saveexec_b32 s3, s1
	s_cbranch_execz .LBB193_16
; %bb.13:                               ;   in Loop: Header=BB193_7 Depth=2
	v_mov_b32_e32 v24, 0
	v_mov_b32_e32 v27, v19
	;; [unrolled: 1-line block ×6, first 2 shown]
	s_mov_b32 s67, 0
.LBB193_14:                             ;   Parent Loop BB193_3 Depth=1
                                        ;     Parent Loop BB193_7 Depth=2
                                        ; =>    This Inner Loop Header: Depth=3
	global_load_dwordx2 v[31:32], v[26:27], off
	s_waitcnt vmcnt(0)
	v_add_f64 v[31:32], v[31:32], -v[22:23]
	v_mul_f64 v[33:34], v[31:32], s[22:23]
	v_cmp_nlt_f64_e32 vcc_lo, 0x40900000, v[31:32]
	v_cmp_ngt_f64_e64 s2, 0xc090cc00, v[31:32]
	v_rndne_f64_e32 v[33:34], v[33:34]
	v_fma_f64 v[35:36], v[33:34], s[24:25], v[31:32]
	v_cvt_i32_f64_e32 v39, v[33:34]
	v_fma_f64 v[35:36], v[33:34], s[26:27], v[35:36]
	v_fma_f64 v[37:38], v[35:36], s[8:9], s[28:29]
	;; [unrolled: 1-line block ×10, first 2 shown]
	v_fma_f64 v[37:38], v[35:36], v[37:38], 1.0
	v_fma_f64 v[33:34], v[35:36], v[37:38], 1.0
	v_ldexp_f64 v[33:34], v[33:34], v39
	v_cndmask_b32_e32 v34, 0x7ff00000, v34, vcc_lo
	s_and_b32 vcc_lo, s2, vcc_lo
	v_cndmask_b32_e32 v31, 0, v33, vcc_lo
	v_add_co_u32 v28, vcc_lo, v28, s21
	v_cndmask_b32_e64 v32, 0, v34, s2
	v_add_co_ci_u32_e64 v29, null, 0, v29, vcc_lo
	v_add_co_u32 v26, s2, v26, s75
	v_add_f64 v[24:25], v[24:25], v[31:32]
	v_cmp_le_i64_e32 vcc_lo, s[14:15], v[28:29]
	v_add_co_ci_u32_e64 v27, null, s74, v27, s2
	s_or_b32 s67, vcc_lo, s67
	s_andn2_b32 exec_lo, exec_lo, s67
	s_cbranch_execnz .LBB193_14
; %bb.15:                               ;   in Loop: Header=BB193_7 Depth=2
	s_or_b32 exec_lo, exec_lo, s67
.LBB193_16:                             ;   in Loop: Header=BB193_7 Depth=2
	s_or_b32 exec_lo, exec_lo, s3
	s_and_saveexec_b32 s3, s1
	s_cbranch_execz .LBB193_19
; %bb.17:                               ;   in Loop: Header=BB193_7 Depth=2
	v_frexp_mant_f64_e32 v[26:27], v[24:25]
	s_mov_b32 s67, s53
	s_mov_b32 s68, s24
	;; [unrolled: 1-line block ×3, first 2 shown]
	s_mov_b64 s[72:73], 0
	v_cmp_gt_f64_e32 vcc_lo, s[52:53], v[26:27]
	v_cndmask_b32_e64 v28, 0, 1, vcc_lo
	v_ldexp_f64 v[26:27], v[26:27], v28
	v_add_f64 v[28:29], v[26:27], 1.0
	v_add_f64 v[35:36], v[26:27], -1.0
	v_rcp_f64_e32 v[31:32], v[28:29]
	v_add_f64 v[37:38], v[28:29], -1.0
	v_add_f64 v[26:27], v[26:27], -v[37:38]
	v_fma_f64 v[33:34], -v[28:29], v[31:32], 1.0
	v_fma_f64 v[31:32], v[33:34], v[31:32], v[31:32]
	v_fma_f64 v[33:34], -v[28:29], v[31:32], 1.0
	v_fma_f64 v[31:32], v[33:34], v[31:32], v[31:32]
	v_mul_f64 v[33:34], v[35:36], v[31:32]
	v_mul_f64 v[39:40], v[28:29], v[33:34]
	v_fma_f64 v[28:29], v[33:34], v[28:29], -v[39:40]
	v_fma_f64 v[26:27], v[33:34], v[26:27], v[28:29]
	v_add_f64 v[28:29], v[39:40], v[26:27]
	v_add_f64 v[37:38], v[35:36], -v[28:29]
	v_add_f64 v[39:40], v[28:29], -v[39:40]
	;; [unrolled: 1-line block ×4, first 2 shown]
	v_frexp_exp_i32_f64_e32 v39, v[24:25]
	v_add_f64 v[28:29], v[35:36], -v[28:29]
	v_add_f64 v[26:27], v[26:27], v[28:29]
	v_add_f64 v[26:27], v[37:38], v[26:27]
	v_mul_f64 v[26:27], v[31:32], v[26:27]
	v_add_f64 v[28:29], v[33:34], v[26:27]
	v_mul_f64 v[31:32], v[28:29], v[28:29]
	v_fma_f64 v[35:36], v[31:32], s[56:57], s[54:55]
	v_mul_f64 v[37:38], v[28:29], v[31:32]
	v_fma_f64 v[35:36], v[31:32], v[35:36], s[58:59]
	v_fma_f64 v[35:36], v[31:32], v[35:36], s[60:61]
	;; [unrolled: 1-line block ×5, first 2 shown]
	v_ldexp_f64 v[35:36], v[28:29], 1
	v_add_f64 v[28:29], v[28:29], -v[33:34]
	s_mov_b32 s67, 0
	v_mul_f64 v[31:32], v[37:38], v[31:32]
	v_subrev_co_ci_u32_e64 v37, null, 0, v39, vcc_lo
	v_add_f64 v[26:27], v[26:27], -v[28:29]
	v_cmp_class_f64_e64 vcc_lo, v[24:25], 0x204
	v_cvt_f64_i32_e32 v[37:38], v37
	v_add_f64 v[33:34], v[35:36], v[31:32]
	v_ldexp_f64 v[26:27], v[26:27], 1
	v_mul_f64 v[39:40], v[37:38], s[68:69]
	v_add_f64 v[28:29], v[33:34], -v[35:36]
	v_fma_f64 v[35:36], v[37:38], s[68:69], -v[39:40]
	v_add_f64 v[28:29], v[31:32], -v[28:29]
	v_fma_f64 v[31:32], v[37:38], s[70:71], v[35:36]
	v_add_f64 v[26:27], v[26:27], v[28:29]
	v_add_f64 v[28:29], v[39:40], v[31:32]
	v_add_f64 v[35:36], v[33:34], v[26:27]
	v_add_f64 v[39:40], v[28:29], -v[39:40]
	v_add_f64 v[37:38], v[28:29], v[35:36]
	v_add_f64 v[33:34], v[35:36], -v[33:34]
	v_add_f64 v[31:32], v[31:32], -v[39:40]
	v_add_f64 v[41:42], v[37:38], -v[28:29]
	v_add_f64 v[26:27], v[26:27], -v[33:34]
	v_add_f64 v[43:44], v[37:38], -v[41:42]
	v_add_f64 v[33:34], v[35:36], -v[41:42]
	v_add_f64 v[35:36], v[31:32], v[26:27]
	v_add_f64 v[28:29], v[28:29], -v[43:44]
	v_add_f64 v[28:29], v[33:34], v[28:29]
	v_add_f64 v[33:34], v[35:36], -v[31:32]
	;; [unrolled: 2-line block ×3, first 2 shown]
	v_add_f64 v[26:27], v[26:27], -v[33:34]
	v_add_f64 v[39:40], v[37:38], v[28:29]
	v_add_f64 v[31:32], v[31:32], -v[35:36]
	v_add_f64 v[33:34], v[39:40], -v[37:38]
	v_add_f64 v[26:27], v[26:27], v[31:32]
	v_add_f64 v[28:29], v[28:29], -v[33:34]
	v_add_f64 v[26:27], v[26:27], v[28:29]
	v_add_f64 v[26:27], v[39:40], v[26:27]
	v_cndmask_b32_e32 v26, v26, v24, vcc_lo
	v_cndmask_b32_e32 v27, v27, v25, vcc_lo
	v_cmp_ngt_f64_e32 vcc_lo, 0, v[24:25]
	v_cndmask_b32_e32 v27, 0x7ff80000, v27, vcc_lo
	v_cmp_nge_f64_e32 vcc_lo, 0, v[24:25]
	v_cndmask_b32_e32 v26, 0, v26, vcc_lo
	v_cmp_neq_f64_e32 vcc_lo, 0, v[24:25]
	v_mov_b32_e32 v25, v3
	v_mov_b32_e32 v24, v2
	v_cndmask_b32_e32 v27, 0xfff00000, v27, vcc_lo
	.p2align	6
.LBB193_18:                             ;   Parent Loop BB193_3 Depth=1
                                        ;     Parent Loop BB193_7 Depth=2
                                        ; =>    This Inner Loop Header: Depth=3
	v_add_co_u32 v28, vcc_lo, v16, s72
	v_add_co_ci_u32_e64 v29, null, s73, v17, vcc_lo
	v_add_co_u32 v24, vcc_lo, v24, s21
	v_add_co_ci_u32_e64 v25, null, 0, v25, vcc_lo
	global_load_dwordx2 v[28:29], v[28:29], off
	v_add_co_u32 v31, s2, v14, s72
	v_cmp_le_i64_e32 vcc_lo, s[14:15], v[24:25]
	v_add_co_ci_u32_e64 v32, null, s73, v15, s2
	s_add_u32 s72, s72, s75
	s_addc_u32 s73, s73, s74
	s_or_b32 s67, vcc_lo, s67
	s_waitcnt vmcnt(0)
	v_add_f64 v[28:29], v[28:29], -v[22:23]
	v_add_f64 v[28:29], v[28:29], -v[26:27]
	global_store_dwordx2 v[31:32], v[28:29], off
	s_andn2_b32 exec_lo, exec_lo, s67
	s_cbranch_execnz .LBB193_18
.LBB193_19:                             ;   in Loop: Header=BB193_7 Depth=2
	s_or_b32 exec_lo, exec_lo, s3
	s_mov_b32 s2, 0
.LBB193_20:                             ;   in Loop: Header=BB193_7 Depth=2
	s_and_b32 vcc_lo, exec_lo, s2
	s_cbranch_vccz .LBB193_6
; %bb.21:                               ;   in Loop: Header=BB193_7 Depth=2
	v_mov_b32_e32 v23, v13
	v_mov_b32_e32 v22, v12
	s_and_saveexec_b32 s67, s1
	s_cbranch_execz .LBB193_25
; %bb.22:                               ;   in Loop: Header=BB193_7 Depth=2
	v_mov_b32_e32 v25, v19
	v_mov_b32_e32 v27, v3
	v_mov_b32_e32 v23, v13
	v_mov_b32_e32 v24, v18
	v_mov_b32_e32 v26, v2
	v_mov_b32_e32 v22, v12
	s_mov_b32 s68, 0
	.p2align	6
.LBB193_23:                             ;   Parent Loop BB193_3 Depth=1
                                        ;     Parent Loop BB193_7 Depth=2
                                        ; =>    This Inner Loop Header: Depth=3
	global_load_dwordx2 v[28:29], v[24:25], off
	v_add_co_u32 v26, s2, v26, s21
	v_add_co_ci_u32_e64 v27, null, 0, v27, s2
	v_add_co_u32 v24, s2, v24, s75
	v_add_co_ci_u32_e64 v25, null, s74, v25, s2
	v_cmp_le_i64_e64 s3, s[14:15], v[26:27]
	s_or_b32 s68, s3, s68
	s_waitcnt vmcnt(0)
	v_cmp_lt_f64_e32 vcc_lo, v[22:23], v[28:29]
	v_cndmask_b32_e32 v23, v23, v29, vcc_lo
	v_cndmask_b32_e32 v22, v22, v28, vcc_lo
	s_andn2_b32 exec_lo, exec_lo, s68
	s_cbranch_execnz .LBB193_23
; %bb.24:                               ;   in Loop: Header=BB193_7 Depth=2
	s_or_b32 exec_lo, exec_lo, s68
.LBB193_25:                             ;   in Loop: Header=BB193_7 Depth=2
	s_or_b32 exec_lo, exec_lo, s67
	s_mov_b32 s2, s21
	s_waitcnt_vscnt null, 0x0
	s_barrier
	buffer_gl0_inv
	ds_write_b64 v30, v[22:23]
	s_branch .LBB193_27
	.p2align	6
.LBB193_26:                             ;   in Loop: Header=BB193_27 Depth=3
	s_or_b32 exec_lo, exec_lo, s67
	s_cmp_gt_u32 s2, 3
	s_mov_b32 s2, s3
	s_cbranch_scc0 .LBB193_29
.LBB193_27:                             ;   Parent Loop BB193_3 Depth=1
                                        ;     Parent Loop BB193_7 Depth=2
                                        ; =>    This Inner Loop Header: Depth=3
	s_lshr_b32 s3, s2, 1
	s_mov_b32 s67, exec_lo
	s_waitcnt lgkmcnt(0)
	s_barrier
	buffer_gl0_inv
	v_cmpx_gt_u32_e64 s3, v2
	s_cbranch_execz .LBB193_26
; %bb.28:                               ;   in Loop: Header=BB193_27 Depth=3
	v_lshl_add_u32 v24, s3, 3, v30
	ds_read_b64 v[22:23], v30
	ds_read_b64 v[24:25], v24
	s_waitcnt lgkmcnt(0)
	v_cmp_lt_f64_e32 vcc_lo, v[22:23], v[24:25]
	v_cndmask_b32_e32 v23, v23, v25, vcc_lo
	v_cndmask_b32_e32 v22, v22, v24, vcc_lo
	ds_write_b64 v30, v[22:23]
	s_branch .LBB193_26
.LBB193_29:                             ;   in Loop: Header=BB193_7 Depth=2
	s_waitcnt lgkmcnt(0)
	s_barrier
	buffer_gl0_inv
	ds_read_b64 v[22:23], v0
	v_mov_b32_e32 v24, 0
	v_mov_b32_e32 v25, 0
	s_and_saveexec_b32 s3, s1
	s_cbranch_execz .LBB193_33
; %bb.30:                               ;   in Loop: Header=BB193_7 Depth=2
	v_mov_b32_e32 v24, 0
	v_mov_b32_e32 v27, v19
	;; [unrolled: 1-line block ×6, first 2 shown]
	s_mov_b32 s67, 0
.LBB193_31:                             ;   Parent Loop BB193_3 Depth=1
                                        ;     Parent Loop BB193_7 Depth=2
                                        ; =>    This Inner Loop Header: Depth=3
	global_load_dwordx2 v[31:32], v[26:27], off
	s_waitcnt vmcnt(0) lgkmcnt(0)
	v_add_f64 v[31:32], v[31:32], -v[22:23]
	v_mul_f64 v[33:34], v[31:32], s[22:23]
	v_cmp_nlt_f64_e32 vcc_lo, 0x40900000, v[31:32]
	v_cmp_ngt_f64_e64 s2, 0xc090cc00, v[31:32]
	v_rndne_f64_e32 v[33:34], v[33:34]
	v_fma_f64 v[35:36], v[33:34], s[24:25], v[31:32]
	v_cvt_i32_f64_e32 v39, v[33:34]
	v_fma_f64 v[35:36], v[33:34], s[26:27], v[35:36]
	v_fma_f64 v[37:38], v[35:36], s[8:9], s[28:29]
	;; [unrolled: 1-line block ×10, first 2 shown]
	v_fma_f64 v[37:38], v[35:36], v[37:38], 1.0
	v_fma_f64 v[33:34], v[35:36], v[37:38], 1.0
	v_ldexp_f64 v[33:34], v[33:34], v39
	v_cndmask_b32_e32 v34, 0x7ff00000, v34, vcc_lo
	s_and_b32 vcc_lo, s2, vcc_lo
	v_cndmask_b32_e32 v31, 0, v33, vcc_lo
	v_add_co_u32 v28, vcc_lo, v28, s21
	v_cndmask_b32_e64 v32, 0, v34, s2
	v_add_co_ci_u32_e64 v29, null, 0, v29, vcc_lo
	v_add_co_u32 v26, s2, v26, s75
	v_add_f64 v[24:25], v[24:25], v[31:32]
	v_cmp_le_i64_e32 vcc_lo, s[14:15], v[28:29]
	v_add_co_ci_u32_e64 v27, null, s74, v27, s2
	s_or_b32 s67, vcc_lo, s67
	s_andn2_b32 exec_lo, exec_lo, s67
	s_cbranch_execnz .LBB193_31
; %bb.32:                               ;   in Loop: Header=BB193_7 Depth=2
	s_or_b32 exec_lo, exec_lo, s67
.LBB193_33:                             ;   in Loop: Header=BB193_7 Depth=2
	s_or_b32 exec_lo, exec_lo, s3
	s_mov_b32 s2, s21
	s_waitcnt lgkmcnt(0)
	s_barrier
	buffer_gl0_inv
	ds_write_b64 v30, v[24:25]
	s_branch .LBB193_35
	.p2align	6
.LBB193_34:                             ;   in Loop: Header=BB193_35 Depth=3
	s_or_b32 exec_lo, exec_lo, s67
	s_cmp_gt_u32 s2, 3
	s_mov_b32 s2, s3
	s_cbranch_scc0 .LBB193_37
.LBB193_35:                             ;   Parent Loop BB193_3 Depth=1
                                        ;     Parent Loop BB193_7 Depth=2
                                        ; =>    This Inner Loop Header: Depth=3
	s_lshr_b32 s3, s2, 1
	s_mov_b32 s67, exec_lo
	s_waitcnt lgkmcnt(0)
	s_barrier
	buffer_gl0_inv
	v_cmpx_gt_u32_e64 s3, v2
	s_cbranch_execz .LBB193_34
; %bb.36:                               ;   in Loop: Header=BB193_35 Depth=3
	v_lshl_add_u32 v26, s3, 3, v30
	ds_read_b64 v[24:25], v30
	ds_read_b64 v[26:27], v26
	s_waitcnt lgkmcnt(0)
	v_add_f64 v[24:25], v[24:25], v[26:27]
	ds_write_b64 v30, v[24:25]
	s_branch .LBB193_34
.LBB193_37:                             ;   in Loop: Header=BB193_7 Depth=2
	s_waitcnt lgkmcnt(0)
	s_barrier
	buffer_gl0_inv
	s_and_saveexec_b32 s3, s1
	s_cbranch_execz .LBB193_5
; %bb.38:                               ;   in Loop: Header=BB193_7 Depth=2
	ds_read_b64 v[25:26], v0
	s_mov_b32 s67, s53
	s_mov_b32 s68, s24
	;; [unrolled: 1-line block ×3, first 2 shown]
	s_mov_b64 s[72:73], 0
	s_waitcnt lgkmcnt(0)
	v_frexp_mant_f64_e32 v[27:28], v[25:26]
	v_cmp_gt_f64_e32 vcc_lo, s[52:53], v[27:28]
	v_cndmask_b32_e64 v24, 0, 1, vcc_lo
	v_ldexp_f64 v[27:28], v[27:28], v24
	v_frexp_exp_i32_f64_e32 v24, v[25:26]
	v_add_f64 v[31:32], v[27:28], 1.0
	v_add_f64 v[37:38], v[27:28], -1.0
	v_subrev_co_ci_u32_e64 v24, null, 0, v24, vcc_lo
	v_cmp_class_f64_e64 vcc_lo, v[25:26], 0x204
	v_rcp_f64_e32 v[33:34], v[31:32]
	v_add_f64 v[39:40], v[31:32], -1.0
	v_add_f64 v[27:28], v[27:28], -v[39:40]
	v_fma_f64 v[35:36], -v[31:32], v[33:34], 1.0
	v_fma_f64 v[33:34], v[35:36], v[33:34], v[33:34]
	v_fma_f64 v[35:36], -v[31:32], v[33:34], 1.0
	v_fma_f64 v[33:34], v[35:36], v[33:34], v[33:34]
	v_mul_f64 v[35:36], v[37:38], v[33:34]
	v_mul_f64 v[41:42], v[31:32], v[35:36]
	v_fma_f64 v[31:32], v[35:36], v[31:32], -v[41:42]
	v_fma_f64 v[27:28], v[35:36], v[27:28], v[31:32]
	v_add_f64 v[31:32], v[41:42], v[27:28]
	v_add_f64 v[39:40], v[37:38], -v[31:32]
	v_add_f64 v[41:42], v[31:32], -v[41:42]
	;; [unrolled: 1-line block ×5, first 2 shown]
	v_add_f64 v[27:28], v[27:28], v[31:32]
	v_add_f64 v[27:28], v[39:40], v[27:28]
	v_mul_f64 v[27:28], v[33:34], v[27:28]
	v_add_f64 v[31:32], v[35:36], v[27:28]
	v_mul_f64 v[33:34], v[31:32], v[31:32]
	v_fma_f64 v[37:38], v[33:34], s[56:57], s[54:55]
	v_mul_f64 v[39:40], v[31:32], v[33:34]
	v_fma_f64 v[37:38], v[33:34], v[37:38], s[58:59]
	v_fma_f64 v[37:38], v[33:34], v[37:38], s[60:61]
	;; [unrolled: 1-line block ×5, first 2 shown]
	v_ldexp_f64 v[37:38], v[31:32], 1
	v_add_f64 v[31:32], v[31:32], -v[35:36]
	s_mov_b32 s67, 0
	v_mul_f64 v[33:34], v[39:40], v[33:34]
	v_cvt_f64_i32_e32 v[39:40], v24
	v_add_f64 v[27:28], v[27:28], -v[31:32]
	v_add_f64 v[35:36], v[37:38], v[33:34]
	v_mul_f64 v[41:42], v[39:40], s[68:69]
	v_ldexp_f64 v[27:28], v[27:28], 1
	v_add_f64 v[31:32], v[35:36], -v[37:38]
	v_fma_f64 v[37:38], v[39:40], s[68:69], -v[41:42]
	v_add_f64 v[31:32], v[33:34], -v[31:32]
	v_fma_f64 v[33:34], v[39:40], s[70:71], v[37:38]
	v_add_f64 v[27:28], v[27:28], v[31:32]
	v_add_f64 v[31:32], v[41:42], v[33:34]
	;; [unrolled: 1-line block ×3, first 2 shown]
	v_add_f64 v[41:42], v[31:32], -v[41:42]
	v_add_f64 v[39:40], v[31:32], v[37:38]
	v_add_f64 v[35:36], v[37:38], -v[35:36]
	v_add_f64 v[33:34], v[33:34], -v[41:42]
	;; [unrolled: 1-line block ×6, first 2 shown]
	v_add_f64 v[37:38], v[33:34], v[27:28]
	v_add_f64 v[31:32], v[31:32], -v[45:46]
	v_add_f64 v[31:32], v[35:36], v[31:32]
	v_add_f64 v[35:36], v[37:38], -v[33:34]
	;; [unrolled: 2-line block ×3, first 2 shown]
	v_add_f64 v[27:28], v[27:28], -v[35:36]
	v_add_f64 v[41:42], v[39:40], v[31:32]
	v_add_f64 v[33:34], v[33:34], -v[37:38]
	v_add_f64 v[35:36], v[41:42], -v[39:40]
	v_add_f64 v[27:28], v[27:28], v[33:34]
	v_add_f64 v[31:32], v[31:32], -v[35:36]
	v_add_f64 v[27:28], v[27:28], v[31:32]
	v_add_f64 v[27:28], v[41:42], v[27:28]
	v_cndmask_b32_e32 v24, v27, v25, vcc_lo
	v_cndmask_b32_e32 v27, v28, v26, vcc_lo
	v_cmp_ngt_f64_e32 vcc_lo, 0, v[25:26]
	v_cndmask_b32_e32 v27, 0x7ff80000, v27, vcc_lo
	v_cmp_nge_f64_e32 vcc_lo, 0, v[25:26]
	v_cndmask_b32_e32 v24, 0, v24, vcc_lo
	v_cmp_neq_f64_e32 vcc_lo, 0, v[25:26]
	v_cndmask_b32_e32 v25, 0xfff00000, v27, vcc_lo
	v_mov_b32_e32 v27, v3
	v_mov_b32_e32 v26, v2
	.p2align	6
.LBB193_39:                             ;   Parent Loop BB193_3 Depth=1
                                        ;     Parent Loop BB193_7 Depth=2
                                        ; =>    This Inner Loop Header: Depth=3
	v_add_co_u32 v28, vcc_lo, v16, s72
	v_add_co_ci_u32_e64 v29, null, s73, v17, vcc_lo
	v_add_co_u32 v26, vcc_lo, v26, s21
	v_add_co_ci_u32_e64 v27, null, 0, v27, vcc_lo
	global_load_dwordx2 v[28:29], v[28:29], off
	v_add_co_u32 v31, s2, v14, s72
	v_cmp_le_i64_e32 vcc_lo, s[14:15], v[26:27]
	v_add_co_ci_u32_e64 v32, null, s73, v15, s2
	s_add_u32 s72, s72, s75
	s_addc_u32 s73, s73, s74
	s_or_b32 s67, vcc_lo, s67
	s_waitcnt vmcnt(0)
	v_add_f64 v[28:29], v[28:29], -v[22:23]
	v_add_f64 v[28:29], v[28:29], -v[24:25]
	global_store_dwordx2 v[31:32], v[28:29], off
	s_andn2_b32 exec_lo, exec_lo, s67
	s_cbranch_execnz .LBB193_39
	s_branch .LBB193_5
.LBB193_40:
	s_endpgm
	.section	.rodata,"a",@progbits
	.p2align	6, 0x0
	.amdhsa_kernel _ZN2at6native12_GLOBAL__N_126cunn_SpatialSoftMaxForwardIdddlNS1_25LogSoftMaxForwardEpilogueEEEvPT1_PKT_T2_S9_S9_
		.amdhsa_group_segment_fixed_size 0
		.amdhsa_private_segment_fixed_size 0
		.amdhsa_kernarg_size 296
		.amdhsa_user_sgpr_count 6
		.amdhsa_user_sgpr_private_segment_buffer 1
		.amdhsa_user_sgpr_dispatch_ptr 0
		.amdhsa_user_sgpr_queue_ptr 0
		.amdhsa_user_sgpr_kernarg_segment_ptr 1
		.amdhsa_user_sgpr_dispatch_id 0
		.amdhsa_user_sgpr_flat_scratch_init 0
		.amdhsa_user_sgpr_private_segment_size 0
		.amdhsa_wavefront_size32 1
		.amdhsa_uses_dynamic_stack 0
		.amdhsa_system_sgpr_private_segment_wavefront_offset 0
		.amdhsa_system_sgpr_workgroup_id_x 1
		.amdhsa_system_sgpr_workgroup_id_y 1
		.amdhsa_system_sgpr_workgroup_id_z 0
		.amdhsa_system_sgpr_workgroup_info 0
		.amdhsa_system_vgpr_workitem_id 1
		.amdhsa_next_free_vgpr 47
		.amdhsa_next_free_sgpr 77
		.amdhsa_reserve_vcc 1
		.amdhsa_reserve_flat_scratch 0
		.amdhsa_float_round_mode_32 0
		.amdhsa_float_round_mode_16_64 0
		.amdhsa_float_denorm_mode_32 3
		.amdhsa_float_denorm_mode_16_64 3
		.amdhsa_dx10_clamp 1
		.amdhsa_ieee_mode 1
		.amdhsa_fp16_overflow 0
		.amdhsa_workgroup_processor_mode 1
		.amdhsa_memory_ordered 1
		.amdhsa_forward_progress 1
		.amdhsa_shared_vgpr_count 0
		.amdhsa_exception_fp_ieee_invalid_op 0
		.amdhsa_exception_fp_denorm_src 0
		.amdhsa_exception_fp_ieee_div_zero 0
		.amdhsa_exception_fp_ieee_overflow 0
		.amdhsa_exception_fp_ieee_underflow 0
		.amdhsa_exception_fp_ieee_inexact 0
		.amdhsa_exception_int_div_zero 0
	.end_amdhsa_kernel
	.section	.text._ZN2at6native12_GLOBAL__N_126cunn_SpatialSoftMaxForwardIdddlNS1_25LogSoftMaxForwardEpilogueEEEvPT1_PKT_T2_S9_S9_,"axG",@progbits,_ZN2at6native12_GLOBAL__N_126cunn_SpatialSoftMaxForwardIdddlNS1_25LogSoftMaxForwardEpilogueEEEvPT1_PKT_T2_S9_S9_,comdat
.Lfunc_end193:
	.size	_ZN2at6native12_GLOBAL__N_126cunn_SpatialSoftMaxForwardIdddlNS1_25LogSoftMaxForwardEpilogueEEEvPT1_PKT_T2_S9_S9_, .Lfunc_end193-_ZN2at6native12_GLOBAL__N_126cunn_SpatialSoftMaxForwardIdddlNS1_25LogSoftMaxForwardEpilogueEEEvPT1_PKT_T2_S9_S9_
                                        ; -- End function
	.set _ZN2at6native12_GLOBAL__N_126cunn_SpatialSoftMaxForwardIdddlNS1_25LogSoftMaxForwardEpilogueEEEvPT1_PKT_T2_S9_S9_.num_vgpr, 47
	.set _ZN2at6native12_GLOBAL__N_126cunn_SpatialSoftMaxForwardIdddlNS1_25LogSoftMaxForwardEpilogueEEEvPT1_PKT_T2_S9_S9_.num_agpr, 0
	.set _ZN2at6native12_GLOBAL__N_126cunn_SpatialSoftMaxForwardIdddlNS1_25LogSoftMaxForwardEpilogueEEEvPT1_PKT_T2_S9_S9_.numbered_sgpr, 77
	.set _ZN2at6native12_GLOBAL__N_126cunn_SpatialSoftMaxForwardIdddlNS1_25LogSoftMaxForwardEpilogueEEEvPT1_PKT_T2_S9_S9_.num_named_barrier, 0
	.set _ZN2at6native12_GLOBAL__N_126cunn_SpatialSoftMaxForwardIdddlNS1_25LogSoftMaxForwardEpilogueEEEvPT1_PKT_T2_S9_S9_.private_seg_size, 0
	.set _ZN2at6native12_GLOBAL__N_126cunn_SpatialSoftMaxForwardIdddlNS1_25LogSoftMaxForwardEpilogueEEEvPT1_PKT_T2_S9_S9_.uses_vcc, 1
	.set _ZN2at6native12_GLOBAL__N_126cunn_SpatialSoftMaxForwardIdddlNS1_25LogSoftMaxForwardEpilogueEEEvPT1_PKT_T2_S9_S9_.uses_flat_scratch, 0
	.set _ZN2at6native12_GLOBAL__N_126cunn_SpatialSoftMaxForwardIdddlNS1_25LogSoftMaxForwardEpilogueEEEvPT1_PKT_T2_S9_S9_.has_dyn_sized_stack, 0
	.set _ZN2at6native12_GLOBAL__N_126cunn_SpatialSoftMaxForwardIdddlNS1_25LogSoftMaxForwardEpilogueEEEvPT1_PKT_T2_S9_S9_.has_recursion, 0
	.set _ZN2at6native12_GLOBAL__N_126cunn_SpatialSoftMaxForwardIdddlNS1_25LogSoftMaxForwardEpilogueEEEvPT1_PKT_T2_S9_S9_.has_indirect_call, 0
	.section	.AMDGPU.csdata,"",@progbits
; Kernel info:
; codeLenInByte = 3956
; TotalNumSgprs: 79
; NumVgprs: 47
; ScratchSize: 0
; MemoryBound: 0
; FloatMode: 240
; IeeeMode: 1
; LDSByteSize: 0 bytes/workgroup (compile time only)
; SGPRBlocks: 0
; VGPRBlocks: 5
; NumSGPRsForWavesPerEU: 79
; NumVGPRsForWavesPerEU: 47
; Occupancy: 16
; WaveLimiterHint : 0
; COMPUTE_PGM_RSRC2:SCRATCH_EN: 0
; COMPUTE_PGM_RSRC2:USER_SGPR: 6
; COMPUTE_PGM_RSRC2:TRAP_HANDLER: 0
; COMPUTE_PGM_RSRC2:TGID_X_EN: 1
; COMPUTE_PGM_RSRC2:TGID_Y_EN: 1
; COMPUTE_PGM_RSRC2:TGID_Z_EN: 0
; COMPUTE_PGM_RSRC2:TIDIG_COMP_CNT: 1
	.section	.text._ZN2at6native12_GLOBAL__N_126cunn_SpatialSoftMaxForwardIfffiNS1_25LogSoftMaxForwardEpilogueEEEvPT1_PKT_T2_S9_S9_,"axG",@progbits,_ZN2at6native12_GLOBAL__N_126cunn_SpatialSoftMaxForwardIfffiNS1_25LogSoftMaxForwardEpilogueEEEvPT1_PKT_T2_S9_S9_,comdat
	.globl	_ZN2at6native12_GLOBAL__N_126cunn_SpatialSoftMaxForwardIfffiNS1_25LogSoftMaxForwardEpilogueEEEvPT1_PKT_T2_S9_S9_ ; -- Begin function _ZN2at6native12_GLOBAL__N_126cunn_SpatialSoftMaxForwardIfffiNS1_25LogSoftMaxForwardEpilogueEEEvPT1_PKT_T2_S9_S9_
	.p2align	8
	.type	_ZN2at6native12_GLOBAL__N_126cunn_SpatialSoftMaxForwardIfffiNS1_25LogSoftMaxForwardEpilogueEEEvPT1_PKT_T2_S9_S9_,@function
_ZN2at6native12_GLOBAL__N_126cunn_SpatialSoftMaxForwardIfffiNS1_25LogSoftMaxForwardEpilogueEEEvPT1_PKT_T2_S9_S9_: ; @_ZN2at6native12_GLOBAL__N_126cunn_SpatialSoftMaxForwardIfffiNS1_25LogSoftMaxForwardEpilogueEEEvPT1_PKT_T2_S9_S9_
; %bb.0:
	s_load_dwordx4 s[8:11], s[4:5], 0x10
	s_waitcnt lgkmcnt(0)
	s_cmp_ge_i32 s6, s8
	s_cbranch_scc1 .LBB194_36
; %bb.1:
	s_clause 0x1
	s_load_dword s0, s[4:5], 0x2c
	s_load_dwordx2 s[16:17], s[4:5], 0x20
	v_mad_u64_u32 v[2:3], null, s6, s9, v[0:1]
	s_load_dwordx4 s[12:15], s[4:5], 0x0
	s_add_u32 s4, s4, 32
	s_addc_u32 s5, s5, 0
	v_mul_lo_u32 v2, s10, v2
	s_waitcnt lgkmcnt(0)
	s_lshr_b32 s2, s0, 16
	v_cmp_gt_i32_e64 s0, s9, v0
	s_mul_i32 s7, s7, s2
	s_mul_i32 s3, s17, s2
	v_add_nc_u32_e32 v4, s7, v1
	v_add3_u32 v5, v1, v2, s7
	s_mul_i32 s7, s16, s10
	s_mul_i32 s7, s7, s9
	v_cmp_gt_i32_e64 s1, s10, v4
	s_branch .LBB194_3
.LBB194_2:                              ;   in Loop: Header=BB194_3 Depth=1
	s_or_b32 exec_lo, exec_lo, s11
	v_add_nc_u32_e32 v5, s7, v5
	s_add_i32 s6, s16, s6
	s_cmp_ge_i32 s6, s8
	s_cbranch_scc1 .LBB194_36
.LBB194_3:                              ; =>This Loop Header: Depth=1
                                        ;     Child Loop BB194_7 Depth 2
                                        ;       Child Loop BB194_10 Depth 3
                                        ;       Child Loop BB194_12 Depth 3
	;; [unrolled: 1-line block ×8, first 2 shown]
	s_and_saveexec_b32 s11, s1
	s_cbranch_execz .LBB194_2
; %bb.4:                                ;   in Loop: Header=BB194_3 Depth=1
	s_load_dword s2, s[4:5], 0xc
	v_mov_b32_e32 v7, v5
	v_mov_b32_e32 v9, v4
	s_mov_b32 s20, 0
	s_waitcnt lgkmcnt(0)
	s_and_b32 s17, s2, 0xffff
	v_mul_u32_u24_e32 v2, s17, v1
	s_cmp_lt_u32 s17, 2
	s_mul_i32 s19, s10, s17
	s_cselect_b32 s18, -1, 0
	v_lshl_add_u32 v6, v2, 2, 0
	v_lshl_add_u32 v8, v0, 2, v6
	s_branch .LBB194_7
.LBB194_5:                              ;   in Loop: Header=BB194_7 Depth=2
	s_or_b32 exec_lo, exec_lo, s21
.LBB194_6:                              ;   in Loop: Header=BB194_7 Depth=2
	v_add_nc_u32_e32 v9, s3, v9
	v_add_nc_u32_e32 v7, s3, v7
	v_cmp_le_i32_e32 vcc_lo, s10, v9
	s_or_b32 s20, vcc_lo, s20
	s_andn2_b32 exec_lo, exec_lo, s20
	s_cbranch_execz .LBB194_2
.LBB194_7:                              ;   Parent Loop BB194_3 Depth=1
                                        ; =>  This Loop Header: Depth=2
                                        ;       Child Loop BB194_10 Depth 3
                                        ;       Child Loop BB194_12 Depth 3
	;; [unrolled: 1-line block ×8, first 2 shown]
	s_and_b32 vcc_lo, exec_lo, s18
	s_mov_b32 s2, -1
	s_cbranch_vccz .LBB194_16
; %bb.8:                                ;   in Loop: Header=BB194_7 Depth=2
	s_and_saveexec_b32 s21, s0
	s_cbranch_execz .LBB194_15
; %bb.9:                                ;   in Loop: Header=BB194_7 Depth=2
	v_mov_b32_e32 v10, 0xff7fffff
	v_mov_b32_e32 v2, v7
	;; [unrolled: 1-line block ×3, first 2 shown]
	s_mov_b32 s22, 0
	.p2align	6
.LBB194_10:                             ;   Parent Loop BB194_3 Depth=1
                                        ;     Parent Loop BB194_7 Depth=2
                                        ; =>    This Inner Loop Header: Depth=3
	v_ashrrev_i32_e32 v3, 31, v2
	v_add_nc_u32_e32 v11, s17, v11
	v_lshlrev_b64 v[12:13], 2, v[2:3]
	v_add_nc_u32_e32 v2, s19, v2
	v_add_co_u32 v12, vcc_lo, s14, v12
	v_add_co_ci_u32_e64 v13, null, s15, v13, vcc_lo
	v_cmp_le_i32_e32 vcc_lo, s9, v11
	global_load_dword v3, v[12:13], off
	s_or_b32 s22, vcc_lo, s22
	s_waitcnt vmcnt(0)
	v_cmp_lt_f32_e64 s2, v10, v3
	v_cndmask_b32_e64 v10, v10, v3, s2
	s_andn2_b32 exec_lo, exec_lo, s22
	s_cbranch_execnz .LBB194_10
; %bb.11:                               ;   in Loop: Header=BB194_7 Depth=2
	s_or_b32 exec_lo, exec_lo, s22
	v_mov_b32_e32 v11, 0
	v_mov_b32_e32 v2, v7
	v_mov_b32_e32 v12, v0
	s_mov_b32 s2, 0
	s_inst_prefetch 0x1
	.p2align	6
.LBB194_12:                             ;   Parent Loop BB194_3 Depth=1
                                        ;     Parent Loop BB194_7 Depth=2
                                        ; =>    This Inner Loop Header: Depth=3
	v_ashrrev_i32_e32 v3, 31, v2
	v_add_nc_u32_e32 v12, s17, v12
	v_lshlrev_b64 v[13:14], 2, v[2:3]
	v_add_nc_u32_e32 v2, s19, v2
	v_add_co_u32 v13, vcc_lo, s14, v13
	v_add_co_ci_u32_e64 v14, null, s15, v14, vcc_lo
	global_load_dword v3, v[13:14], off
	s_waitcnt vmcnt(0)
	v_sub_f32_e32 v3, v3, v10
	v_mul_f32_e32 v13, 0x3fb8aa3b, v3
	v_cmp_ngt_f32_e32 vcc_lo, 0xc2ce8ed0, v3
	v_fma_f32 v14, 0x3fb8aa3b, v3, -v13
	v_rndne_f32_e32 v15, v13
	v_fmac_f32_e32 v14, 0x32a5705f, v3
	v_sub_f32_e32 v13, v13, v15
	v_add_f32_e32 v13, v13, v14
	v_cvt_i32_f32_e32 v14, v15
	v_exp_f32_e32 v13, v13
	v_ldexp_f32 v13, v13, v14
	v_cndmask_b32_e32 v13, 0, v13, vcc_lo
	v_cmp_nlt_f32_e32 vcc_lo, 0x42b17218, v3
	v_cndmask_b32_e32 v3, 0x7f800000, v13, vcc_lo
	v_cmp_le_i32_e32 vcc_lo, s9, v12
	v_add_f32_e32 v11, v11, v3
	s_or_b32 s2, vcc_lo, s2
	s_andn2_b32 exec_lo, exec_lo, s2
	s_cbranch_execnz .LBB194_12
; %bb.13:                               ;   in Loop: Header=BB194_7 Depth=2
	s_inst_prefetch 0x2
	s_or_b32 exec_lo, exec_lo, s2
	v_cmp_gt_f32_e32 vcc_lo, 0x800000, v11
	v_mov_b32_e32 v12, v0
	s_mov_b32 s22, 0
	v_cndmask_b32_e64 v2, 0, 32, vcc_lo
	v_ldexp_f32 v2, v11, v2
	v_cndmask_b32_e64 v11, 0, 0x41b17218, vcc_lo
	v_log_f32_e32 v2, v2
	v_mul_f32_e32 v3, 0x3f317217, v2
	v_cmp_gt_f32_e64 vcc_lo, 0x7f800000, |v2|
	v_fma_f32 v3, 0x3f317217, v2, -v3
	v_fmac_f32_e32 v3, 0x3377d1cf, v2
	v_fmac_f32_e32 v3, 0x3f317217, v2
	v_cndmask_b32_e32 v3, v2, v3, vcc_lo
	v_mov_b32_e32 v2, v7
	v_sub_f32_e32 v11, v3, v11
	.p2align	6
.LBB194_14:                             ;   Parent Loop BB194_3 Depth=1
                                        ;     Parent Loop BB194_7 Depth=2
                                        ; =>    This Inner Loop Header: Depth=3
	v_ashrrev_i32_e32 v3, 31, v2
	v_add_nc_u32_e32 v12, s17, v12
	v_lshlrev_b64 v[13:14], 2, v[2:3]
	v_add_nc_u32_e32 v2, s19, v2
	v_add_co_u32 v15, vcc_lo, s14, v13
	v_add_co_ci_u32_e64 v16, null, s15, v14, vcc_lo
	v_cmp_le_i32_e32 vcc_lo, s9, v12
	v_add_co_u32 v13, s2, s12, v13
	global_load_dword v3, v[15:16], off
	v_add_co_ci_u32_e64 v14, null, s13, v14, s2
	s_or_b32 s22, vcc_lo, s22
	s_waitcnt vmcnt(0)
	v_sub_f32_e32 v3, v3, v10
	v_sub_f32_e32 v3, v3, v11
	global_store_dword v[13:14], v3, off
	s_andn2_b32 exec_lo, exec_lo, s22
	s_cbranch_execnz .LBB194_14
.LBB194_15:                             ;   in Loop: Header=BB194_7 Depth=2
	s_or_b32 exec_lo, exec_lo, s21
	s_mov_b32 s2, 0
.LBB194_16:                             ;   in Loop: Header=BB194_7 Depth=2
	s_andn2_b32 vcc_lo, exec_lo, s2
	s_cbranch_vccnz .LBB194_6
; %bb.17:                               ;   in Loop: Header=BB194_7 Depth=2
	v_mov_b32_e32 v10, 0xff7fffff
	s_and_saveexec_b32 s21, s0
	s_cbranch_execz .LBB194_21
; %bb.18:                               ;   in Loop: Header=BB194_7 Depth=2
	v_mov_b32_e32 v10, 0xff7fffff
	v_mov_b32_e32 v2, v7
	;; [unrolled: 1-line block ×3, first 2 shown]
	s_mov_b32 s22, 0
	.p2align	6
.LBB194_19:                             ;   Parent Loop BB194_3 Depth=1
                                        ;     Parent Loop BB194_7 Depth=2
                                        ; =>    This Inner Loop Header: Depth=3
	v_ashrrev_i32_e32 v3, 31, v2
	v_add_nc_u32_e32 v11, s17, v11
	v_lshlrev_b64 v[12:13], 2, v[2:3]
	v_add_nc_u32_e32 v2, s19, v2
	v_add_co_u32 v12, vcc_lo, s14, v12
	v_add_co_ci_u32_e64 v13, null, s15, v13, vcc_lo
	v_cmp_le_i32_e32 vcc_lo, s9, v11
	global_load_dword v3, v[12:13], off
	s_or_b32 s22, vcc_lo, s22
	s_waitcnt vmcnt(0)
	v_cmp_lt_f32_e64 s2, v10, v3
	v_cndmask_b32_e64 v10, v10, v3, s2
	s_andn2_b32 exec_lo, exec_lo, s22
	s_cbranch_execnz .LBB194_19
; %bb.20:                               ;   in Loop: Header=BB194_7 Depth=2
	s_or_b32 exec_lo, exec_lo, s22
.LBB194_21:                             ;   in Loop: Header=BB194_7 Depth=2
	s_or_b32 exec_lo, exec_lo, s21
	s_mov_b32 s2, s17
	s_waitcnt_vscnt null, 0x0
	s_barrier
	buffer_gl0_inv
	ds_write_b32 v8, v10
	s_branch .LBB194_23
	.p2align	6
.LBB194_22:                             ;   in Loop: Header=BB194_23 Depth=3
	s_or_b32 exec_lo, exec_lo, s22
	s_cmp_gt_u32 s2, 3
	s_mov_b32 s2, s21
	s_cbranch_scc0 .LBB194_25
.LBB194_23:                             ;   Parent Loop BB194_3 Depth=1
                                        ;     Parent Loop BB194_7 Depth=2
                                        ; =>    This Inner Loop Header: Depth=3
	s_lshr_b32 s21, s2, 1
	s_mov_b32 s22, exec_lo
	s_waitcnt lgkmcnt(0)
	s_barrier
	buffer_gl0_inv
	v_cmpx_gt_u32_e64 s21, v0
	s_cbranch_execz .LBB194_22
; %bb.24:                               ;   in Loop: Header=BB194_23 Depth=3
	v_lshl_add_u32 v2, s21, 2, v8
	ds_read_b32 v3, v8
	ds_read_b32 v2, v2
	s_waitcnt lgkmcnt(0)
	v_cmp_lt_f32_e32 vcc_lo, v3, v2
	v_cndmask_b32_e32 v2, v3, v2, vcc_lo
	ds_write_b32 v8, v2
	s_branch .LBB194_22
.LBB194_25:                             ;   in Loop: Header=BB194_7 Depth=2
	s_waitcnt lgkmcnt(0)
	s_barrier
	buffer_gl0_inv
	ds_read_b32 v10, v6
	v_mov_b32_e32 v11, 0
	s_and_saveexec_b32 s2, s0
	s_cbranch_execz .LBB194_29
; %bb.26:                               ;   in Loop: Header=BB194_7 Depth=2
	v_mov_b32_e32 v11, 0
	v_mov_b32_e32 v2, v7
	;; [unrolled: 1-line block ×3, first 2 shown]
	s_mov_b32 s21, 0
	s_inst_prefetch 0x1
	.p2align	6
.LBB194_27:                             ;   Parent Loop BB194_3 Depth=1
                                        ;     Parent Loop BB194_7 Depth=2
                                        ; =>    This Inner Loop Header: Depth=3
	v_ashrrev_i32_e32 v3, 31, v2
	v_add_nc_u32_e32 v12, s17, v12
	v_lshlrev_b64 v[13:14], 2, v[2:3]
	v_add_nc_u32_e32 v2, s19, v2
	v_add_co_u32 v13, vcc_lo, s14, v13
	v_add_co_ci_u32_e64 v14, null, s15, v14, vcc_lo
	global_load_dword v3, v[13:14], off
	s_waitcnt vmcnt(0) lgkmcnt(0)
	v_sub_f32_e32 v3, v3, v10
	v_mul_f32_e32 v13, 0x3fb8aa3b, v3
	v_cmp_ngt_f32_e32 vcc_lo, 0xc2ce8ed0, v3
	v_fma_f32 v14, 0x3fb8aa3b, v3, -v13
	v_rndne_f32_e32 v15, v13
	v_fmac_f32_e32 v14, 0x32a5705f, v3
	v_sub_f32_e32 v13, v13, v15
	v_add_f32_e32 v13, v13, v14
	v_cvt_i32_f32_e32 v14, v15
	v_exp_f32_e32 v13, v13
	v_ldexp_f32 v13, v13, v14
	v_cndmask_b32_e32 v13, 0, v13, vcc_lo
	v_cmp_nlt_f32_e32 vcc_lo, 0x42b17218, v3
	v_cndmask_b32_e32 v3, 0x7f800000, v13, vcc_lo
	v_cmp_le_i32_e32 vcc_lo, s9, v12
	v_add_f32_e32 v11, v11, v3
	s_or_b32 s21, vcc_lo, s21
	s_andn2_b32 exec_lo, exec_lo, s21
	s_cbranch_execnz .LBB194_27
; %bb.28:                               ;   in Loop: Header=BB194_7 Depth=2
	s_inst_prefetch 0x2
	s_or_b32 exec_lo, exec_lo, s21
.LBB194_29:                             ;   in Loop: Header=BB194_7 Depth=2
	s_or_b32 exec_lo, exec_lo, s2
	s_mov_b32 s2, s17
	s_waitcnt lgkmcnt(0)
	s_barrier
	buffer_gl0_inv
	ds_write_b32 v8, v11
	s_branch .LBB194_31
	.p2align	6
.LBB194_30:                             ;   in Loop: Header=BB194_31 Depth=3
	s_or_b32 exec_lo, exec_lo, s22
	s_cmp_gt_u32 s2, 3
	s_mov_b32 s2, s21
	s_cbranch_scc0 .LBB194_33
.LBB194_31:                             ;   Parent Loop BB194_3 Depth=1
                                        ;     Parent Loop BB194_7 Depth=2
                                        ; =>    This Inner Loop Header: Depth=3
	s_lshr_b32 s21, s2, 1
	s_mov_b32 s22, exec_lo
	s_waitcnt lgkmcnt(0)
	s_barrier
	buffer_gl0_inv
	v_cmpx_gt_u32_e64 s21, v0
	s_cbranch_execz .LBB194_30
; %bb.32:                               ;   in Loop: Header=BB194_31 Depth=3
	v_lshl_add_u32 v2, s21, 2, v8
	ds_read_b32 v3, v8
	ds_read_b32 v2, v2
	s_waitcnt lgkmcnt(0)
	v_add_f32_e32 v2, v3, v2
	ds_write_b32 v8, v2
	s_branch .LBB194_30
.LBB194_33:                             ;   in Loop: Header=BB194_7 Depth=2
	s_waitcnt lgkmcnt(0)
	s_barrier
	buffer_gl0_inv
	s_and_saveexec_b32 s21, s0
	s_cbranch_execz .LBB194_5
; %bb.34:                               ;   in Loop: Header=BB194_7 Depth=2
	ds_read_b32 v2, v6
	v_mov_b32_e32 v12, v0
	s_mov_b32 s22, 0
	s_waitcnt lgkmcnt(0)
	v_cmp_gt_f32_e32 vcc_lo, 0x800000, v2
	v_cndmask_b32_e64 v3, 0, 32, vcc_lo
	v_cndmask_b32_e64 v11, 0, 0x41b17218, vcc_lo
	v_ldexp_f32 v2, v2, v3
	v_log_f32_e32 v2, v2
	v_mul_f32_e32 v3, 0x3f317217, v2
	v_cmp_gt_f32_e64 vcc_lo, 0x7f800000, |v2|
	v_fma_f32 v3, 0x3f317217, v2, -v3
	v_fmac_f32_e32 v3, 0x3377d1cf, v2
	v_fmac_f32_e32 v3, 0x3f317217, v2
	v_cndmask_b32_e32 v3, v2, v3, vcc_lo
	v_mov_b32_e32 v2, v7
	v_sub_f32_e32 v11, v3, v11
	.p2align	6
.LBB194_35:                             ;   Parent Loop BB194_3 Depth=1
                                        ;     Parent Loop BB194_7 Depth=2
                                        ; =>    This Inner Loop Header: Depth=3
	v_ashrrev_i32_e32 v3, 31, v2
	v_add_nc_u32_e32 v12, s17, v12
	v_lshlrev_b64 v[13:14], 2, v[2:3]
	v_add_nc_u32_e32 v2, s19, v2
	v_add_co_u32 v15, vcc_lo, s14, v13
	v_add_co_ci_u32_e64 v16, null, s15, v14, vcc_lo
	v_cmp_le_i32_e32 vcc_lo, s9, v12
	v_add_co_u32 v13, s2, s12, v13
	global_load_dword v3, v[15:16], off
	v_add_co_ci_u32_e64 v14, null, s13, v14, s2
	s_or_b32 s22, vcc_lo, s22
	s_waitcnt vmcnt(0)
	v_sub_f32_e32 v3, v3, v10
	v_sub_f32_e32 v3, v3, v11
	global_store_dword v[13:14], v3, off
	s_andn2_b32 exec_lo, exec_lo, s22
	s_cbranch_execnz .LBB194_35
	s_branch .LBB194_5
.LBB194_36:
	s_endpgm
	.section	.rodata,"a",@progbits
	.p2align	6, 0x0
	.amdhsa_kernel _ZN2at6native12_GLOBAL__N_126cunn_SpatialSoftMaxForwardIfffiNS1_25LogSoftMaxForwardEpilogueEEEvPT1_PKT_T2_S9_S9_
		.amdhsa_group_segment_fixed_size 0
		.amdhsa_private_segment_fixed_size 0
		.amdhsa_kernarg_size 288
		.amdhsa_user_sgpr_count 6
		.amdhsa_user_sgpr_private_segment_buffer 1
		.amdhsa_user_sgpr_dispatch_ptr 0
		.amdhsa_user_sgpr_queue_ptr 0
		.amdhsa_user_sgpr_kernarg_segment_ptr 1
		.amdhsa_user_sgpr_dispatch_id 0
		.amdhsa_user_sgpr_flat_scratch_init 0
		.amdhsa_user_sgpr_private_segment_size 0
		.amdhsa_wavefront_size32 1
		.amdhsa_uses_dynamic_stack 0
		.amdhsa_system_sgpr_private_segment_wavefront_offset 0
		.amdhsa_system_sgpr_workgroup_id_x 1
		.amdhsa_system_sgpr_workgroup_id_y 1
		.amdhsa_system_sgpr_workgroup_id_z 0
		.amdhsa_system_sgpr_workgroup_info 0
		.amdhsa_system_vgpr_workitem_id 1
		.amdhsa_next_free_vgpr 17
		.amdhsa_next_free_sgpr 23
		.amdhsa_reserve_vcc 1
		.amdhsa_reserve_flat_scratch 0
		.amdhsa_float_round_mode_32 0
		.amdhsa_float_round_mode_16_64 0
		.amdhsa_float_denorm_mode_32 3
		.amdhsa_float_denorm_mode_16_64 3
		.amdhsa_dx10_clamp 1
		.amdhsa_ieee_mode 1
		.amdhsa_fp16_overflow 0
		.amdhsa_workgroup_processor_mode 1
		.amdhsa_memory_ordered 1
		.amdhsa_forward_progress 1
		.amdhsa_shared_vgpr_count 0
		.amdhsa_exception_fp_ieee_invalid_op 0
		.amdhsa_exception_fp_denorm_src 0
		.amdhsa_exception_fp_ieee_div_zero 0
		.amdhsa_exception_fp_ieee_overflow 0
		.amdhsa_exception_fp_ieee_underflow 0
		.amdhsa_exception_fp_ieee_inexact 0
		.amdhsa_exception_int_div_zero 0
	.end_amdhsa_kernel
	.section	.text._ZN2at6native12_GLOBAL__N_126cunn_SpatialSoftMaxForwardIfffiNS1_25LogSoftMaxForwardEpilogueEEEvPT1_PKT_T2_S9_S9_,"axG",@progbits,_ZN2at6native12_GLOBAL__N_126cunn_SpatialSoftMaxForwardIfffiNS1_25LogSoftMaxForwardEpilogueEEEvPT1_PKT_T2_S9_S9_,comdat
.Lfunc_end194:
	.size	_ZN2at6native12_GLOBAL__N_126cunn_SpatialSoftMaxForwardIfffiNS1_25LogSoftMaxForwardEpilogueEEEvPT1_PKT_T2_S9_S9_, .Lfunc_end194-_ZN2at6native12_GLOBAL__N_126cunn_SpatialSoftMaxForwardIfffiNS1_25LogSoftMaxForwardEpilogueEEEvPT1_PKT_T2_S9_S9_
                                        ; -- End function
	.set _ZN2at6native12_GLOBAL__N_126cunn_SpatialSoftMaxForwardIfffiNS1_25LogSoftMaxForwardEpilogueEEEvPT1_PKT_T2_S9_S9_.num_vgpr, 17
	.set _ZN2at6native12_GLOBAL__N_126cunn_SpatialSoftMaxForwardIfffiNS1_25LogSoftMaxForwardEpilogueEEEvPT1_PKT_T2_S9_S9_.num_agpr, 0
	.set _ZN2at6native12_GLOBAL__N_126cunn_SpatialSoftMaxForwardIfffiNS1_25LogSoftMaxForwardEpilogueEEEvPT1_PKT_T2_S9_S9_.numbered_sgpr, 23
	.set _ZN2at6native12_GLOBAL__N_126cunn_SpatialSoftMaxForwardIfffiNS1_25LogSoftMaxForwardEpilogueEEEvPT1_PKT_T2_S9_S9_.num_named_barrier, 0
	.set _ZN2at6native12_GLOBAL__N_126cunn_SpatialSoftMaxForwardIfffiNS1_25LogSoftMaxForwardEpilogueEEEvPT1_PKT_T2_S9_S9_.private_seg_size, 0
	.set _ZN2at6native12_GLOBAL__N_126cunn_SpatialSoftMaxForwardIfffiNS1_25LogSoftMaxForwardEpilogueEEEvPT1_PKT_T2_S9_S9_.uses_vcc, 1
	.set _ZN2at6native12_GLOBAL__N_126cunn_SpatialSoftMaxForwardIfffiNS1_25LogSoftMaxForwardEpilogueEEEvPT1_PKT_T2_S9_S9_.uses_flat_scratch, 0
	.set _ZN2at6native12_GLOBAL__N_126cunn_SpatialSoftMaxForwardIfffiNS1_25LogSoftMaxForwardEpilogueEEEvPT1_PKT_T2_S9_S9_.has_dyn_sized_stack, 0
	.set _ZN2at6native12_GLOBAL__N_126cunn_SpatialSoftMaxForwardIfffiNS1_25LogSoftMaxForwardEpilogueEEEvPT1_PKT_T2_S9_S9_.has_recursion, 0
	.set _ZN2at6native12_GLOBAL__N_126cunn_SpatialSoftMaxForwardIfffiNS1_25LogSoftMaxForwardEpilogueEEEvPT1_PKT_T2_S9_S9_.has_indirect_call, 0
	.section	.AMDGPU.csdata,"",@progbits
; Kernel info:
; codeLenInByte = 1896
; TotalNumSgprs: 25
; NumVgprs: 17
; ScratchSize: 0
; MemoryBound: 0
; FloatMode: 240
; IeeeMode: 1
; LDSByteSize: 0 bytes/workgroup (compile time only)
; SGPRBlocks: 0
; VGPRBlocks: 2
; NumSGPRsForWavesPerEU: 25
; NumVGPRsForWavesPerEU: 17
; Occupancy: 16
; WaveLimiterHint : 0
; COMPUTE_PGM_RSRC2:SCRATCH_EN: 0
; COMPUTE_PGM_RSRC2:USER_SGPR: 6
; COMPUTE_PGM_RSRC2:TRAP_HANDLER: 0
; COMPUTE_PGM_RSRC2:TGID_X_EN: 1
; COMPUTE_PGM_RSRC2:TGID_Y_EN: 1
; COMPUTE_PGM_RSRC2:TGID_Z_EN: 0
; COMPUTE_PGM_RSRC2:TIDIG_COMP_CNT: 1
	.section	.text._ZN2at6native12_GLOBAL__N_126cunn_SpatialSoftMaxForwardIffflNS1_25LogSoftMaxForwardEpilogueEEEvPT1_PKT_T2_S9_S9_,"axG",@progbits,_ZN2at6native12_GLOBAL__N_126cunn_SpatialSoftMaxForwardIffflNS1_25LogSoftMaxForwardEpilogueEEEvPT1_PKT_T2_S9_S9_,comdat
	.globl	_ZN2at6native12_GLOBAL__N_126cunn_SpatialSoftMaxForwardIffflNS1_25LogSoftMaxForwardEpilogueEEEvPT1_PKT_T2_S9_S9_ ; -- Begin function _ZN2at6native12_GLOBAL__N_126cunn_SpatialSoftMaxForwardIffflNS1_25LogSoftMaxForwardEpilogueEEEvPT1_PKT_T2_S9_S9_
	.p2align	8
	.type	_ZN2at6native12_GLOBAL__N_126cunn_SpatialSoftMaxForwardIffflNS1_25LogSoftMaxForwardEpilogueEEEvPT1_PKT_T2_S9_S9_,@function
_ZN2at6native12_GLOBAL__N_126cunn_SpatialSoftMaxForwardIffflNS1_25LogSoftMaxForwardEpilogueEEEvPT1_PKT_T2_S9_S9_: ; @_ZN2at6native12_GLOBAL__N_126cunn_SpatialSoftMaxForwardIffflNS1_25LogSoftMaxForwardEpilogueEEEvPT1_PKT_T2_S9_S9_
; %bb.0:
	s_load_dwordx8 s[8:15], s[4:5], 0x0
	s_mov_b32 s0, s7
	s_mov_b32 s7, 0
	s_waitcnt lgkmcnt(0)
	v_cmp_le_i64_e64 s1, s[12:13], s[6:7]
	s_and_b32 vcc_lo, exec_lo, s1
	s_cbranch_vccnz .LBB195_36
; %bb.1:
	s_clause 0x1
	s_load_dword s1, s[4:5], 0x34
	s_load_dwordx4 s[16:19], s[4:5], 0x20
	v_mov_b32_e32 v2, v0
	s_add_u32 s4, s4, 40
	s_addc_u32 s5, s5, 0
	s_mov_b32 s21, s7
	s_waitcnt lgkmcnt(0)
	s_lshr_b32 s1, s1, 16
	s_mul_i32 s22, s16, s14
	v_mad_u64_u32 v[4:5], null, s0, s1, v[1:2]
	v_mov_b32_e32 v5, 0
	v_mad_u64_u32 v[6:7], null, s16, v2, 0
	s_mul_i32 s0, s16, s15
	s_mul_hi_u32 s2, s16, s14
	v_mov_b32_e32 v3, v5
	v_mad_u64_u32 v[8:9], null, s22, s6, v[4:5]
	s_mul_i32 s3, s17, s14
	v_mov_b32_e32 v0, v7
	v_mad_u64_u32 v[10:11], null, s14, s6, v[2:3]
	s_add_i32 s0, s2, s0
	s_mul_i32 s20, s19, s1
	v_mov_b32_e32 v7, v9
	s_add_i32 s0, s0, s3
	v_mad_u64_u32 v[12:13], null, s17, v2, v[0:1]
	v_mov_b32_e32 v0, v11
	v_mad_u64_u32 v[13:14], null, s0, s6, v[7:8]
	s_mul_hi_u32 s1, s22, s18
	s_mul_i32 s0, s0, s18
	v_mad_u64_u32 v[14:15], null, s15, s6, v[0:1]
	v_mov_b32_e32 v7, v12
	v_mul_lo_u32 v0, s17, v10
	v_mov_b32_e32 v9, v13
	v_mad_u64_u32 v[10:11], null, s16, v10, 0
	v_lshlrev_b64 v[6:7], 2, v[6:7]
	v_mul_lo_u32 v14, s16, v14
	v_lshlrev_b64 v[8:9], 2, v[8:9]
	v_lshlrev_b64 v[12:13], 2, v[4:5]
	s_add_i32 s3, s1, s0
	v_cmp_gt_i64_e64 s0, s[16:17], v[4:5]
	v_cmp_gt_i64_e64 s1, s[14:15], v[2:3]
	s_mul_i32 s2, s22, s18
	v_add_co_u32 v6, vcc_lo, v6, v8
	v_add_co_ci_u32_e64 v7, null, v7, v9, vcc_lo
	v_add3_u32 v11, v11, v14, v0
	v_add_co_u32 v6, vcc_lo, s10, v6
	v_add_co_ci_u32_e64 v7, null, s11, v7, vcc_lo
	v_lshlrev_b64 v[8:9], 2, v[10:11]
	v_add_co_u32 v10, vcc_lo, v10, v4
	v_add_co_ci_u32_e64 v11, null, 0, v11, vcc_lo
	s_lshl_b64 s[22:23], s[16:17], 2
	v_add_co_u32 v0, vcc_lo, v8, v12
	v_lshlrev_b64 v[10:11], 2, v[10:11]
	v_add_co_ci_u32_e64 v9, null, v9, v13, vcc_lo
	v_add_co_u32 v8, vcc_lo, s8, v0
	v_add_co_ci_u32_e64 v9, null, s9, v9, vcc_lo
	v_add_co_u32 v10, vcc_lo, s10, v10
	v_add_co_ci_u32_e64 v11, null, s11, v11, vcc_lo
	s_lshl_b64 s[8:9], s[2:3], 2
	s_lshl_b64 s[10:11], s[20:21], 2
	s_branch .LBB195_3
.LBB195_2:                              ;   in Loop: Header=BB195_3 Depth=1
	s_or_b32 exec_lo, exec_lo, s3
	s_add_u32 s6, s6, s18
	v_add_co_u32 v6, vcc_lo, v6, s8
	s_addc_u32 s7, s7, 0
	v_add_co_ci_u32_e64 v7, null, s9, v7, vcc_lo
	v_add_co_u32 v8, vcc_lo, v8, s8
	v_cmp_ge_i64_e64 s2, s[6:7], s[12:13]
	v_add_co_ci_u32_e64 v9, null, s9, v9, vcc_lo
	v_add_co_u32 v10, vcc_lo, v10, s8
	v_add_co_ci_u32_e64 v11, null, s9, v11, vcc_lo
	s_and_b32 vcc_lo, exec_lo, s2
	s_cbranch_vccnz .LBB195_36
.LBB195_3:                              ; =>This Loop Header: Depth=1
                                        ;     Child Loop BB195_7 Depth 2
                                        ;       Child Loop BB195_10 Depth 3
                                        ;       Child Loop BB195_12 Depth 3
                                        ;       Child Loop BB195_14 Depth 3
                                        ;       Child Loop BB195_19 Depth 3
                                        ;       Child Loop BB195_23 Depth 3
                                        ;       Child Loop BB195_27 Depth 3
                                        ;       Child Loop BB195_31 Depth 3
                                        ;       Child Loop BB195_35 Depth 3
	s_and_saveexec_b32 s3, s0
	s_cbranch_execz .LBB195_2
; %bb.4:                                ;   in Loop: Header=BB195_3 Depth=1
	s_load_dword s2, s[4:5], 0xc
	v_mov_b32_e32 v13, v11
	v_mov_b32_e32 v15, v9
	;; [unrolled: 1-line block ×8, first 2 shown]
	s_mov_b32 s28, 0
	s_waitcnt lgkmcnt(0)
	s_and_b32 s19, s2, 0xffff
	v_mul_u32_u24_e32 v0, s19, v1
	s_cmp_lt_u32 s19, 2
	s_mul_i32 s2, s23, s19
	s_mul_hi_u32 s24, s22, s19
	s_cselect_b32 s21, -1, 0
	v_lshl_add_u32 v0, v0, 2, 0
	s_add_i32 s26, s24, s2
	s_mul_i32 s27, s22, s19
	v_lshl_add_u32 v24, v2, 2, v0
	s_branch .LBB195_7
.LBB195_5:                              ;   in Loop: Header=BB195_7 Depth=2
	s_or_b32 exec_lo, exec_lo, s29
.LBB195_6:                              ;   in Loop: Header=BB195_7 Depth=2
	v_add_co_u32 v18, vcc_lo, v18, s20
	v_add_co_ci_u32_e64 v19, null, 0, v19, vcc_lo
	v_add_co_u32 v16, vcc_lo, v16, s10
	v_add_co_ci_u32_e64 v17, null, s11, v17, vcc_lo
	;; [unrolled: 2-line block ×3, first 2 shown]
	v_cmp_le_i64_e32 vcc_lo, s[16:17], v[18:19]
	v_add_co_u32 v12, s2, v12, s10
	v_add_co_ci_u32_e64 v13, null, s11, v13, s2
	s_or_b32 s28, vcc_lo, s28
	s_andn2_b32 exec_lo, exec_lo, s28
	s_cbranch_execz .LBB195_2
.LBB195_7:                              ;   Parent Loop BB195_3 Depth=1
                                        ; =>  This Loop Header: Depth=2
                                        ;       Child Loop BB195_10 Depth 3
                                        ;       Child Loop BB195_12 Depth 3
	;; [unrolled: 1-line block ×8, first 2 shown]
	s_and_b32 vcc_lo, exec_lo, s21
	s_mov_b32 s2, -1
	s_cbranch_vccz .LBB195_16
; %bb.8:                                ;   in Loop: Header=BB195_7 Depth=2
	s_and_saveexec_b32 s29, s1
	s_cbranch_execz .LBB195_15
; %bb.9:                                ;   in Loop: Header=BB195_7 Depth=2
	v_mov_b32_e32 v21, v17
	v_mov_b32_e32 v23, v3
	;; [unrolled: 1-line block ×5, first 2 shown]
	s_mov_b32 s24, 0
	.p2align	6
.LBB195_10:                             ;   Parent Loop BB195_3 Depth=1
                                        ;     Parent Loop BB195_7 Depth=2
                                        ; =>    This Inner Loop Header: Depth=3
	global_load_dword v26, v[20:21], off
	v_add_co_u32 v22, vcc_lo, v22, s19
	v_add_co_ci_u32_e64 v23, null, 0, v23, vcc_lo
	v_add_co_u32 v20, vcc_lo, v20, s27
	v_add_co_ci_u32_e64 v21, null, s26, v21, vcc_lo
	v_cmp_le_i64_e64 s2, s[14:15], v[22:23]
	s_or_b32 s24, s2, s24
	s_waitcnt vmcnt(0)
	v_cmp_lt_f32_e32 vcc_lo, v25, v26
	v_cndmask_b32_e32 v25, v25, v26, vcc_lo
	s_andn2_b32 exec_lo, exec_lo, s24
	s_cbranch_execnz .LBB195_10
; %bb.11:                               ;   in Loop: Header=BB195_7 Depth=2
	s_or_b32 exec_lo, exec_lo, s24
	v_mov_b32_e32 v21, v17
	v_mov_b32_e32 v23, v3
	;; [unrolled: 1-line block ×5, first 2 shown]
	s_mov_b32 s24, 0
	s_inst_prefetch 0x1
	.p2align	6
.LBB195_12:                             ;   Parent Loop BB195_3 Depth=1
                                        ;     Parent Loop BB195_7 Depth=2
                                        ; =>    This Inner Loop Header: Depth=3
	global_load_dword v27, v[20:21], off
	v_add_co_u32 v22, vcc_lo, v22, s19
	v_add_co_ci_u32_e64 v23, null, 0, v23, vcc_lo
	v_cmp_le_i64_e32 vcc_lo, s[14:15], v[22:23]
	s_or_b32 s24, vcc_lo, s24
	s_waitcnt vmcnt(0)
	v_sub_f32_e32 v27, v27, v25
	v_mul_f32_e32 v28, 0x3fb8aa3b, v27
	v_cmp_ngt_f32_e64 s2, 0xc2ce8ed0, v27
	v_fma_f32 v29, 0x3fb8aa3b, v27, -v28
	v_rndne_f32_e32 v30, v28
	v_fmac_f32_e32 v29, 0x32a5705f, v27
	v_sub_f32_e32 v28, v28, v30
	v_add_f32_e32 v28, v28, v29
	v_cvt_i32_f32_e32 v29, v30
	v_exp_f32_e32 v28, v28
	v_ldexp_f32 v28, v28, v29
	v_cndmask_b32_e64 v28, 0, v28, s2
	v_cmp_nlt_f32_e64 s2, 0x42b17218, v27
	v_cndmask_b32_e64 v27, 0x7f800000, v28, s2
	v_add_co_u32 v20, s2, v20, s27
	v_add_co_ci_u32_e64 v21, null, s26, v21, s2
	v_add_f32_e32 v26, v26, v27
	s_andn2_b32 exec_lo, exec_lo, s24
	s_cbranch_execnz .LBB195_12
; %bb.13:                               ;   in Loop: Header=BB195_7 Depth=2
	s_inst_prefetch 0x2
	s_or_b32 exec_lo, exec_lo, s24
	v_cmp_gt_f32_e32 vcc_lo, 0x800000, v26
	s_mov_b32 s30, 0
	s_mov_b64 s[24:25], 0
	v_cndmask_b32_e64 v20, 0, 32, vcc_lo
	v_cndmask_b32_e64 v22, 0, 0x41b17218, vcc_lo
	v_ldexp_f32 v20, v26, v20
	v_log_f32_e32 v20, v20
	v_mul_f32_e32 v21, 0x3f317217, v20
	v_cmp_gt_f32_e64 vcc_lo, 0x7f800000, |v20|
	v_fma_f32 v21, 0x3f317217, v20, -v21
	v_fmac_f32_e32 v21, 0x3377d1cf, v20
	v_fmac_f32_e32 v21, 0x3f317217, v20
	v_cndmask_b32_e32 v20, v20, v21, vcc_lo
	v_sub_f32_e32 v22, v20, v22
	v_mov_b32_e32 v21, v3
	v_mov_b32_e32 v20, v2
	.p2align	6
.LBB195_14:                             ;   Parent Loop BB195_3 Depth=1
                                        ;     Parent Loop BB195_7 Depth=2
                                        ; =>    This Inner Loop Header: Depth=3
	v_add_co_u32 v26, vcc_lo, v16, s24
	v_add_co_ci_u32_e64 v27, null, s25, v17, vcc_lo
	v_add_co_u32 v20, vcc_lo, v20, s19
	v_add_co_ci_u32_e64 v21, null, 0, v21, vcc_lo
	global_load_dword v23, v[26:27], off
	v_add_co_u32 v26, vcc_lo, v14, s24
	v_cmp_le_i64_e64 s2, s[14:15], v[20:21]
	v_add_co_ci_u32_e64 v27, null, s25, v15, vcc_lo
	s_add_u32 s24, s24, s27
	s_addc_u32 s25, s25, s26
	s_or_b32 s30, s2, s30
	s_waitcnt vmcnt(0)
	v_sub_f32_e32 v23, v23, v25
	v_sub_f32_e32 v23, v23, v22
	global_store_dword v[26:27], v23, off
	s_andn2_b32 exec_lo, exec_lo, s30
	s_cbranch_execnz .LBB195_14
.LBB195_15:                             ;   in Loop: Header=BB195_7 Depth=2
	s_or_b32 exec_lo, exec_lo, s29
	s_mov_b32 s2, 0
.LBB195_16:                             ;   in Loop: Header=BB195_7 Depth=2
	s_andn2_b32 vcc_lo, exec_lo, s2
	s_cbranch_vccnz .LBB195_6
; %bb.17:                               ;   in Loop: Header=BB195_7 Depth=2
	v_mov_b32_e32 v25, 0xff7fffff
	s_and_saveexec_b32 s24, s1
	s_cbranch_execz .LBB195_21
; %bb.18:                               ;   in Loop: Header=BB195_7 Depth=2
	v_mov_b32_e32 v21, v17
	v_mov_b32_e32 v23, v3
	;; [unrolled: 1-line block ×5, first 2 shown]
	s_mov_b32 s25, 0
	.p2align	6
.LBB195_19:                             ;   Parent Loop BB195_3 Depth=1
                                        ;     Parent Loop BB195_7 Depth=2
                                        ; =>    This Inner Loop Header: Depth=3
	global_load_dword v26, v[20:21], off
	v_add_co_u32 v22, vcc_lo, v22, s19
	v_add_co_ci_u32_e64 v23, null, 0, v23, vcc_lo
	v_add_co_u32 v20, vcc_lo, v20, s27
	v_add_co_ci_u32_e64 v21, null, s26, v21, vcc_lo
	v_cmp_le_i64_e64 s2, s[14:15], v[22:23]
	s_or_b32 s25, s2, s25
	s_waitcnt vmcnt(0)
	v_cmp_lt_f32_e32 vcc_lo, v25, v26
	v_cndmask_b32_e32 v25, v25, v26, vcc_lo
	s_andn2_b32 exec_lo, exec_lo, s25
	s_cbranch_execnz .LBB195_19
; %bb.20:                               ;   in Loop: Header=BB195_7 Depth=2
	s_or_b32 exec_lo, exec_lo, s25
.LBB195_21:                             ;   in Loop: Header=BB195_7 Depth=2
	s_or_b32 exec_lo, exec_lo, s24
	s_mov_b32 s2, s19
	s_waitcnt_vscnt null, 0x0
	s_barrier
	buffer_gl0_inv
	ds_write_b32 v24, v25
	s_branch .LBB195_23
	.p2align	6
.LBB195_22:                             ;   in Loop: Header=BB195_23 Depth=3
	s_or_b32 exec_lo, exec_lo, s25
	s_cmp_gt_u32 s2, 3
	s_mov_b32 s2, s24
	s_cbranch_scc0 .LBB195_25
.LBB195_23:                             ;   Parent Loop BB195_3 Depth=1
                                        ;     Parent Loop BB195_7 Depth=2
                                        ; =>    This Inner Loop Header: Depth=3
	s_lshr_b32 s24, s2, 1
	s_mov_b32 s25, exec_lo
	s_waitcnt lgkmcnt(0)
	s_barrier
	buffer_gl0_inv
	v_cmpx_gt_u32_e64 s24, v2
	s_cbranch_execz .LBB195_22
; %bb.24:                               ;   in Loop: Header=BB195_23 Depth=3
	v_lshl_add_u32 v20, s24, 2, v24
	ds_read_b32 v21, v24
	ds_read_b32 v20, v20
	s_waitcnt lgkmcnt(0)
	v_cmp_lt_f32_e32 vcc_lo, v21, v20
	v_cndmask_b32_e32 v20, v21, v20, vcc_lo
	ds_write_b32 v24, v20
	s_branch .LBB195_22
.LBB195_25:                             ;   in Loop: Header=BB195_7 Depth=2
	s_waitcnt lgkmcnt(0)
	s_barrier
	buffer_gl0_inv
	ds_read_b32 v25, v0
	v_mov_b32_e32 v26, 0
	s_and_saveexec_b32 s24, s1
	s_cbranch_execz .LBB195_29
; %bb.26:                               ;   in Loop: Header=BB195_7 Depth=2
	v_mov_b32_e32 v21, v17
	v_mov_b32_e32 v23, v3
	v_mov_b32_e32 v26, 0
	v_mov_b32_e32 v20, v16
	v_mov_b32_e32 v22, v2
	s_mov_b32 s25, 0
	s_inst_prefetch 0x1
	.p2align	6
.LBB195_27:                             ;   Parent Loop BB195_3 Depth=1
                                        ;     Parent Loop BB195_7 Depth=2
                                        ; =>    This Inner Loop Header: Depth=3
	global_load_dword v27, v[20:21], off
	v_add_co_u32 v22, vcc_lo, v22, s19
	v_add_co_ci_u32_e64 v23, null, 0, v23, vcc_lo
	v_cmp_le_i64_e32 vcc_lo, s[14:15], v[22:23]
	s_or_b32 s25, vcc_lo, s25
	s_waitcnt vmcnt(0) lgkmcnt(0)
	v_sub_f32_e32 v27, v27, v25
	v_mul_f32_e32 v28, 0x3fb8aa3b, v27
	v_cmp_ngt_f32_e64 s2, 0xc2ce8ed0, v27
	v_fma_f32 v29, 0x3fb8aa3b, v27, -v28
	v_rndne_f32_e32 v30, v28
	v_fmac_f32_e32 v29, 0x32a5705f, v27
	v_sub_f32_e32 v28, v28, v30
	v_add_f32_e32 v28, v28, v29
	v_cvt_i32_f32_e32 v29, v30
	v_exp_f32_e32 v28, v28
	v_ldexp_f32 v28, v28, v29
	v_cndmask_b32_e64 v28, 0, v28, s2
	v_cmp_nlt_f32_e64 s2, 0x42b17218, v27
	v_cndmask_b32_e64 v27, 0x7f800000, v28, s2
	v_add_co_u32 v20, s2, v20, s27
	v_add_co_ci_u32_e64 v21, null, s26, v21, s2
	v_add_f32_e32 v26, v26, v27
	s_andn2_b32 exec_lo, exec_lo, s25
	s_cbranch_execnz .LBB195_27
; %bb.28:                               ;   in Loop: Header=BB195_7 Depth=2
	s_inst_prefetch 0x2
	s_or_b32 exec_lo, exec_lo, s25
.LBB195_29:                             ;   in Loop: Header=BB195_7 Depth=2
	s_or_b32 exec_lo, exec_lo, s24
	s_mov_b32 s2, s19
	s_waitcnt lgkmcnt(0)
	s_barrier
	buffer_gl0_inv
	ds_write_b32 v24, v26
	s_branch .LBB195_31
	.p2align	6
.LBB195_30:                             ;   in Loop: Header=BB195_31 Depth=3
	s_or_b32 exec_lo, exec_lo, s25
	s_cmp_gt_u32 s2, 3
	s_mov_b32 s2, s24
	s_cbranch_scc0 .LBB195_33
.LBB195_31:                             ;   Parent Loop BB195_3 Depth=1
                                        ;     Parent Loop BB195_7 Depth=2
                                        ; =>    This Inner Loop Header: Depth=3
	s_lshr_b32 s24, s2, 1
	s_mov_b32 s25, exec_lo
	s_waitcnt lgkmcnt(0)
	s_barrier
	buffer_gl0_inv
	v_cmpx_gt_u32_e64 s24, v2
	s_cbranch_execz .LBB195_30
; %bb.32:                               ;   in Loop: Header=BB195_31 Depth=3
	v_lshl_add_u32 v20, s24, 2, v24
	ds_read_b32 v21, v24
	ds_read_b32 v20, v20
	s_waitcnt lgkmcnt(0)
	v_add_f32_e32 v20, v21, v20
	ds_write_b32 v24, v20
	s_branch .LBB195_30
.LBB195_33:                             ;   in Loop: Header=BB195_7 Depth=2
	s_waitcnt lgkmcnt(0)
	s_barrier
	buffer_gl0_inv
	s_and_saveexec_b32 s29, s1
	s_cbranch_execz .LBB195_5
; %bb.34:                               ;   in Loop: Header=BB195_7 Depth=2
	ds_read_b32 v20, v0
	s_mov_b32 s30, 0
	s_mov_b64 s[24:25], 0
	s_waitcnt lgkmcnt(0)
	v_cmp_gt_f32_e32 vcc_lo, 0x800000, v20
	v_cndmask_b32_e64 v21, 0, 32, vcc_lo
	v_cndmask_b32_e64 v22, 0, 0x41b17218, vcc_lo
	v_ldexp_f32 v20, v20, v21
	v_log_f32_e32 v20, v20
	v_mul_f32_e32 v21, 0x3f317217, v20
	v_cmp_gt_f32_e64 vcc_lo, 0x7f800000, |v20|
	v_fma_f32 v21, 0x3f317217, v20, -v21
	v_fmac_f32_e32 v21, 0x3377d1cf, v20
	v_fmac_f32_e32 v21, 0x3f317217, v20
	v_cndmask_b32_e32 v20, v20, v21, vcc_lo
	v_sub_f32_e32 v22, v20, v22
	v_mov_b32_e32 v21, v3
	v_mov_b32_e32 v20, v2
	.p2align	6
.LBB195_35:                             ;   Parent Loop BB195_3 Depth=1
                                        ;     Parent Loop BB195_7 Depth=2
                                        ; =>    This Inner Loop Header: Depth=3
	v_add_co_u32 v26, vcc_lo, v12, s24
	v_add_co_ci_u32_e64 v27, null, s25, v13, vcc_lo
	v_add_co_u32 v20, vcc_lo, v20, s19
	v_add_co_ci_u32_e64 v21, null, 0, v21, vcc_lo
	global_load_dword v23, v[26:27], off
	v_add_co_u32 v26, vcc_lo, v14, s24
	v_cmp_le_i64_e64 s2, s[14:15], v[20:21]
	v_add_co_ci_u32_e64 v27, null, s25, v15, vcc_lo
	s_add_u32 s24, s24, s27
	s_addc_u32 s25, s25, s26
	s_or_b32 s30, s2, s30
	s_waitcnt vmcnt(0)
	v_sub_f32_e32 v23, v23, v25
	v_sub_f32_e32 v23, v23, v22
	global_store_dword v[26:27], v23, off
	s_andn2_b32 exec_lo, exec_lo, s30
	s_cbranch_execnz .LBB195_35
	s_branch .LBB195_5
.LBB195_36:
	s_endpgm
	.section	.rodata,"a",@progbits
	.p2align	6, 0x0
	.amdhsa_kernel _ZN2at6native12_GLOBAL__N_126cunn_SpatialSoftMaxForwardIffflNS1_25LogSoftMaxForwardEpilogueEEEvPT1_PKT_T2_S9_S9_
		.amdhsa_group_segment_fixed_size 0
		.amdhsa_private_segment_fixed_size 0
		.amdhsa_kernarg_size 296
		.amdhsa_user_sgpr_count 6
		.amdhsa_user_sgpr_private_segment_buffer 1
		.amdhsa_user_sgpr_dispatch_ptr 0
		.amdhsa_user_sgpr_queue_ptr 0
		.amdhsa_user_sgpr_kernarg_segment_ptr 1
		.amdhsa_user_sgpr_dispatch_id 0
		.amdhsa_user_sgpr_flat_scratch_init 0
		.amdhsa_user_sgpr_private_segment_size 0
		.amdhsa_wavefront_size32 1
		.amdhsa_uses_dynamic_stack 0
		.amdhsa_system_sgpr_private_segment_wavefront_offset 0
		.amdhsa_system_sgpr_workgroup_id_x 1
		.amdhsa_system_sgpr_workgroup_id_y 1
		.amdhsa_system_sgpr_workgroup_id_z 0
		.amdhsa_system_sgpr_workgroup_info 0
		.amdhsa_system_vgpr_workitem_id 1
		.amdhsa_next_free_vgpr 31
		.amdhsa_next_free_sgpr 31
		.amdhsa_reserve_vcc 1
		.amdhsa_reserve_flat_scratch 0
		.amdhsa_float_round_mode_32 0
		.amdhsa_float_round_mode_16_64 0
		.amdhsa_float_denorm_mode_32 3
		.amdhsa_float_denorm_mode_16_64 3
		.amdhsa_dx10_clamp 1
		.amdhsa_ieee_mode 1
		.amdhsa_fp16_overflow 0
		.amdhsa_workgroup_processor_mode 1
		.amdhsa_memory_ordered 1
		.amdhsa_forward_progress 1
		.amdhsa_shared_vgpr_count 0
		.amdhsa_exception_fp_ieee_invalid_op 0
		.amdhsa_exception_fp_denorm_src 0
		.amdhsa_exception_fp_ieee_div_zero 0
		.amdhsa_exception_fp_ieee_overflow 0
		.amdhsa_exception_fp_ieee_underflow 0
		.amdhsa_exception_fp_ieee_inexact 0
		.amdhsa_exception_int_div_zero 0
	.end_amdhsa_kernel
	.section	.text._ZN2at6native12_GLOBAL__N_126cunn_SpatialSoftMaxForwardIffflNS1_25LogSoftMaxForwardEpilogueEEEvPT1_PKT_T2_S9_S9_,"axG",@progbits,_ZN2at6native12_GLOBAL__N_126cunn_SpatialSoftMaxForwardIffflNS1_25LogSoftMaxForwardEpilogueEEEvPT1_PKT_T2_S9_S9_,comdat
.Lfunc_end195:
	.size	_ZN2at6native12_GLOBAL__N_126cunn_SpatialSoftMaxForwardIffflNS1_25LogSoftMaxForwardEpilogueEEEvPT1_PKT_T2_S9_S9_, .Lfunc_end195-_ZN2at6native12_GLOBAL__N_126cunn_SpatialSoftMaxForwardIffflNS1_25LogSoftMaxForwardEpilogueEEEvPT1_PKT_T2_S9_S9_
                                        ; -- End function
	.set _ZN2at6native12_GLOBAL__N_126cunn_SpatialSoftMaxForwardIffflNS1_25LogSoftMaxForwardEpilogueEEEvPT1_PKT_T2_S9_S9_.num_vgpr, 31
	.set _ZN2at6native12_GLOBAL__N_126cunn_SpatialSoftMaxForwardIffflNS1_25LogSoftMaxForwardEpilogueEEEvPT1_PKT_T2_S9_S9_.num_agpr, 0
	.set _ZN2at6native12_GLOBAL__N_126cunn_SpatialSoftMaxForwardIffflNS1_25LogSoftMaxForwardEpilogueEEEvPT1_PKT_T2_S9_S9_.numbered_sgpr, 31
	.set _ZN2at6native12_GLOBAL__N_126cunn_SpatialSoftMaxForwardIffflNS1_25LogSoftMaxForwardEpilogueEEEvPT1_PKT_T2_S9_S9_.num_named_barrier, 0
	.set _ZN2at6native12_GLOBAL__N_126cunn_SpatialSoftMaxForwardIffflNS1_25LogSoftMaxForwardEpilogueEEEvPT1_PKT_T2_S9_S9_.private_seg_size, 0
	.set _ZN2at6native12_GLOBAL__N_126cunn_SpatialSoftMaxForwardIffflNS1_25LogSoftMaxForwardEpilogueEEEvPT1_PKT_T2_S9_S9_.uses_vcc, 1
	.set _ZN2at6native12_GLOBAL__N_126cunn_SpatialSoftMaxForwardIffflNS1_25LogSoftMaxForwardEpilogueEEEvPT1_PKT_T2_S9_S9_.uses_flat_scratch, 0
	.set _ZN2at6native12_GLOBAL__N_126cunn_SpatialSoftMaxForwardIffflNS1_25LogSoftMaxForwardEpilogueEEEvPT1_PKT_T2_S9_S9_.has_dyn_sized_stack, 0
	.set _ZN2at6native12_GLOBAL__N_126cunn_SpatialSoftMaxForwardIffflNS1_25LogSoftMaxForwardEpilogueEEEvPT1_PKT_T2_S9_S9_.has_recursion, 0
	.set _ZN2at6native12_GLOBAL__N_126cunn_SpatialSoftMaxForwardIffflNS1_25LogSoftMaxForwardEpilogueEEEvPT1_PKT_T2_S9_S9_.has_indirect_call, 0
	.section	.AMDGPU.csdata,"",@progbits
; Kernel info:
; codeLenInByte = 2352
; TotalNumSgprs: 33
; NumVgprs: 31
; ScratchSize: 0
; MemoryBound: 0
; FloatMode: 240
; IeeeMode: 1
; LDSByteSize: 0 bytes/workgroup (compile time only)
; SGPRBlocks: 0
; VGPRBlocks: 3
; NumSGPRsForWavesPerEU: 33
; NumVGPRsForWavesPerEU: 31
; Occupancy: 16
; WaveLimiterHint : 0
; COMPUTE_PGM_RSRC2:SCRATCH_EN: 0
; COMPUTE_PGM_RSRC2:USER_SGPR: 6
; COMPUTE_PGM_RSRC2:TRAP_HANDLER: 0
; COMPUTE_PGM_RSRC2:TGID_X_EN: 1
; COMPUTE_PGM_RSRC2:TGID_Y_EN: 1
; COMPUTE_PGM_RSRC2:TGID_Z_EN: 0
; COMPUTE_PGM_RSRC2:TIDIG_COMP_CNT: 1
	.section	.text._ZN2at6native12_GLOBAL__N_126cunn_SpatialSoftMaxForwardIN3c104HalfEfS4_iNS1_25LogSoftMaxForwardEpilogueEEEvPT1_PKT_T2_SB_SB_,"axG",@progbits,_ZN2at6native12_GLOBAL__N_126cunn_SpatialSoftMaxForwardIN3c104HalfEfS4_iNS1_25LogSoftMaxForwardEpilogueEEEvPT1_PKT_T2_SB_SB_,comdat
	.globl	_ZN2at6native12_GLOBAL__N_126cunn_SpatialSoftMaxForwardIN3c104HalfEfS4_iNS1_25LogSoftMaxForwardEpilogueEEEvPT1_PKT_T2_SB_SB_ ; -- Begin function _ZN2at6native12_GLOBAL__N_126cunn_SpatialSoftMaxForwardIN3c104HalfEfS4_iNS1_25LogSoftMaxForwardEpilogueEEEvPT1_PKT_T2_SB_SB_
	.p2align	8
	.type	_ZN2at6native12_GLOBAL__N_126cunn_SpatialSoftMaxForwardIN3c104HalfEfS4_iNS1_25LogSoftMaxForwardEpilogueEEEvPT1_PKT_T2_SB_SB_,@function
_ZN2at6native12_GLOBAL__N_126cunn_SpatialSoftMaxForwardIN3c104HalfEfS4_iNS1_25LogSoftMaxForwardEpilogueEEEvPT1_PKT_T2_SB_SB_: ; @_ZN2at6native12_GLOBAL__N_126cunn_SpatialSoftMaxForwardIN3c104HalfEfS4_iNS1_25LogSoftMaxForwardEpilogueEEEvPT1_PKT_T2_SB_SB_
; %bb.0:
	s_load_dwordx4 s[8:11], s[4:5], 0x10
	s_waitcnt lgkmcnt(0)
	s_cmp_ge_i32 s6, s8
	s_cbranch_scc1 .LBB196_36
; %bb.1:
	s_clause 0x1
	s_load_dword s0, s[4:5], 0x2c
	s_load_dwordx2 s[16:17], s[4:5], 0x20
	v_mad_u64_u32 v[2:3], null, s6, s9, v[0:1]
	s_load_dwordx4 s[12:15], s[4:5], 0x0
	s_add_u32 s4, s4, 32
	s_addc_u32 s5, s5, 0
	v_mul_lo_u32 v2, s10, v2
	s_waitcnt lgkmcnt(0)
	s_lshr_b32 s2, s0, 16
	v_cmp_gt_i32_e64 s0, s9, v0
	s_mul_i32 s7, s7, s2
	s_mul_i32 s3, s17, s2
	v_add_nc_u32_e32 v4, s7, v1
	v_add3_u32 v5, v1, v2, s7
	s_mul_i32 s7, s16, s10
	s_mul_i32 s7, s7, s9
	v_cmp_gt_i32_e64 s1, s10, v4
	s_branch .LBB196_3
.LBB196_2:                              ;   in Loop: Header=BB196_3 Depth=1
	s_or_b32 exec_lo, exec_lo, s11
	v_add_nc_u32_e32 v5, s7, v5
	s_add_i32 s6, s16, s6
	s_cmp_ge_i32 s6, s8
	s_cbranch_scc1 .LBB196_36
.LBB196_3:                              ; =>This Loop Header: Depth=1
                                        ;     Child Loop BB196_7 Depth 2
                                        ;       Child Loop BB196_10 Depth 3
                                        ;       Child Loop BB196_12 Depth 3
	;; [unrolled: 1-line block ×8, first 2 shown]
	s_and_saveexec_b32 s11, s1
	s_cbranch_execz .LBB196_2
; %bb.4:                                ;   in Loop: Header=BB196_3 Depth=1
	s_load_dword s2, s[4:5], 0xc
	v_mov_b32_e32 v7, v5
	v_mov_b32_e32 v9, v4
	s_mov_b32 s20, 0
	s_waitcnt lgkmcnt(0)
	s_and_b32 s17, s2, 0xffff
	v_mul_u32_u24_e32 v2, s17, v1
	s_cmp_lt_u32 s17, 2
	s_mul_i32 s19, s10, s17
	s_cselect_b32 s18, -1, 0
	v_lshl_add_u32 v6, v2, 2, 0
	v_lshl_add_u32 v8, v0, 2, v6
	s_branch .LBB196_7
.LBB196_5:                              ;   in Loop: Header=BB196_7 Depth=2
	s_or_b32 exec_lo, exec_lo, s21
.LBB196_6:                              ;   in Loop: Header=BB196_7 Depth=2
	v_add_nc_u32_e32 v9, s3, v9
	v_add_nc_u32_e32 v7, s3, v7
	v_cmp_le_i32_e32 vcc_lo, s10, v9
	s_or_b32 s20, vcc_lo, s20
	s_andn2_b32 exec_lo, exec_lo, s20
	s_cbranch_execz .LBB196_2
.LBB196_7:                              ;   Parent Loop BB196_3 Depth=1
                                        ; =>  This Loop Header: Depth=2
                                        ;       Child Loop BB196_10 Depth 3
                                        ;       Child Loop BB196_12 Depth 3
                                        ;       Child Loop BB196_14 Depth 3
                                        ;       Child Loop BB196_19 Depth 3
                                        ;       Child Loop BB196_23 Depth 3
                                        ;       Child Loop BB196_27 Depth 3
                                        ;       Child Loop BB196_31 Depth 3
                                        ;       Child Loop BB196_35 Depth 3
	s_and_b32 vcc_lo, exec_lo, s18
	s_mov_b32 s2, -1
	s_cbranch_vccz .LBB196_16
; %bb.8:                                ;   in Loop: Header=BB196_7 Depth=2
	s_and_saveexec_b32 s21, s0
	s_cbranch_execz .LBB196_15
; %bb.9:                                ;   in Loop: Header=BB196_7 Depth=2
	v_mov_b32_e32 v10, 0xff7fffff
	v_mov_b32_e32 v2, v7
	v_mov_b32_e32 v11, v0
	s_mov_b32 s22, 0
	.p2align	6
.LBB196_10:                             ;   Parent Loop BB196_3 Depth=1
                                        ;     Parent Loop BB196_7 Depth=2
                                        ; =>    This Inner Loop Header: Depth=3
	v_ashrrev_i32_e32 v3, 31, v2
	v_add_nc_u32_e32 v11, s17, v11
	v_lshlrev_b64 v[12:13], 1, v[2:3]
	v_add_nc_u32_e32 v2, s19, v2
	v_add_co_u32 v12, vcc_lo, s14, v12
	v_add_co_ci_u32_e64 v13, null, s15, v13, vcc_lo
	v_cmp_le_i32_e32 vcc_lo, s9, v11
	global_load_ushort v3, v[12:13], off
	s_or_b32 s22, vcc_lo, s22
	s_waitcnt vmcnt(0)
	v_cvt_f32_f16_e32 v3, v3
	v_cmp_lt_f32_e64 s2, v10, v3
	v_cndmask_b32_e64 v10, v10, v3, s2
	s_andn2_b32 exec_lo, exec_lo, s22
	s_cbranch_execnz .LBB196_10
; %bb.11:                               ;   in Loop: Header=BB196_7 Depth=2
	s_or_b32 exec_lo, exec_lo, s22
	v_mov_b32_e32 v11, 0
	v_mov_b32_e32 v2, v7
	;; [unrolled: 1-line block ×3, first 2 shown]
	s_mov_b32 s2, 0
	s_inst_prefetch 0x1
	.p2align	6
.LBB196_12:                             ;   Parent Loop BB196_3 Depth=1
                                        ;     Parent Loop BB196_7 Depth=2
                                        ; =>    This Inner Loop Header: Depth=3
	v_ashrrev_i32_e32 v3, 31, v2
	v_add_nc_u32_e32 v12, s17, v12
	v_lshlrev_b64 v[13:14], 1, v[2:3]
	v_add_nc_u32_e32 v2, s19, v2
	v_add_co_u32 v13, vcc_lo, s14, v13
	v_add_co_ci_u32_e64 v14, null, s15, v14, vcc_lo
	global_load_ushort v3, v[13:14], off
	s_waitcnt vmcnt(0)
	v_cvt_f32_f16_e32 v3, v3
	v_sub_f32_e32 v3, v3, v10
	v_mul_f32_e32 v13, 0x3fb8aa3b, v3
	v_cmp_ngt_f32_e32 vcc_lo, 0xc2ce8ed0, v3
	v_fma_f32 v14, 0x3fb8aa3b, v3, -v13
	v_rndne_f32_e32 v15, v13
	v_fmac_f32_e32 v14, 0x32a5705f, v3
	v_sub_f32_e32 v13, v13, v15
	v_add_f32_e32 v13, v13, v14
	v_cvt_i32_f32_e32 v14, v15
	v_exp_f32_e32 v13, v13
	v_ldexp_f32 v13, v13, v14
	v_cndmask_b32_e32 v13, 0, v13, vcc_lo
	v_cmp_nlt_f32_e32 vcc_lo, 0x42b17218, v3
	v_cndmask_b32_e32 v3, 0x7f800000, v13, vcc_lo
	v_cmp_le_i32_e32 vcc_lo, s9, v12
	v_add_f32_e32 v11, v11, v3
	s_or_b32 s2, vcc_lo, s2
	s_andn2_b32 exec_lo, exec_lo, s2
	s_cbranch_execnz .LBB196_12
; %bb.13:                               ;   in Loop: Header=BB196_7 Depth=2
	s_inst_prefetch 0x2
	s_or_b32 exec_lo, exec_lo, s2
	v_cmp_gt_f32_e32 vcc_lo, 0x800000, v11
	v_mov_b32_e32 v12, v0
	s_mov_b32 s22, 0
	v_cndmask_b32_e64 v2, 0, 32, vcc_lo
	v_ldexp_f32 v2, v11, v2
	v_cndmask_b32_e64 v11, 0, 0x41b17218, vcc_lo
	v_log_f32_e32 v2, v2
	v_mul_f32_e32 v3, 0x3f317217, v2
	v_cmp_gt_f32_e64 vcc_lo, 0x7f800000, |v2|
	v_fma_f32 v3, 0x3f317217, v2, -v3
	v_fmac_f32_e32 v3, 0x3377d1cf, v2
	v_fmac_f32_e32 v3, 0x3f317217, v2
	v_cndmask_b32_e32 v3, v2, v3, vcc_lo
	v_mov_b32_e32 v2, v7
	v_sub_f32_e32 v11, v3, v11
	.p2align	6
.LBB196_14:                             ;   Parent Loop BB196_3 Depth=1
                                        ;     Parent Loop BB196_7 Depth=2
                                        ; =>    This Inner Loop Header: Depth=3
	v_ashrrev_i32_e32 v3, 31, v2
	v_add_nc_u32_e32 v12, s17, v12
	v_lshlrev_b64 v[13:14], 1, v[2:3]
	v_add_nc_u32_e32 v2, s19, v2
	v_add_co_u32 v15, vcc_lo, s14, v13
	v_add_co_ci_u32_e64 v16, null, s15, v14, vcc_lo
	v_cmp_le_i32_e32 vcc_lo, s9, v12
	v_add_co_u32 v13, s2, s12, v13
	global_load_ushort v3, v[15:16], off
	v_add_co_ci_u32_e64 v14, null, s13, v14, s2
	s_or_b32 s22, vcc_lo, s22
	s_waitcnt vmcnt(0)
	v_cvt_f32_f16_e32 v3, v3
	v_sub_f32_e32 v3, v3, v10
	v_sub_f32_e32 v3, v3, v11
	v_cvt_f16_f32_e32 v3, v3
	global_store_short v[13:14], v3, off
	s_andn2_b32 exec_lo, exec_lo, s22
	s_cbranch_execnz .LBB196_14
.LBB196_15:                             ;   in Loop: Header=BB196_7 Depth=2
	s_or_b32 exec_lo, exec_lo, s21
	s_mov_b32 s2, 0
.LBB196_16:                             ;   in Loop: Header=BB196_7 Depth=2
	s_andn2_b32 vcc_lo, exec_lo, s2
	s_cbranch_vccnz .LBB196_6
; %bb.17:                               ;   in Loop: Header=BB196_7 Depth=2
	v_mov_b32_e32 v10, 0xff7fffff
	s_and_saveexec_b32 s21, s0
	s_cbranch_execz .LBB196_21
; %bb.18:                               ;   in Loop: Header=BB196_7 Depth=2
	v_mov_b32_e32 v10, 0xff7fffff
	v_mov_b32_e32 v2, v7
	;; [unrolled: 1-line block ×3, first 2 shown]
	s_mov_b32 s22, 0
	.p2align	6
.LBB196_19:                             ;   Parent Loop BB196_3 Depth=1
                                        ;     Parent Loop BB196_7 Depth=2
                                        ; =>    This Inner Loop Header: Depth=3
	v_ashrrev_i32_e32 v3, 31, v2
	v_add_nc_u32_e32 v11, s17, v11
	v_lshlrev_b64 v[12:13], 1, v[2:3]
	v_add_nc_u32_e32 v2, s19, v2
	v_add_co_u32 v12, vcc_lo, s14, v12
	v_add_co_ci_u32_e64 v13, null, s15, v13, vcc_lo
	v_cmp_le_i32_e32 vcc_lo, s9, v11
	global_load_ushort v3, v[12:13], off
	s_or_b32 s22, vcc_lo, s22
	s_waitcnt vmcnt(0)
	v_cvt_f32_f16_e32 v3, v3
	v_cmp_lt_f32_e64 s2, v10, v3
	v_cndmask_b32_e64 v10, v10, v3, s2
	s_andn2_b32 exec_lo, exec_lo, s22
	s_cbranch_execnz .LBB196_19
; %bb.20:                               ;   in Loop: Header=BB196_7 Depth=2
	s_or_b32 exec_lo, exec_lo, s22
.LBB196_21:                             ;   in Loop: Header=BB196_7 Depth=2
	s_or_b32 exec_lo, exec_lo, s21
	s_mov_b32 s2, s17
	s_waitcnt_vscnt null, 0x0
	s_barrier
	buffer_gl0_inv
	ds_write_b32 v8, v10
	s_branch .LBB196_23
	.p2align	6
.LBB196_22:                             ;   in Loop: Header=BB196_23 Depth=3
	s_or_b32 exec_lo, exec_lo, s22
	s_cmp_gt_u32 s2, 3
	s_mov_b32 s2, s21
	s_cbranch_scc0 .LBB196_25
.LBB196_23:                             ;   Parent Loop BB196_3 Depth=1
                                        ;     Parent Loop BB196_7 Depth=2
                                        ; =>    This Inner Loop Header: Depth=3
	s_lshr_b32 s21, s2, 1
	s_mov_b32 s22, exec_lo
	s_waitcnt lgkmcnt(0)
	s_barrier
	buffer_gl0_inv
	v_cmpx_gt_u32_e64 s21, v0
	s_cbranch_execz .LBB196_22
; %bb.24:                               ;   in Loop: Header=BB196_23 Depth=3
	v_lshl_add_u32 v2, s21, 2, v8
	ds_read_b32 v3, v8
	ds_read_b32 v2, v2
	s_waitcnt lgkmcnt(0)
	v_cmp_lt_f32_e32 vcc_lo, v3, v2
	v_cndmask_b32_e32 v2, v3, v2, vcc_lo
	ds_write_b32 v8, v2
	s_branch .LBB196_22
.LBB196_25:                             ;   in Loop: Header=BB196_7 Depth=2
	s_waitcnt lgkmcnt(0)
	s_barrier
	buffer_gl0_inv
	ds_read_b32 v10, v6
	v_mov_b32_e32 v11, 0
	s_and_saveexec_b32 s2, s0
	s_cbranch_execz .LBB196_29
; %bb.26:                               ;   in Loop: Header=BB196_7 Depth=2
	v_mov_b32_e32 v11, 0
	v_mov_b32_e32 v2, v7
	;; [unrolled: 1-line block ×3, first 2 shown]
	s_mov_b32 s21, 0
	s_inst_prefetch 0x1
	.p2align	6
.LBB196_27:                             ;   Parent Loop BB196_3 Depth=1
                                        ;     Parent Loop BB196_7 Depth=2
                                        ; =>    This Inner Loop Header: Depth=3
	v_ashrrev_i32_e32 v3, 31, v2
	v_add_nc_u32_e32 v12, s17, v12
	v_lshlrev_b64 v[13:14], 1, v[2:3]
	v_add_nc_u32_e32 v2, s19, v2
	v_add_co_u32 v13, vcc_lo, s14, v13
	v_add_co_ci_u32_e64 v14, null, s15, v14, vcc_lo
	global_load_ushort v3, v[13:14], off
	s_waitcnt vmcnt(0)
	v_cvt_f32_f16_e32 v3, v3
	s_waitcnt lgkmcnt(0)
	v_sub_f32_e32 v3, v3, v10
	v_mul_f32_e32 v13, 0x3fb8aa3b, v3
	v_cmp_ngt_f32_e32 vcc_lo, 0xc2ce8ed0, v3
	v_fma_f32 v14, 0x3fb8aa3b, v3, -v13
	v_rndne_f32_e32 v15, v13
	v_fmac_f32_e32 v14, 0x32a5705f, v3
	v_sub_f32_e32 v13, v13, v15
	v_add_f32_e32 v13, v13, v14
	v_cvt_i32_f32_e32 v14, v15
	v_exp_f32_e32 v13, v13
	v_ldexp_f32 v13, v13, v14
	v_cndmask_b32_e32 v13, 0, v13, vcc_lo
	v_cmp_nlt_f32_e32 vcc_lo, 0x42b17218, v3
	v_cndmask_b32_e32 v3, 0x7f800000, v13, vcc_lo
	v_cmp_le_i32_e32 vcc_lo, s9, v12
	v_add_f32_e32 v11, v11, v3
	s_or_b32 s21, vcc_lo, s21
	s_andn2_b32 exec_lo, exec_lo, s21
	s_cbranch_execnz .LBB196_27
; %bb.28:                               ;   in Loop: Header=BB196_7 Depth=2
	s_inst_prefetch 0x2
	s_or_b32 exec_lo, exec_lo, s21
.LBB196_29:                             ;   in Loop: Header=BB196_7 Depth=2
	s_or_b32 exec_lo, exec_lo, s2
	s_mov_b32 s2, s17
	s_waitcnt lgkmcnt(0)
	s_barrier
	buffer_gl0_inv
	ds_write_b32 v8, v11
	s_branch .LBB196_31
	.p2align	6
.LBB196_30:                             ;   in Loop: Header=BB196_31 Depth=3
	s_or_b32 exec_lo, exec_lo, s22
	s_cmp_gt_u32 s2, 3
	s_mov_b32 s2, s21
	s_cbranch_scc0 .LBB196_33
.LBB196_31:                             ;   Parent Loop BB196_3 Depth=1
                                        ;     Parent Loop BB196_7 Depth=2
                                        ; =>    This Inner Loop Header: Depth=3
	s_lshr_b32 s21, s2, 1
	s_mov_b32 s22, exec_lo
	s_waitcnt lgkmcnt(0)
	s_barrier
	buffer_gl0_inv
	v_cmpx_gt_u32_e64 s21, v0
	s_cbranch_execz .LBB196_30
; %bb.32:                               ;   in Loop: Header=BB196_31 Depth=3
	v_lshl_add_u32 v2, s21, 2, v8
	ds_read_b32 v3, v8
	ds_read_b32 v2, v2
	s_waitcnt lgkmcnt(0)
	v_add_f32_e32 v2, v3, v2
	ds_write_b32 v8, v2
	s_branch .LBB196_30
.LBB196_33:                             ;   in Loop: Header=BB196_7 Depth=2
	s_waitcnt lgkmcnt(0)
	s_barrier
	buffer_gl0_inv
	s_and_saveexec_b32 s21, s0
	s_cbranch_execz .LBB196_5
; %bb.34:                               ;   in Loop: Header=BB196_7 Depth=2
	ds_read_b32 v2, v6
	v_mov_b32_e32 v12, v0
	s_mov_b32 s22, 0
	s_waitcnt lgkmcnt(0)
	v_cmp_gt_f32_e32 vcc_lo, 0x800000, v2
	v_cndmask_b32_e64 v3, 0, 32, vcc_lo
	v_cndmask_b32_e64 v11, 0, 0x41b17218, vcc_lo
	v_ldexp_f32 v2, v2, v3
	v_log_f32_e32 v2, v2
	v_mul_f32_e32 v3, 0x3f317217, v2
	v_cmp_gt_f32_e64 vcc_lo, 0x7f800000, |v2|
	v_fma_f32 v3, 0x3f317217, v2, -v3
	v_fmac_f32_e32 v3, 0x3377d1cf, v2
	v_fmac_f32_e32 v3, 0x3f317217, v2
	v_cndmask_b32_e32 v3, v2, v3, vcc_lo
	v_mov_b32_e32 v2, v7
	v_sub_f32_e32 v11, v3, v11
	.p2align	6
.LBB196_35:                             ;   Parent Loop BB196_3 Depth=1
                                        ;     Parent Loop BB196_7 Depth=2
                                        ; =>    This Inner Loop Header: Depth=3
	v_ashrrev_i32_e32 v3, 31, v2
	v_add_nc_u32_e32 v12, s17, v12
	v_lshlrev_b64 v[13:14], 1, v[2:3]
	v_add_nc_u32_e32 v2, s19, v2
	v_add_co_u32 v15, vcc_lo, s14, v13
	v_add_co_ci_u32_e64 v16, null, s15, v14, vcc_lo
	v_cmp_le_i32_e32 vcc_lo, s9, v12
	v_add_co_u32 v13, s2, s12, v13
	global_load_ushort v3, v[15:16], off
	v_add_co_ci_u32_e64 v14, null, s13, v14, s2
	s_or_b32 s22, vcc_lo, s22
	s_waitcnt vmcnt(0)
	v_cvt_f32_f16_e32 v3, v3
	v_sub_f32_e32 v3, v3, v10
	v_sub_f32_e32 v3, v3, v11
	v_cvt_f16_f32_e32 v3, v3
	global_store_short v[13:14], v3, off
	s_andn2_b32 exec_lo, exec_lo, s22
	s_cbranch_execnz .LBB196_35
	s_branch .LBB196_5
.LBB196_36:
	s_endpgm
	.section	.rodata,"a",@progbits
	.p2align	6, 0x0
	.amdhsa_kernel _ZN2at6native12_GLOBAL__N_126cunn_SpatialSoftMaxForwardIN3c104HalfEfS4_iNS1_25LogSoftMaxForwardEpilogueEEEvPT1_PKT_T2_SB_SB_
		.amdhsa_group_segment_fixed_size 0
		.amdhsa_private_segment_fixed_size 0
		.amdhsa_kernarg_size 288
		.amdhsa_user_sgpr_count 6
		.amdhsa_user_sgpr_private_segment_buffer 1
		.amdhsa_user_sgpr_dispatch_ptr 0
		.amdhsa_user_sgpr_queue_ptr 0
		.amdhsa_user_sgpr_kernarg_segment_ptr 1
		.amdhsa_user_sgpr_dispatch_id 0
		.amdhsa_user_sgpr_flat_scratch_init 0
		.amdhsa_user_sgpr_private_segment_size 0
		.amdhsa_wavefront_size32 1
		.amdhsa_uses_dynamic_stack 0
		.amdhsa_system_sgpr_private_segment_wavefront_offset 0
		.amdhsa_system_sgpr_workgroup_id_x 1
		.amdhsa_system_sgpr_workgroup_id_y 1
		.amdhsa_system_sgpr_workgroup_id_z 0
		.amdhsa_system_sgpr_workgroup_info 0
		.amdhsa_system_vgpr_workitem_id 1
		.amdhsa_next_free_vgpr 17
		.amdhsa_next_free_sgpr 23
		.amdhsa_reserve_vcc 1
		.amdhsa_reserve_flat_scratch 0
		.amdhsa_float_round_mode_32 0
		.amdhsa_float_round_mode_16_64 0
		.amdhsa_float_denorm_mode_32 3
		.amdhsa_float_denorm_mode_16_64 3
		.amdhsa_dx10_clamp 1
		.amdhsa_ieee_mode 1
		.amdhsa_fp16_overflow 0
		.amdhsa_workgroup_processor_mode 1
		.amdhsa_memory_ordered 1
		.amdhsa_forward_progress 1
		.amdhsa_shared_vgpr_count 0
		.amdhsa_exception_fp_ieee_invalid_op 0
		.amdhsa_exception_fp_denorm_src 0
		.amdhsa_exception_fp_ieee_div_zero 0
		.amdhsa_exception_fp_ieee_overflow 0
		.amdhsa_exception_fp_ieee_underflow 0
		.amdhsa_exception_fp_ieee_inexact 0
		.amdhsa_exception_int_div_zero 0
	.end_amdhsa_kernel
	.section	.text._ZN2at6native12_GLOBAL__N_126cunn_SpatialSoftMaxForwardIN3c104HalfEfS4_iNS1_25LogSoftMaxForwardEpilogueEEEvPT1_PKT_T2_SB_SB_,"axG",@progbits,_ZN2at6native12_GLOBAL__N_126cunn_SpatialSoftMaxForwardIN3c104HalfEfS4_iNS1_25LogSoftMaxForwardEpilogueEEEvPT1_PKT_T2_SB_SB_,comdat
.Lfunc_end196:
	.size	_ZN2at6native12_GLOBAL__N_126cunn_SpatialSoftMaxForwardIN3c104HalfEfS4_iNS1_25LogSoftMaxForwardEpilogueEEEvPT1_PKT_T2_SB_SB_, .Lfunc_end196-_ZN2at6native12_GLOBAL__N_126cunn_SpatialSoftMaxForwardIN3c104HalfEfS4_iNS1_25LogSoftMaxForwardEpilogueEEEvPT1_PKT_T2_SB_SB_
                                        ; -- End function
	.set _ZN2at6native12_GLOBAL__N_126cunn_SpatialSoftMaxForwardIN3c104HalfEfS4_iNS1_25LogSoftMaxForwardEpilogueEEEvPT1_PKT_T2_SB_SB_.num_vgpr, 17
	.set _ZN2at6native12_GLOBAL__N_126cunn_SpatialSoftMaxForwardIN3c104HalfEfS4_iNS1_25LogSoftMaxForwardEpilogueEEEvPT1_PKT_T2_SB_SB_.num_agpr, 0
	.set _ZN2at6native12_GLOBAL__N_126cunn_SpatialSoftMaxForwardIN3c104HalfEfS4_iNS1_25LogSoftMaxForwardEpilogueEEEvPT1_PKT_T2_SB_SB_.numbered_sgpr, 23
	.set _ZN2at6native12_GLOBAL__N_126cunn_SpatialSoftMaxForwardIN3c104HalfEfS4_iNS1_25LogSoftMaxForwardEpilogueEEEvPT1_PKT_T2_SB_SB_.num_named_barrier, 0
	.set _ZN2at6native12_GLOBAL__N_126cunn_SpatialSoftMaxForwardIN3c104HalfEfS4_iNS1_25LogSoftMaxForwardEpilogueEEEvPT1_PKT_T2_SB_SB_.private_seg_size, 0
	.set _ZN2at6native12_GLOBAL__N_126cunn_SpatialSoftMaxForwardIN3c104HalfEfS4_iNS1_25LogSoftMaxForwardEpilogueEEEvPT1_PKT_T2_SB_SB_.uses_vcc, 1
	.set _ZN2at6native12_GLOBAL__N_126cunn_SpatialSoftMaxForwardIN3c104HalfEfS4_iNS1_25LogSoftMaxForwardEpilogueEEEvPT1_PKT_T2_SB_SB_.uses_flat_scratch, 0
	.set _ZN2at6native12_GLOBAL__N_126cunn_SpatialSoftMaxForwardIN3c104HalfEfS4_iNS1_25LogSoftMaxForwardEpilogueEEEvPT1_PKT_T2_SB_SB_.has_dyn_sized_stack, 0
	.set _ZN2at6native12_GLOBAL__N_126cunn_SpatialSoftMaxForwardIN3c104HalfEfS4_iNS1_25LogSoftMaxForwardEpilogueEEEvPT1_PKT_T2_SB_SB_.has_recursion, 0
	.set _ZN2at6native12_GLOBAL__N_126cunn_SpatialSoftMaxForwardIN3c104HalfEfS4_iNS1_25LogSoftMaxForwardEpilogueEEEvPT1_PKT_T2_SB_SB_.has_indirect_call, 0
	.section	.AMDGPU.csdata,"",@progbits
; Kernel info:
; codeLenInByte = 1904
; TotalNumSgprs: 25
; NumVgprs: 17
; ScratchSize: 0
; MemoryBound: 0
; FloatMode: 240
; IeeeMode: 1
; LDSByteSize: 0 bytes/workgroup (compile time only)
; SGPRBlocks: 0
; VGPRBlocks: 2
; NumSGPRsForWavesPerEU: 25
; NumVGPRsForWavesPerEU: 17
; Occupancy: 16
; WaveLimiterHint : 0
; COMPUTE_PGM_RSRC2:SCRATCH_EN: 0
; COMPUTE_PGM_RSRC2:USER_SGPR: 6
; COMPUTE_PGM_RSRC2:TRAP_HANDLER: 0
; COMPUTE_PGM_RSRC2:TGID_X_EN: 1
; COMPUTE_PGM_RSRC2:TGID_Y_EN: 1
; COMPUTE_PGM_RSRC2:TGID_Z_EN: 0
; COMPUTE_PGM_RSRC2:TIDIG_COMP_CNT: 1
	.section	.text._ZN2at6native12_GLOBAL__N_126cunn_SpatialSoftMaxForwardIN3c104HalfEffiNS1_25LogSoftMaxForwardEpilogueEEEvPT1_PKT_T2_SB_SB_,"axG",@progbits,_ZN2at6native12_GLOBAL__N_126cunn_SpatialSoftMaxForwardIN3c104HalfEffiNS1_25LogSoftMaxForwardEpilogueEEEvPT1_PKT_T2_SB_SB_,comdat
	.globl	_ZN2at6native12_GLOBAL__N_126cunn_SpatialSoftMaxForwardIN3c104HalfEffiNS1_25LogSoftMaxForwardEpilogueEEEvPT1_PKT_T2_SB_SB_ ; -- Begin function _ZN2at6native12_GLOBAL__N_126cunn_SpatialSoftMaxForwardIN3c104HalfEffiNS1_25LogSoftMaxForwardEpilogueEEEvPT1_PKT_T2_SB_SB_
	.p2align	8
	.type	_ZN2at6native12_GLOBAL__N_126cunn_SpatialSoftMaxForwardIN3c104HalfEffiNS1_25LogSoftMaxForwardEpilogueEEEvPT1_PKT_T2_SB_SB_,@function
_ZN2at6native12_GLOBAL__N_126cunn_SpatialSoftMaxForwardIN3c104HalfEffiNS1_25LogSoftMaxForwardEpilogueEEEvPT1_PKT_T2_SB_SB_: ; @_ZN2at6native12_GLOBAL__N_126cunn_SpatialSoftMaxForwardIN3c104HalfEffiNS1_25LogSoftMaxForwardEpilogueEEEvPT1_PKT_T2_SB_SB_
; %bb.0:
	s_load_dwordx4 s[8:11], s[4:5], 0x10
	s_waitcnt lgkmcnt(0)
	s_cmp_ge_i32 s6, s8
	s_cbranch_scc1 .LBB197_36
; %bb.1:
	s_clause 0x1
	s_load_dword s0, s[4:5], 0x2c
	s_load_dwordx2 s[16:17], s[4:5], 0x20
	v_mad_u64_u32 v[2:3], null, s6, s9, v[0:1]
	s_load_dwordx4 s[12:15], s[4:5], 0x0
	s_add_u32 s4, s4, 32
	s_addc_u32 s5, s5, 0
	v_mul_lo_u32 v2, s10, v2
	s_waitcnt lgkmcnt(0)
	s_lshr_b32 s2, s0, 16
	v_cmp_gt_i32_e64 s0, s9, v0
	s_mul_i32 s7, s7, s2
	s_mul_i32 s3, s17, s2
	v_add_nc_u32_e32 v4, s7, v1
	v_add3_u32 v5, v1, v2, s7
	s_mul_i32 s7, s16, s10
	s_mul_i32 s7, s7, s9
	v_cmp_gt_i32_e64 s1, s10, v4
	s_branch .LBB197_3
.LBB197_2:                              ;   in Loop: Header=BB197_3 Depth=1
	s_or_b32 exec_lo, exec_lo, s11
	v_add_nc_u32_e32 v5, s7, v5
	s_add_i32 s6, s16, s6
	s_cmp_ge_i32 s6, s8
	s_cbranch_scc1 .LBB197_36
.LBB197_3:                              ; =>This Loop Header: Depth=1
                                        ;     Child Loop BB197_7 Depth 2
                                        ;       Child Loop BB197_10 Depth 3
                                        ;       Child Loop BB197_12 Depth 3
	;; [unrolled: 1-line block ×8, first 2 shown]
	s_and_saveexec_b32 s11, s1
	s_cbranch_execz .LBB197_2
; %bb.4:                                ;   in Loop: Header=BB197_3 Depth=1
	s_load_dword s2, s[4:5], 0xc
	v_mov_b32_e32 v7, v5
	v_mov_b32_e32 v9, v4
	s_mov_b32 s20, 0
	s_waitcnt lgkmcnt(0)
	s_and_b32 s17, s2, 0xffff
	v_mul_u32_u24_e32 v2, s17, v1
	s_cmp_lt_u32 s17, 2
	s_mul_i32 s19, s10, s17
	s_cselect_b32 s18, -1, 0
	v_lshl_add_u32 v6, v2, 2, 0
	v_lshl_add_u32 v8, v0, 2, v6
	s_branch .LBB197_7
.LBB197_5:                              ;   in Loop: Header=BB197_7 Depth=2
	s_or_b32 exec_lo, exec_lo, s21
.LBB197_6:                              ;   in Loop: Header=BB197_7 Depth=2
	v_add_nc_u32_e32 v9, s3, v9
	v_add_nc_u32_e32 v7, s3, v7
	v_cmp_le_i32_e32 vcc_lo, s10, v9
	s_or_b32 s20, vcc_lo, s20
	s_andn2_b32 exec_lo, exec_lo, s20
	s_cbranch_execz .LBB197_2
.LBB197_7:                              ;   Parent Loop BB197_3 Depth=1
                                        ; =>  This Loop Header: Depth=2
                                        ;       Child Loop BB197_10 Depth 3
                                        ;       Child Loop BB197_12 Depth 3
	;; [unrolled: 1-line block ×8, first 2 shown]
	s_and_b32 vcc_lo, exec_lo, s18
	s_mov_b32 s2, -1
	s_cbranch_vccz .LBB197_16
; %bb.8:                                ;   in Loop: Header=BB197_7 Depth=2
	s_and_saveexec_b32 s21, s0
	s_cbranch_execz .LBB197_15
; %bb.9:                                ;   in Loop: Header=BB197_7 Depth=2
	v_mov_b32_e32 v10, 0xff7fffff
	v_mov_b32_e32 v2, v7
	;; [unrolled: 1-line block ×3, first 2 shown]
	s_mov_b32 s22, 0
	.p2align	6
.LBB197_10:                             ;   Parent Loop BB197_3 Depth=1
                                        ;     Parent Loop BB197_7 Depth=2
                                        ; =>    This Inner Loop Header: Depth=3
	v_ashrrev_i32_e32 v3, 31, v2
	v_add_nc_u32_e32 v11, s17, v11
	v_lshlrev_b64 v[12:13], 1, v[2:3]
	v_add_nc_u32_e32 v2, s19, v2
	v_add_co_u32 v12, vcc_lo, s14, v12
	v_add_co_ci_u32_e64 v13, null, s15, v13, vcc_lo
	v_cmp_le_i32_e32 vcc_lo, s9, v11
	global_load_ushort v3, v[12:13], off
	s_or_b32 s22, vcc_lo, s22
	s_waitcnt vmcnt(0)
	v_cvt_f32_f16_e32 v3, v3
	v_cmp_lt_f32_e64 s2, v10, v3
	v_cndmask_b32_e64 v10, v10, v3, s2
	s_andn2_b32 exec_lo, exec_lo, s22
	s_cbranch_execnz .LBB197_10
; %bb.11:                               ;   in Loop: Header=BB197_7 Depth=2
	s_or_b32 exec_lo, exec_lo, s22
	v_mov_b32_e32 v11, 0
	v_mov_b32_e32 v2, v7
	;; [unrolled: 1-line block ×3, first 2 shown]
	s_mov_b32 s2, 0
	s_inst_prefetch 0x1
	.p2align	6
.LBB197_12:                             ;   Parent Loop BB197_3 Depth=1
                                        ;     Parent Loop BB197_7 Depth=2
                                        ; =>    This Inner Loop Header: Depth=3
	v_ashrrev_i32_e32 v3, 31, v2
	v_add_nc_u32_e32 v12, s17, v12
	v_lshlrev_b64 v[13:14], 1, v[2:3]
	v_add_nc_u32_e32 v2, s19, v2
	v_add_co_u32 v13, vcc_lo, s14, v13
	v_add_co_ci_u32_e64 v14, null, s15, v14, vcc_lo
	global_load_ushort v3, v[13:14], off
	s_waitcnt vmcnt(0)
	v_cvt_f32_f16_e32 v3, v3
	v_sub_f32_e32 v3, v3, v10
	v_mul_f32_e32 v13, 0x3fb8aa3b, v3
	v_cmp_ngt_f32_e32 vcc_lo, 0xc2ce8ed0, v3
	v_fma_f32 v14, 0x3fb8aa3b, v3, -v13
	v_rndne_f32_e32 v15, v13
	v_fmac_f32_e32 v14, 0x32a5705f, v3
	v_sub_f32_e32 v13, v13, v15
	v_add_f32_e32 v13, v13, v14
	v_cvt_i32_f32_e32 v14, v15
	v_exp_f32_e32 v13, v13
	v_ldexp_f32 v13, v13, v14
	v_cndmask_b32_e32 v13, 0, v13, vcc_lo
	v_cmp_nlt_f32_e32 vcc_lo, 0x42b17218, v3
	v_cndmask_b32_e32 v3, 0x7f800000, v13, vcc_lo
	v_cmp_le_i32_e32 vcc_lo, s9, v12
	v_add_f32_e32 v11, v11, v3
	s_or_b32 s2, vcc_lo, s2
	s_andn2_b32 exec_lo, exec_lo, s2
	s_cbranch_execnz .LBB197_12
; %bb.13:                               ;   in Loop: Header=BB197_7 Depth=2
	s_inst_prefetch 0x2
	s_or_b32 exec_lo, exec_lo, s2
	v_cmp_gt_f32_e32 vcc_lo, 0x800000, v11
	v_mov_b32_e32 v12, v0
	s_mov_b32 s22, 0
	v_cndmask_b32_e64 v2, 0, 32, vcc_lo
	v_ldexp_f32 v2, v11, v2
	v_cndmask_b32_e64 v11, 0, 0x41b17218, vcc_lo
	v_log_f32_e32 v2, v2
	v_mul_f32_e32 v3, 0x3f317217, v2
	v_cmp_gt_f32_e64 vcc_lo, 0x7f800000, |v2|
	v_fma_f32 v3, 0x3f317217, v2, -v3
	v_fmac_f32_e32 v3, 0x3377d1cf, v2
	v_fmac_f32_e32 v3, 0x3f317217, v2
	v_cndmask_b32_e32 v3, v2, v3, vcc_lo
	v_mov_b32_e32 v2, v7
	v_sub_f32_e32 v11, v3, v11
	.p2align	6
.LBB197_14:                             ;   Parent Loop BB197_3 Depth=1
                                        ;     Parent Loop BB197_7 Depth=2
                                        ; =>    This Inner Loop Header: Depth=3
	v_ashrrev_i32_e32 v3, 31, v2
	v_add_nc_u32_e32 v12, s17, v12
	v_lshlrev_b64 v[13:14], 1, v[2:3]
	v_add_co_u32 v13, vcc_lo, s14, v13
	v_add_co_ci_u32_e64 v14, null, s15, v14, vcc_lo
	v_cmp_le_i32_e32 vcc_lo, s9, v12
	global_load_ushort v13, v[13:14], off
	s_or_b32 s22, vcc_lo, s22
	s_waitcnt vmcnt(0)
	v_cvt_f32_f16_e32 v13, v13
	v_sub_f32_e32 v15, v13, v10
	v_lshlrev_b64 v[13:14], 2, v[2:3]
	v_add_nc_u32_e32 v2, s19, v2
	v_sub_f32_e32 v3, v15, v11
	v_add_co_u32 v13, s2, s12, v13
	v_add_co_ci_u32_e64 v14, null, s13, v14, s2
	global_store_dword v[13:14], v3, off
	s_andn2_b32 exec_lo, exec_lo, s22
	s_cbranch_execnz .LBB197_14
.LBB197_15:                             ;   in Loop: Header=BB197_7 Depth=2
	s_or_b32 exec_lo, exec_lo, s21
	s_mov_b32 s2, 0
.LBB197_16:                             ;   in Loop: Header=BB197_7 Depth=2
	s_andn2_b32 vcc_lo, exec_lo, s2
	s_cbranch_vccnz .LBB197_6
; %bb.17:                               ;   in Loop: Header=BB197_7 Depth=2
	v_mov_b32_e32 v10, 0xff7fffff
	s_and_saveexec_b32 s21, s0
	s_cbranch_execz .LBB197_21
; %bb.18:                               ;   in Loop: Header=BB197_7 Depth=2
	v_mov_b32_e32 v10, 0xff7fffff
	v_mov_b32_e32 v2, v7
	;; [unrolled: 1-line block ×3, first 2 shown]
	s_mov_b32 s22, 0
	.p2align	6
.LBB197_19:                             ;   Parent Loop BB197_3 Depth=1
                                        ;     Parent Loop BB197_7 Depth=2
                                        ; =>    This Inner Loop Header: Depth=3
	v_ashrrev_i32_e32 v3, 31, v2
	v_add_nc_u32_e32 v11, s17, v11
	v_lshlrev_b64 v[12:13], 1, v[2:3]
	v_add_nc_u32_e32 v2, s19, v2
	v_add_co_u32 v12, vcc_lo, s14, v12
	v_add_co_ci_u32_e64 v13, null, s15, v13, vcc_lo
	v_cmp_le_i32_e32 vcc_lo, s9, v11
	global_load_ushort v3, v[12:13], off
	s_or_b32 s22, vcc_lo, s22
	s_waitcnt vmcnt(0)
	v_cvt_f32_f16_e32 v3, v3
	v_cmp_lt_f32_e64 s2, v10, v3
	v_cndmask_b32_e64 v10, v10, v3, s2
	s_andn2_b32 exec_lo, exec_lo, s22
	s_cbranch_execnz .LBB197_19
; %bb.20:                               ;   in Loop: Header=BB197_7 Depth=2
	s_or_b32 exec_lo, exec_lo, s22
.LBB197_21:                             ;   in Loop: Header=BB197_7 Depth=2
	s_or_b32 exec_lo, exec_lo, s21
	s_mov_b32 s2, s17
	s_waitcnt_vscnt null, 0x0
	s_barrier
	buffer_gl0_inv
	ds_write_b32 v8, v10
	s_branch .LBB197_23
	.p2align	6
.LBB197_22:                             ;   in Loop: Header=BB197_23 Depth=3
	s_or_b32 exec_lo, exec_lo, s22
	s_cmp_gt_u32 s2, 3
	s_mov_b32 s2, s21
	s_cbranch_scc0 .LBB197_25
.LBB197_23:                             ;   Parent Loop BB197_3 Depth=1
                                        ;     Parent Loop BB197_7 Depth=2
                                        ; =>    This Inner Loop Header: Depth=3
	s_lshr_b32 s21, s2, 1
	s_mov_b32 s22, exec_lo
	s_waitcnt lgkmcnt(0)
	s_barrier
	buffer_gl0_inv
	v_cmpx_gt_u32_e64 s21, v0
	s_cbranch_execz .LBB197_22
; %bb.24:                               ;   in Loop: Header=BB197_23 Depth=3
	v_lshl_add_u32 v2, s21, 2, v8
	ds_read_b32 v3, v8
	ds_read_b32 v2, v2
	s_waitcnt lgkmcnt(0)
	v_cmp_lt_f32_e32 vcc_lo, v3, v2
	v_cndmask_b32_e32 v2, v3, v2, vcc_lo
	ds_write_b32 v8, v2
	s_branch .LBB197_22
.LBB197_25:                             ;   in Loop: Header=BB197_7 Depth=2
	s_waitcnt lgkmcnt(0)
	s_barrier
	buffer_gl0_inv
	ds_read_b32 v10, v6
	v_mov_b32_e32 v11, 0
	s_and_saveexec_b32 s2, s0
	s_cbranch_execz .LBB197_29
; %bb.26:                               ;   in Loop: Header=BB197_7 Depth=2
	v_mov_b32_e32 v11, 0
	v_mov_b32_e32 v2, v7
	;; [unrolled: 1-line block ×3, first 2 shown]
	s_mov_b32 s21, 0
	s_inst_prefetch 0x1
	.p2align	6
.LBB197_27:                             ;   Parent Loop BB197_3 Depth=1
                                        ;     Parent Loop BB197_7 Depth=2
                                        ; =>    This Inner Loop Header: Depth=3
	v_ashrrev_i32_e32 v3, 31, v2
	v_add_nc_u32_e32 v12, s17, v12
	v_lshlrev_b64 v[13:14], 1, v[2:3]
	v_add_nc_u32_e32 v2, s19, v2
	v_add_co_u32 v13, vcc_lo, s14, v13
	v_add_co_ci_u32_e64 v14, null, s15, v14, vcc_lo
	global_load_ushort v3, v[13:14], off
	s_waitcnt vmcnt(0)
	v_cvt_f32_f16_e32 v3, v3
	s_waitcnt lgkmcnt(0)
	v_sub_f32_e32 v3, v3, v10
	v_mul_f32_e32 v13, 0x3fb8aa3b, v3
	v_cmp_ngt_f32_e32 vcc_lo, 0xc2ce8ed0, v3
	v_fma_f32 v14, 0x3fb8aa3b, v3, -v13
	v_rndne_f32_e32 v15, v13
	v_fmac_f32_e32 v14, 0x32a5705f, v3
	v_sub_f32_e32 v13, v13, v15
	v_add_f32_e32 v13, v13, v14
	v_cvt_i32_f32_e32 v14, v15
	v_exp_f32_e32 v13, v13
	v_ldexp_f32 v13, v13, v14
	v_cndmask_b32_e32 v13, 0, v13, vcc_lo
	v_cmp_nlt_f32_e32 vcc_lo, 0x42b17218, v3
	v_cndmask_b32_e32 v3, 0x7f800000, v13, vcc_lo
	v_cmp_le_i32_e32 vcc_lo, s9, v12
	v_add_f32_e32 v11, v11, v3
	s_or_b32 s21, vcc_lo, s21
	s_andn2_b32 exec_lo, exec_lo, s21
	s_cbranch_execnz .LBB197_27
; %bb.28:                               ;   in Loop: Header=BB197_7 Depth=2
	s_inst_prefetch 0x2
	s_or_b32 exec_lo, exec_lo, s21
.LBB197_29:                             ;   in Loop: Header=BB197_7 Depth=2
	s_or_b32 exec_lo, exec_lo, s2
	s_mov_b32 s2, s17
	s_waitcnt lgkmcnt(0)
	s_barrier
	buffer_gl0_inv
	ds_write_b32 v8, v11
	s_branch .LBB197_31
	.p2align	6
.LBB197_30:                             ;   in Loop: Header=BB197_31 Depth=3
	s_or_b32 exec_lo, exec_lo, s22
	s_cmp_gt_u32 s2, 3
	s_mov_b32 s2, s21
	s_cbranch_scc0 .LBB197_33
.LBB197_31:                             ;   Parent Loop BB197_3 Depth=1
                                        ;     Parent Loop BB197_7 Depth=2
                                        ; =>    This Inner Loop Header: Depth=3
	s_lshr_b32 s21, s2, 1
	s_mov_b32 s22, exec_lo
	s_waitcnt lgkmcnt(0)
	s_barrier
	buffer_gl0_inv
	v_cmpx_gt_u32_e64 s21, v0
	s_cbranch_execz .LBB197_30
; %bb.32:                               ;   in Loop: Header=BB197_31 Depth=3
	v_lshl_add_u32 v2, s21, 2, v8
	ds_read_b32 v3, v8
	ds_read_b32 v2, v2
	s_waitcnt lgkmcnt(0)
	v_add_f32_e32 v2, v3, v2
	ds_write_b32 v8, v2
	s_branch .LBB197_30
.LBB197_33:                             ;   in Loop: Header=BB197_7 Depth=2
	s_waitcnt lgkmcnt(0)
	s_barrier
	buffer_gl0_inv
	s_and_saveexec_b32 s21, s0
	s_cbranch_execz .LBB197_5
; %bb.34:                               ;   in Loop: Header=BB197_7 Depth=2
	ds_read_b32 v2, v6
	v_mov_b32_e32 v12, v0
	s_mov_b32 s22, 0
	s_waitcnt lgkmcnt(0)
	v_cmp_gt_f32_e32 vcc_lo, 0x800000, v2
	v_cndmask_b32_e64 v3, 0, 32, vcc_lo
	v_cndmask_b32_e64 v11, 0, 0x41b17218, vcc_lo
	v_ldexp_f32 v2, v2, v3
	v_log_f32_e32 v2, v2
	v_mul_f32_e32 v3, 0x3f317217, v2
	v_cmp_gt_f32_e64 vcc_lo, 0x7f800000, |v2|
	v_fma_f32 v3, 0x3f317217, v2, -v3
	v_fmac_f32_e32 v3, 0x3377d1cf, v2
	v_fmac_f32_e32 v3, 0x3f317217, v2
	v_cndmask_b32_e32 v3, v2, v3, vcc_lo
	v_mov_b32_e32 v2, v7
	v_sub_f32_e32 v11, v3, v11
	.p2align	6
.LBB197_35:                             ;   Parent Loop BB197_3 Depth=1
                                        ;     Parent Loop BB197_7 Depth=2
                                        ; =>    This Inner Loop Header: Depth=3
	v_ashrrev_i32_e32 v3, 31, v2
	v_add_nc_u32_e32 v12, s17, v12
	v_lshlrev_b64 v[13:14], 1, v[2:3]
	v_add_co_u32 v13, vcc_lo, s14, v13
	v_add_co_ci_u32_e64 v14, null, s15, v14, vcc_lo
	v_cmp_le_i32_e32 vcc_lo, s9, v12
	global_load_ushort v13, v[13:14], off
	s_or_b32 s22, vcc_lo, s22
	s_waitcnt vmcnt(0)
	v_cvt_f32_f16_e32 v13, v13
	v_sub_f32_e32 v15, v13, v10
	v_lshlrev_b64 v[13:14], 2, v[2:3]
	v_add_nc_u32_e32 v2, s19, v2
	v_sub_f32_e32 v3, v15, v11
	v_add_co_u32 v13, s2, s12, v13
	v_add_co_ci_u32_e64 v14, null, s13, v14, s2
	global_store_dword v[13:14], v3, off
	s_andn2_b32 exec_lo, exec_lo, s22
	s_cbranch_execnz .LBB197_35
	s_branch .LBB197_5
.LBB197_36:
	s_endpgm
	.section	.rodata,"a",@progbits
	.p2align	6, 0x0
	.amdhsa_kernel _ZN2at6native12_GLOBAL__N_126cunn_SpatialSoftMaxForwardIN3c104HalfEffiNS1_25LogSoftMaxForwardEpilogueEEEvPT1_PKT_T2_SB_SB_
		.amdhsa_group_segment_fixed_size 0
		.amdhsa_private_segment_fixed_size 0
		.amdhsa_kernarg_size 288
		.amdhsa_user_sgpr_count 6
		.amdhsa_user_sgpr_private_segment_buffer 1
		.amdhsa_user_sgpr_dispatch_ptr 0
		.amdhsa_user_sgpr_queue_ptr 0
		.amdhsa_user_sgpr_kernarg_segment_ptr 1
		.amdhsa_user_sgpr_dispatch_id 0
		.amdhsa_user_sgpr_flat_scratch_init 0
		.amdhsa_user_sgpr_private_segment_size 0
		.amdhsa_wavefront_size32 1
		.amdhsa_uses_dynamic_stack 0
		.amdhsa_system_sgpr_private_segment_wavefront_offset 0
		.amdhsa_system_sgpr_workgroup_id_x 1
		.amdhsa_system_sgpr_workgroup_id_y 1
		.amdhsa_system_sgpr_workgroup_id_z 0
		.amdhsa_system_sgpr_workgroup_info 0
		.amdhsa_system_vgpr_workitem_id 1
		.amdhsa_next_free_vgpr 16
		.amdhsa_next_free_sgpr 23
		.amdhsa_reserve_vcc 1
		.amdhsa_reserve_flat_scratch 0
		.amdhsa_float_round_mode_32 0
		.amdhsa_float_round_mode_16_64 0
		.amdhsa_float_denorm_mode_32 3
		.amdhsa_float_denorm_mode_16_64 3
		.amdhsa_dx10_clamp 1
		.amdhsa_ieee_mode 1
		.amdhsa_fp16_overflow 0
		.amdhsa_workgroup_processor_mode 1
		.amdhsa_memory_ordered 1
		.amdhsa_forward_progress 1
		.amdhsa_shared_vgpr_count 0
		.amdhsa_exception_fp_ieee_invalid_op 0
		.amdhsa_exception_fp_denorm_src 0
		.amdhsa_exception_fp_ieee_div_zero 0
		.amdhsa_exception_fp_ieee_overflow 0
		.amdhsa_exception_fp_ieee_underflow 0
		.amdhsa_exception_fp_ieee_inexact 0
		.amdhsa_exception_int_div_zero 0
	.end_amdhsa_kernel
	.section	.text._ZN2at6native12_GLOBAL__N_126cunn_SpatialSoftMaxForwardIN3c104HalfEffiNS1_25LogSoftMaxForwardEpilogueEEEvPT1_PKT_T2_SB_SB_,"axG",@progbits,_ZN2at6native12_GLOBAL__N_126cunn_SpatialSoftMaxForwardIN3c104HalfEffiNS1_25LogSoftMaxForwardEpilogueEEEvPT1_PKT_T2_SB_SB_,comdat
.Lfunc_end197:
	.size	_ZN2at6native12_GLOBAL__N_126cunn_SpatialSoftMaxForwardIN3c104HalfEffiNS1_25LogSoftMaxForwardEpilogueEEEvPT1_PKT_T2_SB_SB_, .Lfunc_end197-_ZN2at6native12_GLOBAL__N_126cunn_SpatialSoftMaxForwardIN3c104HalfEffiNS1_25LogSoftMaxForwardEpilogueEEEvPT1_PKT_T2_SB_SB_
                                        ; -- End function
	.set _ZN2at6native12_GLOBAL__N_126cunn_SpatialSoftMaxForwardIN3c104HalfEffiNS1_25LogSoftMaxForwardEpilogueEEEvPT1_PKT_T2_SB_SB_.num_vgpr, 16
	.set _ZN2at6native12_GLOBAL__N_126cunn_SpatialSoftMaxForwardIN3c104HalfEffiNS1_25LogSoftMaxForwardEpilogueEEEvPT1_PKT_T2_SB_SB_.num_agpr, 0
	.set _ZN2at6native12_GLOBAL__N_126cunn_SpatialSoftMaxForwardIN3c104HalfEffiNS1_25LogSoftMaxForwardEpilogueEEEvPT1_PKT_T2_SB_SB_.numbered_sgpr, 23
	.set _ZN2at6native12_GLOBAL__N_126cunn_SpatialSoftMaxForwardIN3c104HalfEffiNS1_25LogSoftMaxForwardEpilogueEEEvPT1_PKT_T2_SB_SB_.num_named_barrier, 0
	.set _ZN2at6native12_GLOBAL__N_126cunn_SpatialSoftMaxForwardIN3c104HalfEffiNS1_25LogSoftMaxForwardEpilogueEEEvPT1_PKT_T2_SB_SB_.private_seg_size, 0
	.set _ZN2at6native12_GLOBAL__N_126cunn_SpatialSoftMaxForwardIN3c104HalfEffiNS1_25LogSoftMaxForwardEpilogueEEEvPT1_PKT_T2_SB_SB_.uses_vcc, 1
	.set _ZN2at6native12_GLOBAL__N_126cunn_SpatialSoftMaxForwardIN3c104HalfEffiNS1_25LogSoftMaxForwardEpilogueEEEvPT1_PKT_T2_SB_SB_.uses_flat_scratch, 0
	.set _ZN2at6native12_GLOBAL__N_126cunn_SpatialSoftMaxForwardIN3c104HalfEffiNS1_25LogSoftMaxForwardEpilogueEEEvPT1_PKT_T2_SB_SB_.has_dyn_sized_stack, 0
	.set _ZN2at6native12_GLOBAL__N_126cunn_SpatialSoftMaxForwardIN3c104HalfEffiNS1_25LogSoftMaxForwardEpilogueEEEvPT1_PKT_T2_SB_SB_.has_recursion, 0
	.set _ZN2at6native12_GLOBAL__N_126cunn_SpatialSoftMaxForwardIN3c104HalfEffiNS1_25LogSoftMaxForwardEpilogueEEEvPT1_PKT_T2_SB_SB_.has_indirect_call, 0
	.section	.AMDGPU.csdata,"",@progbits
; Kernel info:
; codeLenInByte = 1908
; TotalNumSgprs: 25
; NumVgprs: 16
; ScratchSize: 0
; MemoryBound: 0
; FloatMode: 240
; IeeeMode: 1
; LDSByteSize: 0 bytes/workgroup (compile time only)
; SGPRBlocks: 0
; VGPRBlocks: 1
; NumSGPRsForWavesPerEU: 25
; NumVGPRsForWavesPerEU: 16
; Occupancy: 16
; WaveLimiterHint : 0
; COMPUTE_PGM_RSRC2:SCRATCH_EN: 0
; COMPUTE_PGM_RSRC2:USER_SGPR: 6
; COMPUTE_PGM_RSRC2:TRAP_HANDLER: 0
; COMPUTE_PGM_RSRC2:TGID_X_EN: 1
; COMPUTE_PGM_RSRC2:TGID_Y_EN: 1
; COMPUTE_PGM_RSRC2:TGID_Z_EN: 0
; COMPUTE_PGM_RSRC2:TIDIG_COMP_CNT: 1
	.section	.text._ZN2at6native12_GLOBAL__N_126cunn_SpatialSoftMaxForwardIN3c104HalfEfS4_lNS1_25LogSoftMaxForwardEpilogueEEEvPT1_PKT_T2_SB_SB_,"axG",@progbits,_ZN2at6native12_GLOBAL__N_126cunn_SpatialSoftMaxForwardIN3c104HalfEfS4_lNS1_25LogSoftMaxForwardEpilogueEEEvPT1_PKT_T2_SB_SB_,comdat
	.globl	_ZN2at6native12_GLOBAL__N_126cunn_SpatialSoftMaxForwardIN3c104HalfEfS4_lNS1_25LogSoftMaxForwardEpilogueEEEvPT1_PKT_T2_SB_SB_ ; -- Begin function _ZN2at6native12_GLOBAL__N_126cunn_SpatialSoftMaxForwardIN3c104HalfEfS4_lNS1_25LogSoftMaxForwardEpilogueEEEvPT1_PKT_T2_SB_SB_
	.p2align	8
	.type	_ZN2at6native12_GLOBAL__N_126cunn_SpatialSoftMaxForwardIN3c104HalfEfS4_lNS1_25LogSoftMaxForwardEpilogueEEEvPT1_PKT_T2_SB_SB_,@function
_ZN2at6native12_GLOBAL__N_126cunn_SpatialSoftMaxForwardIN3c104HalfEfS4_lNS1_25LogSoftMaxForwardEpilogueEEEvPT1_PKT_T2_SB_SB_: ; @_ZN2at6native12_GLOBAL__N_126cunn_SpatialSoftMaxForwardIN3c104HalfEfS4_lNS1_25LogSoftMaxForwardEpilogueEEEvPT1_PKT_T2_SB_SB_
; %bb.0:
	s_load_dwordx8 s[8:15], s[4:5], 0x0
	s_mov_b32 s0, s7
	s_mov_b32 s7, 0
	s_waitcnt lgkmcnt(0)
	v_cmp_le_i64_e64 s1, s[12:13], s[6:7]
	s_and_b32 vcc_lo, exec_lo, s1
	s_cbranch_vccnz .LBB198_36
; %bb.1:
	s_clause 0x1
	s_load_dword s1, s[4:5], 0x34
	s_load_dwordx4 s[16:19], s[4:5], 0x20
	v_mov_b32_e32 v2, v0
	s_add_u32 s4, s4, 40
	s_addc_u32 s5, s5, 0
	s_mov_b32 s21, s7
	s_waitcnt lgkmcnt(0)
	s_lshr_b32 s1, s1, 16
	s_mul_i32 s22, s16, s14
	v_mad_u64_u32 v[4:5], null, s0, s1, v[1:2]
	v_mov_b32_e32 v5, 0
	v_mad_u64_u32 v[6:7], null, s16, v2, 0
	s_mul_i32 s0, s16, s15
	s_mul_hi_u32 s2, s16, s14
	v_mov_b32_e32 v3, v5
	v_mad_u64_u32 v[8:9], null, s22, s6, v[4:5]
	s_mul_i32 s3, s17, s14
	v_mov_b32_e32 v0, v7
	v_mad_u64_u32 v[10:11], null, s14, s6, v[2:3]
	s_add_i32 s0, s2, s0
	s_mul_i32 s20, s19, s1
	v_mov_b32_e32 v7, v9
	s_add_i32 s0, s0, s3
	v_mad_u64_u32 v[12:13], null, s17, v2, v[0:1]
	v_mov_b32_e32 v0, v11
	v_mad_u64_u32 v[13:14], null, s0, s6, v[7:8]
	s_mul_hi_u32 s1, s22, s18
	s_mul_i32 s0, s0, s18
	v_mad_u64_u32 v[14:15], null, s15, s6, v[0:1]
	v_mov_b32_e32 v7, v12
	v_mul_lo_u32 v0, s17, v10
	v_mov_b32_e32 v9, v13
	v_mad_u64_u32 v[10:11], null, s16, v10, 0
	v_lshlrev_b64 v[6:7], 1, v[6:7]
	v_mul_lo_u32 v14, s16, v14
	v_lshlrev_b64 v[8:9], 1, v[8:9]
	v_lshlrev_b64 v[12:13], 1, v[4:5]
	s_add_i32 s3, s1, s0
	v_cmp_gt_i64_e64 s0, s[16:17], v[4:5]
	v_cmp_gt_i64_e64 s1, s[14:15], v[2:3]
	s_mul_i32 s2, s22, s18
	v_add_co_u32 v6, vcc_lo, v6, v8
	v_add_co_ci_u32_e64 v7, null, v7, v9, vcc_lo
	v_add3_u32 v11, v11, v14, v0
	v_add_co_u32 v6, vcc_lo, s10, v6
	v_add_co_ci_u32_e64 v7, null, s11, v7, vcc_lo
	v_lshlrev_b64 v[8:9], 1, v[10:11]
	v_add_co_u32 v10, vcc_lo, v10, v4
	v_add_co_ci_u32_e64 v11, null, 0, v11, vcc_lo
	s_lshl_b64 s[22:23], s[16:17], 1
	v_add_co_u32 v0, vcc_lo, v8, v12
	v_lshlrev_b64 v[10:11], 1, v[10:11]
	v_add_co_ci_u32_e64 v9, null, v9, v13, vcc_lo
	v_add_co_u32 v8, vcc_lo, s8, v0
	v_add_co_ci_u32_e64 v9, null, s9, v9, vcc_lo
	v_add_co_u32 v10, vcc_lo, s10, v10
	v_add_co_ci_u32_e64 v11, null, s11, v11, vcc_lo
	s_lshl_b64 s[8:9], s[2:3], 1
	s_lshl_b64 s[10:11], s[20:21], 1
	s_branch .LBB198_3
.LBB198_2:                              ;   in Loop: Header=BB198_3 Depth=1
	s_or_b32 exec_lo, exec_lo, s3
	s_add_u32 s6, s6, s18
	v_add_co_u32 v6, vcc_lo, v6, s8
	s_addc_u32 s7, s7, 0
	v_add_co_ci_u32_e64 v7, null, s9, v7, vcc_lo
	v_add_co_u32 v8, vcc_lo, v8, s8
	v_cmp_ge_i64_e64 s2, s[6:7], s[12:13]
	v_add_co_ci_u32_e64 v9, null, s9, v9, vcc_lo
	v_add_co_u32 v10, vcc_lo, v10, s8
	v_add_co_ci_u32_e64 v11, null, s9, v11, vcc_lo
	s_and_b32 vcc_lo, exec_lo, s2
	s_cbranch_vccnz .LBB198_36
.LBB198_3:                              ; =>This Loop Header: Depth=1
                                        ;     Child Loop BB198_7 Depth 2
                                        ;       Child Loop BB198_10 Depth 3
                                        ;       Child Loop BB198_12 Depth 3
	;; [unrolled: 1-line block ×8, first 2 shown]
	s_and_saveexec_b32 s3, s0
	s_cbranch_execz .LBB198_2
; %bb.4:                                ;   in Loop: Header=BB198_3 Depth=1
	s_load_dword s2, s[4:5], 0xc
	v_mov_b32_e32 v13, v11
	v_mov_b32_e32 v15, v9
	;; [unrolled: 1-line block ×8, first 2 shown]
	s_mov_b32 s28, 0
	s_waitcnt lgkmcnt(0)
	s_and_b32 s19, s2, 0xffff
	v_mul_u32_u24_e32 v0, s19, v1
	s_cmp_lt_u32 s19, 2
	s_mul_i32 s2, s23, s19
	s_mul_hi_u32 s24, s22, s19
	s_cselect_b32 s21, -1, 0
	v_lshl_add_u32 v0, v0, 2, 0
	s_add_i32 s26, s24, s2
	s_mul_i32 s27, s22, s19
	v_lshl_add_u32 v24, v2, 2, v0
	s_branch .LBB198_7
.LBB198_5:                              ;   in Loop: Header=BB198_7 Depth=2
	s_or_b32 exec_lo, exec_lo, s29
.LBB198_6:                              ;   in Loop: Header=BB198_7 Depth=2
	v_add_co_u32 v18, vcc_lo, v18, s20
	v_add_co_ci_u32_e64 v19, null, 0, v19, vcc_lo
	v_add_co_u32 v16, vcc_lo, v16, s10
	v_add_co_ci_u32_e64 v17, null, s11, v17, vcc_lo
	;; [unrolled: 2-line block ×3, first 2 shown]
	v_cmp_le_i64_e32 vcc_lo, s[16:17], v[18:19]
	v_add_co_u32 v12, s2, v12, s10
	v_add_co_ci_u32_e64 v13, null, s11, v13, s2
	s_or_b32 s28, vcc_lo, s28
	s_andn2_b32 exec_lo, exec_lo, s28
	s_cbranch_execz .LBB198_2
.LBB198_7:                              ;   Parent Loop BB198_3 Depth=1
                                        ; =>  This Loop Header: Depth=2
                                        ;       Child Loop BB198_10 Depth 3
                                        ;       Child Loop BB198_12 Depth 3
	;; [unrolled: 1-line block ×8, first 2 shown]
	s_and_b32 vcc_lo, exec_lo, s21
	s_mov_b32 s2, -1
	s_cbranch_vccz .LBB198_16
; %bb.8:                                ;   in Loop: Header=BB198_7 Depth=2
	s_and_saveexec_b32 s29, s1
	s_cbranch_execz .LBB198_15
; %bb.9:                                ;   in Loop: Header=BB198_7 Depth=2
	v_mov_b32_e32 v21, v17
	v_mov_b32_e32 v23, v3
	;; [unrolled: 1-line block ×5, first 2 shown]
	s_mov_b32 s24, 0
	.p2align	6
.LBB198_10:                             ;   Parent Loop BB198_3 Depth=1
                                        ;     Parent Loop BB198_7 Depth=2
                                        ; =>    This Inner Loop Header: Depth=3
	global_load_ushort v26, v[20:21], off
	v_add_co_u32 v22, vcc_lo, v22, s19
	v_add_co_ci_u32_e64 v23, null, 0, v23, vcc_lo
	v_add_co_u32 v20, vcc_lo, v20, s27
	v_add_co_ci_u32_e64 v21, null, s26, v21, vcc_lo
	v_cmp_le_i64_e64 s2, s[14:15], v[22:23]
	s_or_b32 s24, s2, s24
	s_waitcnt vmcnt(0)
	v_cvt_f32_f16_e32 v26, v26
	v_cmp_lt_f32_e32 vcc_lo, v25, v26
	v_cndmask_b32_e32 v25, v25, v26, vcc_lo
	s_andn2_b32 exec_lo, exec_lo, s24
	s_cbranch_execnz .LBB198_10
; %bb.11:                               ;   in Loop: Header=BB198_7 Depth=2
	s_or_b32 exec_lo, exec_lo, s24
	v_mov_b32_e32 v21, v17
	v_mov_b32_e32 v23, v3
	;; [unrolled: 1-line block ×5, first 2 shown]
	s_mov_b32 s24, 0
	s_inst_prefetch 0x1
	.p2align	6
.LBB198_12:                             ;   Parent Loop BB198_3 Depth=1
                                        ;     Parent Loop BB198_7 Depth=2
                                        ; =>    This Inner Loop Header: Depth=3
	global_load_ushort v27, v[20:21], off
	v_add_co_u32 v22, vcc_lo, v22, s19
	v_add_co_ci_u32_e64 v23, null, 0, v23, vcc_lo
	v_cmp_le_i64_e32 vcc_lo, s[14:15], v[22:23]
	s_or_b32 s24, vcc_lo, s24
	s_waitcnt vmcnt(0)
	v_cvt_f32_f16_e32 v27, v27
	v_sub_f32_e32 v27, v27, v25
	v_mul_f32_e32 v28, 0x3fb8aa3b, v27
	v_cmp_ngt_f32_e64 s2, 0xc2ce8ed0, v27
	v_fma_f32 v29, 0x3fb8aa3b, v27, -v28
	v_rndne_f32_e32 v30, v28
	v_fmac_f32_e32 v29, 0x32a5705f, v27
	v_sub_f32_e32 v28, v28, v30
	v_add_f32_e32 v28, v28, v29
	v_cvt_i32_f32_e32 v29, v30
	v_exp_f32_e32 v28, v28
	v_ldexp_f32 v28, v28, v29
	v_cndmask_b32_e64 v28, 0, v28, s2
	v_cmp_nlt_f32_e64 s2, 0x42b17218, v27
	v_cndmask_b32_e64 v27, 0x7f800000, v28, s2
	v_add_co_u32 v20, s2, v20, s27
	v_add_co_ci_u32_e64 v21, null, s26, v21, s2
	v_add_f32_e32 v26, v26, v27
	s_andn2_b32 exec_lo, exec_lo, s24
	s_cbranch_execnz .LBB198_12
; %bb.13:                               ;   in Loop: Header=BB198_7 Depth=2
	s_inst_prefetch 0x2
	s_or_b32 exec_lo, exec_lo, s24
	v_cmp_gt_f32_e32 vcc_lo, 0x800000, v26
	s_mov_b32 s30, 0
	s_mov_b64 s[24:25], 0
	v_cndmask_b32_e64 v20, 0, 32, vcc_lo
	v_cndmask_b32_e64 v22, 0, 0x41b17218, vcc_lo
	v_ldexp_f32 v20, v26, v20
	v_log_f32_e32 v20, v20
	v_mul_f32_e32 v21, 0x3f317217, v20
	v_cmp_gt_f32_e64 vcc_lo, 0x7f800000, |v20|
	v_fma_f32 v21, 0x3f317217, v20, -v21
	v_fmac_f32_e32 v21, 0x3377d1cf, v20
	v_fmac_f32_e32 v21, 0x3f317217, v20
	v_cndmask_b32_e32 v20, v20, v21, vcc_lo
	v_sub_f32_e32 v22, v20, v22
	v_mov_b32_e32 v21, v3
	v_mov_b32_e32 v20, v2
	.p2align	6
.LBB198_14:                             ;   Parent Loop BB198_3 Depth=1
                                        ;     Parent Loop BB198_7 Depth=2
                                        ; =>    This Inner Loop Header: Depth=3
	v_add_co_u32 v26, vcc_lo, v16, s24
	v_add_co_ci_u32_e64 v27, null, s25, v17, vcc_lo
	v_add_co_u32 v20, vcc_lo, v20, s19
	v_add_co_ci_u32_e64 v21, null, 0, v21, vcc_lo
	global_load_ushort v23, v[26:27], off
	v_add_co_u32 v26, vcc_lo, v14, s24
	v_cmp_le_i64_e64 s2, s[14:15], v[20:21]
	v_add_co_ci_u32_e64 v27, null, s25, v15, vcc_lo
	s_add_u32 s24, s24, s27
	s_addc_u32 s25, s25, s26
	s_or_b32 s30, s2, s30
	s_waitcnt vmcnt(0)
	v_cvt_f32_f16_e32 v23, v23
	v_sub_f32_e32 v23, v23, v25
	v_sub_f32_e32 v23, v23, v22
	v_cvt_f16_f32_e32 v23, v23
	global_store_short v[26:27], v23, off
	s_andn2_b32 exec_lo, exec_lo, s30
	s_cbranch_execnz .LBB198_14
.LBB198_15:                             ;   in Loop: Header=BB198_7 Depth=2
	s_or_b32 exec_lo, exec_lo, s29
	s_mov_b32 s2, 0
.LBB198_16:                             ;   in Loop: Header=BB198_7 Depth=2
	s_andn2_b32 vcc_lo, exec_lo, s2
	s_cbranch_vccnz .LBB198_6
; %bb.17:                               ;   in Loop: Header=BB198_7 Depth=2
	v_mov_b32_e32 v25, 0xff7fffff
	s_and_saveexec_b32 s24, s1
	s_cbranch_execz .LBB198_21
; %bb.18:                               ;   in Loop: Header=BB198_7 Depth=2
	v_mov_b32_e32 v21, v17
	v_mov_b32_e32 v23, v3
	v_mov_b32_e32 v25, 0xff7fffff
	v_mov_b32_e32 v20, v16
	v_mov_b32_e32 v22, v2
	s_mov_b32 s25, 0
	.p2align	6
.LBB198_19:                             ;   Parent Loop BB198_3 Depth=1
                                        ;     Parent Loop BB198_7 Depth=2
                                        ; =>    This Inner Loop Header: Depth=3
	global_load_ushort v26, v[20:21], off
	v_add_co_u32 v22, vcc_lo, v22, s19
	v_add_co_ci_u32_e64 v23, null, 0, v23, vcc_lo
	v_add_co_u32 v20, vcc_lo, v20, s27
	v_add_co_ci_u32_e64 v21, null, s26, v21, vcc_lo
	v_cmp_le_i64_e64 s2, s[14:15], v[22:23]
	s_or_b32 s25, s2, s25
	s_waitcnt vmcnt(0)
	v_cvt_f32_f16_e32 v26, v26
	v_cmp_lt_f32_e32 vcc_lo, v25, v26
	v_cndmask_b32_e32 v25, v25, v26, vcc_lo
	s_andn2_b32 exec_lo, exec_lo, s25
	s_cbranch_execnz .LBB198_19
; %bb.20:                               ;   in Loop: Header=BB198_7 Depth=2
	s_or_b32 exec_lo, exec_lo, s25
.LBB198_21:                             ;   in Loop: Header=BB198_7 Depth=2
	s_or_b32 exec_lo, exec_lo, s24
	s_mov_b32 s2, s19
	s_waitcnt_vscnt null, 0x0
	s_barrier
	buffer_gl0_inv
	ds_write_b32 v24, v25
	s_branch .LBB198_23
	.p2align	6
.LBB198_22:                             ;   in Loop: Header=BB198_23 Depth=3
	s_or_b32 exec_lo, exec_lo, s25
	s_cmp_gt_u32 s2, 3
	s_mov_b32 s2, s24
	s_cbranch_scc0 .LBB198_25
.LBB198_23:                             ;   Parent Loop BB198_3 Depth=1
                                        ;     Parent Loop BB198_7 Depth=2
                                        ; =>    This Inner Loop Header: Depth=3
	s_lshr_b32 s24, s2, 1
	s_mov_b32 s25, exec_lo
	s_waitcnt lgkmcnt(0)
	s_barrier
	buffer_gl0_inv
	v_cmpx_gt_u32_e64 s24, v2
	s_cbranch_execz .LBB198_22
; %bb.24:                               ;   in Loop: Header=BB198_23 Depth=3
	v_lshl_add_u32 v20, s24, 2, v24
	ds_read_b32 v21, v24
	ds_read_b32 v20, v20
	s_waitcnt lgkmcnt(0)
	v_cmp_lt_f32_e32 vcc_lo, v21, v20
	v_cndmask_b32_e32 v20, v21, v20, vcc_lo
	ds_write_b32 v24, v20
	s_branch .LBB198_22
.LBB198_25:                             ;   in Loop: Header=BB198_7 Depth=2
	s_waitcnt lgkmcnt(0)
	s_barrier
	buffer_gl0_inv
	ds_read_b32 v25, v0
	v_mov_b32_e32 v26, 0
	s_and_saveexec_b32 s24, s1
	s_cbranch_execz .LBB198_29
; %bb.26:                               ;   in Loop: Header=BB198_7 Depth=2
	v_mov_b32_e32 v21, v17
	v_mov_b32_e32 v23, v3
	;; [unrolled: 1-line block ×5, first 2 shown]
	s_mov_b32 s25, 0
	s_inst_prefetch 0x1
	.p2align	6
.LBB198_27:                             ;   Parent Loop BB198_3 Depth=1
                                        ;     Parent Loop BB198_7 Depth=2
                                        ; =>    This Inner Loop Header: Depth=3
	global_load_ushort v27, v[20:21], off
	v_add_co_u32 v22, vcc_lo, v22, s19
	v_add_co_ci_u32_e64 v23, null, 0, v23, vcc_lo
	v_cmp_le_i64_e32 vcc_lo, s[14:15], v[22:23]
	s_or_b32 s25, vcc_lo, s25
	s_waitcnt vmcnt(0)
	v_cvt_f32_f16_e32 v27, v27
	s_waitcnt lgkmcnt(0)
	v_sub_f32_e32 v27, v27, v25
	v_mul_f32_e32 v28, 0x3fb8aa3b, v27
	v_cmp_ngt_f32_e64 s2, 0xc2ce8ed0, v27
	v_fma_f32 v29, 0x3fb8aa3b, v27, -v28
	v_rndne_f32_e32 v30, v28
	v_fmac_f32_e32 v29, 0x32a5705f, v27
	v_sub_f32_e32 v28, v28, v30
	v_add_f32_e32 v28, v28, v29
	v_cvt_i32_f32_e32 v29, v30
	v_exp_f32_e32 v28, v28
	v_ldexp_f32 v28, v28, v29
	v_cndmask_b32_e64 v28, 0, v28, s2
	v_cmp_nlt_f32_e64 s2, 0x42b17218, v27
	v_cndmask_b32_e64 v27, 0x7f800000, v28, s2
	v_add_co_u32 v20, s2, v20, s27
	v_add_co_ci_u32_e64 v21, null, s26, v21, s2
	v_add_f32_e32 v26, v26, v27
	s_andn2_b32 exec_lo, exec_lo, s25
	s_cbranch_execnz .LBB198_27
; %bb.28:                               ;   in Loop: Header=BB198_7 Depth=2
	s_inst_prefetch 0x2
	s_or_b32 exec_lo, exec_lo, s25
.LBB198_29:                             ;   in Loop: Header=BB198_7 Depth=2
	s_or_b32 exec_lo, exec_lo, s24
	s_mov_b32 s2, s19
	s_waitcnt lgkmcnt(0)
	s_barrier
	buffer_gl0_inv
	ds_write_b32 v24, v26
	s_branch .LBB198_31
	.p2align	6
.LBB198_30:                             ;   in Loop: Header=BB198_31 Depth=3
	s_or_b32 exec_lo, exec_lo, s25
	s_cmp_gt_u32 s2, 3
	s_mov_b32 s2, s24
	s_cbranch_scc0 .LBB198_33
.LBB198_31:                             ;   Parent Loop BB198_3 Depth=1
                                        ;     Parent Loop BB198_7 Depth=2
                                        ; =>    This Inner Loop Header: Depth=3
	s_lshr_b32 s24, s2, 1
	s_mov_b32 s25, exec_lo
	s_waitcnt lgkmcnt(0)
	s_barrier
	buffer_gl0_inv
	v_cmpx_gt_u32_e64 s24, v2
	s_cbranch_execz .LBB198_30
; %bb.32:                               ;   in Loop: Header=BB198_31 Depth=3
	v_lshl_add_u32 v20, s24, 2, v24
	ds_read_b32 v21, v24
	ds_read_b32 v20, v20
	s_waitcnt lgkmcnt(0)
	v_add_f32_e32 v20, v21, v20
	ds_write_b32 v24, v20
	s_branch .LBB198_30
.LBB198_33:                             ;   in Loop: Header=BB198_7 Depth=2
	s_waitcnt lgkmcnt(0)
	s_barrier
	buffer_gl0_inv
	s_and_saveexec_b32 s29, s1
	s_cbranch_execz .LBB198_5
; %bb.34:                               ;   in Loop: Header=BB198_7 Depth=2
	ds_read_b32 v20, v0
	s_mov_b32 s30, 0
	s_mov_b64 s[24:25], 0
	s_waitcnt lgkmcnt(0)
	v_cmp_gt_f32_e32 vcc_lo, 0x800000, v20
	v_cndmask_b32_e64 v21, 0, 32, vcc_lo
	v_cndmask_b32_e64 v22, 0, 0x41b17218, vcc_lo
	v_ldexp_f32 v20, v20, v21
	v_log_f32_e32 v20, v20
	v_mul_f32_e32 v21, 0x3f317217, v20
	v_cmp_gt_f32_e64 vcc_lo, 0x7f800000, |v20|
	v_fma_f32 v21, 0x3f317217, v20, -v21
	v_fmac_f32_e32 v21, 0x3377d1cf, v20
	v_fmac_f32_e32 v21, 0x3f317217, v20
	v_cndmask_b32_e32 v20, v20, v21, vcc_lo
	v_sub_f32_e32 v22, v20, v22
	v_mov_b32_e32 v21, v3
	v_mov_b32_e32 v20, v2
	.p2align	6
.LBB198_35:                             ;   Parent Loop BB198_3 Depth=1
                                        ;     Parent Loop BB198_7 Depth=2
                                        ; =>    This Inner Loop Header: Depth=3
	v_add_co_u32 v26, vcc_lo, v12, s24
	v_add_co_ci_u32_e64 v27, null, s25, v13, vcc_lo
	v_add_co_u32 v20, vcc_lo, v20, s19
	v_add_co_ci_u32_e64 v21, null, 0, v21, vcc_lo
	global_load_ushort v23, v[26:27], off
	v_add_co_u32 v26, vcc_lo, v14, s24
	v_cmp_le_i64_e64 s2, s[14:15], v[20:21]
	v_add_co_ci_u32_e64 v27, null, s25, v15, vcc_lo
	s_add_u32 s24, s24, s27
	s_addc_u32 s25, s25, s26
	s_or_b32 s30, s2, s30
	s_waitcnt vmcnt(0)
	v_cvt_f32_f16_e32 v23, v23
	v_sub_f32_e32 v23, v23, v25
	v_sub_f32_e32 v23, v23, v22
	v_cvt_f16_f32_e32 v23, v23
	global_store_short v[26:27], v23, off
	s_andn2_b32 exec_lo, exec_lo, s30
	s_cbranch_execnz .LBB198_35
	s_branch .LBB198_5
.LBB198_36:
	s_endpgm
	.section	.rodata,"a",@progbits
	.p2align	6, 0x0
	.amdhsa_kernel _ZN2at6native12_GLOBAL__N_126cunn_SpatialSoftMaxForwardIN3c104HalfEfS4_lNS1_25LogSoftMaxForwardEpilogueEEEvPT1_PKT_T2_SB_SB_
		.amdhsa_group_segment_fixed_size 0
		.amdhsa_private_segment_fixed_size 0
		.amdhsa_kernarg_size 296
		.amdhsa_user_sgpr_count 6
		.amdhsa_user_sgpr_private_segment_buffer 1
		.amdhsa_user_sgpr_dispatch_ptr 0
		.amdhsa_user_sgpr_queue_ptr 0
		.amdhsa_user_sgpr_kernarg_segment_ptr 1
		.amdhsa_user_sgpr_dispatch_id 0
		.amdhsa_user_sgpr_flat_scratch_init 0
		.amdhsa_user_sgpr_private_segment_size 0
		.amdhsa_wavefront_size32 1
		.amdhsa_uses_dynamic_stack 0
		.amdhsa_system_sgpr_private_segment_wavefront_offset 0
		.amdhsa_system_sgpr_workgroup_id_x 1
		.amdhsa_system_sgpr_workgroup_id_y 1
		.amdhsa_system_sgpr_workgroup_id_z 0
		.amdhsa_system_sgpr_workgroup_info 0
		.amdhsa_system_vgpr_workitem_id 1
		.amdhsa_next_free_vgpr 31
		.amdhsa_next_free_sgpr 31
		.amdhsa_reserve_vcc 1
		.amdhsa_reserve_flat_scratch 0
		.amdhsa_float_round_mode_32 0
		.amdhsa_float_round_mode_16_64 0
		.amdhsa_float_denorm_mode_32 3
		.amdhsa_float_denorm_mode_16_64 3
		.amdhsa_dx10_clamp 1
		.amdhsa_ieee_mode 1
		.amdhsa_fp16_overflow 0
		.amdhsa_workgroup_processor_mode 1
		.amdhsa_memory_ordered 1
		.amdhsa_forward_progress 1
		.amdhsa_shared_vgpr_count 0
		.amdhsa_exception_fp_ieee_invalid_op 0
		.amdhsa_exception_fp_denorm_src 0
		.amdhsa_exception_fp_ieee_div_zero 0
		.amdhsa_exception_fp_ieee_overflow 0
		.amdhsa_exception_fp_ieee_underflow 0
		.amdhsa_exception_fp_ieee_inexact 0
		.amdhsa_exception_int_div_zero 0
	.end_amdhsa_kernel
	.section	.text._ZN2at6native12_GLOBAL__N_126cunn_SpatialSoftMaxForwardIN3c104HalfEfS4_lNS1_25LogSoftMaxForwardEpilogueEEEvPT1_PKT_T2_SB_SB_,"axG",@progbits,_ZN2at6native12_GLOBAL__N_126cunn_SpatialSoftMaxForwardIN3c104HalfEfS4_lNS1_25LogSoftMaxForwardEpilogueEEEvPT1_PKT_T2_SB_SB_,comdat
.Lfunc_end198:
	.size	_ZN2at6native12_GLOBAL__N_126cunn_SpatialSoftMaxForwardIN3c104HalfEfS4_lNS1_25LogSoftMaxForwardEpilogueEEEvPT1_PKT_T2_SB_SB_, .Lfunc_end198-_ZN2at6native12_GLOBAL__N_126cunn_SpatialSoftMaxForwardIN3c104HalfEfS4_lNS1_25LogSoftMaxForwardEpilogueEEEvPT1_PKT_T2_SB_SB_
                                        ; -- End function
	.set _ZN2at6native12_GLOBAL__N_126cunn_SpatialSoftMaxForwardIN3c104HalfEfS4_lNS1_25LogSoftMaxForwardEpilogueEEEvPT1_PKT_T2_SB_SB_.num_vgpr, 31
	.set _ZN2at6native12_GLOBAL__N_126cunn_SpatialSoftMaxForwardIN3c104HalfEfS4_lNS1_25LogSoftMaxForwardEpilogueEEEvPT1_PKT_T2_SB_SB_.num_agpr, 0
	.set _ZN2at6native12_GLOBAL__N_126cunn_SpatialSoftMaxForwardIN3c104HalfEfS4_lNS1_25LogSoftMaxForwardEpilogueEEEvPT1_PKT_T2_SB_SB_.numbered_sgpr, 31
	.set _ZN2at6native12_GLOBAL__N_126cunn_SpatialSoftMaxForwardIN3c104HalfEfS4_lNS1_25LogSoftMaxForwardEpilogueEEEvPT1_PKT_T2_SB_SB_.num_named_barrier, 0
	.set _ZN2at6native12_GLOBAL__N_126cunn_SpatialSoftMaxForwardIN3c104HalfEfS4_lNS1_25LogSoftMaxForwardEpilogueEEEvPT1_PKT_T2_SB_SB_.private_seg_size, 0
	.set _ZN2at6native12_GLOBAL__N_126cunn_SpatialSoftMaxForwardIN3c104HalfEfS4_lNS1_25LogSoftMaxForwardEpilogueEEEvPT1_PKT_T2_SB_SB_.uses_vcc, 1
	.set _ZN2at6native12_GLOBAL__N_126cunn_SpatialSoftMaxForwardIN3c104HalfEfS4_lNS1_25LogSoftMaxForwardEpilogueEEEvPT1_PKT_T2_SB_SB_.uses_flat_scratch, 0
	.set _ZN2at6native12_GLOBAL__N_126cunn_SpatialSoftMaxForwardIN3c104HalfEfS4_lNS1_25LogSoftMaxForwardEpilogueEEEvPT1_PKT_T2_SB_SB_.has_dyn_sized_stack, 0
	.set _ZN2at6native12_GLOBAL__N_126cunn_SpatialSoftMaxForwardIN3c104HalfEfS4_lNS1_25LogSoftMaxForwardEpilogueEEEvPT1_PKT_T2_SB_SB_.has_recursion, 0
	.set _ZN2at6native12_GLOBAL__N_126cunn_SpatialSoftMaxForwardIN3c104HalfEfS4_lNS1_25LogSoftMaxForwardEpilogueEEEvPT1_PKT_T2_SB_SB_.has_indirect_call, 0
	.section	.AMDGPU.csdata,"",@progbits
; Kernel info:
; codeLenInByte = 2360
; TotalNumSgprs: 33
; NumVgprs: 31
; ScratchSize: 0
; MemoryBound: 0
; FloatMode: 240
; IeeeMode: 1
; LDSByteSize: 0 bytes/workgroup (compile time only)
; SGPRBlocks: 0
; VGPRBlocks: 3
; NumSGPRsForWavesPerEU: 33
; NumVGPRsForWavesPerEU: 31
; Occupancy: 16
; WaveLimiterHint : 0
; COMPUTE_PGM_RSRC2:SCRATCH_EN: 0
; COMPUTE_PGM_RSRC2:USER_SGPR: 6
; COMPUTE_PGM_RSRC2:TRAP_HANDLER: 0
; COMPUTE_PGM_RSRC2:TGID_X_EN: 1
; COMPUTE_PGM_RSRC2:TGID_Y_EN: 1
; COMPUTE_PGM_RSRC2:TGID_Z_EN: 0
; COMPUTE_PGM_RSRC2:TIDIG_COMP_CNT: 1
	.section	.text._ZN2at6native12_GLOBAL__N_126cunn_SpatialSoftMaxForwardIN3c104HalfEfflNS1_25LogSoftMaxForwardEpilogueEEEvPT1_PKT_T2_SB_SB_,"axG",@progbits,_ZN2at6native12_GLOBAL__N_126cunn_SpatialSoftMaxForwardIN3c104HalfEfflNS1_25LogSoftMaxForwardEpilogueEEEvPT1_PKT_T2_SB_SB_,comdat
	.globl	_ZN2at6native12_GLOBAL__N_126cunn_SpatialSoftMaxForwardIN3c104HalfEfflNS1_25LogSoftMaxForwardEpilogueEEEvPT1_PKT_T2_SB_SB_ ; -- Begin function _ZN2at6native12_GLOBAL__N_126cunn_SpatialSoftMaxForwardIN3c104HalfEfflNS1_25LogSoftMaxForwardEpilogueEEEvPT1_PKT_T2_SB_SB_
	.p2align	8
	.type	_ZN2at6native12_GLOBAL__N_126cunn_SpatialSoftMaxForwardIN3c104HalfEfflNS1_25LogSoftMaxForwardEpilogueEEEvPT1_PKT_T2_SB_SB_,@function
_ZN2at6native12_GLOBAL__N_126cunn_SpatialSoftMaxForwardIN3c104HalfEfflNS1_25LogSoftMaxForwardEpilogueEEEvPT1_PKT_T2_SB_SB_: ; @_ZN2at6native12_GLOBAL__N_126cunn_SpatialSoftMaxForwardIN3c104HalfEfflNS1_25LogSoftMaxForwardEpilogueEEEvPT1_PKT_T2_SB_SB_
; %bb.0:
	s_load_dwordx8 s[8:15], s[4:5], 0x0
	s_mov_b32 s0, s7
	s_mov_b32 s7, 0
	s_waitcnt lgkmcnt(0)
	v_cmp_le_i64_e64 s1, s[12:13], s[6:7]
	s_and_b32 vcc_lo, exec_lo, s1
	s_cbranch_vccnz .LBB199_36
; %bb.1:
	s_clause 0x1
	s_load_dword s1, s[4:5], 0x34
	s_load_dwordx4 s[16:19], s[4:5], 0x20
	v_mov_b32_e32 v2, v0
	s_add_u32 s4, s4, 40
	s_addc_u32 s5, s5, 0
	s_mov_b32 s21, s7
	s_waitcnt lgkmcnt(0)
	s_lshr_b32 s1, s1, 16
	v_mad_u64_u32 v[6:7], null, s16, v2, 0
	v_mad_u64_u32 v[4:5], null, s0, s1, v[1:2]
	v_mov_b32_e32 v5, 0
	s_mul_i32 s24, s16, s14
	s_mul_i32 s0, s16, s15
	s_mul_hi_u32 s2, s16, s14
	v_mov_b32_e32 v0, v7
	v_mov_b32_e32 v3, v5
	v_mad_u64_u32 v[8:9], null, s24, s6, v[4:5]
	s_mul_i32 s3, s17, s14
	s_add_i32 s0, s2, s0
	v_mad_u64_u32 v[10:11], null, s14, s6, v[2:3]
	v_mad_u64_u32 v[12:13], null, s17, v2, v[0:1]
	v_mov_b32_e32 v7, v9
	s_add_i32 s0, s0, s3
	s_mul_i32 s20, s19, s1
	s_mul_hi_u32 s1, s24, s18
	v_mov_b32_e32 v0, v11
	v_mad_u64_u32 v[13:14], null, s0, s6, v[7:8]
	v_mov_b32_e32 v7, v12
	v_mad_u64_u32 v[11:12], null, s16, v10, v[4:5]
	v_mad_u64_u32 v[14:15], null, s15, s6, v[0:1]
	v_mul_lo_u32 v0, s17, v10
	v_mov_b32_e32 v9, v13
	v_lshlrev_b64 v[6:7], 1, v[6:7]
	s_mul_i32 s0, s0, s18
	s_mul_i32 s2, s24, s18
	s_add_i32 s3, s1, s0
	v_mul_lo_u32 v10, s16, v14
	v_lshlrev_b64 v[8:9], 1, v[8:9]
	v_cmp_gt_i64_e64 s0, s[16:17], v[4:5]
	v_cmp_gt_i64_e64 s1, s[14:15], v[2:3]
	s_lshl_b64 s[22:23], s[16:17], 1
	s_lshl_b64 s[24:25], s[20:21], 1
	s_lshl_b64 s[26:27], s[2:3], 1
	s_lshl_b64 s[28:29], s[16:17], 2
	v_add3_u32 v12, v0, v12, v10
	v_add_co_u32 v0, vcc_lo, v6, v8
	v_add_co_ci_u32_e64 v7, null, v7, v9, vcc_lo
	v_lshlrev_b64 v[8:9], 2, v[11:12]
	v_lshlrev_b64 v[10:11], 1, v[11:12]
	v_add_co_u32 v6, vcc_lo, s10, v0
	v_add_co_ci_u32_e64 v7, null, s11, v7, vcc_lo
	v_add_co_u32 v8, vcc_lo, s8, v8
	v_add_co_ci_u32_e64 v9, null, s9, v9, vcc_lo
	;; [unrolled: 2-line block ×3, first 2 shown]
	s_lshl_b64 s[8:9], s[2:3], 2
	s_lshl_b64 s[10:11], s[20:21], 2
	s_branch .LBB199_3
.LBB199_2:                              ;   in Loop: Header=BB199_3 Depth=1
	s_or_b32 exec_lo, exec_lo, s3
	s_add_u32 s6, s6, s18
	v_add_co_u32 v6, vcc_lo, v6, s26
	s_addc_u32 s7, s7, 0
	v_add_co_ci_u32_e64 v7, null, s27, v7, vcc_lo
	v_add_co_u32 v8, vcc_lo, v8, s8
	v_cmp_ge_i64_e64 s2, s[6:7], s[12:13]
	v_add_co_ci_u32_e64 v9, null, s9, v9, vcc_lo
	v_add_co_u32 v10, vcc_lo, v10, s26
	v_add_co_ci_u32_e64 v11, null, s27, v11, vcc_lo
	s_and_b32 vcc_lo, exec_lo, s2
	s_cbranch_vccnz .LBB199_36
.LBB199_3:                              ; =>This Loop Header: Depth=1
                                        ;     Child Loop BB199_7 Depth 2
                                        ;       Child Loop BB199_10 Depth 3
                                        ;       Child Loop BB199_12 Depth 3
                                        ;       Child Loop BB199_14 Depth 3
                                        ;       Child Loop BB199_19 Depth 3
                                        ;       Child Loop BB199_23 Depth 3
                                        ;       Child Loop BB199_27 Depth 3
                                        ;       Child Loop BB199_31 Depth 3
                                        ;       Child Loop BB199_35 Depth 3
	s_and_saveexec_b32 s3, s0
	s_cbranch_execz .LBB199_2
; %bb.4:                                ;   in Loop: Header=BB199_3 Depth=1
	s_load_dword s2, s[4:5], 0xc
	v_mov_b32_e32 v13, v11
	v_mov_b32_e32 v15, v9
	;; [unrolled: 1-line block ×8, first 2 shown]
	s_mov_b32 s35, 0
	s_waitcnt lgkmcnt(0)
	s_and_b32 s19, s2, 0xffff
	v_mul_u32_u24_e32 v0, s19, v1
	s_cmp_lt_u32 s19, 2
	s_mul_i32 s2, s23, s19
	s_mul_hi_u32 s31, s22, s19
	s_mul_i32 s33, s29, s19
	v_lshl_add_u32 v0, v0, 2, 0
	s_mul_hi_u32 s34, s28, s19
	s_mul_i32 s21, s22, s19
	s_cselect_b32 s30, -1, 0
	s_add_i32 s31, s31, s2
	v_lshl_add_u32 v26, v2, 2, v0
	s_add_i32 s33, s34, s33
	s_mul_i32 s34, s28, s19
	s_branch .LBB199_7
.LBB199_5:                              ;   in Loop: Header=BB199_7 Depth=2
	s_or_b32 exec_lo, exec_lo, s36
.LBB199_6:                              ;   in Loop: Header=BB199_7 Depth=2
	v_add_co_u32 v18, vcc_lo, v18, s20
	v_add_co_ci_u32_e64 v19, null, 0, v19, vcc_lo
	v_add_co_u32 v16, vcc_lo, v16, s24
	v_add_co_ci_u32_e64 v17, null, s25, v17, vcc_lo
	;; [unrolled: 2-line block ×3, first 2 shown]
	v_cmp_le_i64_e32 vcc_lo, s[16:17], v[18:19]
	v_add_co_u32 v12, s2, v12, s24
	v_add_co_ci_u32_e64 v13, null, s25, v13, s2
	s_or_b32 s35, vcc_lo, s35
	s_andn2_b32 exec_lo, exec_lo, s35
	s_cbranch_execz .LBB199_2
.LBB199_7:                              ;   Parent Loop BB199_3 Depth=1
                                        ; =>  This Loop Header: Depth=2
                                        ;       Child Loop BB199_10 Depth 3
                                        ;       Child Loop BB199_12 Depth 3
                                        ;       Child Loop BB199_14 Depth 3
                                        ;       Child Loop BB199_19 Depth 3
                                        ;       Child Loop BB199_23 Depth 3
                                        ;       Child Loop BB199_27 Depth 3
                                        ;       Child Loop BB199_31 Depth 3
                                        ;       Child Loop BB199_35 Depth 3
	s_and_b32 vcc_lo, exec_lo, s30
	s_mov_b32 s2, -1
	s_cbranch_vccz .LBB199_16
; %bb.8:                                ;   in Loop: Header=BB199_7 Depth=2
	s_and_saveexec_b32 s36, s1
	s_cbranch_execz .LBB199_15
; %bb.9:                                ;   in Loop: Header=BB199_7 Depth=2
	v_mov_b32_e32 v21, v17
	v_mov_b32_e32 v23, v3
	;; [unrolled: 1-line block ×5, first 2 shown]
	s_mov_b32 s37, 0
	.p2align	6
.LBB199_10:                             ;   Parent Loop BB199_3 Depth=1
                                        ;     Parent Loop BB199_7 Depth=2
                                        ; =>    This Inner Loop Header: Depth=3
	global_load_ushort v24, v[20:21], off
	v_add_co_u32 v22, vcc_lo, v22, s19
	v_add_co_ci_u32_e64 v23, null, 0, v23, vcc_lo
	v_add_co_u32 v20, vcc_lo, v20, s21
	v_add_co_ci_u32_e64 v21, null, s31, v21, vcc_lo
	v_cmp_le_i64_e64 s2, s[14:15], v[22:23]
	s_or_b32 s37, s2, s37
	s_waitcnt vmcnt(0)
	v_cvt_f32_f16_e32 v24, v24
	v_cmp_lt_f32_e32 vcc_lo, v27, v24
	v_cndmask_b32_e32 v27, v27, v24, vcc_lo
	s_andn2_b32 exec_lo, exec_lo, s37
	s_cbranch_execnz .LBB199_10
; %bb.11:                               ;   in Loop: Header=BB199_7 Depth=2
	s_or_b32 exec_lo, exec_lo, s37
	v_mov_b32_e32 v21, v17
	v_mov_b32_e32 v23, v3
	;; [unrolled: 1-line block ×5, first 2 shown]
	s_mov_b32 s37, 0
	s_inst_prefetch 0x1
	.p2align	6
.LBB199_12:                             ;   Parent Loop BB199_3 Depth=1
                                        ;     Parent Loop BB199_7 Depth=2
                                        ; =>    This Inner Loop Header: Depth=3
	global_load_ushort v25, v[20:21], off
	v_add_co_u32 v22, vcc_lo, v22, s19
	v_add_co_ci_u32_e64 v23, null, 0, v23, vcc_lo
	v_cmp_le_i64_e32 vcc_lo, s[14:15], v[22:23]
	s_or_b32 s37, vcc_lo, s37
	s_waitcnt vmcnt(0)
	v_cvt_f32_f16_e32 v25, v25
	v_sub_f32_e32 v25, v25, v27
	v_mul_f32_e32 v28, 0x3fb8aa3b, v25
	v_cmp_ngt_f32_e64 s2, 0xc2ce8ed0, v25
	v_fma_f32 v29, 0x3fb8aa3b, v25, -v28
	v_rndne_f32_e32 v30, v28
	v_fmac_f32_e32 v29, 0x32a5705f, v25
	v_sub_f32_e32 v28, v28, v30
	v_add_f32_e32 v28, v28, v29
	v_cvt_i32_f32_e32 v29, v30
	v_exp_f32_e32 v28, v28
	v_ldexp_f32 v28, v28, v29
	v_cndmask_b32_e64 v28, 0, v28, s2
	v_cmp_nlt_f32_e64 s2, 0x42b17218, v25
	v_cndmask_b32_e64 v25, 0x7f800000, v28, s2
	v_add_co_u32 v20, s2, v20, s21
	v_add_co_ci_u32_e64 v21, null, s31, v21, s2
	v_add_f32_e32 v24, v24, v25
	s_andn2_b32 exec_lo, exec_lo, s37
	s_cbranch_execnz .LBB199_12
; %bb.13:                               ;   in Loop: Header=BB199_7 Depth=2
	s_inst_prefetch 0x2
	s_or_b32 exec_lo, exec_lo, s37
	v_cmp_gt_f32_e32 vcc_lo, 0x800000, v24
	v_mov_b32_e32 v23, v17
	v_mov_b32_e32 v22, v16
	s_mov_b32 s37, 0
	v_cndmask_b32_e64 v20, 0, 32, vcc_lo
	v_ldexp_f32 v20, v24, v20
	v_cndmask_b32_e64 v24, 0, 0x41b17218, vcc_lo
	v_log_f32_e32 v20, v20
	v_mul_f32_e32 v21, 0x3f317217, v20
	v_cmp_gt_f32_e64 vcc_lo, 0x7f800000, |v20|
	v_fma_f32 v21, 0x3f317217, v20, -v21
	v_fmac_f32_e32 v21, 0x3377d1cf, v20
	v_fmac_f32_e32 v21, 0x3f317217, v20
	v_cndmask_b32_e32 v25, v20, v21, vcc_lo
	v_mov_b32_e32 v21, v15
	v_mov_b32_e32 v20, v14
	v_sub_f32_e32 v28, v25, v24
	v_mov_b32_e32 v25, v3
	v_mov_b32_e32 v24, v2
	.p2align	6
.LBB199_14:                             ;   Parent Loop BB199_3 Depth=1
                                        ;     Parent Loop BB199_7 Depth=2
                                        ; =>    This Inner Loop Header: Depth=3
	global_load_ushort v29, v[22:23], off
	v_add_co_u32 v24, vcc_lo, v24, s19
	v_add_co_ci_u32_e64 v25, null, 0, v25, vcc_lo
	v_add_co_u32 v22, vcc_lo, v22, s21
	v_add_co_ci_u32_e64 v23, null, s31, v23, vcc_lo
	v_cmp_le_i64_e32 vcc_lo, s[14:15], v[24:25]
	s_or_b32 s37, vcc_lo, s37
	s_waitcnt vmcnt(0)
	v_cvt_f32_f16_e32 v29, v29
	v_sub_f32_e32 v29, v29, v27
	v_sub_f32_e32 v29, v29, v28
	global_store_dword v[20:21], v29, off
	v_add_co_u32 v20, s2, v20, s34
	v_add_co_ci_u32_e64 v21, null, s33, v21, s2
	s_andn2_b32 exec_lo, exec_lo, s37
	s_cbranch_execnz .LBB199_14
.LBB199_15:                             ;   in Loop: Header=BB199_7 Depth=2
	s_or_b32 exec_lo, exec_lo, s36
	s_mov_b32 s2, 0
.LBB199_16:                             ;   in Loop: Header=BB199_7 Depth=2
	s_andn2_b32 vcc_lo, exec_lo, s2
	s_cbranch_vccnz .LBB199_6
; %bb.17:                               ;   in Loop: Header=BB199_7 Depth=2
	v_mov_b32_e32 v24, 0xff7fffff
	s_and_saveexec_b32 s36, s1
	s_cbranch_execz .LBB199_21
; %bb.18:                               ;   in Loop: Header=BB199_7 Depth=2
	v_mov_b32_e32 v21, v17
	v_mov_b32_e32 v23, v3
	;; [unrolled: 1-line block ×5, first 2 shown]
	s_mov_b32 s37, 0
	.p2align	6
.LBB199_19:                             ;   Parent Loop BB199_3 Depth=1
                                        ;     Parent Loop BB199_7 Depth=2
                                        ; =>    This Inner Loop Header: Depth=3
	global_load_ushort v25, v[20:21], off
	v_add_co_u32 v22, vcc_lo, v22, s19
	v_add_co_ci_u32_e64 v23, null, 0, v23, vcc_lo
	v_add_co_u32 v20, vcc_lo, v20, s21
	v_add_co_ci_u32_e64 v21, null, s31, v21, vcc_lo
	v_cmp_le_i64_e64 s2, s[14:15], v[22:23]
	s_or_b32 s37, s2, s37
	s_waitcnt vmcnt(0)
	v_cvt_f32_f16_e32 v25, v25
	v_cmp_lt_f32_e32 vcc_lo, v24, v25
	v_cndmask_b32_e32 v24, v24, v25, vcc_lo
	s_andn2_b32 exec_lo, exec_lo, s37
	s_cbranch_execnz .LBB199_19
; %bb.20:                               ;   in Loop: Header=BB199_7 Depth=2
	s_or_b32 exec_lo, exec_lo, s37
.LBB199_21:                             ;   in Loop: Header=BB199_7 Depth=2
	s_or_b32 exec_lo, exec_lo, s36
	s_mov_b32 s2, s19
	s_waitcnt_vscnt null, 0x0
	s_barrier
	buffer_gl0_inv
	ds_write_b32 v26, v24
	s_branch .LBB199_23
	.p2align	6
.LBB199_22:                             ;   in Loop: Header=BB199_23 Depth=3
	s_or_b32 exec_lo, exec_lo, s37
	s_cmp_gt_u32 s2, 3
	s_mov_b32 s2, s36
	s_cbranch_scc0 .LBB199_25
.LBB199_23:                             ;   Parent Loop BB199_3 Depth=1
                                        ;     Parent Loop BB199_7 Depth=2
                                        ; =>    This Inner Loop Header: Depth=3
	s_lshr_b32 s36, s2, 1
	s_mov_b32 s37, exec_lo
	s_waitcnt lgkmcnt(0)
	s_barrier
	buffer_gl0_inv
	v_cmpx_gt_u32_e64 s36, v2
	s_cbranch_execz .LBB199_22
; %bb.24:                               ;   in Loop: Header=BB199_23 Depth=3
	v_lshl_add_u32 v20, s36, 2, v26
	ds_read_b32 v21, v26
	ds_read_b32 v20, v20
	s_waitcnt lgkmcnt(0)
	v_cmp_lt_f32_e32 vcc_lo, v21, v20
	v_cndmask_b32_e32 v20, v21, v20, vcc_lo
	ds_write_b32 v26, v20
	s_branch .LBB199_22
.LBB199_25:                             ;   in Loop: Header=BB199_7 Depth=2
	s_waitcnt lgkmcnt(0)
	s_barrier
	buffer_gl0_inv
	ds_read_b32 v27, v0
	v_mov_b32_e32 v24, 0
	s_and_saveexec_b32 s36, s1
	s_cbranch_execz .LBB199_29
; %bb.26:                               ;   in Loop: Header=BB199_7 Depth=2
	v_mov_b32_e32 v21, v17
	v_mov_b32_e32 v23, v3
	;; [unrolled: 1-line block ×5, first 2 shown]
	s_mov_b32 s37, 0
	s_inst_prefetch 0x1
	.p2align	6
.LBB199_27:                             ;   Parent Loop BB199_3 Depth=1
                                        ;     Parent Loop BB199_7 Depth=2
                                        ; =>    This Inner Loop Header: Depth=3
	global_load_ushort v25, v[20:21], off
	v_add_co_u32 v22, vcc_lo, v22, s19
	v_add_co_ci_u32_e64 v23, null, 0, v23, vcc_lo
	v_cmp_le_i64_e32 vcc_lo, s[14:15], v[22:23]
	s_or_b32 s37, vcc_lo, s37
	s_waitcnt vmcnt(0)
	v_cvt_f32_f16_e32 v25, v25
	s_waitcnt lgkmcnt(0)
	v_sub_f32_e32 v25, v25, v27
	v_mul_f32_e32 v28, 0x3fb8aa3b, v25
	v_cmp_ngt_f32_e64 s2, 0xc2ce8ed0, v25
	v_fma_f32 v29, 0x3fb8aa3b, v25, -v28
	v_rndne_f32_e32 v30, v28
	v_fmac_f32_e32 v29, 0x32a5705f, v25
	v_sub_f32_e32 v28, v28, v30
	v_add_f32_e32 v28, v28, v29
	v_cvt_i32_f32_e32 v29, v30
	v_exp_f32_e32 v28, v28
	v_ldexp_f32 v28, v28, v29
	v_cndmask_b32_e64 v28, 0, v28, s2
	v_cmp_nlt_f32_e64 s2, 0x42b17218, v25
	v_cndmask_b32_e64 v25, 0x7f800000, v28, s2
	v_add_co_u32 v20, s2, v20, s21
	v_add_co_ci_u32_e64 v21, null, s31, v21, s2
	v_add_f32_e32 v24, v24, v25
	s_andn2_b32 exec_lo, exec_lo, s37
	s_cbranch_execnz .LBB199_27
; %bb.28:                               ;   in Loop: Header=BB199_7 Depth=2
	s_inst_prefetch 0x2
	s_or_b32 exec_lo, exec_lo, s37
.LBB199_29:                             ;   in Loop: Header=BB199_7 Depth=2
	s_or_b32 exec_lo, exec_lo, s36
	s_mov_b32 s2, s19
	s_waitcnt lgkmcnt(0)
	s_barrier
	buffer_gl0_inv
	ds_write_b32 v26, v24
	s_branch .LBB199_31
	.p2align	6
.LBB199_30:                             ;   in Loop: Header=BB199_31 Depth=3
	s_or_b32 exec_lo, exec_lo, s37
	s_cmp_gt_u32 s2, 3
	s_mov_b32 s2, s36
	s_cbranch_scc0 .LBB199_33
.LBB199_31:                             ;   Parent Loop BB199_3 Depth=1
                                        ;     Parent Loop BB199_7 Depth=2
                                        ; =>    This Inner Loop Header: Depth=3
	s_lshr_b32 s36, s2, 1
	s_mov_b32 s37, exec_lo
	s_waitcnt lgkmcnt(0)
	s_barrier
	buffer_gl0_inv
	v_cmpx_gt_u32_e64 s36, v2
	s_cbranch_execz .LBB199_30
; %bb.32:                               ;   in Loop: Header=BB199_31 Depth=3
	v_lshl_add_u32 v20, s36, 2, v26
	ds_read_b32 v21, v26
	ds_read_b32 v20, v20
	s_waitcnt lgkmcnt(0)
	v_add_f32_e32 v20, v21, v20
	ds_write_b32 v26, v20
	s_branch .LBB199_30
.LBB199_33:                             ;   in Loop: Header=BB199_7 Depth=2
	s_waitcnt lgkmcnt(0)
	s_barrier
	buffer_gl0_inv
	s_and_saveexec_b32 s36, s1
	s_cbranch_execz .LBB199_5
; %bb.34:                               ;   in Loop: Header=BB199_7 Depth=2
	ds_read_b32 v20, v0
	v_mov_b32_e32 v23, v13
	v_mov_b32_e32 v22, v12
	s_mov_b32 s37, 0
	s_waitcnt lgkmcnt(0)
	v_cmp_gt_f32_e32 vcc_lo, 0x800000, v20
	v_cndmask_b32_e64 v21, 0, 32, vcc_lo
	v_cndmask_b32_e64 v24, 0, 0x41b17218, vcc_lo
	v_ldexp_f32 v20, v20, v21
	v_log_f32_e32 v20, v20
	v_mul_f32_e32 v21, 0x3f317217, v20
	v_cmp_gt_f32_e64 vcc_lo, 0x7f800000, |v20|
	v_fma_f32 v21, 0x3f317217, v20, -v21
	v_fmac_f32_e32 v21, 0x3377d1cf, v20
	v_fmac_f32_e32 v21, 0x3f317217, v20
	v_cndmask_b32_e32 v25, v20, v21, vcc_lo
	v_mov_b32_e32 v21, v15
	v_mov_b32_e32 v20, v14
	v_sub_f32_e32 v28, v25, v24
	v_mov_b32_e32 v25, v3
	v_mov_b32_e32 v24, v2
	.p2align	6
.LBB199_35:                             ;   Parent Loop BB199_3 Depth=1
                                        ;     Parent Loop BB199_7 Depth=2
                                        ; =>    This Inner Loop Header: Depth=3
	global_load_ushort v29, v[22:23], off
	v_add_co_u32 v24, vcc_lo, v24, s19
	v_add_co_ci_u32_e64 v25, null, 0, v25, vcc_lo
	v_add_co_u32 v22, vcc_lo, v22, s21
	v_add_co_ci_u32_e64 v23, null, s31, v23, vcc_lo
	v_cmp_le_i64_e32 vcc_lo, s[14:15], v[24:25]
	s_or_b32 s37, vcc_lo, s37
	s_waitcnt vmcnt(0)
	v_cvt_f32_f16_e32 v29, v29
	v_sub_f32_e32 v29, v29, v27
	v_sub_f32_e32 v29, v29, v28
	global_store_dword v[20:21], v29, off
	v_add_co_u32 v20, s2, v20, s34
	v_add_co_ci_u32_e64 v21, null, s33, v21, s2
	s_andn2_b32 exec_lo, exec_lo, s37
	s_cbranch_execnz .LBB199_35
	s_branch .LBB199_5
.LBB199_36:
	s_endpgm
	.section	.rodata,"a",@progbits
	.p2align	6, 0x0
	.amdhsa_kernel _ZN2at6native12_GLOBAL__N_126cunn_SpatialSoftMaxForwardIN3c104HalfEfflNS1_25LogSoftMaxForwardEpilogueEEEvPT1_PKT_T2_SB_SB_
		.amdhsa_group_segment_fixed_size 0
		.amdhsa_private_segment_fixed_size 0
		.amdhsa_kernarg_size 296
		.amdhsa_user_sgpr_count 6
		.amdhsa_user_sgpr_private_segment_buffer 1
		.amdhsa_user_sgpr_dispatch_ptr 0
		.amdhsa_user_sgpr_queue_ptr 0
		.amdhsa_user_sgpr_kernarg_segment_ptr 1
		.amdhsa_user_sgpr_dispatch_id 0
		.amdhsa_user_sgpr_flat_scratch_init 0
		.amdhsa_user_sgpr_private_segment_size 0
		.amdhsa_wavefront_size32 1
		.amdhsa_uses_dynamic_stack 0
		.amdhsa_system_sgpr_private_segment_wavefront_offset 0
		.amdhsa_system_sgpr_workgroup_id_x 1
		.amdhsa_system_sgpr_workgroup_id_y 1
		.amdhsa_system_sgpr_workgroup_id_z 0
		.amdhsa_system_sgpr_workgroup_info 0
		.amdhsa_system_vgpr_workitem_id 1
		.amdhsa_next_free_vgpr 31
		.amdhsa_next_free_sgpr 38
		.amdhsa_reserve_vcc 1
		.amdhsa_reserve_flat_scratch 0
		.amdhsa_float_round_mode_32 0
		.amdhsa_float_round_mode_16_64 0
		.amdhsa_float_denorm_mode_32 3
		.amdhsa_float_denorm_mode_16_64 3
		.amdhsa_dx10_clamp 1
		.amdhsa_ieee_mode 1
		.amdhsa_fp16_overflow 0
		.amdhsa_workgroup_processor_mode 1
		.amdhsa_memory_ordered 1
		.amdhsa_forward_progress 1
		.amdhsa_shared_vgpr_count 0
		.amdhsa_exception_fp_ieee_invalid_op 0
		.amdhsa_exception_fp_denorm_src 0
		.amdhsa_exception_fp_ieee_div_zero 0
		.amdhsa_exception_fp_ieee_overflow 0
		.amdhsa_exception_fp_ieee_underflow 0
		.amdhsa_exception_fp_ieee_inexact 0
		.amdhsa_exception_int_div_zero 0
	.end_amdhsa_kernel
	.section	.text._ZN2at6native12_GLOBAL__N_126cunn_SpatialSoftMaxForwardIN3c104HalfEfflNS1_25LogSoftMaxForwardEpilogueEEEvPT1_PKT_T2_SB_SB_,"axG",@progbits,_ZN2at6native12_GLOBAL__N_126cunn_SpatialSoftMaxForwardIN3c104HalfEfflNS1_25LogSoftMaxForwardEpilogueEEEvPT1_PKT_T2_SB_SB_,comdat
.Lfunc_end199:
	.size	_ZN2at6native12_GLOBAL__N_126cunn_SpatialSoftMaxForwardIN3c104HalfEfflNS1_25LogSoftMaxForwardEpilogueEEEvPT1_PKT_T2_SB_SB_, .Lfunc_end199-_ZN2at6native12_GLOBAL__N_126cunn_SpatialSoftMaxForwardIN3c104HalfEfflNS1_25LogSoftMaxForwardEpilogueEEEvPT1_PKT_T2_SB_SB_
                                        ; -- End function
	.set _ZN2at6native12_GLOBAL__N_126cunn_SpatialSoftMaxForwardIN3c104HalfEfflNS1_25LogSoftMaxForwardEpilogueEEEvPT1_PKT_T2_SB_SB_.num_vgpr, 31
	.set _ZN2at6native12_GLOBAL__N_126cunn_SpatialSoftMaxForwardIN3c104HalfEfflNS1_25LogSoftMaxForwardEpilogueEEEvPT1_PKT_T2_SB_SB_.num_agpr, 0
	.set _ZN2at6native12_GLOBAL__N_126cunn_SpatialSoftMaxForwardIN3c104HalfEfflNS1_25LogSoftMaxForwardEpilogueEEEvPT1_PKT_T2_SB_SB_.numbered_sgpr, 38
	.set _ZN2at6native12_GLOBAL__N_126cunn_SpatialSoftMaxForwardIN3c104HalfEfflNS1_25LogSoftMaxForwardEpilogueEEEvPT1_PKT_T2_SB_SB_.num_named_barrier, 0
	.set _ZN2at6native12_GLOBAL__N_126cunn_SpatialSoftMaxForwardIN3c104HalfEfflNS1_25LogSoftMaxForwardEpilogueEEEvPT1_PKT_T2_SB_SB_.private_seg_size, 0
	.set _ZN2at6native12_GLOBAL__N_126cunn_SpatialSoftMaxForwardIN3c104HalfEfflNS1_25LogSoftMaxForwardEpilogueEEEvPT1_PKT_T2_SB_SB_.uses_vcc, 1
	.set _ZN2at6native12_GLOBAL__N_126cunn_SpatialSoftMaxForwardIN3c104HalfEfflNS1_25LogSoftMaxForwardEpilogueEEEvPT1_PKT_T2_SB_SB_.uses_flat_scratch, 0
	.set _ZN2at6native12_GLOBAL__N_126cunn_SpatialSoftMaxForwardIN3c104HalfEfflNS1_25LogSoftMaxForwardEpilogueEEEvPT1_PKT_T2_SB_SB_.has_dyn_sized_stack, 0
	.set _ZN2at6native12_GLOBAL__N_126cunn_SpatialSoftMaxForwardIN3c104HalfEfflNS1_25LogSoftMaxForwardEpilogueEEEvPT1_PKT_T2_SB_SB_.has_recursion, 0
	.set _ZN2at6native12_GLOBAL__N_126cunn_SpatialSoftMaxForwardIN3c104HalfEfflNS1_25LogSoftMaxForwardEpilogueEEEvPT1_PKT_T2_SB_SB_.has_indirect_call, 0
	.section	.AMDGPU.csdata,"",@progbits
; Kernel info:
; codeLenInByte = 2344
; TotalNumSgprs: 40
; NumVgprs: 31
; ScratchSize: 0
; MemoryBound: 0
; FloatMode: 240
; IeeeMode: 1
; LDSByteSize: 0 bytes/workgroup (compile time only)
; SGPRBlocks: 0
; VGPRBlocks: 3
; NumSGPRsForWavesPerEU: 40
; NumVGPRsForWavesPerEU: 31
; Occupancy: 16
; WaveLimiterHint : 0
; COMPUTE_PGM_RSRC2:SCRATCH_EN: 0
; COMPUTE_PGM_RSRC2:USER_SGPR: 6
; COMPUTE_PGM_RSRC2:TRAP_HANDLER: 0
; COMPUTE_PGM_RSRC2:TGID_X_EN: 1
; COMPUTE_PGM_RSRC2:TGID_Y_EN: 1
; COMPUTE_PGM_RSRC2:TGID_Z_EN: 0
; COMPUTE_PGM_RSRC2:TIDIG_COMP_CNT: 1
	.section	.text._ZN2at6native12_GLOBAL__N_126cunn_SpatialSoftMaxForwardIN3c108BFloat16EfS4_iNS1_25LogSoftMaxForwardEpilogueEEEvPT1_PKT_T2_SB_SB_,"axG",@progbits,_ZN2at6native12_GLOBAL__N_126cunn_SpatialSoftMaxForwardIN3c108BFloat16EfS4_iNS1_25LogSoftMaxForwardEpilogueEEEvPT1_PKT_T2_SB_SB_,comdat
	.globl	_ZN2at6native12_GLOBAL__N_126cunn_SpatialSoftMaxForwardIN3c108BFloat16EfS4_iNS1_25LogSoftMaxForwardEpilogueEEEvPT1_PKT_T2_SB_SB_ ; -- Begin function _ZN2at6native12_GLOBAL__N_126cunn_SpatialSoftMaxForwardIN3c108BFloat16EfS4_iNS1_25LogSoftMaxForwardEpilogueEEEvPT1_PKT_T2_SB_SB_
	.p2align	8
	.type	_ZN2at6native12_GLOBAL__N_126cunn_SpatialSoftMaxForwardIN3c108BFloat16EfS4_iNS1_25LogSoftMaxForwardEpilogueEEEvPT1_PKT_T2_SB_SB_,@function
_ZN2at6native12_GLOBAL__N_126cunn_SpatialSoftMaxForwardIN3c108BFloat16EfS4_iNS1_25LogSoftMaxForwardEpilogueEEEvPT1_PKT_T2_SB_SB_: ; @_ZN2at6native12_GLOBAL__N_126cunn_SpatialSoftMaxForwardIN3c108BFloat16EfS4_iNS1_25LogSoftMaxForwardEpilogueEEEvPT1_PKT_T2_SB_SB_
; %bb.0:
	s_load_dwordx4 s[8:11], s[4:5], 0x10
	s_waitcnt lgkmcnt(0)
	s_cmp_ge_i32 s6, s8
	s_cbranch_scc1 .LBB200_36
; %bb.1:
	s_clause 0x1
	s_load_dword s0, s[4:5], 0x2c
	s_load_dwordx2 s[16:17], s[4:5], 0x20
	v_mad_u64_u32 v[2:3], null, s6, s9, v[0:1]
	s_load_dwordx4 s[12:15], s[4:5], 0x0
	s_add_u32 s4, s4, 32
	s_addc_u32 s5, s5, 0
	v_mul_lo_u32 v2, s10, v2
	s_waitcnt lgkmcnt(0)
	s_lshr_b32 s2, s0, 16
	v_cmp_gt_i32_e64 s0, s9, v0
	s_mul_i32 s7, s7, s2
	s_mul_i32 s3, s17, s2
	v_add_nc_u32_e32 v4, s7, v1
	v_add3_u32 v5, v1, v2, s7
	s_mul_i32 s7, s16, s10
	s_mul_i32 s7, s7, s9
	v_cmp_gt_i32_e64 s1, s10, v4
	s_branch .LBB200_3
.LBB200_2:                              ;   in Loop: Header=BB200_3 Depth=1
	s_or_b32 exec_lo, exec_lo, s11
	v_add_nc_u32_e32 v5, s7, v5
	s_add_i32 s6, s16, s6
	s_cmp_ge_i32 s6, s8
	s_cbranch_scc1 .LBB200_36
.LBB200_3:                              ; =>This Loop Header: Depth=1
                                        ;     Child Loop BB200_7 Depth 2
                                        ;       Child Loop BB200_10 Depth 3
                                        ;       Child Loop BB200_12 Depth 3
	;; [unrolled: 1-line block ×8, first 2 shown]
	s_and_saveexec_b32 s11, s1
	s_cbranch_execz .LBB200_2
; %bb.4:                                ;   in Loop: Header=BB200_3 Depth=1
	s_load_dword s2, s[4:5], 0xc
	v_mov_b32_e32 v7, v5
	v_mov_b32_e32 v9, v4
	s_mov_b32 s20, 0
	s_waitcnt lgkmcnt(0)
	s_and_b32 s17, s2, 0xffff
	v_mul_u32_u24_e32 v2, s17, v1
	s_cmp_lt_u32 s17, 2
	s_mul_i32 s19, s10, s17
	s_cselect_b32 s18, -1, 0
	v_lshl_add_u32 v6, v2, 2, 0
	v_lshl_add_u32 v8, v0, 2, v6
	s_branch .LBB200_7
.LBB200_5:                              ;   in Loop: Header=BB200_7 Depth=2
	s_inst_prefetch 0x2
	s_or_b32 exec_lo, exec_lo, s21
.LBB200_6:                              ;   in Loop: Header=BB200_7 Depth=2
	v_add_nc_u32_e32 v9, s3, v9
	v_add_nc_u32_e32 v7, s3, v7
	v_cmp_le_i32_e32 vcc_lo, s10, v9
	s_or_b32 s20, vcc_lo, s20
	s_andn2_b32 exec_lo, exec_lo, s20
	s_cbranch_execz .LBB200_2
.LBB200_7:                              ;   Parent Loop BB200_3 Depth=1
                                        ; =>  This Loop Header: Depth=2
                                        ;       Child Loop BB200_10 Depth 3
                                        ;       Child Loop BB200_12 Depth 3
	;; [unrolled: 1-line block ×8, first 2 shown]
	s_and_b32 vcc_lo, exec_lo, s18
	s_mov_b32 s2, -1
	s_cbranch_vccz .LBB200_16
; %bb.8:                                ;   in Loop: Header=BB200_7 Depth=2
	s_and_saveexec_b32 s21, s0
	s_cbranch_execz .LBB200_15
; %bb.9:                                ;   in Loop: Header=BB200_7 Depth=2
	v_mov_b32_e32 v10, 0xff7fffff
	v_mov_b32_e32 v2, v7
	;; [unrolled: 1-line block ×3, first 2 shown]
	s_mov_b32 s22, 0
	.p2align	6
.LBB200_10:                             ;   Parent Loop BB200_3 Depth=1
                                        ;     Parent Loop BB200_7 Depth=2
                                        ; =>    This Inner Loop Header: Depth=3
	v_ashrrev_i32_e32 v3, 31, v2
	v_add_nc_u32_e32 v11, s17, v11
	v_lshlrev_b64 v[12:13], 1, v[2:3]
	v_add_nc_u32_e32 v2, s19, v2
	v_add_co_u32 v12, vcc_lo, s14, v12
	v_add_co_ci_u32_e64 v13, null, s15, v13, vcc_lo
	v_cmp_le_i32_e32 vcc_lo, s9, v11
	global_load_ushort v3, v[12:13], off
	s_or_b32 s22, vcc_lo, s22
	s_waitcnt vmcnt(0)
	v_lshlrev_b32_e32 v3, 16, v3
	v_cmp_lt_f32_e64 s2, v10, v3
	v_cndmask_b32_e64 v10, v10, v3, s2
	s_andn2_b32 exec_lo, exec_lo, s22
	s_cbranch_execnz .LBB200_10
; %bb.11:                               ;   in Loop: Header=BB200_7 Depth=2
	s_or_b32 exec_lo, exec_lo, s22
	v_mov_b32_e32 v11, 0
	v_mov_b32_e32 v2, v7
	v_mov_b32_e32 v12, v0
	s_mov_b32 s2, 0
	s_inst_prefetch 0x1
	.p2align	6
.LBB200_12:                             ;   Parent Loop BB200_3 Depth=1
                                        ;     Parent Loop BB200_7 Depth=2
                                        ; =>    This Inner Loop Header: Depth=3
	v_ashrrev_i32_e32 v3, 31, v2
	v_add_nc_u32_e32 v12, s17, v12
	v_lshlrev_b64 v[13:14], 1, v[2:3]
	v_add_nc_u32_e32 v2, s19, v2
	v_add_co_u32 v13, vcc_lo, s14, v13
	v_add_co_ci_u32_e64 v14, null, s15, v14, vcc_lo
	global_load_ushort v3, v[13:14], off
	s_waitcnt vmcnt(0)
	v_lshlrev_b32_e32 v3, 16, v3
	v_sub_f32_e32 v3, v3, v10
	v_mul_f32_e32 v13, 0x3fb8aa3b, v3
	v_cmp_ngt_f32_e32 vcc_lo, 0xc2ce8ed0, v3
	v_fma_f32 v14, 0x3fb8aa3b, v3, -v13
	v_rndne_f32_e32 v15, v13
	v_fmac_f32_e32 v14, 0x32a5705f, v3
	v_sub_f32_e32 v13, v13, v15
	v_add_f32_e32 v13, v13, v14
	v_cvt_i32_f32_e32 v14, v15
	v_exp_f32_e32 v13, v13
	v_ldexp_f32 v13, v13, v14
	v_cndmask_b32_e32 v13, 0, v13, vcc_lo
	v_cmp_nlt_f32_e32 vcc_lo, 0x42b17218, v3
	v_cndmask_b32_e32 v3, 0x7f800000, v13, vcc_lo
	v_cmp_le_i32_e32 vcc_lo, s9, v12
	v_add_f32_e32 v11, v11, v3
	s_or_b32 s2, vcc_lo, s2
	s_andn2_b32 exec_lo, exec_lo, s2
	s_cbranch_execnz .LBB200_12
; %bb.13:                               ;   in Loop: Header=BB200_7 Depth=2
	s_inst_prefetch 0x2
	s_or_b32 exec_lo, exec_lo, s2
	v_cmp_gt_f32_e32 vcc_lo, 0x800000, v11
	v_mov_b32_e32 v12, v0
	s_mov_b32 s22, 0
	v_cndmask_b32_e64 v2, 0, 32, vcc_lo
	v_ldexp_f32 v2, v11, v2
	v_cndmask_b32_e64 v11, 0, 0x41b17218, vcc_lo
	v_log_f32_e32 v2, v2
	v_mul_f32_e32 v3, 0x3f317217, v2
	v_cmp_gt_f32_e64 vcc_lo, 0x7f800000, |v2|
	v_fma_f32 v3, 0x3f317217, v2, -v3
	v_fmac_f32_e32 v3, 0x3377d1cf, v2
	v_fmac_f32_e32 v3, 0x3f317217, v2
	v_cndmask_b32_e32 v3, v2, v3, vcc_lo
	v_mov_b32_e32 v2, v7
	v_sub_f32_e32 v11, v3, v11
	s_inst_prefetch 0x1
	.p2align	6
.LBB200_14:                             ;   Parent Loop BB200_3 Depth=1
                                        ;     Parent Loop BB200_7 Depth=2
                                        ; =>    This Inner Loop Header: Depth=3
	v_ashrrev_i32_e32 v3, 31, v2
	v_add_nc_u32_e32 v12, s17, v12
	v_lshlrev_b64 v[13:14], 1, v[2:3]
	v_add_nc_u32_e32 v2, s19, v2
	v_add_co_u32 v15, vcc_lo, s14, v13
	v_add_co_ci_u32_e64 v16, null, s15, v14, vcc_lo
	v_cmp_le_i32_e32 vcc_lo, s9, v12
	global_load_ushort v3, v[15:16], off
	s_or_b32 s22, vcc_lo, s22
	s_waitcnt vmcnt(0)
	v_lshlrev_b32_e32 v3, 16, v3
	v_sub_f32_e32 v3, v3, v10
	v_sub_f32_e32 v3, v3, v11
	v_bfe_u32 v15, v3, 16, 1
	v_cmp_o_f32_e64 s2, v3, v3
	v_add3_u32 v15, v3, v15, 0x7fff
	v_lshrrev_b32_e32 v15, 16, v15
	v_cndmask_b32_e64 v3, 0x7fc0, v15, s2
	v_add_co_u32 v13, s2, s12, v13
	v_add_co_ci_u32_e64 v14, null, s13, v14, s2
	global_store_short v[13:14], v3, off
	s_andn2_b32 exec_lo, exec_lo, s22
	s_cbranch_execnz .LBB200_14
.LBB200_15:                             ;   in Loop: Header=BB200_7 Depth=2
	s_inst_prefetch 0x2
	s_or_b32 exec_lo, exec_lo, s21
	s_mov_b32 s2, 0
.LBB200_16:                             ;   in Loop: Header=BB200_7 Depth=2
	s_andn2_b32 vcc_lo, exec_lo, s2
	s_cbranch_vccnz .LBB200_6
; %bb.17:                               ;   in Loop: Header=BB200_7 Depth=2
	v_mov_b32_e32 v10, 0xff7fffff
	s_and_saveexec_b32 s21, s0
	s_cbranch_execz .LBB200_21
; %bb.18:                               ;   in Loop: Header=BB200_7 Depth=2
	v_mov_b32_e32 v10, 0xff7fffff
	v_mov_b32_e32 v2, v7
	v_mov_b32_e32 v11, v0
	s_mov_b32 s22, 0
	.p2align	6
.LBB200_19:                             ;   Parent Loop BB200_3 Depth=1
                                        ;     Parent Loop BB200_7 Depth=2
                                        ; =>    This Inner Loop Header: Depth=3
	v_ashrrev_i32_e32 v3, 31, v2
	v_add_nc_u32_e32 v11, s17, v11
	v_lshlrev_b64 v[12:13], 1, v[2:3]
	v_add_nc_u32_e32 v2, s19, v2
	v_add_co_u32 v12, vcc_lo, s14, v12
	v_add_co_ci_u32_e64 v13, null, s15, v13, vcc_lo
	v_cmp_le_i32_e32 vcc_lo, s9, v11
	global_load_ushort v3, v[12:13], off
	s_or_b32 s22, vcc_lo, s22
	s_waitcnt vmcnt(0)
	v_lshlrev_b32_e32 v3, 16, v3
	v_cmp_lt_f32_e64 s2, v10, v3
	v_cndmask_b32_e64 v10, v10, v3, s2
	s_andn2_b32 exec_lo, exec_lo, s22
	s_cbranch_execnz .LBB200_19
; %bb.20:                               ;   in Loop: Header=BB200_7 Depth=2
	s_or_b32 exec_lo, exec_lo, s22
.LBB200_21:                             ;   in Loop: Header=BB200_7 Depth=2
	s_or_b32 exec_lo, exec_lo, s21
	s_mov_b32 s2, s17
	s_waitcnt_vscnt null, 0x0
	s_barrier
	buffer_gl0_inv
	ds_write_b32 v8, v10
	s_branch .LBB200_23
	.p2align	6
.LBB200_22:                             ;   in Loop: Header=BB200_23 Depth=3
	s_or_b32 exec_lo, exec_lo, s22
	s_cmp_gt_u32 s2, 3
	s_mov_b32 s2, s21
	s_cbranch_scc0 .LBB200_25
.LBB200_23:                             ;   Parent Loop BB200_3 Depth=1
                                        ;     Parent Loop BB200_7 Depth=2
                                        ; =>    This Inner Loop Header: Depth=3
	s_lshr_b32 s21, s2, 1
	s_mov_b32 s22, exec_lo
	s_waitcnt lgkmcnt(0)
	s_barrier
	buffer_gl0_inv
	v_cmpx_gt_u32_e64 s21, v0
	s_cbranch_execz .LBB200_22
; %bb.24:                               ;   in Loop: Header=BB200_23 Depth=3
	v_lshl_add_u32 v2, s21, 2, v8
	ds_read_b32 v3, v8
	ds_read_b32 v2, v2
	s_waitcnt lgkmcnt(0)
	v_cmp_lt_f32_e32 vcc_lo, v3, v2
	v_cndmask_b32_e32 v2, v3, v2, vcc_lo
	ds_write_b32 v8, v2
	s_branch .LBB200_22
.LBB200_25:                             ;   in Loop: Header=BB200_7 Depth=2
	s_waitcnt lgkmcnt(0)
	s_barrier
	buffer_gl0_inv
	ds_read_b32 v10, v6
	v_mov_b32_e32 v11, 0
	s_and_saveexec_b32 s2, s0
	s_cbranch_execz .LBB200_29
; %bb.26:                               ;   in Loop: Header=BB200_7 Depth=2
	v_mov_b32_e32 v11, 0
	v_mov_b32_e32 v2, v7
	v_mov_b32_e32 v12, v0
	s_mov_b32 s21, 0
	s_inst_prefetch 0x1
	.p2align	6
.LBB200_27:                             ;   Parent Loop BB200_3 Depth=1
                                        ;     Parent Loop BB200_7 Depth=2
                                        ; =>    This Inner Loop Header: Depth=3
	v_ashrrev_i32_e32 v3, 31, v2
	v_add_nc_u32_e32 v12, s17, v12
	v_lshlrev_b64 v[13:14], 1, v[2:3]
	v_add_nc_u32_e32 v2, s19, v2
	v_add_co_u32 v13, vcc_lo, s14, v13
	v_add_co_ci_u32_e64 v14, null, s15, v14, vcc_lo
	global_load_ushort v3, v[13:14], off
	s_waitcnt vmcnt(0)
	v_lshlrev_b32_e32 v3, 16, v3
	s_waitcnt lgkmcnt(0)
	v_sub_f32_e32 v3, v3, v10
	v_mul_f32_e32 v13, 0x3fb8aa3b, v3
	v_cmp_ngt_f32_e32 vcc_lo, 0xc2ce8ed0, v3
	v_fma_f32 v14, 0x3fb8aa3b, v3, -v13
	v_rndne_f32_e32 v15, v13
	v_fmac_f32_e32 v14, 0x32a5705f, v3
	v_sub_f32_e32 v13, v13, v15
	v_add_f32_e32 v13, v13, v14
	v_cvt_i32_f32_e32 v14, v15
	v_exp_f32_e32 v13, v13
	v_ldexp_f32 v13, v13, v14
	v_cndmask_b32_e32 v13, 0, v13, vcc_lo
	v_cmp_nlt_f32_e32 vcc_lo, 0x42b17218, v3
	v_cndmask_b32_e32 v3, 0x7f800000, v13, vcc_lo
	v_cmp_le_i32_e32 vcc_lo, s9, v12
	v_add_f32_e32 v11, v11, v3
	s_or_b32 s21, vcc_lo, s21
	s_andn2_b32 exec_lo, exec_lo, s21
	s_cbranch_execnz .LBB200_27
; %bb.28:                               ;   in Loop: Header=BB200_7 Depth=2
	s_inst_prefetch 0x2
	s_or_b32 exec_lo, exec_lo, s21
.LBB200_29:                             ;   in Loop: Header=BB200_7 Depth=2
	s_or_b32 exec_lo, exec_lo, s2
	s_mov_b32 s2, s17
	s_waitcnt lgkmcnt(0)
	s_barrier
	buffer_gl0_inv
	ds_write_b32 v8, v11
	s_branch .LBB200_31
	.p2align	6
.LBB200_30:                             ;   in Loop: Header=BB200_31 Depth=3
	s_or_b32 exec_lo, exec_lo, s22
	s_cmp_gt_u32 s2, 3
	s_mov_b32 s2, s21
	s_cbranch_scc0 .LBB200_33
.LBB200_31:                             ;   Parent Loop BB200_3 Depth=1
                                        ;     Parent Loop BB200_7 Depth=2
                                        ; =>    This Inner Loop Header: Depth=3
	s_lshr_b32 s21, s2, 1
	s_mov_b32 s22, exec_lo
	s_waitcnt lgkmcnt(0)
	s_barrier
	buffer_gl0_inv
	v_cmpx_gt_u32_e64 s21, v0
	s_cbranch_execz .LBB200_30
; %bb.32:                               ;   in Loop: Header=BB200_31 Depth=3
	v_lshl_add_u32 v2, s21, 2, v8
	ds_read_b32 v3, v8
	ds_read_b32 v2, v2
	s_waitcnt lgkmcnt(0)
	v_add_f32_e32 v2, v3, v2
	ds_write_b32 v8, v2
	s_branch .LBB200_30
.LBB200_33:                             ;   in Loop: Header=BB200_7 Depth=2
	s_waitcnt lgkmcnt(0)
	s_barrier
	buffer_gl0_inv
	s_and_saveexec_b32 s21, s0
	s_cbranch_execz .LBB200_5
; %bb.34:                               ;   in Loop: Header=BB200_7 Depth=2
	ds_read_b32 v2, v6
	v_mov_b32_e32 v12, v0
	s_mov_b32 s22, 0
	s_waitcnt lgkmcnt(0)
	v_cmp_gt_f32_e32 vcc_lo, 0x800000, v2
	v_cndmask_b32_e64 v3, 0, 32, vcc_lo
	v_cndmask_b32_e64 v11, 0, 0x41b17218, vcc_lo
	v_ldexp_f32 v2, v2, v3
	v_log_f32_e32 v2, v2
	v_mul_f32_e32 v3, 0x3f317217, v2
	v_cmp_gt_f32_e64 vcc_lo, 0x7f800000, |v2|
	v_fma_f32 v3, 0x3f317217, v2, -v3
	v_fmac_f32_e32 v3, 0x3377d1cf, v2
	v_fmac_f32_e32 v3, 0x3f317217, v2
	v_cndmask_b32_e32 v3, v2, v3, vcc_lo
	v_mov_b32_e32 v2, v7
	v_sub_f32_e32 v11, v3, v11
	s_inst_prefetch 0x1
	.p2align	6
.LBB200_35:                             ;   Parent Loop BB200_3 Depth=1
                                        ;     Parent Loop BB200_7 Depth=2
                                        ; =>    This Inner Loop Header: Depth=3
	v_ashrrev_i32_e32 v3, 31, v2
	v_add_nc_u32_e32 v12, s17, v12
	v_lshlrev_b64 v[13:14], 1, v[2:3]
	v_add_nc_u32_e32 v2, s19, v2
	v_add_co_u32 v15, vcc_lo, s14, v13
	v_add_co_ci_u32_e64 v16, null, s15, v14, vcc_lo
	v_cmp_le_i32_e32 vcc_lo, s9, v12
	global_load_ushort v3, v[15:16], off
	s_or_b32 s22, vcc_lo, s22
	s_waitcnt vmcnt(0)
	v_lshlrev_b32_e32 v3, 16, v3
	v_sub_f32_e32 v3, v3, v10
	v_sub_f32_e32 v3, v3, v11
	v_bfe_u32 v15, v3, 16, 1
	v_cmp_o_f32_e64 s2, v3, v3
	v_add3_u32 v15, v3, v15, 0x7fff
	v_lshrrev_b32_e32 v15, 16, v15
	v_cndmask_b32_e64 v3, 0x7fc0, v15, s2
	v_add_co_u32 v13, s2, s12, v13
	v_add_co_ci_u32_e64 v14, null, s13, v14, s2
	global_store_short v[13:14], v3, off
	s_andn2_b32 exec_lo, exec_lo, s22
	s_cbranch_execnz .LBB200_35
	s_branch .LBB200_5
.LBB200_36:
	s_endpgm
	.section	.rodata,"a",@progbits
	.p2align	6, 0x0
	.amdhsa_kernel _ZN2at6native12_GLOBAL__N_126cunn_SpatialSoftMaxForwardIN3c108BFloat16EfS4_iNS1_25LogSoftMaxForwardEpilogueEEEvPT1_PKT_T2_SB_SB_
		.amdhsa_group_segment_fixed_size 0
		.amdhsa_private_segment_fixed_size 0
		.amdhsa_kernarg_size 288
		.amdhsa_user_sgpr_count 6
		.amdhsa_user_sgpr_private_segment_buffer 1
		.amdhsa_user_sgpr_dispatch_ptr 0
		.amdhsa_user_sgpr_queue_ptr 0
		.amdhsa_user_sgpr_kernarg_segment_ptr 1
		.amdhsa_user_sgpr_dispatch_id 0
		.amdhsa_user_sgpr_flat_scratch_init 0
		.amdhsa_user_sgpr_private_segment_size 0
		.amdhsa_wavefront_size32 1
		.amdhsa_uses_dynamic_stack 0
		.amdhsa_system_sgpr_private_segment_wavefront_offset 0
		.amdhsa_system_sgpr_workgroup_id_x 1
		.amdhsa_system_sgpr_workgroup_id_y 1
		.amdhsa_system_sgpr_workgroup_id_z 0
		.amdhsa_system_sgpr_workgroup_info 0
		.amdhsa_system_vgpr_workitem_id 1
		.amdhsa_next_free_vgpr 17
		.amdhsa_next_free_sgpr 23
		.amdhsa_reserve_vcc 1
		.amdhsa_reserve_flat_scratch 0
		.amdhsa_float_round_mode_32 0
		.amdhsa_float_round_mode_16_64 0
		.amdhsa_float_denorm_mode_32 3
		.amdhsa_float_denorm_mode_16_64 3
		.amdhsa_dx10_clamp 1
		.amdhsa_ieee_mode 1
		.amdhsa_fp16_overflow 0
		.amdhsa_workgroup_processor_mode 1
		.amdhsa_memory_ordered 1
		.amdhsa_forward_progress 1
		.amdhsa_shared_vgpr_count 0
		.amdhsa_exception_fp_ieee_invalid_op 0
		.amdhsa_exception_fp_denorm_src 0
		.amdhsa_exception_fp_ieee_div_zero 0
		.amdhsa_exception_fp_ieee_overflow 0
		.amdhsa_exception_fp_ieee_underflow 0
		.amdhsa_exception_fp_ieee_inexact 0
		.amdhsa_exception_int_div_zero 0
	.end_amdhsa_kernel
	.section	.text._ZN2at6native12_GLOBAL__N_126cunn_SpatialSoftMaxForwardIN3c108BFloat16EfS4_iNS1_25LogSoftMaxForwardEpilogueEEEvPT1_PKT_T2_SB_SB_,"axG",@progbits,_ZN2at6native12_GLOBAL__N_126cunn_SpatialSoftMaxForwardIN3c108BFloat16EfS4_iNS1_25LogSoftMaxForwardEpilogueEEEvPT1_PKT_T2_SB_SB_,comdat
.Lfunc_end200:
	.size	_ZN2at6native12_GLOBAL__N_126cunn_SpatialSoftMaxForwardIN3c108BFloat16EfS4_iNS1_25LogSoftMaxForwardEpilogueEEEvPT1_PKT_T2_SB_SB_, .Lfunc_end200-_ZN2at6native12_GLOBAL__N_126cunn_SpatialSoftMaxForwardIN3c108BFloat16EfS4_iNS1_25LogSoftMaxForwardEpilogueEEEvPT1_PKT_T2_SB_SB_
                                        ; -- End function
	.set _ZN2at6native12_GLOBAL__N_126cunn_SpatialSoftMaxForwardIN3c108BFloat16EfS4_iNS1_25LogSoftMaxForwardEpilogueEEEvPT1_PKT_T2_SB_SB_.num_vgpr, 17
	.set _ZN2at6native12_GLOBAL__N_126cunn_SpatialSoftMaxForwardIN3c108BFloat16EfS4_iNS1_25LogSoftMaxForwardEpilogueEEEvPT1_PKT_T2_SB_SB_.num_agpr, 0
	.set _ZN2at6native12_GLOBAL__N_126cunn_SpatialSoftMaxForwardIN3c108BFloat16EfS4_iNS1_25LogSoftMaxForwardEpilogueEEEvPT1_PKT_T2_SB_SB_.numbered_sgpr, 23
	.set _ZN2at6native12_GLOBAL__N_126cunn_SpatialSoftMaxForwardIN3c108BFloat16EfS4_iNS1_25LogSoftMaxForwardEpilogueEEEvPT1_PKT_T2_SB_SB_.num_named_barrier, 0
	.set _ZN2at6native12_GLOBAL__N_126cunn_SpatialSoftMaxForwardIN3c108BFloat16EfS4_iNS1_25LogSoftMaxForwardEpilogueEEEvPT1_PKT_T2_SB_SB_.private_seg_size, 0
	.set _ZN2at6native12_GLOBAL__N_126cunn_SpatialSoftMaxForwardIN3c108BFloat16EfS4_iNS1_25LogSoftMaxForwardEpilogueEEEvPT1_PKT_T2_SB_SB_.uses_vcc, 1
	.set _ZN2at6native12_GLOBAL__N_126cunn_SpatialSoftMaxForwardIN3c108BFloat16EfS4_iNS1_25LogSoftMaxForwardEpilogueEEEvPT1_PKT_T2_SB_SB_.uses_flat_scratch, 0
	.set _ZN2at6native12_GLOBAL__N_126cunn_SpatialSoftMaxForwardIN3c108BFloat16EfS4_iNS1_25LogSoftMaxForwardEpilogueEEEvPT1_PKT_T2_SB_SB_.has_dyn_sized_stack, 0
	.set _ZN2at6native12_GLOBAL__N_126cunn_SpatialSoftMaxForwardIN3c108BFloat16EfS4_iNS1_25LogSoftMaxForwardEpilogueEEEvPT1_PKT_T2_SB_SB_.has_recursion, 0
	.set _ZN2at6native12_GLOBAL__N_126cunn_SpatialSoftMaxForwardIN3c108BFloat16EfS4_iNS1_25LogSoftMaxForwardEpilogueEEEvPT1_PKT_T2_SB_SB_.has_indirect_call, 0
	.section	.AMDGPU.csdata,"",@progbits
; Kernel info:
; codeLenInByte = 2008
; TotalNumSgprs: 25
; NumVgprs: 17
; ScratchSize: 0
; MemoryBound: 0
; FloatMode: 240
; IeeeMode: 1
; LDSByteSize: 0 bytes/workgroup (compile time only)
; SGPRBlocks: 0
; VGPRBlocks: 2
; NumSGPRsForWavesPerEU: 25
; NumVGPRsForWavesPerEU: 17
; Occupancy: 16
; WaveLimiterHint : 0
; COMPUTE_PGM_RSRC2:SCRATCH_EN: 0
; COMPUTE_PGM_RSRC2:USER_SGPR: 6
; COMPUTE_PGM_RSRC2:TRAP_HANDLER: 0
; COMPUTE_PGM_RSRC2:TGID_X_EN: 1
; COMPUTE_PGM_RSRC2:TGID_Y_EN: 1
; COMPUTE_PGM_RSRC2:TGID_Z_EN: 0
; COMPUTE_PGM_RSRC2:TIDIG_COMP_CNT: 1
	.section	.text._ZN2at6native12_GLOBAL__N_126cunn_SpatialSoftMaxForwardIN3c108BFloat16EffiNS1_25LogSoftMaxForwardEpilogueEEEvPT1_PKT_T2_SB_SB_,"axG",@progbits,_ZN2at6native12_GLOBAL__N_126cunn_SpatialSoftMaxForwardIN3c108BFloat16EffiNS1_25LogSoftMaxForwardEpilogueEEEvPT1_PKT_T2_SB_SB_,comdat
	.globl	_ZN2at6native12_GLOBAL__N_126cunn_SpatialSoftMaxForwardIN3c108BFloat16EffiNS1_25LogSoftMaxForwardEpilogueEEEvPT1_PKT_T2_SB_SB_ ; -- Begin function _ZN2at6native12_GLOBAL__N_126cunn_SpatialSoftMaxForwardIN3c108BFloat16EffiNS1_25LogSoftMaxForwardEpilogueEEEvPT1_PKT_T2_SB_SB_
	.p2align	8
	.type	_ZN2at6native12_GLOBAL__N_126cunn_SpatialSoftMaxForwardIN3c108BFloat16EffiNS1_25LogSoftMaxForwardEpilogueEEEvPT1_PKT_T2_SB_SB_,@function
_ZN2at6native12_GLOBAL__N_126cunn_SpatialSoftMaxForwardIN3c108BFloat16EffiNS1_25LogSoftMaxForwardEpilogueEEEvPT1_PKT_T2_SB_SB_: ; @_ZN2at6native12_GLOBAL__N_126cunn_SpatialSoftMaxForwardIN3c108BFloat16EffiNS1_25LogSoftMaxForwardEpilogueEEEvPT1_PKT_T2_SB_SB_
; %bb.0:
	s_load_dwordx4 s[8:11], s[4:5], 0x10
	s_waitcnt lgkmcnt(0)
	s_cmp_ge_i32 s6, s8
	s_cbranch_scc1 .LBB201_36
; %bb.1:
	s_clause 0x1
	s_load_dword s0, s[4:5], 0x2c
	s_load_dwordx2 s[16:17], s[4:5], 0x20
	v_mad_u64_u32 v[2:3], null, s6, s9, v[0:1]
	s_load_dwordx4 s[12:15], s[4:5], 0x0
	s_add_u32 s4, s4, 32
	s_addc_u32 s5, s5, 0
	v_mul_lo_u32 v2, s10, v2
	s_waitcnt lgkmcnt(0)
	s_lshr_b32 s2, s0, 16
	v_cmp_gt_i32_e64 s0, s9, v0
	s_mul_i32 s7, s7, s2
	s_mul_i32 s3, s17, s2
	v_add_nc_u32_e32 v4, s7, v1
	v_add3_u32 v5, v1, v2, s7
	s_mul_i32 s7, s16, s10
	s_mul_i32 s7, s7, s9
	v_cmp_gt_i32_e64 s1, s10, v4
	s_branch .LBB201_3
.LBB201_2:                              ;   in Loop: Header=BB201_3 Depth=1
	s_or_b32 exec_lo, exec_lo, s11
	v_add_nc_u32_e32 v5, s7, v5
	s_add_i32 s6, s16, s6
	s_cmp_ge_i32 s6, s8
	s_cbranch_scc1 .LBB201_36
.LBB201_3:                              ; =>This Loop Header: Depth=1
                                        ;     Child Loop BB201_7 Depth 2
                                        ;       Child Loop BB201_10 Depth 3
                                        ;       Child Loop BB201_12 Depth 3
	;; [unrolled: 1-line block ×8, first 2 shown]
	s_and_saveexec_b32 s11, s1
	s_cbranch_execz .LBB201_2
; %bb.4:                                ;   in Loop: Header=BB201_3 Depth=1
	s_load_dword s2, s[4:5], 0xc
	v_mov_b32_e32 v7, v5
	v_mov_b32_e32 v9, v4
	s_mov_b32 s20, 0
	s_waitcnt lgkmcnt(0)
	s_and_b32 s17, s2, 0xffff
	v_mul_u32_u24_e32 v2, s17, v1
	s_cmp_lt_u32 s17, 2
	s_mul_i32 s19, s10, s17
	s_cselect_b32 s18, -1, 0
	v_lshl_add_u32 v6, v2, 2, 0
	v_lshl_add_u32 v8, v0, 2, v6
	s_branch .LBB201_7
.LBB201_5:                              ;   in Loop: Header=BB201_7 Depth=2
	s_or_b32 exec_lo, exec_lo, s21
.LBB201_6:                              ;   in Loop: Header=BB201_7 Depth=2
	v_add_nc_u32_e32 v9, s3, v9
	v_add_nc_u32_e32 v7, s3, v7
	v_cmp_le_i32_e32 vcc_lo, s10, v9
	s_or_b32 s20, vcc_lo, s20
	s_andn2_b32 exec_lo, exec_lo, s20
	s_cbranch_execz .LBB201_2
.LBB201_7:                              ;   Parent Loop BB201_3 Depth=1
                                        ; =>  This Loop Header: Depth=2
                                        ;       Child Loop BB201_10 Depth 3
                                        ;       Child Loop BB201_12 Depth 3
	;; [unrolled: 1-line block ×8, first 2 shown]
	s_and_b32 vcc_lo, exec_lo, s18
	s_mov_b32 s2, -1
	s_cbranch_vccz .LBB201_16
; %bb.8:                                ;   in Loop: Header=BB201_7 Depth=2
	s_and_saveexec_b32 s21, s0
	s_cbranch_execz .LBB201_15
; %bb.9:                                ;   in Loop: Header=BB201_7 Depth=2
	v_mov_b32_e32 v10, 0xff7fffff
	v_mov_b32_e32 v2, v7
	v_mov_b32_e32 v11, v0
	s_mov_b32 s22, 0
	.p2align	6
.LBB201_10:                             ;   Parent Loop BB201_3 Depth=1
                                        ;     Parent Loop BB201_7 Depth=2
                                        ; =>    This Inner Loop Header: Depth=3
	v_ashrrev_i32_e32 v3, 31, v2
	v_add_nc_u32_e32 v11, s17, v11
	v_lshlrev_b64 v[12:13], 1, v[2:3]
	v_add_nc_u32_e32 v2, s19, v2
	v_add_co_u32 v12, vcc_lo, s14, v12
	v_add_co_ci_u32_e64 v13, null, s15, v13, vcc_lo
	v_cmp_le_i32_e32 vcc_lo, s9, v11
	global_load_ushort v3, v[12:13], off
	s_or_b32 s22, vcc_lo, s22
	s_waitcnt vmcnt(0)
	v_lshlrev_b32_e32 v3, 16, v3
	v_cmp_lt_f32_e64 s2, v10, v3
	v_cndmask_b32_e64 v10, v10, v3, s2
	s_andn2_b32 exec_lo, exec_lo, s22
	s_cbranch_execnz .LBB201_10
; %bb.11:                               ;   in Loop: Header=BB201_7 Depth=2
	s_or_b32 exec_lo, exec_lo, s22
	v_mov_b32_e32 v11, 0
	v_mov_b32_e32 v2, v7
	;; [unrolled: 1-line block ×3, first 2 shown]
	s_mov_b32 s2, 0
	s_inst_prefetch 0x1
	.p2align	6
.LBB201_12:                             ;   Parent Loop BB201_3 Depth=1
                                        ;     Parent Loop BB201_7 Depth=2
                                        ; =>    This Inner Loop Header: Depth=3
	v_ashrrev_i32_e32 v3, 31, v2
	v_add_nc_u32_e32 v12, s17, v12
	v_lshlrev_b64 v[13:14], 1, v[2:3]
	v_add_nc_u32_e32 v2, s19, v2
	v_add_co_u32 v13, vcc_lo, s14, v13
	v_add_co_ci_u32_e64 v14, null, s15, v14, vcc_lo
	global_load_ushort v3, v[13:14], off
	s_waitcnt vmcnt(0)
	v_lshlrev_b32_e32 v3, 16, v3
	v_sub_f32_e32 v3, v3, v10
	v_mul_f32_e32 v13, 0x3fb8aa3b, v3
	v_cmp_ngt_f32_e32 vcc_lo, 0xc2ce8ed0, v3
	v_fma_f32 v14, 0x3fb8aa3b, v3, -v13
	v_rndne_f32_e32 v15, v13
	v_fmac_f32_e32 v14, 0x32a5705f, v3
	v_sub_f32_e32 v13, v13, v15
	v_add_f32_e32 v13, v13, v14
	v_cvt_i32_f32_e32 v14, v15
	v_exp_f32_e32 v13, v13
	v_ldexp_f32 v13, v13, v14
	v_cndmask_b32_e32 v13, 0, v13, vcc_lo
	v_cmp_nlt_f32_e32 vcc_lo, 0x42b17218, v3
	v_cndmask_b32_e32 v3, 0x7f800000, v13, vcc_lo
	v_cmp_le_i32_e32 vcc_lo, s9, v12
	v_add_f32_e32 v11, v11, v3
	s_or_b32 s2, vcc_lo, s2
	s_andn2_b32 exec_lo, exec_lo, s2
	s_cbranch_execnz .LBB201_12
; %bb.13:                               ;   in Loop: Header=BB201_7 Depth=2
	s_inst_prefetch 0x2
	s_or_b32 exec_lo, exec_lo, s2
	v_cmp_gt_f32_e32 vcc_lo, 0x800000, v11
	v_mov_b32_e32 v12, v0
	s_mov_b32 s22, 0
	v_cndmask_b32_e64 v2, 0, 32, vcc_lo
	v_ldexp_f32 v2, v11, v2
	v_cndmask_b32_e64 v11, 0, 0x41b17218, vcc_lo
	v_log_f32_e32 v2, v2
	v_mul_f32_e32 v3, 0x3f317217, v2
	v_cmp_gt_f32_e64 vcc_lo, 0x7f800000, |v2|
	v_fma_f32 v3, 0x3f317217, v2, -v3
	v_fmac_f32_e32 v3, 0x3377d1cf, v2
	v_fmac_f32_e32 v3, 0x3f317217, v2
	v_cndmask_b32_e32 v3, v2, v3, vcc_lo
	v_mov_b32_e32 v2, v7
	v_sub_f32_e32 v11, v3, v11
	.p2align	6
.LBB201_14:                             ;   Parent Loop BB201_3 Depth=1
                                        ;     Parent Loop BB201_7 Depth=2
                                        ; =>    This Inner Loop Header: Depth=3
	v_ashrrev_i32_e32 v3, 31, v2
	v_add_nc_u32_e32 v12, s17, v12
	v_lshlrev_b64 v[13:14], 1, v[2:3]
	v_add_co_u32 v13, vcc_lo, s14, v13
	v_add_co_ci_u32_e64 v14, null, s15, v14, vcc_lo
	v_cmp_le_i32_e32 vcc_lo, s9, v12
	global_load_ushort v13, v[13:14], off
	s_or_b32 s22, vcc_lo, s22
	s_waitcnt vmcnt(0)
	v_lshlrev_b32_e32 v13, 16, v13
	v_sub_f32_e32 v15, v13, v10
	v_lshlrev_b64 v[13:14], 2, v[2:3]
	v_add_nc_u32_e32 v2, s19, v2
	v_sub_f32_e32 v3, v15, v11
	v_add_co_u32 v13, s2, s12, v13
	v_add_co_ci_u32_e64 v14, null, s13, v14, s2
	global_store_dword v[13:14], v3, off
	s_andn2_b32 exec_lo, exec_lo, s22
	s_cbranch_execnz .LBB201_14
.LBB201_15:                             ;   in Loop: Header=BB201_7 Depth=2
	s_or_b32 exec_lo, exec_lo, s21
	s_mov_b32 s2, 0
.LBB201_16:                             ;   in Loop: Header=BB201_7 Depth=2
	s_andn2_b32 vcc_lo, exec_lo, s2
	s_cbranch_vccnz .LBB201_6
; %bb.17:                               ;   in Loop: Header=BB201_7 Depth=2
	v_mov_b32_e32 v10, 0xff7fffff
	s_and_saveexec_b32 s21, s0
	s_cbranch_execz .LBB201_21
; %bb.18:                               ;   in Loop: Header=BB201_7 Depth=2
	v_mov_b32_e32 v10, 0xff7fffff
	v_mov_b32_e32 v2, v7
	;; [unrolled: 1-line block ×3, first 2 shown]
	s_mov_b32 s22, 0
	.p2align	6
.LBB201_19:                             ;   Parent Loop BB201_3 Depth=1
                                        ;     Parent Loop BB201_7 Depth=2
                                        ; =>    This Inner Loop Header: Depth=3
	v_ashrrev_i32_e32 v3, 31, v2
	v_add_nc_u32_e32 v11, s17, v11
	v_lshlrev_b64 v[12:13], 1, v[2:3]
	v_add_nc_u32_e32 v2, s19, v2
	v_add_co_u32 v12, vcc_lo, s14, v12
	v_add_co_ci_u32_e64 v13, null, s15, v13, vcc_lo
	v_cmp_le_i32_e32 vcc_lo, s9, v11
	global_load_ushort v3, v[12:13], off
	s_or_b32 s22, vcc_lo, s22
	s_waitcnt vmcnt(0)
	v_lshlrev_b32_e32 v3, 16, v3
	v_cmp_lt_f32_e64 s2, v10, v3
	v_cndmask_b32_e64 v10, v10, v3, s2
	s_andn2_b32 exec_lo, exec_lo, s22
	s_cbranch_execnz .LBB201_19
; %bb.20:                               ;   in Loop: Header=BB201_7 Depth=2
	s_or_b32 exec_lo, exec_lo, s22
.LBB201_21:                             ;   in Loop: Header=BB201_7 Depth=2
	s_or_b32 exec_lo, exec_lo, s21
	s_mov_b32 s2, s17
	s_waitcnt_vscnt null, 0x0
	s_barrier
	buffer_gl0_inv
	ds_write_b32 v8, v10
	s_branch .LBB201_23
	.p2align	6
.LBB201_22:                             ;   in Loop: Header=BB201_23 Depth=3
	s_or_b32 exec_lo, exec_lo, s22
	s_cmp_gt_u32 s2, 3
	s_mov_b32 s2, s21
	s_cbranch_scc0 .LBB201_25
.LBB201_23:                             ;   Parent Loop BB201_3 Depth=1
                                        ;     Parent Loop BB201_7 Depth=2
                                        ; =>    This Inner Loop Header: Depth=3
	s_lshr_b32 s21, s2, 1
	s_mov_b32 s22, exec_lo
	s_waitcnt lgkmcnt(0)
	s_barrier
	buffer_gl0_inv
	v_cmpx_gt_u32_e64 s21, v0
	s_cbranch_execz .LBB201_22
; %bb.24:                               ;   in Loop: Header=BB201_23 Depth=3
	v_lshl_add_u32 v2, s21, 2, v8
	ds_read_b32 v3, v8
	ds_read_b32 v2, v2
	s_waitcnt lgkmcnt(0)
	v_cmp_lt_f32_e32 vcc_lo, v3, v2
	v_cndmask_b32_e32 v2, v3, v2, vcc_lo
	ds_write_b32 v8, v2
	s_branch .LBB201_22
.LBB201_25:                             ;   in Loop: Header=BB201_7 Depth=2
	s_waitcnt lgkmcnt(0)
	s_barrier
	buffer_gl0_inv
	ds_read_b32 v10, v6
	v_mov_b32_e32 v11, 0
	s_and_saveexec_b32 s2, s0
	s_cbranch_execz .LBB201_29
; %bb.26:                               ;   in Loop: Header=BB201_7 Depth=2
	v_mov_b32_e32 v11, 0
	v_mov_b32_e32 v2, v7
	;; [unrolled: 1-line block ×3, first 2 shown]
	s_mov_b32 s21, 0
	s_inst_prefetch 0x1
	.p2align	6
.LBB201_27:                             ;   Parent Loop BB201_3 Depth=1
                                        ;     Parent Loop BB201_7 Depth=2
                                        ; =>    This Inner Loop Header: Depth=3
	v_ashrrev_i32_e32 v3, 31, v2
	v_add_nc_u32_e32 v12, s17, v12
	v_lshlrev_b64 v[13:14], 1, v[2:3]
	v_add_nc_u32_e32 v2, s19, v2
	v_add_co_u32 v13, vcc_lo, s14, v13
	v_add_co_ci_u32_e64 v14, null, s15, v14, vcc_lo
	global_load_ushort v3, v[13:14], off
	s_waitcnt vmcnt(0)
	v_lshlrev_b32_e32 v3, 16, v3
	s_waitcnt lgkmcnt(0)
	v_sub_f32_e32 v3, v3, v10
	v_mul_f32_e32 v13, 0x3fb8aa3b, v3
	v_cmp_ngt_f32_e32 vcc_lo, 0xc2ce8ed0, v3
	v_fma_f32 v14, 0x3fb8aa3b, v3, -v13
	v_rndne_f32_e32 v15, v13
	v_fmac_f32_e32 v14, 0x32a5705f, v3
	v_sub_f32_e32 v13, v13, v15
	v_add_f32_e32 v13, v13, v14
	v_cvt_i32_f32_e32 v14, v15
	v_exp_f32_e32 v13, v13
	v_ldexp_f32 v13, v13, v14
	v_cndmask_b32_e32 v13, 0, v13, vcc_lo
	v_cmp_nlt_f32_e32 vcc_lo, 0x42b17218, v3
	v_cndmask_b32_e32 v3, 0x7f800000, v13, vcc_lo
	v_cmp_le_i32_e32 vcc_lo, s9, v12
	v_add_f32_e32 v11, v11, v3
	s_or_b32 s21, vcc_lo, s21
	s_andn2_b32 exec_lo, exec_lo, s21
	s_cbranch_execnz .LBB201_27
; %bb.28:                               ;   in Loop: Header=BB201_7 Depth=2
	s_inst_prefetch 0x2
	s_or_b32 exec_lo, exec_lo, s21
.LBB201_29:                             ;   in Loop: Header=BB201_7 Depth=2
	s_or_b32 exec_lo, exec_lo, s2
	s_mov_b32 s2, s17
	s_waitcnt lgkmcnt(0)
	s_barrier
	buffer_gl0_inv
	ds_write_b32 v8, v11
	s_branch .LBB201_31
	.p2align	6
.LBB201_30:                             ;   in Loop: Header=BB201_31 Depth=3
	s_or_b32 exec_lo, exec_lo, s22
	s_cmp_gt_u32 s2, 3
	s_mov_b32 s2, s21
	s_cbranch_scc0 .LBB201_33
.LBB201_31:                             ;   Parent Loop BB201_3 Depth=1
                                        ;     Parent Loop BB201_7 Depth=2
                                        ; =>    This Inner Loop Header: Depth=3
	s_lshr_b32 s21, s2, 1
	s_mov_b32 s22, exec_lo
	s_waitcnt lgkmcnt(0)
	s_barrier
	buffer_gl0_inv
	v_cmpx_gt_u32_e64 s21, v0
	s_cbranch_execz .LBB201_30
; %bb.32:                               ;   in Loop: Header=BB201_31 Depth=3
	v_lshl_add_u32 v2, s21, 2, v8
	ds_read_b32 v3, v8
	ds_read_b32 v2, v2
	s_waitcnt lgkmcnt(0)
	v_add_f32_e32 v2, v3, v2
	ds_write_b32 v8, v2
	s_branch .LBB201_30
.LBB201_33:                             ;   in Loop: Header=BB201_7 Depth=2
	s_waitcnt lgkmcnt(0)
	s_barrier
	buffer_gl0_inv
	s_and_saveexec_b32 s21, s0
	s_cbranch_execz .LBB201_5
; %bb.34:                               ;   in Loop: Header=BB201_7 Depth=2
	ds_read_b32 v2, v6
	v_mov_b32_e32 v12, v0
	s_mov_b32 s22, 0
	s_waitcnt lgkmcnt(0)
	v_cmp_gt_f32_e32 vcc_lo, 0x800000, v2
	v_cndmask_b32_e64 v3, 0, 32, vcc_lo
	v_cndmask_b32_e64 v11, 0, 0x41b17218, vcc_lo
	v_ldexp_f32 v2, v2, v3
	v_log_f32_e32 v2, v2
	v_mul_f32_e32 v3, 0x3f317217, v2
	v_cmp_gt_f32_e64 vcc_lo, 0x7f800000, |v2|
	v_fma_f32 v3, 0x3f317217, v2, -v3
	v_fmac_f32_e32 v3, 0x3377d1cf, v2
	v_fmac_f32_e32 v3, 0x3f317217, v2
	v_cndmask_b32_e32 v3, v2, v3, vcc_lo
	v_mov_b32_e32 v2, v7
	v_sub_f32_e32 v11, v3, v11
	.p2align	6
.LBB201_35:                             ;   Parent Loop BB201_3 Depth=1
                                        ;     Parent Loop BB201_7 Depth=2
                                        ; =>    This Inner Loop Header: Depth=3
	v_ashrrev_i32_e32 v3, 31, v2
	v_add_nc_u32_e32 v12, s17, v12
	v_lshlrev_b64 v[13:14], 1, v[2:3]
	v_add_co_u32 v13, vcc_lo, s14, v13
	v_add_co_ci_u32_e64 v14, null, s15, v14, vcc_lo
	v_cmp_le_i32_e32 vcc_lo, s9, v12
	global_load_ushort v13, v[13:14], off
	s_or_b32 s22, vcc_lo, s22
	s_waitcnt vmcnt(0)
	v_lshlrev_b32_e32 v13, 16, v13
	v_sub_f32_e32 v15, v13, v10
	v_lshlrev_b64 v[13:14], 2, v[2:3]
	v_add_nc_u32_e32 v2, s19, v2
	v_sub_f32_e32 v3, v15, v11
	v_add_co_u32 v13, s2, s12, v13
	v_add_co_ci_u32_e64 v14, null, s13, v14, s2
	global_store_dword v[13:14], v3, off
	s_andn2_b32 exec_lo, exec_lo, s22
	s_cbranch_execnz .LBB201_35
	s_branch .LBB201_5
.LBB201_36:
	s_endpgm
	.section	.rodata,"a",@progbits
	.p2align	6, 0x0
	.amdhsa_kernel _ZN2at6native12_GLOBAL__N_126cunn_SpatialSoftMaxForwardIN3c108BFloat16EffiNS1_25LogSoftMaxForwardEpilogueEEEvPT1_PKT_T2_SB_SB_
		.amdhsa_group_segment_fixed_size 0
		.amdhsa_private_segment_fixed_size 0
		.amdhsa_kernarg_size 288
		.amdhsa_user_sgpr_count 6
		.amdhsa_user_sgpr_private_segment_buffer 1
		.amdhsa_user_sgpr_dispatch_ptr 0
		.amdhsa_user_sgpr_queue_ptr 0
		.amdhsa_user_sgpr_kernarg_segment_ptr 1
		.amdhsa_user_sgpr_dispatch_id 0
		.amdhsa_user_sgpr_flat_scratch_init 0
		.amdhsa_user_sgpr_private_segment_size 0
		.amdhsa_wavefront_size32 1
		.amdhsa_uses_dynamic_stack 0
		.amdhsa_system_sgpr_private_segment_wavefront_offset 0
		.amdhsa_system_sgpr_workgroup_id_x 1
		.amdhsa_system_sgpr_workgroup_id_y 1
		.amdhsa_system_sgpr_workgroup_id_z 0
		.amdhsa_system_sgpr_workgroup_info 0
		.amdhsa_system_vgpr_workitem_id 1
		.amdhsa_next_free_vgpr 16
		.amdhsa_next_free_sgpr 23
		.amdhsa_reserve_vcc 1
		.amdhsa_reserve_flat_scratch 0
		.amdhsa_float_round_mode_32 0
		.amdhsa_float_round_mode_16_64 0
		.amdhsa_float_denorm_mode_32 3
		.amdhsa_float_denorm_mode_16_64 3
		.amdhsa_dx10_clamp 1
		.amdhsa_ieee_mode 1
		.amdhsa_fp16_overflow 0
		.amdhsa_workgroup_processor_mode 1
		.amdhsa_memory_ordered 1
		.amdhsa_forward_progress 1
		.amdhsa_shared_vgpr_count 0
		.amdhsa_exception_fp_ieee_invalid_op 0
		.amdhsa_exception_fp_denorm_src 0
		.amdhsa_exception_fp_ieee_div_zero 0
		.amdhsa_exception_fp_ieee_overflow 0
		.amdhsa_exception_fp_ieee_underflow 0
		.amdhsa_exception_fp_ieee_inexact 0
		.amdhsa_exception_int_div_zero 0
	.end_amdhsa_kernel
	.section	.text._ZN2at6native12_GLOBAL__N_126cunn_SpatialSoftMaxForwardIN3c108BFloat16EffiNS1_25LogSoftMaxForwardEpilogueEEEvPT1_PKT_T2_SB_SB_,"axG",@progbits,_ZN2at6native12_GLOBAL__N_126cunn_SpatialSoftMaxForwardIN3c108BFloat16EffiNS1_25LogSoftMaxForwardEpilogueEEEvPT1_PKT_T2_SB_SB_,comdat
.Lfunc_end201:
	.size	_ZN2at6native12_GLOBAL__N_126cunn_SpatialSoftMaxForwardIN3c108BFloat16EffiNS1_25LogSoftMaxForwardEpilogueEEEvPT1_PKT_T2_SB_SB_, .Lfunc_end201-_ZN2at6native12_GLOBAL__N_126cunn_SpatialSoftMaxForwardIN3c108BFloat16EffiNS1_25LogSoftMaxForwardEpilogueEEEvPT1_PKT_T2_SB_SB_
                                        ; -- End function
	.set _ZN2at6native12_GLOBAL__N_126cunn_SpatialSoftMaxForwardIN3c108BFloat16EffiNS1_25LogSoftMaxForwardEpilogueEEEvPT1_PKT_T2_SB_SB_.num_vgpr, 16
	.set _ZN2at6native12_GLOBAL__N_126cunn_SpatialSoftMaxForwardIN3c108BFloat16EffiNS1_25LogSoftMaxForwardEpilogueEEEvPT1_PKT_T2_SB_SB_.num_agpr, 0
	.set _ZN2at6native12_GLOBAL__N_126cunn_SpatialSoftMaxForwardIN3c108BFloat16EffiNS1_25LogSoftMaxForwardEpilogueEEEvPT1_PKT_T2_SB_SB_.numbered_sgpr, 23
	.set _ZN2at6native12_GLOBAL__N_126cunn_SpatialSoftMaxForwardIN3c108BFloat16EffiNS1_25LogSoftMaxForwardEpilogueEEEvPT1_PKT_T2_SB_SB_.num_named_barrier, 0
	.set _ZN2at6native12_GLOBAL__N_126cunn_SpatialSoftMaxForwardIN3c108BFloat16EffiNS1_25LogSoftMaxForwardEpilogueEEEvPT1_PKT_T2_SB_SB_.private_seg_size, 0
	.set _ZN2at6native12_GLOBAL__N_126cunn_SpatialSoftMaxForwardIN3c108BFloat16EffiNS1_25LogSoftMaxForwardEpilogueEEEvPT1_PKT_T2_SB_SB_.uses_vcc, 1
	.set _ZN2at6native12_GLOBAL__N_126cunn_SpatialSoftMaxForwardIN3c108BFloat16EffiNS1_25LogSoftMaxForwardEpilogueEEEvPT1_PKT_T2_SB_SB_.uses_flat_scratch, 0
	.set _ZN2at6native12_GLOBAL__N_126cunn_SpatialSoftMaxForwardIN3c108BFloat16EffiNS1_25LogSoftMaxForwardEpilogueEEEvPT1_PKT_T2_SB_SB_.has_dyn_sized_stack, 0
	.set _ZN2at6native12_GLOBAL__N_126cunn_SpatialSoftMaxForwardIN3c108BFloat16EffiNS1_25LogSoftMaxForwardEpilogueEEEvPT1_PKT_T2_SB_SB_.has_recursion, 0
	.set _ZN2at6native12_GLOBAL__N_126cunn_SpatialSoftMaxForwardIN3c108BFloat16EffiNS1_25LogSoftMaxForwardEpilogueEEEvPT1_PKT_T2_SB_SB_.has_indirect_call, 0
	.section	.AMDGPU.csdata,"",@progbits
; Kernel info:
; codeLenInByte = 1908
; TotalNumSgprs: 25
; NumVgprs: 16
; ScratchSize: 0
; MemoryBound: 0
; FloatMode: 240
; IeeeMode: 1
; LDSByteSize: 0 bytes/workgroup (compile time only)
; SGPRBlocks: 0
; VGPRBlocks: 1
; NumSGPRsForWavesPerEU: 25
; NumVGPRsForWavesPerEU: 16
; Occupancy: 16
; WaveLimiterHint : 0
; COMPUTE_PGM_RSRC2:SCRATCH_EN: 0
; COMPUTE_PGM_RSRC2:USER_SGPR: 6
; COMPUTE_PGM_RSRC2:TRAP_HANDLER: 0
; COMPUTE_PGM_RSRC2:TGID_X_EN: 1
; COMPUTE_PGM_RSRC2:TGID_Y_EN: 1
; COMPUTE_PGM_RSRC2:TGID_Z_EN: 0
; COMPUTE_PGM_RSRC2:TIDIG_COMP_CNT: 1
	.section	.text._ZN2at6native12_GLOBAL__N_126cunn_SpatialSoftMaxForwardIN3c108BFloat16EfS4_lNS1_25LogSoftMaxForwardEpilogueEEEvPT1_PKT_T2_SB_SB_,"axG",@progbits,_ZN2at6native12_GLOBAL__N_126cunn_SpatialSoftMaxForwardIN3c108BFloat16EfS4_lNS1_25LogSoftMaxForwardEpilogueEEEvPT1_PKT_T2_SB_SB_,comdat
	.globl	_ZN2at6native12_GLOBAL__N_126cunn_SpatialSoftMaxForwardIN3c108BFloat16EfS4_lNS1_25LogSoftMaxForwardEpilogueEEEvPT1_PKT_T2_SB_SB_ ; -- Begin function _ZN2at6native12_GLOBAL__N_126cunn_SpatialSoftMaxForwardIN3c108BFloat16EfS4_lNS1_25LogSoftMaxForwardEpilogueEEEvPT1_PKT_T2_SB_SB_
	.p2align	8
	.type	_ZN2at6native12_GLOBAL__N_126cunn_SpatialSoftMaxForwardIN3c108BFloat16EfS4_lNS1_25LogSoftMaxForwardEpilogueEEEvPT1_PKT_T2_SB_SB_,@function
_ZN2at6native12_GLOBAL__N_126cunn_SpatialSoftMaxForwardIN3c108BFloat16EfS4_lNS1_25LogSoftMaxForwardEpilogueEEEvPT1_PKT_T2_SB_SB_: ; @_ZN2at6native12_GLOBAL__N_126cunn_SpatialSoftMaxForwardIN3c108BFloat16EfS4_lNS1_25LogSoftMaxForwardEpilogueEEEvPT1_PKT_T2_SB_SB_
; %bb.0:
	s_load_dwordx8 s[8:15], s[4:5], 0x0
	s_mov_b32 s0, s7
	s_mov_b32 s7, 0
	s_waitcnt lgkmcnt(0)
	v_cmp_le_i64_e64 s1, s[12:13], s[6:7]
	s_and_b32 vcc_lo, exec_lo, s1
	s_cbranch_vccnz .LBB202_36
; %bb.1:
	s_clause 0x1
	s_load_dword s1, s[4:5], 0x34
	s_load_dwordx4 s[16:19], s[4:5], 0x20
	v_mov_b32_e32 v2, v0
	s_add_u32 s4, s4, 40
	s_addc_u32 s5, s5, 0
	s_mov_b32 s21, s7
	s_waitcnt lgkmcnt(0)
	s_lshr_b32 s1, s1, 16
	s_mul_i32 s22, s16, s14
	v_mad_u64_u32 v[4:5], null, s0, s1, v[1:2]
	v_mov_b32_e32 v5, 0
	v_mad_u64_u32 v[6:7], null, s16, v2, 0
	s_mul_i32 s0, s16, s15
	s_mul_hi_u32 s2, s16, s14
	v_mov_b32_e32 v3, v5
	v_mad_u64_u32 v[8:9], null, s22, s6, v[4:5]
	s_mul_i32 s3, s17, s14
	v_mov_b32_e32 v0, v7
	v_mad_u64_u32 v[10:11], null, s14, s6, v[2:3]
	s_add_i32 s0, s2, s0
	s_mul_i32 s20, s19, s1
	v_mov_b32_e32 v7, v9
	s_add_i32 s0, s0, s3
	v_mad_u64_u32 v[12:13], null, s17, v2, v[0:1]
	v_mov_b32_e32 v0, v11
	v_mad_u64_u32 v[13:14], null, s0, s6, v[7:8]
	s_mul_hi_u32 s1, s22, s18
	s_mul_i32 s0, s0, s18
	v_mad_u64_u32 v[14:15], null, s15, s6, v[0:1]
	v_mov_b32_e32 v7, v12
	v_mul_lo_u32 v0, s17, v10
	v_mov_b32_e32 v9, v13
	v_mad_u64_u32 v[10:11], null, s16, v10, 0
	v_lshlrev_b64 v[6:7], 1, v[6:7]
	v_mul_lo_u32 v14, s16, v14
	v_lshlrev_b64 v[8:9], 1, v[8:9]
	v_lshlrev_b64 v[12:13], 1, v[4:5]
	s_add_i32 s3, s1, s0
	v_cmp_gt_i64_e64 s0, s[16:17], v[4:5]
	v_cmp_gt_i64_e64 s1, s[14:15], v[2:3]
	s_mul_i32 s2, s22, s18
	v_add_co_u32 v6, vcc_lo, v6, v8
	v_add_co_ci_u32_e64 v7, null, v7, v9, vcc_lo
	v_add3_u32 v11, v11, v14, v0
	v_add_co_u32 v6, vcc_lo, s10, v6
	v_add_co_ci_u32_e64 v7, null, s11, v7, vcc_lo
	v_lshlrev_b64 v[8:9], 1, v[10:11]
	v_add_co_u32 v10, vcc_lo, v10, v4
	v_add_co_ci_u32_e64 v11, null, 0, v11, vcc_lo
	s_lshl_b64 s[22:23], s[16:17], 1
	v_add_co_u32 v0, vcc_lo, v8, v12
	v_lshlrev_b64 v[10:11], 1, v[10:11]
	v_add_co_ci_u32_e64 v9, null, v9, v13, vcc_lo
	v_add_co_u32 v8, vcc_lo, s8, v0
	v_add_co_ci_u32_e64 v9, null, s9, v9, vcc_lo
	v_add_co_u32 v10, vcc_lo, s10, v10
	v_add_co_ci_u32_e64 v11, null, s11, v11, vcc_lo
	s_lshl_b64 s[8:9], s[2:3], 1
	s_lshl_b64 s[10:11], s[20:21], 1
	s_branch .LBB202_3
.LBB202_2:                              ;   in Loop: Header=BB202_3 Depth=1
	s_or_b32 exec_lo, exec_lo, s3
	s_add_u32 s6, s6, s18
	v_add_co_u32 v6, vcc_lo, v6, s8
	s_addc_u32 s7, s7, 0
	v_add_co_ci_u32_e64 v7, null, s9, v7, vcc_lo
	v_add_co_u32 v8, vcc_lo, v8, s8
	v_cmp_ge_i64_e64 s2, s[6:7], s[12:13]
	v_add_co_ci_u32_e64 v9, null, s9, v9, vcc_lo
	v_add_co_u32 v10, vcc_lo, v10, s8
	v_add_co_ci_u32_e64 v11, null, s9, v11, vcc_lo
	s_and_b32 vcc_lo, exec_lo, s2
	s_cbranch_vccnz .LBB202_36
.LBB202_3:                              ; =>This Loop Header: Depth=1
                                        ;     Child Loop BB202_7 Depth 2
                                        ;       Child Loop BB202_10 Depth 3
                                        ;       Child Loop BB202_12 Depth 3
	;; [unrolled: 1-line block ×8, first 2 shown]
	s_and_saveexec_b32 s3, s0
	s_cbranch_execz .LBB202_2
; %bb.4:                                ;   in Loop: Header=BB202_3 Depth=1
	s_load_dword s2, s[4:5], 0xc
	v_mov_b32_e32 v13, v11
	v_mov_b32_e32 v15, v9
	;; [unrolled: 1-line block ×8, first 2 shown]
	s_mov_b32 s28, 0
	s_waitcnt lgkmcnt(0)
	s_and_b32 s19, s2, 0xffff
	v_mul_u32_u24_e32 v0, s19, v1
	s_cmp_lt_u32 s19, 2
	s_mul_i32 s2, s23, s19
	s_mul_hi_u32 s24, s22, s19
	s_cselect_b32 s21, -1, 0
	v_lshl_add_u32 v0, v0, 2, 0
	s_add_i32 s26, s24, s2
	s_mul_i32 s27, s22, s19
	v_lshl_add_u32 v24, v2, 2, v0
	s_branch .LBB202_7
.LBB202_5:                              ;   in Loop: Header=BB202_7 Depth=2
	s_inst_prefetch 0x2
	s_or_b32 exec_lo, exec_lo, s29
.LBB202_6:                              ;   in Loop: Header=BB202_7 Depth=2
	v_add_co_u32 v18, vcc_lo, v18, s20
	v_add_co_ci_u32_e64 v19, null, 0, v19, vcc_lo
	v_add_co_u32 v16, vcc_lo, v16, s10
	v_add_co_ci_u32_e64 v17, null, s11, v17, vcc_lo
	;; [unrolled: 2-line block ×3, first 2 shown]
	v_cmp_le_i64_e32 vcc_lo, s[16:17], v[18:19]
	v_add_co_u32 v12, s2, v12, s10
	v_add_co_ci_u32_e64 v13, null, s11, v13, s2
	s_or_b32 s28, vcc_lo, s28
	s_andn2_b32 exec_lo, exec_lo, s28
	s_cbranch_execz .LBB202_2
.LBB202_7:                              ;   Parent Loop BB202_3 Depth=1
                                        ; =>  This Loop Header: Depth=2
                                        ;       Child Loop BB202_10 Depth 3
                                        ;       Child Loop BB202_12 Depth 3
	;; [unrolled: 1-line block ×8, first 2 shown]
	s_and_b32 vcc_lo, exec_lo, s21
	s_mov_b32 s2, -1
	s_cbranch_vccz .LBB202_16
; %bb.8:                                ;   in Loop: Header=BB202_7 Depth=2
	s_and_saveexec_b32 s29, s1
	s_cbranch_execz .LBB202_15
; %bb.9:                                ;   in Loop: Header=BB202_7 Depth=2
	v_mov_b32_e32 v21, v17
	v_mov_b32_e32 v23, v3
	;; [unrolled: 1-line block ×5, first 2 shown]
	s_mov_b32 s24, 0
	.p2align	6
.LBB202_10:                             ;   Parent Loop BB202_3 Depth=1
                                        ;     Parent Loop BB202_7 Depth=2
                                        ; =>    This Inner Loop Header: Depth=3
	global_load_ushort v26, v[20:21], off
	v_add_co_u32 v22, vcc_lo, v22, s19
	v_add_co_ci_u32_e64 v23, null, 0, v23, vcc_lo
	v_add_co_u32 v20, vcc_lo, v20, s27
	v_add_co_ci_u32_e64 v21, null, s26, v21, vcc_lo
	v_cmp_le_i64_e64 s2, s[14:15], v[22:23]
	s_or_b32 s24, s2, s24
	s_waitcnt vmcnt(0)
	v_lshlrev_b32_e32 v26, 16, v26
	v_cmp_lt_f32_e32 vcc_lo, v25, v26
	v_cndmask_b32_e32 v25, v25, v26, vcc_lo
	s_andn2_b32 exec_lo, exec_lo, s24
	s_cbranch_execnz .LBB202_10
; %bb.11:                               ;   in Loop: Header=BB202_7 Depth=2
	s_or_b32 exec_lo, exec_lo, s24
	v_mov_b32_e32 v21, v17
	v_mov_b32_e32 v23, v3
	;; [unrolled: 1-line block ×5, first 2 shown]
	s_mov_b32 s24, 0
	s_inst_prefetch 0x1
	.p2align	6
.LBB202_12:                             ;   Parent Loop BB202_3 Depth=1
                                        ;     Parent Loop BB202_7 Depth=2
                                        ; =>    This Inner Loop Header: Depth=3
	global_load_ushort v27, v[20:21], off
	v_add_co_u32 v22, vcc_lo, v22, s19
	v_add_co_ci_u32_e64 v23, null, 0, v23, vcc_lo
	v_cmp_le_i64_e32 vcc_lo, s[14:15], v[22:23]
	s_or_b32 s24, vcc_lo, s24
	s_waitcnt vmcnt(0)
	v_lshlrev_b32_e32 v27, 16, v27
	v_sub_f32_e32 v27, v27, v25
	v_mul_f32_e32 v28, 0x3fb8aa3b, v27
	v_cmp_ngt_f32_e64 s2, 0xc2ce8ed0, v27
	v_fma_f32 v29, 0x3fb8aa3b, v27, -v28
	v_rndne_f32_e32 v30, v28
	v_fmac_f32_e32 v29, 0x32a5705f, v27
	v_sub_f32_e32 v28, v28, v30
	v_add_f32_e32 v28, v28, v29
	v_cvt_i32_f32_e32 v29, v30
	v_exp_f32_e32 v28, v28
	v_ldexp_f32 v28, v28, v29
	v_cndmask_b32_e64 v28, 0, v28, s2
	v_cmp_nlt_f32_e64 s2, 0x42b17218, v27
	v_cndmask_b32_e64 v27, 0x7f800000, v28, s2
	v_add_co_u32 v20, s2, v20, s27
	v_add_co_ci_u32_e64 v21, null, s26, v21, s2
	v_add_f32_e32 v26, v26, v27
	s_andn2_b32 exec_lo, exec_lo, s24
	s_cbranch_execnz .LBB202_12
; %bb.13:                               ;   in Loop: Header=BB202_7 Depth=2
	s_inst_prefetch 0x2
	s_or_b32 exec_lo, exec_lo, s24
	v_cmp_gt_f32_e32 vcc_lo, 0x800000, v26
	s_mov_b32 s30, 0
	s_mov_b64 s[24:25], 0
	v_cndmask_b32_e64 v20, 0, 32, vcc_lo
	v_cndmask_b32_e64 v22, 0, 0x41b17218, vcc_lo
	v_ldexp_f32 v20, v26, v20
	v_log_f32_e32 v20, v20
	v_mul_f32_e32 v21, 0x3f317217, v20
	v_cmp_gt_f32_e64 vcc_lo, 0x7f800000, |v20|
	v_fma_f32 v21, 0x3f317217, v20, -v21
	v_fmac_f32_e32 v21, 0x3377d1cf, v20
	v_fmac_f32_e32 v21, 0x3f317217, v20
	v_cndmask_b32_e32 v20, v20, v21, vcc_lo
	v_sub_f32_e32 v22, v20, v22
	v_mov_b32_e32 v21, v3
	v_mov_b32_e32 v20, v2
	s_inst_prefetch 0x1
	.p2align	6
.LBB202_14:                             ;   Parent Loop BB202_3 Depth=1
                                        ;     Parent Loop BB202_7 Depth=2
                                        ; =>    This Inner Loop Header: Depth=3
	v_add_co_u32 v26, vcc_lo, v16, s24
	v_add_co_ci_u32_e64 v27, null, s25, v17, vcc_lo
	v_add_co_u32 v20, vcc_lo, v20, s19
	v_add_co_ci_u32_e64 v21, null, 0, v21, vcc_lo
	global_load_ushort v23, v[26:27], off
	v_cmp_le_i64_e64 s2, s[14:15], v[20:21]
	s_waitcnt vmcnt(0)
	v_lshlrev_b32_e32 v23, 16, v23
	v_sub_f32_e32 v23, v23, v25
	v_sub_f32_e32 v23, v23, v22
	v_bfe_u32 v26, v23, 16, 1
	v_add3_u32 v27, v23, v26, 0x7fff
	v_add_co_u32 v26, vcc_lo, v14, s24
	s_add_u32 s24, s24, s27
	v_lshrrev_b32_e32 v28, 16, v27
	v_add_co_ci_u32_e64 v27, null, s25, v15, vcc_lo
	v_cmp_o_f32_e32 vcc_lo, v23, v23
	s_addc_u32 s25, s25, s26
	s_or_b32 s30, s2, s30
	v_cndmask_b32_e32 v23, 0x7fc0, v28, vcc_lo
	global_store_short v[26:27], v23, off
	s_andn2_b32 exec_lo, exec_lo, s30
	s_cbranch_execnz .LBB202_14
.LBB202_15:                             ;   in Loop: Header=BB202_7 Depth=2
	s_inst_prefetch 0x2
	s_or_b32 exec_lo, exec_lo, s29
	s_mov_b32 s2, 0
.LBB202_16:                             ;   in Loop: Header=BB202_7 Depth=2
	s_andn2_b32 vcc_lo, exec_lo, s2
	s_cbranch_vccnz .LBB202_6
; %bb.17:                               ;   in Loop: Header=BB202_7 Depth=2
	v_mov_b32_e32 v25, 0xff7fffff
	s_and_saveexec_b32 s24, s1
	s_cbranch_execz .LBB202_21
; %bb.18:                               ;   in Loop: Header=BB202_7 Depth=2
	v_mov_b32_e32 v21, v17
	v_mov_b32_e32 v23, v3
	;; [unrolled: 1-line block ×5, first 2 shown]
	s_mov_b32 s25, 0
	.p2align	6
.LBB202_19:                             ;   Parent Loop BB202_3 Depth=1
                                        ;     Parent Loop BB202_7 Depth=2
                                        ; =>    This Inner Loop Header: Depth=3
	global_load_ushort v26, v[20:21], off
	v_add_co_u32 v22, vcc_lo, v22, s19
	v_add_co_ci_u32_e64 v23, null, 0, v23, vcc_lo
	v_add_co_u32 v20, vcc_lo, v20, s27
	v_add_co_ci_u32_e64 v21, null, s26, v21, vcc_lo
	v_cmp_le_i64_e64 s2, s[14:15], v[22:23]
	s_or_b32 s25, s2, s25
	s_waitcnt vmcnt(0)
	v_lshlrev_b32_e32 v26, 16, v26
	v_cmp_lt_f32_e32 vcc_lo, v25, v26
	v_cndmask_b32_e32 v25, v25, v26, vcc_lo
	s_andn2_b32 exec_lo, exec_lo, s25
	s_cbranch_execnz .LBB202_19
; %bb.20:                               ;   in Loop: Header=BB202_7 Depth=2
	s_or_b32 exec_lo, exec_lo, s25
.LBB202_21:                             ;   in Loop: Header=BB202_7 Depth=2
	s_or_b32 exec_lo, exec_lo, s24
	s_mov_b32 s2, s19
	s_waitcnt_vscnt null, 0x0
	s_barrier
	buffer_gl0_inv
	ds_write_b32 v24, v25
	s_branch .LBB202_23
	.p2align	6
.LBB202_22:                             ;   in Loop: Header=BB202_23 Depth=3
	s_or_b32 exec_lo, exec_lo, s25
	s_cmp_gt_u32 s2, 3
	s_mov_b32 s2, s24
	s_cbranch_scc0 .LBB202_25
.LBB202_23:                             ;   Parent Loop BB202_3 Depth=1
                                        ;     Parent Loop BB202_7 Depth=2
                                        ; =>    This Inner Loop Header: Depth=3
	s_lshr_b32 s24, s2, 1
	s_mov_b32 s25, exec_lo
	s_waitcnt lgkmcnt(0)
	s_barrier
	buffer_gl0_inv
	v_cmpx_gt_u32_e64 s24, v2
	s_cbranch_execz .LBB202_22
; %bb.24:                               ;   in Loop: Header=BB202_23 Depth=3
	v_lshl_add_u32 v20, s24, 2, v24
	ds_read_b32 v21, v24
	ds_read_b32 v20, v20
	s_waitcnt lgkmcnt(0)
	v_cmp_lt_f32_e32 vcc_lo, v21, v20
	v_cndmask_b32_e32 v20, v21, v20, vcc_lo
	ds_write_b32 v24, v20
	s_branch .LBB202_22
.LBB202_25:                             ;   in Loop: Header=BB202_7 Depth=2
	s_waitcnt lgkmcnt(0)
	s_barrier
	buffer_gl0_inv
	ds_read_b32 v25, v0
	v_mov_b32_e32 v26, 0
	s_and_saveexec_b32 s24, s1
	s_cbranch_execz .LBB202_29
; %bb.26:                               ;   in Loop: Header=BB202_7 Depth=2
	v_mov_b32_e32 v21, v17
	v_mov_b32_e32 v23, v3
	;; [unrolled: 1-line block ×5, first 2 shown]
	s_mov_b32 s25, 0
	s_inst_prefetch 0x1
	.p2align	6
.LBB202_27:                             ;   Parent Loop BB202_3 Depth=1
                                        ;     Parent Loop BB202_7 Depth=2
                                        ; =>    This Inner Loop Header: Depth=3
	global_load_ushort v27, v[20:21], off
	v_add_co_u32 v22, vcc_lo, v22, s19
	v_add_co_ci_u32_e64 v23, null, 0, v23, vcc_lo
	v_cmp_le_i64_e32 vcc_lo, s[14:15], v[22:23]
	s_or_b32 s25, vcc_lo, s25
	s_waitcnt vmcnt(0)
	v_lshlrev_b32_e32 v27, 16, v27
	s_waitcnt lgkmcnt(0)
	v_sub_f32_e32 v27, v27, v25
	v_mul_f32_e32 v28, 0x3fb8aa3b, v27
	v_cmp_ngt_f32_e64 s2, 0xc2ce8ed0, v27
	v_fma_f32 v29, 0x3fb8aa3b, v27, -v28
	v_rndne_f32_e32 v30, v28
	v_fmac_f32_e32 v29, 0x32a5705f, v27
	v_sub_f32_e32 v28, v28, v30
	v_add_f32_e32 v28, v28, v29
	v_cvt_i32_f32_e32 v29, v30
	v_exp_f32_e32 v28, v28
	v_ldexp_f32 v28, v28, v29
	v_cndmask_b32_e64 v28, 0, v28, s2
	v_cmp_nlt_f32_e64 s2, 0x42b17218, v27
	v_cndmask_b32_e64 v27, 0x7f800000, v28, s2
	v_add_co_u32 v20, s2, v20, s27
	v_add_co_ci_u32_e64 v21, null, s26, v21, s2
	v_add_f32_e32 v26, v26, v27
	s_andn2_b32 exec_lo, exec_lo, s25
	s_cbranch_execnz .LBB202_27
; %bb.28:                               ;   in Loop: Header=BB202_7 Depth=2
	s_inst_prefetch 0x2
	s_or_b32 exec_lo, exec_lo, s25
.LBB202_29:                             ;   in Loop: Header=BB202_7 Depth=2
	s_or_b32 exec_lo, exec_lo, s24
	s_mov_b32 s2, s19
	s_waitcnt lgkmcnt(0)
	s_barrier
	buffer_gl0_inv
	ds_write_b32 v24, v26
	s_branch .LBB202_31
	.p2align	6
.LBB202_30:                             ;   in Loop: Header=BB202_31 Depth=3
	s_or_b32 exec_lo, exec_lo, s25
	s_cmp_gt_u32 s2, 3
	s_mov_b32 s2, s24
	s_cbranch_scc0 .LBB202_33
.LBB202_31:                             ;   Parent Loop BB202_3 Depth=1
                                        ;     Parent Loop BB202_7 Depth=2
                                        ; =>    This Inner Loop Header: Depth=3
	s_lshr_b32 s24, s2, 1
	s_mov_b32 s25, exec_lo
	s_waitcnt lgkmcnt(0)
	s_barrier
	buffer_gl0_inv
	v_cmpx_gt_u32_e64 s24, v2
	s_cbranch_execz .LBB202_30
; %bb.32:                               ;   in Loop: Header=BB202_31 Depth=3
	v_lshl_add_u32 v20, s24, 2, v24
	ds_read_b32 v21, v24
	ds_read_b32 v20, v20
	s_waitcnt lgkmcnt(0)
	v_add_f32_e32 v20, v21, v20
	ds_write_b32 v24, v20
	s_branch .LBB202_30
.LBB202_33:                             ;   in Loop: Header=BB202_7 Depth=2
	s_waitcnt lgkmcnt(0)
	s_barrier
	buffer_gl0_inv
	s_and_saveexec_b32 s29, s1
	s_cbranch_execz .LBB202_5
; %bb.34:                               ;   in Loop: Header=BB202_7 Depth=2
	ds_read_b32 v20, v0
	s_mov_b32 s30, 0
	s_mov_b64 s[24:25], 0
	s_waitcnt lgkmcnt(0)
	v_cmp_gt_f32_e32 vcc_lo, 0x800000, v20
	v_cndmask_b32_e64 v21, 0, 32, vcc_lo
	v_cndmask_b32_e64 v22, 0, 0x41b17218, vcc_lo
	v_ldexp_f32 v20, v20, v21
	v_log_f32_e32 v20, v20
	v_mul_f32_e32 v21, 0x3f317217, v20
	v_cmp_gt_f32_e64 vcc_lo, 0x7f800000, |v20|
	v_fma_f32 v21, 0x3f317217, v20, -v21
	v_fmac_f32_e32 v21, 0x3377d1cf, v20
	v_fmac_f32_e32 v21, 0x3f317217, v20
	v_cndmask_b32_e32 v20, v20, v21, vcc_lo
	v_sub_f32_e32 v22, v20, v22
	v_mov_b32_e32 v21, v3
	v_mov_b32_e32 v20, v2
	s_inst_prefetch 0x1
	.p2align	6
.LBB202_35:                             ;   Parent Loop BB202_3 Depth=1
                                        ;     Parent Loop BB202_7 Depth=2
                                        ; =>    This Inner Loop Header: Depth=3
	v_add_co_u32 v26, vcc_lo, v12, s24
	v_add_co_ci_u32_e64 v27, null, s25, v13, vcc_lo
	v_add_co_u32 v20, vcc_lo, v20, s19
	v_add_co_ci_u32_e64 v21, null, 0, v21, vcc_lo
	global_load_ushort v23, v[26:27], off
	v_cmp_le_i64_e64 s2, s[14:15], v[20:21]
	s_waitcnt vmcnt(0)
	v_lshlrev_b32_e32 v23, 16, v23
	v_sub_f32_e32 v23, v23, v25
	v_sub_f32_e32 v23, v23, v22
	v_bfe_u32 v26, v23, 16, 1
	v_add3_u32 v27, v23, v26, 0x7fff
	v_add_co_u32 v26, vcc_lo, v14, s24
	s_add_u32 s24, s24, s27
	v_lshrrev_b32_e32 v28, 16, v27
	v_add_co_ci_u32_e64 v27, null, s25, v15, vcc_lo
	v_cmp_o_f32_e32 vcc_lo, v23, v23
	s_addc_u32 s25, s25, s26
	s_or_b32 s30, s2, s30
	v_cndmask_b32_e32 v23, 0x7fc0, v28, vcc_lo
	global_store_short v[26:27], v23, off
	s_andn2_b32 exec_lo, exec_lo, s30
	s_cbranch_execnz .LBB202_35
	s_branch .LBB202_5
.LBB202_36:
	s_endpgm
	.section	.rodata,"a",@progbits
	.p2align	6, 0x0
	.amdhsa_kernel _ZN2at6native12_GLOBAL__N_126cunn_SpatialSoftMaxForwardIN3c108BFloat16EfS4_lNS1_25LogSoftMaxForwardEpilogueEEEvPT1_PKT_T2_SB_SB_
		.amdhsa_group_segment_fixed_size 0
		.amdhsa_private_segment_fixed_size 0
		.amdhsa_kernarg_size 296
		.amdhsa_user_sgpr_count 6
		.amdhsa_user_sgpr_private_segment_buffer 1
		.amdhsa_user_sgpr_dispatch_ptr 0
		.amdhsa_user_sgpr_queue_ptr 0
		.amdhsa_user_sgpr_kernarg_segment_ptr 1
		.amdhsa_user_sgpr_dispatch_id 0
		.amdhsa_user_sgpr_flat_scratch_init 0
		.amdhsa_user_sgpr_private_segment_size 0
		.amdhsa_wavefront_size32 1
		.amdhsa_uses_dynamic_stack 0
		.amdhsa_system_sgpr_private_segment_wavefront_offset 0
		.amdhsa_system_sgpr_workgroup_id_x 1
		.amdhsa_system_sgpr_workgroup_id_y 1
		.amdhsa_system_sgpr_workgroup_id_z 0
		.amdhsa_system_sgpr_workgroup_info 0
		.amdhsa_system_vgpr_workitem_id 1
		.amdhsa_next_free_vgpr 31
		.amdhsa_next_free_sgpr 31
		.amdhsa_reserve_vcc 1
		.amdhsa_reserve_flat_scratch 0
		.amdhsa_float_round_mode_32 0
		.amdhsa_float_round_mode_16_64 0
		.amdhsa_float_denorm_mode_32 3
		.amdhsa_float_denorm_mode_16_64 3
		.amdhsa_dx10_clamp 1
		.amdhsa_ieee_mode 1
		.amdhsa_fp16_overflow 0
		.amdhsa_workgroup_processor_mode 1
		.amdhsa_memory_ordered 1
		.amdhsa_forward_progress 1
		.amdhsa_shared_vgpr_count 0
		.amdhsa_exception_fp_ieee_invalid_op 0
		.amdhsa_exception_fp_denorm_src 0
		.amdhsa_exception_fp_ieee_div_zero 0
		.amdhsa_exception_fp_ieee_overflow 0
		.amdhsa_exception_fp_ieee_underflow 0
		.amdhsa_exception_fp_ieee_inexact 0
		.amdhsa_exception_int_div_zero 0
	.end_amdhsa_kernel
	.section	.text._ZN2at6native12_GLOBAL__N_126cunn_SpatialSoftMaxForwardIN3c108BFloat16EfS4_lNS1_25LogSoftMaxForwardEpilogueEEEvPT1_PKT_T2_SB_SB_,"axG",@progbits,_ZN2at6native12_GLOBAL__N_126cunn_SpatialSoftMaxForwardIN3c108BFloat16EfS4_lNS1_25LogSoftMaxForwardEpilogueEEEvPT1_PKT_T2_SB_SB_,comdat
.Lfunc_end202:
	.size	_ZN2at6native12_GLOBAL__N_126cunn_SpatialSoftMaxForwardIN3c108BFloat16EfS4_lNS1_25LogSoftMaxForwardEpilogueEEEvPT1_PKT_T2_SB_SB_, .Lfunc_end202-_ZN2at6native12_GLOBAL__N_126cunn_SpatialSoftMaxForwardIN3c108BFloat16EfS4_lNS1_25LogSoftMaxForwardEpilogueEEEvPT1_PKT_T2_SB_SB_
                                        ; -- End function
	.set _ZN2at6native12_GLOBAL__N_126cunn_SpatialSoftMaxForwardIN3c108BFloat16EfS4_lNS1_25LogSoftMaxForwardEpilogueEEEvPT1_PKT_T2_SB_SB_.num_vgpr, 31
	.set _ZN2at6native12_GLOBAL__N_126cunn_SpatialSoftMaxForwardIN3c108BFloat16EfS4_lNS1_25LogSoftMaxForwardEpilogueEEEvPT1_PKT_T2_SB_SB_.num_agpr, 0
	.set _ZN2at6native12_GLOBAL__N_126cunn_SpatialSoftMaxForwardIN3c108BFloat16EfS4_lNS1_25LogSoftMaxForwardEpilogueEEEvPT1_PKT_T2_SB_SB_.numbered_sgpr, 31
	.set _ZN2at6native12_GLOBAL__N_126cunn_SpatialSoftMaxForwardIN3c108BFloat16EfS4_lNS1_25LogSoftMaxForwardEpilogueEEEvPT1_PKT_T2_SB_SB_.num_named_barrier, 0
	.set _ZN2at6native12_GLOBAL__N_126cunn_SpatialSoftMaxForwardIN3c108BFloat16EfS4_lNS1_25LogSoftMaxForwardEpilogueEEEvPT1_PKT_T2_SB_SB_.private_seg_size, 0
	.set _ZN2at6native12_GLOBAL__N_126cunn_SpatialSoftMaxForwardIN3c108BFloat16EfS4_lNS1_25LogSoftMaxForwardEpilogueEEEvPT1_PKT_T2_SB_SB_.uses_vcc, 1
	.set _ZN2at6native12_GLOBAL__N_126cunn_SpatialSoftMaxForwardIN3c108BFloat16EfS4_lNS1_25LogSoftMaxForwardEpilogueEEEvPT1_PKT_T2_SB_SB_.uses_flat_scratch, 0
	.set _ZN2at6native12_GLOBAL__N_126cunn_SpatialSoftMaxForwardIN3c108BFloat16EfS4_lNS1_25LogSoftMaxForwardEpilogueEEEvPT1_PKT_T2_SB_SB_.has_dyn_sized_stack, 0
	.set _ZN2at6native12_GLOBAL__N_126cunn_SpatialSoftMaxForwardIN3c108BFloat16EfS4_lNS1_25LogSoftMaxForwardEpilogueEEEvPT1_PKT_T2_SB_SB_.has_recursion, 0
	.set _ZN2at6native12_GLOBAL__N_126cunn_SpatialSoftMaxForwardIN3c108BFloat16EfS4_lNS1_25LogSoftMaxForwardEpilogueEEEvPT1_PKT_T2_SB_SB_.has_indirect_call, 0
	.section	.AMDGPU.csdata,"",@progbits
; Kernel info:
; codeLenInByte = 2456
; TotalNumSgprs: 33
; NumVgprs: 31
; ScratchSize: 0
; MemoryBound: 0
; FloatMode: 240
; IeeeMode: 1
; LDSByteSize: 0 bytes/workgroup (compile time only)
; SGPRBlocks: 0
; VGPRBlocks: 3
; NumSGPRsForWavesPerEU: 33
; NumVGPRsForWavesPerEU: 31
; Occupancy: 16
; WaveLimiterHint : 0
; COMPUTE_PGM_RSRC2:SCRATCH_EN: 0
; COMPUTE_PGM_RSRC2:USER_SGPR: 6
; COMPUTE_PGM_RSRC2:TRAP_HANDLER: 0
; COMPUTE_PGM_RSRC2:TGID_X_EN: 1
; COMPUTE_PGM_RSRC2:TGID_Y_EN: 1
; COMPUTE_PGM_RSRC2:TGID_Z_EN: 0
; COMPUTE_PGM_RSRC2:TIDIG_COMP_CNT: 1
	.section	.text._ZN2at6native12_GLOBAL__N_126cunn_SpatialSoftMaxForwardIN3c108BFloat16EfflNS1_25LogSoftMaxForwardEpilogueEEEvPT1_PKT_T2_SB_SB_,"axG",@progbits,_ZN2at6native12_GLOBAL__N_126cunn_SpatialSoftMaxForwardIN3c108BFloat16EfflNS1_25LogSoftMaxForwardEpilogueEEEvPT1_PKT_T2_SB_SB_,comdat
	.globl	_ZN2at6native12_GLOBAL__N_126cunn_SpatialSoftMaxForwardIN3c108BFloat16EfflNS1_25LogSoftMaxForwardEpilogueEEEvPT1_PKT_T2_SB_SB_ ; -- Begin function _ZN2at6native12_GLOBAL__N_126cunn_SpatialSoftMaxForwardIN3c108BFloat16EfflNS1_25LogSoftMaxForwardEpilogueEEEvPT1_PKT_T2_SB_SB_
	.p2align	8
	.type	_ZN2at6native12_GLOBAL__N_126cunn_SpatialSoftMaxForwardIN3c108BFloat16EfflNS1_25LogSoftMaxForwardEpilogueEEEvPT1_PKT_T2_SB_SB_,@function
_ZN2at6native12_GLOBAL__N_126cunn_SpatialSoftMaxForwardIN3c108BFloat16EfflNS1_25LogSoftMaxForwardEpilogueEEEvPT1_PKT_T2_SB_SB_: ; @_ZN2at6native12_GLOBAL__N_126cunn_SpatialSoftMaxForwardIN3c108BFloat16EfflNS1_25LogSoftMaxForwardEpilogueEEEvPT1_PKT_T2_SB_SB_
; %bb.0:
	s_load_dwordx8 s[8:15], s[4:5], 0x0
	s_mov_b32 s0, s7
	s_mov_b32 s7, 0
	s_waitcnt lgkmcnt(0)
	v_cmp_le_i64_e64 s1, s[12:13], s[6:7]
	s_and_b32 vcc_lo, exec_lo, s1
	s_cbranch_vccnz .LBB203_36
; %bb.1:
	s_clause 0x1
	s_load_dword s1, s[4:5], 0x34
	s_load_dwordx4 s[16:19], s[4:5], 0x20
	v_mov_b32_e32 v2, v0
	s_add_u32 s4, s4, 40
	s_addc_u32 s5, s5, 0
	s_mov_b32 s21, s7
	s_waitcnt lgkmcnt(0)
	s_lshr_b32 s1, s1, 16
	v_mad_u64_u32 v[6:7], null, s16, v2, 0
	v_mad_u64_u32 v[4:5], null, s0, s1, v[1:2]
	v_mov_b32_e32 v5, 0
	s_mul_i32 s24, s16, s14
	s_mul_i32 s0, s16, s15
	s_mul_hi_u32 s2, s16, s14
	v_mov_b32_e32 v0, v7
	v_mov_b32_e32 v3, v5
	v_mad_u64_u32 v[8:9], null, s24, s6, v[4:5]
	s_mul_i32 s3, s17, s14
	s_add_i32 s0, s2, s0
	v_mad_u64_u32 v[10:11], null, s14, s6, v[2:3]
	v_mad_u64_u32 v[12:13], null, s17, v2, v[0:1]
	v_mov_b32_e32 v7, v9
	s_add_i32 s0, s0, s3
	s_mul_i32 s20, s19, s1
	s_mul_hi_u32 s1, s24, s18
	v_mov_b32_e32 v0, v11
	v_mad_u64_u32 v[13:14], null, s0, s6, v[7:8]
	v_mov_b32_e32 v7, v12
	v_mad_u64_u32 v[11:12], null, s16, v10, v[4:5]
	v_mad_u64_u32 v[14:15], null, s15, s6, v[0:1]
	v_mul_lo_u32 v0, s17, v10
	v_mov_b32_e32 v9, v13
	v_lshlrev_b64 v[6:7], 1, v[6:7]
	s_mul_i32 s0, s0, s18
	s_mul_i32 s2, s24, s18
	s_add_i32 s3, s1, s0
	v_mul_lo_u32 v10, s16, v14
	v_lshlrev_b64 v[8:9], 1, v[8:9]
	v_cmp_gt_i64_e64 s0, s[16:17], v[4:5]
	v_cmp_gt_i64_e64 s1, s[14:15], v[2:3]
	s_lshl_b64 s[22:23], s[16:17], 1
	s_lshl_b64 s[24:25], s[20:21], 1
	s_lshl_b64 s[26:27], s[2:3], 1
	s_lshl_b64 s[28:29], s[16:17], 2
	v_add3_u32 v12, v0, v12, v10
	v_add_co_u32 v0, vcc_lo, v6, v8
	v_add_co_ci_u32_e64 v7, null, v7, v9, vcc_lo
	v_lshlrev_b64 v[8:9], 2, v[11:12]
	v_lshlrev_b64 v[10:11], 1, v[11:12]
	v_add_co_u32 v6, vcc_lo, s10, v0
	v_add_co_ci_u32_e64 v7, null, s11, v7, vcc_lo
	v_add_co_u32 v8, vcc_lo, s8, v8
	v_add_co_ci_u32_e64 v9, null, s9, v9, vcc_lo
	;; [unrolled: 2-line block ×3, first 2 shown]
	s_lshl_b64 s[8:9], s[2:3], 2
	s_lshl_b64 s[10:11], s[20:21], 2
	s_branch .LBB203_3
.LBB203_2:                              ;   in Loop: Header=BB203_3 Depth=1
	s_or_b32 exec_lo, exec_lo, s3
	s_add_u32 s6, s6, s18
	v_add_co_u32 v6, vcc_lo, v6, s26
	s_addc_u32 s7, s7, 0
	v_add_co_ci_u32_e64 v7, null, s27, v7, vcc_lo
	v_add_co_u32 v8, vcc_lo, v8, s8
	v_cmp_ge_i64_e64 s2, s[6:7], s[12:13]
	v_add_co_ci_u32_e64 v9, null, s9, v9, vcc_lo
	v_add_co_u32 v10, vcc_lo, v10, s26
	v_add_co_ci_u32_e64 v11, null, s27, v11, vcc_lo
	s_and_b32 vcc_lo, exec_lo, s2
	s_cbranch_vccnz .LBB203_36
.LBB203_3:                              ; =>This Loop Header: Depth=1
                                        ;     Child Loop BB203_7 Depth 2
                                        ;       Child Loop BB203_10 Depth 3
                                        ;       Child Loop BB203_12 Depth 3
	;; [unrolled: 1-line block ×8, first 2 shown]
	s_and_saveexec_b32 s3, s0
	s_cbranch_execz .LBB203_2
; %bb.4:                                ;   in Loop: Header=BB203_3 Depth=1
	s_load_dword s2, s[4:5], 0xc
	v_mov_b32_e32 v13, v11
	v_mov_b32_e32 v15, v9
	v_mov_b32_e32 v17, v7
	v_mov_b32_e32 v19, v5
	v_mov_b32_e32 v12, v10
	v_mov_b32_e32 v14, v8
	v_mov_b32_e32 v16, v6
	v_mov_b32_e32 v18, v4
	s_mov_b32 s35, 0
	s_waitcnt lgkmcnt(0)
	s_and_b32 s19, s2, 0xffff
	v_mul_u32_u24_e32 v0, s19, v1
	s_cmp_lt_u32 s19, 2
	s_mul_i32 s2, s23, s19
	s_mul_hi_u32 s31, s22, s19
	s_mul_i32 s33, s29, s19
	v_lshl_add_u32 v0, v0, 2, 0
	s_mul_hi_u32 s34, s28, s19
	s_mul_i32 s21, s22, s19
	s_cselect_b32 s30, -1, 0
	s_add_i32 s31, s31, s2
	v_lshl_add_u32 v26, v2, 2, v0
	s_add_i32 s33, s34, s33
	s_mul_i32 s34, s28, s19
	s_branch .LBB203_7
.LBB203_5:                              ;   in Loop: Header=BB203_7 Depth=2
	s_or_b32 exec_lo, exec_lo, s36
.LBB203_6:                              ;   in Loop: Header=BB203_7 Depth=2
	v_add_co_u32 v18, vcc_lo, v18, s20
	v_add_co_ci_u32_e64 v19, null, 0, v19, vcc_lo
	v_add_co_u32 v16, vcc_lo, v16, s24
	v_add_co_ci_u32_e64 v17, null, s25, v17, vcc_lo
	;; [unrolled: 2-line block ×3, first 2 shown]
	v_cmp_le_i64_e32 vcc_lo, s[16:17], v[18:19]
	v_add_co_u32 v12, s2, v12, s24
	v_add_co_ci_u32_e64 v13, null, s25, v13, s2
	s_or_b32 s35, vcc_lo, s35
	s_andn2_b32 exec_lo, exec_lo, s35
	s_cbranch_execz .LBB203_2
.LBB203_7:                              ;   Parent Loop BB203_3 Depth=1
                                        ; =>  This Loop Header: Depth=2
                                        ;       Child Loop BB203_10 Depth 3
                                        ;       Child Loop BB203_12 Depth 3
	;; [unrolled: 1-line block ×8, first 2 shown]
	s_and_b32 vcc_lo, exec_lo, s30
	s_mov_b32 s2, -1
	s_cbranch_vccz .LBB203_16
; %bb.8:                                ;   in Loop: Header=BB203_7 Depth=2
	s_and_saveexec_b32 s36, s1
	s_cbranch_execz .LBB203_15
; %bb.9:                                ;   in Loop: Header=BB203_7 Depth=2
	v_mov_b32_e32 v21, v17
	v_mov_b32_e32 v23, v3
	;; [unrolled: 1-line block ×5, first 2 shown]
	s_mov_b32 s37, 0
	.p2align	6
.LBB203_10:                             ;   Parent Loop BB203_3 Depth=1
                                        ;     Parent Loop BB203_7 Depth=2
                                        ; =>    This Inner Loop Header: Depth=3
	global_load_ushort v24, v[20:21], off
	v_add_co_u32 v22, vcc_lo, v22, s19
	v_add_co_ci_u32_e64 v23, null, 0, v23, vcc_lo
	v_add_co_u32 v20, vcc_lo, v20, s21
	v_add_co_ci_u32_e64 v21, null, s31, v21, vcc_lo
	v_cmp_le_i64_e64 s2, s[14:15], v[22:23]
	s_or_b32 s37, s2, s37
	s_waitcnt vmcnt(0)
	v_lshlrev_b32_e32 v24, 16, v24
	v_cmp_lt_f32_e32 vcc_lo, v27, v24
	v_cndmask_b32_e32 v27, v27, v24, vcc_lo
	s_andn2_b32 exec_lo, exec_lo, s37
	s_cbranch_execnz .LBB203_10
; %bb.11:                               ;   in Loop: Header=BB203_7 Depth=2
	s_or_b32 exec_lo, exec_lo, s37
	v_mov_b32_e32 v21, v17
	v_mov_b32_e32 v23, v3
	;; [unrolled: 1-line block ×5, first 2 shown]
	s_mov_b32 s37, 0
	s_inst_prefetch 0x1
	.p2align	6
.LBB203_12:                             ;   Parent Loop BB203_3 Depth=1
                                        ;     Parent Loop BB203_7 Depth=2
                                        ; =>    This Inner Loop Header: Depth=3
	global_load_ushort v25, v[20:21], off
	v_add_co_u32 v22, vcc_lo, v22, s19
	v_add_co_ci_u32_e64 v23, null, 0, v23, vcc_lo
	v_cmp_le_i64_e32 vcc_lo, s[14:15], v[22:23]
	s_or_b32 s37, vcc_lo, s37
	s_waitcnt vmcnt(0)
	v_lshlrev_b32_e32 v25, 16, v25
	v_sub_f32_e32 v25, v25, v27
	v_mul_f32_e32 v28, 0x3fb8aa3b, v25
	v_cmp_ngt_f32_e64 s2, 0xc2ce8ed0, v25
	v_fma_f32 v29, 0x3fb8aa3b, v25, -v28
	v_rndne_f32_e32 v30, v28
	v_fmac_f32_e32 v29, 0x32a5705f, v25
	v_sub_f32_e32 v28, v28, v30
	v_add_f32_e32 v28, v28, v29
	v_cvt_i32_f32_e32 v29, v30
	v_exp_f32_e32 v28, v28
	v_ldexp_f32 v28, v28, v29
	v_cndmask_b32_e64 v28, 0, v28, s2
	v_cmp_nlt_f32_e64 s2, 0x42b17218, v25
	v_cndmask_b32_e64 v25, 0x7f800000, v28, s2
	v_add_co_u32 v20, s2, v20, s21
	v_add_co_ci_u32_e64 v21, null, s31, v21, s2
	v_add_f32_e32 v24, v24, v25
	s_andn2_b32 exec_lo, exec_lo, s37
	s_cbranch_execnz .LBB203_12
; %bb.13:                               ;   in Loop: Header=BB203_7 Depth=2
	s_inst_prefetch 0x2
	s_or_b32 exec_lo, exec_lo, s37
	v_cmp_gt_f32_e32 vcc_lo, 0x800000, v24
	v_mov_b32_e32 v23, v17
	v_mov_b32_e32 v22, v16
	s_mov_b32 s37, 0
	v_cndmask_b32_e64 v20, 0, 32, vcc_lo
	v_ldexp_f32 v20, v24, v20
	v_cndmask_b32_e64 v24, 0, 0x41b17218, vcc_lo
	v_log_f32_e32 v20, v20
	v_mul_f32_e32 v21, 0x3f317217, v20
	v_cmp_gt_f32_e64 vcc_lo, 0x7f800000, |v20|
	v_fma_f32 v21, 0x3f317217, v20, -v21
	v_fmac_f32_e32 v21, 0x3377d1cf, v20
	v_fmac_f32_e32 v21, 0x3f317217, v20
	v_cndmask_b32_e32 v25, v20, v21, vcc_lo
	v_mov_b32_e32 v21, v15
	v_mov_b32_e32 v20, v14
	v_sub_f32_e32 v28, v25, v24
	v_mov_b32_e32 v25, v3
	v_mov_b32_e32 v24, v2
	.p2align	6
.LBB203_14:                             ;   Parent Loop BB203_3 Depth=1
                                        ;     Parent Loop BB203_7 Depth=2
                                        ; =>    This Inner Loop Header: Depth=3
	global_load_ushort v29, v[22:23], off
	v_add_co_u32 v24, vcc_lo, v24, s19
	v_add_co_ci_u32_e64 v25, null, 0, v25, vcc_lo
	v_add_co_u32 v22, vcc_lo, v22, s21
	v_add_co_ci_u32_e64 v23, null, s31, v23, vcc_lo
	v_cmp_le_i64_e32 vcc_lo, s[14:15], v[24:25]
	s_or_b32 s37, vcc_lo, s37
	s_waitcnt vmcnt(0)
	v_lshlrev_b32_e32 v29, 16, v29
	v_sub_f32_e32 v29, v29, v27
	v_sub_f32_e32 v29, v29, v28
	global_store_dword v[20:21], v29, off
	v_add_co_u32 v20, s2, v20, s34
	v_add_co_ci_u32_e64 v21, null, s33, v21, s2
	s_andn2_b32 exec_lo, exec_lo, s37
	s_cbranch_execnz .LBB203_14
.LBB203_15:                             ;   in Loop: Header=BB203_7 Depth=2
	s_or_b32 exec_lo, exec_lo, s36
	s_mov_b32 s2, 0
.LBB203_16:                             ;   in Loop: Header=BB203_7 Depth=2
	s_andn2_b32 vcc_lo, exec_lo, s2
	s_cbranch_vccnz .LBB203_6
; %bb.17:                               ;   in Loop: Header=BB203_7 Depth=2
	v_mov_b32_e32 v24, 0xff7fffff
	s_and_saveexec_b32 s36, s1
	s_cbranch_execz .LBB203_21
; %bb.18:                               ;   in Loop: Header=BB203_7 Depth=2
	v_mov_b32_e32 v21, v17
	v_mov_b32_e32 v23, v3
	;; [unrolled: 1-line block ×5, first 2 shown]
	s_mov_b32 s37, 0
	.p2align	6
.LBB203_19:                             ;   Parent Loop BB203_3 Depth=1
                                        ;     Parent Loop BB203_7 Depth=2
                                        ; =>    This Inner Loop Header: Depth=3
	global_load_ushort v25, v[20:21], off
	v_add_co_u32 v22, vcc_lo, v22, s19
	v_add_co_ci_u32_e64 v23, null, 0, v23, vcc_lo
	v_add_co_u32 v20, vcc_lo, v20, s21
	v_add_co_ci_u32_e64 v21, null, s31, v21, vcc_lo
	v_cmp_le_i64_e64 s2, s[14:15], v[22:23]
	s_or_b32 s37, s2, s37
	s_waitcnt vmcnt(0)
	v_lshlrev_b32_e32 v25, 16, v25
	v_cmp_lt_f32_e32 vcc_lo, v24, v25
	v_cndmask_b32_e32 v24, v24, v25, vcc_lo
	s_andn2_b32 exec_lo, exec_lo, s37
	s_cbranch_execnz .LBB203_19
; %bb.20:                               ;   in Loop: Header=BB203_7 Depth=2
	s_or_b32 exec_lo, exec_lo, s37
.LBB203_21:                             ;   in Loop: Header=BB203_7 Depth=2
	s_or_b32 exec_lo, exec_lo, s36
	s_mov_b32 s2, s19
	s_waitcnt_vscnt null, 0x0
	s_barrier
	buffer_gl0_inv
	ds_write_b32 v26, v24
	s_branch .LBB203_23
	.p2align	6
.LBB203_22:                             ;   in Loop: Header=BB203_23 Depth=3
	s_or_b32 exec_lo, exec_lo, s37
	s_cmp_gt_u32 s2, 3
	s_mov_b32 s2, s36
	s_cbranch_scc0 .LBB203_25
.LBB203_23:                             ;   Parent Loop BB203_3 Depth=1
                                        ;     Parent Loop BB203_7 Depth=2
                                        ; =>    This Inner Loop Header: Depth=3
	s_lshr_b32 s36, s2, 1
	s_mov_b32 s37, exec_lo
	s_waitcnt lgkmcnt(0)
	s_barrier
	buffer_gl0_inv
	v_cmpx_gt_u32_e64 s36, v2
	s_cbranch_execz .LBB203_22
; %bb.24:                               ;   in Loop: Header=BB203_23 Depth=3
	v_lshl_add_u32 v20, s36, 2, v26
	ds_read_b32 v21, v26
	ds_read_b32 v20, v20
	s_waitcnt lgkmcnt(0)
	v_cmp_lt_f32_e32 vcc_lo, v21, v20
	v_cndmask_b32_e32 v20, v21, v20, vcc_lo
	ds_write_b32 v26, v20
	s_branch .LBB203_22
.LBB203_25:                             ;   in Loop: Header=BB203_7 Depth=2
	s_waitcnt lgkmcnt(0)
	s_barrier
	buffer_gl0_inv
	ds_read_b32 v27, v0
	v_mov_b32_e32 v24, 0
	s_and_saveexec_b32 s36, s1
	s_cbranch_execz .LBB203_29
; %bb.26:                               ;   in Loop: Header=BB203_7 Depth=2
	v_mov_b32_e32 v21, v17
	v_mov_b32_e32 v23, v3
	;; [unrolled: 1-line block ×5, first 2 shown]
	s_mov_b32 s37, 0
	s_inst_prefetch 0x1
	.p2align	6
.LBB203_27:                             ;   Parent Loop BB203_3 Depth=1
                                        ;     Parent Loop BB203_7 Depth=2
                                        ; =>    This Inner Loop Header: Depth=3
	global_load_ushort v25, v[20:21], off
	v_add_co_u32 v22, vcc_lo, v22, s19
	v_add_co_ci_u32_e64 v23, null, 0, v23, vcc_lo
	v_cmp_le_i64_e32 vcc_lo, s[14:15], v[22:23]
	s_or_b32 s37, vcc_lo, s37
	s_waitcnt vmcnt(0)
	v_lshlrev_b32_e32 v25, 16, v25
	s_waitcnt lgkmcnt(0)
	v_sub_f32_e32 v25, v25, v27
	v_mul_f32_e32 v28, 0x3fb8aa3b, v25
	v_cmp_ngt_f32_e64 s2, 0xc2ce8ed0, v25
	v_fma_f32 v29, 0x3fb8aa3b, v25, -v28
	v_rndne_f32_e32 v30, v28
	v_fmac_f32_e32 v29, 0x32a5705f, v25
	v_sub_f32_e32 v28, v28, v30
	v_add_f32_e32 v28, v28, v29
	v_cvt_i32_f32_e32 v29, v30
	v_exp_f32_e32 v28, v28
	v_ldexp_f32 v28, v28, v29
	v_cndmask_b32_e64 v28, 0, v28, s2
	v_cmp_nlt_f32_e64 s2, 0x42b17218, v25
	v_cndmask_b32_e64 v25, 0x7f800000, v28, s2
	v_add_co_u32 v20, s2, v20, s21
	v_add_co_ci_u32_e64 v21, null, s31, v21, s2
	v_add_f32_e32 v24, v24, v25
	s_andn2_b32 exec_lo, exec_lo, s37
	s_cbranch_execnz .LBB203_27
; %bb.28:                               ;   in Loop: Header=BB203_7 Depth=2
	s_inst_prefetch 0x2
	s_or_b32 exec_lo, exec_lo, s37
.LBB203_29:                             ;   in Loop: Header=BB203_7 Depth=2
	s_or_b32 exec_lo, exec_lo, s36
	s_mov_b32 s2, s19
	s_waitcnt lgkmcnt(0)
	s_barrier
	buffer_gl0_inv
	ds_write_b32 v26, v24
	s_branch .LBB203_31
	.p2align	6
.LBB203_30:                             ;   in Loop: Header=BB203_31 Depth=3
	s_or_b32 exec_lo, exec_lo, s37
	s_cmp_gt_u32 s2, 3
	s_mov_b32 s2, s36
	s_cbranch_scc0 .LBB203_33
.LBB203_31:                             ;   Parent Loop BB203_3 Depth=1
                                        ;     Parent Loop BB203_7 Depth=2
                                        ; =>    This Inner Loop Header: Depth=3
	s_lshr_b32 s36, s2, 1
	s_mov_b32 s37, exec_lo
	s_waitcnt lgkmcnt(0)
	s_barrier
	buffer_gl0_inv
	v_cmpx_gt_u32_e64 s36, v2
	s_cbranch_execz .LBB203_30
; %bb.32:                               ;   in Loop: Header=BB203_31 Depth=3
	v_lshl_add_u32 v20, s36, 2, v26
	ds_read_b32 v21, v26
	ds_read_b32 v20, v20
	s_waitcnt lgkmcnt(0)
	v_add_f32_e32 v20, v21, v20
	ds_write_b32 v26, v20
	s_branch .LBB203_30
.LBB203_33:                             ;   in Loop: Header=BB203_7 Depth=2
	s_waitcnt lgkmcnt(0)
	s_barrier
	buffer_gl0_inv
	s_and_saveexec_b32 s36, s1
	s_cbranch_execz .LBB203_5
; %bb.34:                               ;   in Loop: Header=BB203_7 Depth=2
	ds_read_b32 v20, v0
	v_mov_b32_e32 v23, v13
	v_mov_b32_e32 v22, v12
	s_mov_b32 s37, 0
	s_waitcnt lgkmcnt(0)
	v_cmp_gt_f32_e32 vcc_lo, 0x800000, v20
	v_cndmask_b32_e64 v21, 0, 32, vcc_lo
	v_cndmask_b32_e64 v24, 0, 0x41b17218, vcc_lo
	v_ldexp_f32 v20, v20, v21
	v_log_f32_e32 v20, v20
	v_mul_f32_e32 v21, 0x3f317217, v20
	v_cmp_gt_f32_e64 vcc_lo, 0x7f800000, |v20|
	v_fma_f32 v21, 0x3f317217, v20, -v21
	v_fmac_f32_e32 v21, 0x3377d1cf, v20
	v_fmac_f32_e32 v21, 0x3f317217, v20
	v_cndmask_b32_e32 v25, v20, v21, vcc_lo
	v_mov_b32_e32 v21, v15
	v_mov_b32_e32 v20, v14
	v_sub_f32_e32 v28, v25, v24
	v_mov_b32_e32 v25, v3
	v_mov_b32_e32 v24, v2
	.p2align	6
.LBB203_35:                             ;   Parent Loop BB203_3 Depth=1
                                        ;     Parent Loop BB203_7 Depth=2
                                        ; =>    This Inner Loop Header: Depth=3
	global_load_ushort v29, v[22:23], off
	v_add_co_u32 v24, vcc_lo, v24, s19
	v_add_co_ci_u32_e64 v25, null, 0, v25, vcc_lo
	v_add_co_u32 v22, vcc_lo, v22, s21
	v_add_co_ci_u32_e64 v23, null, s31, v23, vcc_lo
	v_cmp_le_i64_e32 vcc_lo, s[14:15], v[24:25]
	s_or_b32 s37, vcc_lo, s37
	s_waitcnt vmcnt(0)
	v_lshlrev_b32_e32 v29, 16, v29
	v_sub_f32_e32 v29, v29, v27
	v_sub_f32_e32 v29, v29, v28
	global_store_dword v[20:21], v29, off
	v_add_co_u32 v20, s2, v20, s34
	v_add_co_ci_u32_e64 v21, null, s33, v21, s2
	s_andn2_b32 exec_lo, exec_lo, s37
	s_cbranch_execnz .LBB203_35
	s_branch .LBB203_5
.LBB203_36:
	s_endpgm
	.section	.rodata,"a",@progbits
	.p2align	6, 0x0
	.amdhsa_kernel _ZN2at6native12_GLOBAL__N_126cunn_SpatialSoftMaxForwardIN3c108BFloat16EfflNS1_25LogSoftMaxForwardEpilogueEEEvPT1_PKT_T2_SB_SB_
		.amdhsa_group_segment_fixed_size 0
		.amdhsa_private_segment_fixed_size 0
		.amdhsa_kernarg_size 296
		.amdhsa_user_sgpr_count 6
		.amdhsa_user_sgpr_private_segment_buffer 1
		.amdhsa_user_sgpr_dispatch_ptr 0
		.amdhsa_user_sgpr_queue_ptr 0
		.amdhsa_user_sgpr_kernarg_segment_ptr 1
		.amdhsa_user_sgpr_dispatch_id 0
		.amdhsa_user_sgpr_flat_scratch_init 0
		.amdhsa_user_sgpr_private_segment_size 0
		.amdhsa_wavefront_size32 1
		.amdhsa_uses_dynamic_stack 0
		.amdhsa_system_sgpr_private_segment_wavefront_offset 0
		.amdhsa_system_sgpr_workgroup_id_x 1
		.amdhsa_system_sgpr_workgroup_id_y 1
		.amdhsa_system_sgpr_workgroup_id_z 0
		.amdhsa_system_sgpr_workgroup_info 0
		.amdhsa_system_vgpr_workitem_id 1
		.amdhsa_next_free_vgpr 31
		.amdhsa_next_free_sgpr 38
		.amdhsa_reserve_vcc 1
		.amdhsa_reserve_flat_scratch 0
		.amdhsa_float_round_mode_32 0
		.amdhsa_float_round_mode_16_64 0
		.amdhsa_float_denorm_mode_32 3
		.amdhsa_float_denorm_mode_16_64 3
		.amdhsa_dx10_clamp 1
		.amdhsa_ieee_mode 1
		.amdhsa_fp16_overflow 0
		.amdhsa_workgroup_processor_mode 1
		.amdhsa_memory_ordered 1
		.amdhsa_forward_progress 1
		.amdhsa_shared_vgpr_count 0
		.amdhsa_exception_fp_ieee_invalid_op 0
		.amdhsa_exception_fp_denorm_src 0
		.amdhsa_exception_fp_ieee_div_zero 0
		.amdhsa_exception_fp_ieee_overflow 0
		.amdhsa_exception_fp_ieee_underflow 0
		.amdhsa_exception_fp_ieee_inexact 0
		.amdhsa_exception_int_div_zero 0
	.end_amdhsa_kernel
	.section	.text._ZN2at6native12_GLOBAL__N_126cunn_SpatialSoftMaxForwardIN3c108BFloat16EfflNS1_25LogSoftMaxForwardEpilogueEEEvPT1_PKT_T2_SB_SB_,"axG",@progbits,_ZN2at6native12_GLOBAL__N_126cunn_SpatialSoftMaxForwardIN3c108BFloat16EfflNS1_25LogSoftMaxForwardEpilogueEEEvPT1_PKT_T2_SB_SB_,comdat
.Lfunc_end203:
	.size	_ZN2at6native12_GLOBAL__N_126cunn_SpatialSoftMaxForwardIN3c108BFloat16EfflNS1_25LogSoftMaxForwardEpilogueEEEvPT1_PKT_T2_SB_SB_, .Lfunc_end203-_ZN2at6native12_GLOBAL__N_126cunn_SpatialSoftMaxForwardIN3c108BFloat16EfflNS1_25LogSoftMaxForwardEpilogueEEEvPT1_PKT_T2_SB_SB_
                                        ; -- End function
	.set _ZN2at6native12_GLOBAL__N_126cunn_SpatialSoftMaxForwardIN3c108BFloat16EfflNS1_25LogSoftMaxForwardEpilogueEEEvPT1_PKT_T2_SB_SB_.num_vgpr, 31
	.set _ZN2at6native12_GLOBAL__N_126cunn_SpatialSoftMaxForwardIN3c108BFloat16EfflNS1_25LogSoftMaxForwardEpilogueEEEvPT1_PKT_T2_SB_SB_.num_agpr, 0
	.set _ZN2at6native12_GLOBAL__N_126cunn_SpatialSoftMaxForwardIN3c108BFloat16EfflNS1_25LogSoftMaxForwardEpilogueEEEvPT1_PKT_T2_SB_SB_.numbered_sgpr, 38
	.set _ZN2at6native12_GLOBAL__N_126cunn_SpatialSoftMaxForwardIN3c108BFloat16EfflNS1_25LogSoftMaxForwardEpilogueEEEvPT1_PKT_T2_SB_SB_.num_named_barrier, 0
	.set _ZN2at6native12_GLOBAL__N_126cunn_SpatialSoftMaxForwardIN3c108BFloat16EfflNS1_25LogSoftMaxForwardEpilogueEEEvPT1_PKT_T2_SB_SB_.private_seg_size, 0
	.set _ZN2at6native12_GLOBAL__N_126cunn_SpatialSoftMaxForwardIN3c108BFloat16EfflNS1_25LogSoftMaxForwardEpilogueEEEvPT1_PKT_T2_SB_SB_.uses_vcc, 1
	.set _ZN2at6native12_GLOBAL__N_126cunn_SpatialSoftMaxForwardIN3c108BFloat16EfflNS1_25LogSoftMaxForwardEpilogueEEEvPT1_PKT_T2_SB_SB_.uses_flat_scratch, 0
	.set _ZN2at6native12_GLOBAL__N_126cunn_SpatialSoftMaxForwardIN3c108BFloat16EfflNS1_25LogSoftMaxForwardEpilogueEEEvPT1_PKT_T2_SB_SB_.has_dyn_sized_stack, 0
	.set _ZN2at6native12_GLOBAL__N_126cunn_SpatialSoftMaxForwardIN3c108BFloat16EfflNS1_25LogSoftMaxForwardEpilogueEEEvPT1_PKT_T2_SB_SB_.has_recursion, 0
	.set _ZN2at6native12_GLOBAL__N_126cunn_SpatialSoftMaxForwardIN3c108BFloat16EfflNS1_25LogSoftMaxForwardEpilogueEEEvPT1_PKT_T2_SB_SB_.has_indirect_call, 0
	.section	.AMDGPU.csdata,"",@progbits
; Kernel info:
; codeLenInByte = 2344
; TotalNumSgprs: 40
; NumVgprs: 31
; ScratchSize: 0
; MemoryBound: 0
; FloatMode: 240
; IeeeMode: 1
; LDSByteSize: 0 bytes/workgroup (compile time only)
; SGPRBlocks: 0
; VGPRBlocks: 3
; NumSGPRsForWavesPerEU: 40
; NumVGPRsForWavesPerEU: 31
; Occupancy: 16
; WaveLimiterHint : 0
; COMPUTE_PGM_RSRC2:SCRATCH_EN: 0
; COMPUTE_PGM_RSRC2:USER_SGPR: 6
; COMPUTE_PGM_RSRC2:TRAP_HANDLER: 0
; COMPUTE_PGM_RSRC2:TGID_X_EN: 1
; COMPUTE_PGM_RSRC2:TGID_Y_EN: 1
; COMPUTE_PGM_RSRC2:TGID_Z_EN: 0
; COMPUTE_PGM_RSRC2:TIDIG_COMP_CNT: 1
	.section	.text._ZN12_GLOBAL__N_121softmax_warp_backwardIdddLi0ELb1ELb0ELi64EEEvPT0_PKT_S5_iiiPKb,"axG",@progbits,_ZN12_GLOBAL__N_121softmax_warp_backwardIdddLi0ELb1ELb0ELi64EEEvPT0_PKT_S5_iiiPKb,comdat
	.globl	_ZN12_GLOBAL__N_121softmax_warp_backwardIdddLi0ELb1ELb0ELi64EEEvPT0_PKT_S5_iiiPKb ; -- Begin function _ZN12_GLOBAL__N_121softmax_warp_backwardIdddLi0ELb1ELb0ELi64EEEvPT0_PKT_S5_iiiPKb
	.p2align	8
	.type	_ZN12_GLOBAL__N_121softmax_warp_backwardIdddLi0ELb1ELb0ELi64EEEvPT0_PKT_S5_iiiPKb,@function
_ZN12_GLOBAL__N_121softmax_warp_backwardIdddLi0ELb1ELb0ELi64EEEvPT0_PKT_S5_iiiPKb: ; @_ZN12_GLOBAL__N_121softmax_warp_backwardIdddLi0ELb1ELb0ELi64EEEvPT0_PKT_S5_iiiPKb
; %bb.0:
	s_clause 0x3
	s_load_dword s7, s[4:5], 0x3c
	s_load_dwordx4 s[0:3], s[4:5], 0x18
	s_load_dwordx4 s[8:11], s[4:5], 0x0
	s_load_dwordx2 s[4:5], s[4:5], 0x10
	v_mov_b32_e32 v8, 0
	v_mov_b32_e32 v6, 0
	;; [unrolled: 1-line block ×4, first 2 shown]
	s_waitcnt lgkmcnt(0)
	s_lshr_b32 s3, s7, 16
	s_and_b32 s3, s3, 0xffff
	s_cmp_gt_i32 s2, 0
	s_mul_i32 s6, s6, s3
	v_add_lshl_u32 v2, s6, v1, 1
	v_mul_lo_u32 v0, v2, s1
	v_sub_nc_u32_e32 v14, s0, v2
	s_cselect_b32 s1, -1, 0
	v_cmp_lt_i32_e32 vcc_lo, 0, v14
	v_ashrrev_i32_e32 v1, 31, v0
	s_and_b32 s3, s1, vcc_lo
	v_lshlrev_b64 v[4:5], 3, v[0:1]
	v_add_co_u32 v12, s0, s10, v4
	v_add_co_ci_u32_e64 v13, null, s11, v5, s0
	v_add_co_u32 v10, s0, s4, v4
	v_add_co_ci_u32_e64 v11, null, s5, v5, s0
	s_and_saveexec_b32 s0, s3
	s_cbranch_execz .LBB204_2
; %bb.1:
	global_load_dwordx2 v[6:7], v[12:13], off
	global_load_dwordx2 v[8:9], v[10:11], off
.LBB204_2:
	s_or_b32 exec_lo, exec_lo, s0
	v_cmp_gt_i32_e64 s0, 2, v14
	s_xor_b32 s3, s1, -1
	s_or_b32 s0, s3, s0
	s_and_saveexec_b32 s3, s0
	s_xor_b32 s0, exec_lo, s3
                                        ; implicit-def: $vgpr0_vgpr1
; %bb.3:
	s_mov_b32 s3, 0
                                        ; implicit-def: $vgpr10
                                        ; implicit-def: $vgpr12
	v_mov_b32_e32 v0, s3
	v_mov_b32_e32 v1, s3
; %bb.4:
	s_or_saveexec_b32 s4, s0
	v_mov_b32_e32 v2, 0
	v_mov_b32_e32 v3, 0
	s_xor_b32 exec_lo, exec_lo, s4
	s_cbranch_execz .LBB204_6
; %bb.5:
	s_mov_b32 s3, 0
	s_lshl_b64 s[6:7], s[2:3], 3
	v_add_co_u32 v0, s0, v12, s6
	v_add_co_ci_u32_e64 v1, null, s7, v13, s0
	v_add_co_u32 v2, s0, v10, s6
	v_add_co_ci_u32_e64 v3, null, s7, v11, s0
	global_load_dwordx2 v[0:1], v[0:1], off
	global_load_dwordx2 v[2:3], v[2:3], off
.LBB204_6:
	s_or_b32 exec_lo, exec_lo, s4
	s_and_saveexec_b32 s0, vcc_lo
	s_cbranch_execz .LBB204_11
; %bb.7:
	v_add_co_u32 v4, vcc_lo, s8, v4
	v_add_co_ci_u32_e64 v5, null, s9, v5, vcc_lo
	s_andn2_b32 vcc_lo, exec_lo, s1
	s_cbranch_vccnz .LBB204_9
; %bb.8:
	s_mov_b32 s4, 0x652b82fe
	s_mov_b32 s5, 0x3ff71547
	;; [unrolled: 1-line block ×3, first 2 shown]
	s_waitcnt vmcnt(0)
	v_mul_f64 v[10:11], v[8:9], s[4:5]
	s_mov_b32 s4, 0xfefa39ef
	s_mov_b32 s5, 0xbfe62e42
	;; [unrolled: 1-line block ×3, first 2 shown]
	v_cmp_nlt_f64_e32 vcc_lo, 0x40900000, v[8:9]
	v_cmp_ngt_f64_e64 s0, 0xc090cc00, v[8:9]
	v_rndne_f64_e32 v[10:11], v[10:11]
	v_fma_f64 v[12:13], v[10:11], s[4:5], v[8:9]
	s_mov_b32 s4, 0x3b39803f
	s_mov_b32 s5, 0xbc7abc9e
	v_cvt_i32_f64_e32 v17, v[10:11]
	v_add_f64 v[8:9], v[6:7], 0
	v_fma_f64 v[12:13], v[10:11], s[4:5], v[12:13]
	s_mov_b32 s4, 0xfca7ab0c
	s_mov_b32 s5, 0x3e928af3
	v_fma_f64 v[15:16], v[12:13], s[6:7], s[4:5]
	s_mov_b32 s4, 0x623fde64
	s_mov_b32 s5, 0x3ec71dee
	;; [unrolled: 3-line block ×9, first 2 shown]
	v_fma_f64 v[15:16], v[12:13], v[15:16], s[4:5]
	v_fma_f64 v[15:16], v[12:13], v[15:16], 1.0
	v_fma_f64 v[10:11], v[12:13], v[15:16], 1.0
	v_ldexp_f64 v[10:11], v[10:11], v17
	v_cndmask_b32_e32 v11, 0x7ff00000, v11, vcc_lo
	s_and_b32 vcc_lo, s0, vcc_lo
	v_cndmask_b32_e32 v10, 0, v10, vcc_lo
	v_cndmask_b32_e64 v11, 0, v11, s0
	v_fma_f64 v[6:7], -v[8:9], v[10:11], v[6:7]
	global_store_dwordx2 v[4:5], v[6:7], off
.LBB204_9:
	v_cmp_ne_u32_e32 vcc_lo, 1, v14
	s_and_b32 s0, vcc_lo, s1
	s_and_b32 exec_lo, exec_lo, s0
	s_cbranch_execz .LBB204_11
; %bb.10:
	s_mov_b32 s0, 0x652b82fe
	s_mov_b32 s1, 0x3ff71547
	;; [unrolled: 1-line block ×3, first 2 shown]
	s_waitcnt vmcnt(0)
	v_mul_f64 v[6:7], v[2:3], s[0:1]
	s_mov_b32 s0, 0xfefa39ef
	s_mov_b32 s1, 0xbfe62e42
	;; [unrolled: 1-line block ×3, first 2 shown]
	v_cmp_nlt_f64_e32 vcc_lo, 0x40900000, v[2:3]
	s_mov_b32 s3, 0
	v_rndne_f64_e32 v[6:7], v[6:7]
	v_fma_f64 v[8:9], v[6:7], s[0:1], v[2:3]
	s_mov_b32 s0, 0x3b39803f
	s_mov_b32 s1, 0xbc7abc9e
	v_cvt_i32_f64_e32 v12, v[6:7]
	v_fma_f64 v[8:9], v[6:7], s[0:1], v[8:9]
	s_mov_b32 s0, 0xfca7ab0c
	s_mov_b32 s1, 0x3e928af3
	v_fma_f64 v[10:11], v[8:9], s[4:5], s[0:1]
	s_mov_b32 s0, 0x623fde64
	s_mov_b32 s1, 0x3ec71dee
	;; [unrolled: 3-line block ×9, first 2 shown]
	v_fma_f64 v[10:11], v[8:9], v[10:11], s[0:1]
	v_cmp_ngt_f64_e64 s0, 0xc090cc00, v[2:3]
	v_add_f64 v[2:3], v[0:1], 0
	v_fma_f64 v[10:11], v[8:9], v[10:11], 1.0
	v_fma_f64 v[6:7], v[8:9], v[10:11], 1.0
	v_ldexp_f64 v[6:7], v[6:7], v12
	v_cndmask_b32_e32 v7, 0x7ff00000, v7, vcc_lo
	s_and_b32 vcc_lo, s0, vcc_lo
	v_cndmask_b32_e32 v6, 0, v6, vcc_lo
	v_cndmask_b32_e64 v7, 0, v7, s0
	s_lshl_b64 s[0:1], s[2:3], 3
	v_fma_f64 v[0:1], -v[2:3], v[6:7], v[0:1]
	v_add_co_u32 v2, vcc_lo, v4, s0
	v_add_co_ci_u32_e64 v3, null, s1, v5, vcc_lo
	global_store_dwordx2 v[2:3], v[0:1], off
.LBB204_11:
	s_endpgm
	.section	.rodata,"a",@progbits
	.p2align	6, 0x0
	.amdhsa_kernel _ZN12_GLOBAL__N_121softmax_warp_backwardIdddLi0ELb1ELb0ELi64EEEvPT0_PKT_S5_iiiPKb
		.amdhsa_group_segment_fixed_size 0
		.amdhsa_private_segment_fixed_size 0
		.amdhsa_kernarg_size 304
		.amdhsa_user_sgpr_count 6
		.amdhsa_user_sgpr_private_segment_buffer 1
		.amdhsa_user_sgpr_dispatch_ptr 0
		.amdhsa_user_sgpr_queue_ptr 0
		.amdhsa_user_sgpr_kernarg_segment_ptr 1
		.amdhsa_user_sgpr_dispatch_id 0
		.amdhsa_user_sgpr_flat_scratch_init 0
		.amdhsa_user_sgpr_private_segment_size 0
		.amdhsa_wavefront_size32 1
		.amdhsa_uses_dynamic_stack 0
		.amdhsa_system_sgpr_private_segment_wavefront_offset 0
		.amdhsa_system_sgpr_workgroup_id_x 1
		.amdhsa_system_sgpr_workgroup_id_y 0
		.amdhsa_system_sgpr_workgroup_id_z 0
		.amdhsa_system_sgpr_workgroup_info 0
		.amdhsa_system_vgpr_workitem_id 1
		.amdhsa_next_free_vgpr 18
		.amdhsa_next_free_sgpr 12
		.amdhsa_reserve_vcc 1
		.amdhsa_reserve_flat_scratch 0
		.amdhsa_float_round_mode_32 0
		.amdhsa_float_round_mode_16_64 0
		.amdhsa_float_denorm_mode_32 3
		.amdhsa_float_denorm_mode_16_64 3
		.amdhsa_dx10_clamp 1
		.amdhsa_ieee_mode 1
		.amdhsa_fp16_overflow 0
		.amdhsa_workgroup_processor_mode 1
		.amdhsa_memory_ordered 1
		.amdhsa_forward_progress 1
		.amdhsa_shared_vgpr_count 0
		.amdhsa_exception_fp_ieee_invalid_op 0
		.amdhsa_exception_fp_denorm_src 0
		.amdhsa_exception_fp_ieee_div_zero 0
		.amdhsa_exception_fp_ieee_overflow 0
		.amdhsa_exception_fp_ieee_underflow 0
		.amdhsa_exception_fp_ieee_inexact 0
		.amdhsa_exception_int_div_zero 0
	.end_amdhsa_kernel
	.section	.text._ZN12_GLOBAL__N_121softmax_warp_backwardIdddLi0ELb1ELb0ELi64EEEvPT0_PKT_S5_iiiPKb,"axG",@progbits,_ZN12_GLOBAL__N_121softmax_warp_backwardIdddLi0ELb1ELb0ELi64EEEvPT0_PKT_S5_iiiPKb,comdat
.Lfunc_end204:
	.size	_ZN12_GLOBAL__N_121softmax_warp_backwardIdddLi0ELb1ELb0ELi64EEEvPT0_PKT_S5_iiiPKb, .Lfunc_end204-_ZN12_GLOBAL__N_121softmax_warp_backwardIdddLi0ELb1ELb0ELi64EEEvPT0_PKT_S5_iiiPKb
                                        ; -- End function
	.set _ZN12_GLOBAL__N_121softmax_warp_backwardIdddLi0ELb1ELb0ELi64EEEvPT0_PKT_S5_iiiPKb.num_vgpr, 18
	.set _ZN12_GLOBAL__N_121softmax_warp_backwardIdddLi0ELb1ELb0ELi64EEEvPT0_PKT_S5_iiiPKb.num_agpr, 0
	.set _ZN12_GLOBAL__N_121softmax_warp_backwardIdddLi0ELb1ELb0ELi64EEEvPT0_PKT_S5_iiiPKb.numbered_sgpr, 12
	.set _ZN12_GLOBAL__N_121softmax_warp_backwardIdddLi0ELb1ELb0ELi64EEEvPT0_PKT_S5_iiiPKb.num_named_barrier, 0
	.set _ZN12_GLOBAL__N_121softmax_warp_backwardIdddLi0ELb1ELb0ELi64EEEvPT0_PKT_S5_iiiPKb.private_seg_size, 0
	.set _ZN12_GLOBAL__N_121softmax_warp_backwardIdddLi0ELb1ELb0ELi64EEEvPT0_PKT_S5_iiiPKb.uses_vcc, 1
	.set _ZN12_GLOBAL__N_121softmax_warp_backwardIdddLi0ELb1ELb0ELi64EEEvPT0_PKT_S5_iiiPKb.uses_flat_scratch, 0
	.set _ZN12_GLOBAL__N_121softmax_warp_backwardIdddLi0ELb1ELb0ELi64EEEvPT0_PKT_S5_iiiPKb.has_dyn_sized_stack, 0
	.set _ZN12_GLOBAL__N_121softmax_warp_backwardIdddLi0ELb1ELb0ELi64EEEvPT0_PKT_S5_iiiPKb.has_recursion, 0
	.set _ZN12_GLOBAL__N_121softmax_warp_backwardIdddLi0ELb1ELb0ELi64EEEvPT0_PKT_S5_iiiPKb.has_indirect_call, 0
	.section	.AMDGPU.csdata,"",@progbits
; Kernel info:
; codeLenInByte = 1180
; TotalNumSgprs: 14
; NumVgprs: 18
; ScratchSize: 0
; MemoryBound: 1
; FloatMode: 240
; IeeeMode: 1
; LDSByteSize: 0 bytes/workgroup (compile time only)
; SGPRBlocks: 0
; VGPRBlocks: 2
; NumSGPRsForWavesPerEU: 14
; NumVGPRsForWavesPerEU: 18
; Occupancy: 16
; WaveLimiterHint : 0
; COMPUTE_PGM_RSRC2:SCRATCH_EN: 0
; COMPUTE_PGM_RSRC2:USER_SGPR: 6
; COMPUTE_PGM_RSRC2:TRAP_HANDLER: 0
; COMPUTE_PGM_RSRC2:TGID_X_EN: 1
; COMPUTE_PGM_RSRC2:TGID_Y_EN: 0
; COMPUTE_PGM_RSRC2:TGID_Z_EN: 0
; COMPUTE_PGM_RSRC2:TIDIG_COMP_CNT: 1
	.section	.text._ZN12_GLOBAL__N_121softmax_warp_backwardIdddLi0ELb1ELb0ELi32EEEvPT0_PKT_S5_iiiPKb,"axG",@progbits,_ZN12_GLOBAL__N_121softmax_warp_backwardIdddLi0ELb1ELb0ELi32EEEvPT0_PKT_S5_iiiPKb,comdat
	.globl	_ZN12_GLOBAL__N_121softmax_warp_backwardIdddLi0ELb1ELb0ELi32EEEvPT0_PKT_S5_iiiPKb ; -- Begin function _ZN12_GLOBAL__N_121softmax_warp_backwardIdddLi0ELb1ELb0ELi32EEEvPT0_PKT_S5_iiiPKb
	.p2align	8
	.type	_ZN12_GLOBAL__N_121softmax_warp_backwardIdddLi0ELb1ELb0ELi32EEEvPT0_PKT_S5_iiiPKb,@function
_ZN12_GLOBAL__N_121softmax_warp_backwardIdddLi0ELb1ELb0ELi32EEEvPT0_PKT_S5_iiiPKb: ; @_ZN12_GLOBAL__N_121softmax_warp_backwardIdddLi0ELb1ELb0ELi32EEEvPT0_PKT_S5_iiiPKb
; %bb.0:
	s_clause 0x3
	s_load_dword s7, s[4:5], 0x3c
	s_load_dwordx4 s[0:3], s[4:5], 0x18
	s_load_dwordx4 s[8:11], s[4:5], 0x0
	s_load_dwordx2 s[4:5], s[4:5], 0x10
	v_mov_b32_e32 v8, 0
	v_mov_b32_e32 v6, 0
	;; [unrolled: 1-line block ×4, first 2 shown]
	s_waitcnt lgkmcnt(0)
	s_lshr_b32 s3, s7, 16
	s_and_b32 s3, s3, 0xffff
	s_cmp_gt_i32 s2, 0
	s_mul_i32 s6, s6, s3
	v_add_lshl_u32 v2, s6, v1, 1
	v_mul_lo_u32 v0, v2, s1
	v_sub_nc_u32_e32 v14, s0, v2
	s_cselect_b32 s1, -1, 0
	v_cmp_lt_i32_e32 vcc_lo, 0, v14
	v_ashrrev_i32_e32 v1, 31, v0
	s_and_b32 s3, s1, vcc_lo
	v_lshlrev_b64 v[4:5], 3, v[0:1]
	v_add_co_u32 v12, s0, s10, v4
	v_add_co_ci_u32_e64 v13, null, s11, v5, s0
	v_add_co_u32 v10, s0, s4, v4
	v_add_co_ci_u32_e64 v11, null, s5, v5, s0
	s_and_saveexec_b32 s0, s3
	s_cbranch_execz .LBB205_2
; %bb.1:
	global_load_dwordx2 v[6:7], v[12:13], off
	global_load_dwordx2 v[8:9], v[10:11], off
.LBB205_2:
	s_or_b32 exec_lo, exec_lo, s0
	v_cmp_gt_i32_e64 s0, 2, v14
	s_xor_b32 s3, s1, -1
	s_or_b32 s0, s3, s0
	s_and_saveexec_b32 s3, s0
	s_xor_b32 s0, exec_lo, s3
                                        ; implicit-def: $vgpr0_vgpr1
; %bb.3:
	s_mov_b32 s3, 0
                                        ; implicit-def: $vgpr10
                                        ; implicit-def: $vgpr12
	v_mov_b32_e32 v0, s3
	v_mov_b32_e32 v1, s3
; %bb.4:
	s_or_saveexec_b32 s4, s0
	v_mov_b32_e32 v2, 0
	v_mov_b32_e32 v3, 0
	s_xor_b32 exec_lo, exec_lo, s4
	s_cbranch_execz .LBB205_6
; %bb.5:
	s_mov_b32 s3, 0
	s_lshl_b64 s[6:7], s[2:3], 3
	v_add_co_u32 v0, s0, v12, s6
	v_add_co_ci_u32_e64 v1, null, s7, v13, s0
	v_add_co_u32 v2, s0, v10, s6
	v_add_co_ci_u32_e64 v3, null, s7, v11, s0
	global_load_dwordx2 v[0:1], v[0:1], off
	global_load_dwordx2 v[2:3], v[2:3], off
.LBB205_6:
	s_or_b32 exec_lo, exec_lo, s4
	s_and_saveexec_b32 s0, vcc_lo
	s_cbranch_execz .LBB205_11
; %bb.7:
	v_add_co_u32 v4, vcc_lo, s8, v4
	v_add_co_ci_u32_e64 v5, null, s9, v5, vcc_lo
	s_andn2_b32 vcc_lo, exec_lo, s1
	s_cbranch_vccnz .LBB205_9
; %bb.8:
	s_mov_b32 s4, 0x652b82fe
	s_mov_b32 s5, 0x3ff71547
	;; [unrolled: 1-line block ×3, first 2 shown]
	s_waitcnt vmcnt(0)
	v_mul_f64 v[10:11], v[8:9], s[4:5]
	s_mov_b32 s4, 0xfefa39ef
	s_mov_b32 s5, 0xbfe62e42
	;; [unrolled: 1-line block ×3, first 2 shown]
	v_cmp_nlt_f64_e32 vcc_lo, 0x40900000, v[8:9]
	v_cmp_ngt_f64_e64 s0, 0xc090cc00, v[8:9]
	v_rndne_f64_e32 v[10:11], v[10:11]
	v_fma_f64 v[12:13], v[10:11], s[4:5], v[8:9]
	s_mov_b32 s4, 0x3b39803f
	s_mov_b32 s5, 0xbc7abc9e
	v_cvt_i32_f64_e32 v17, v[10:11]
	v_add_f64 v[8:9], v[6:7], 0
	v_fma_f64 v[12:13], v[10:11], s[4:5], v[12:13]
	s_mov_b32 s4, 0xfca7ab0c
	s_mov_b32 s5, 0x3e928af3
	v_fma_f64 v[15:16], v[12:13], s[6:7], s[4:5]
	s_mov_b32 s4, 0x623fde64
	s_mov_b32 s5, 0x3ec71dee
	;; [unrolled: 3-line block ×9, first 2 shown]
	v_fma_f64 v[15:16], v[12:13], v[15:16], s[4:5]
	v_fma_f64 v[15:16], v[12:13], v[15:16], 1.0
	v_fma_f64 v[10:11], v[12:13], v[15:16], 1.0
	v_ldexp_f64 v[10:11], v[10:11], v17
	v_cndmask_b32_e32 v11, 0x7ff00000, v11, vcc_lo
	s_and_b32 vcc_lo, s0, vcc_lo
	v_cndmask_b32_e32 v10, 0, v10, vcc_lo
	v_cndmask_b32_e64 v11, 0, v11, s0
	v_fma_f64 v[6:7], -v[8:9], v[10:11], v[6:7]
	global_store_dwordx2 v[4:5], v[6:7], off
.LBB205_9:
	v_cmp_ne_u32_e32 vcc_lo, 1, v14
	s_and_b32 s0, vcc_lo, s1
	s_and_b32 exec_lo, exec_lo, s0
	s_cbranch_execz .LBB205_11
; %bb.10:
	s_mov_b32 s0, 0x652b82fe
	s_mov_b32 s1, 0x3ff71547
	;; [unrolled: 1-line block ×3, first 2 shown]
	s_waitcnt vmcnt(0)
	v_mul_f64 v[6:7], v[2:3], s[0:1]
	s_mov_b32 s0, 0xfefa39ef
	s_mov_b32 s1, 0xbfe62e42
	;; [unrolled: 1-line block ×3, first 2 shown]
	v_cmp_nlt_f64_e32 vcc_lo, 0x40900000, v[2:3]
	s_mov_b32 s3, 0
	v_rndne_f64_e32 v[6:7], v[6:7]
	v_fma_f64 v[8:9], v[6:7], s[0:1], v[2:3]
	s_mov_b32 s0, 0x3b39803f
	s_mov_b32 s1, 0xbc7abc9e
	v_cvt_i32_f64_e32 v12, v[6:7]
	v_fma_f64 v[8:9], v[6:7], s[0:1], v[8:9]
	s_mov_b32 s0, 0xfca7ab0c
	s_mov_b32 s1, 0x3e928af3
	v_fma_f64 v[10:11], v[8:9], s[4:5], s[0:1]
	s_mov_b32 s0, 0x623fde64
	s_mov_b32 s1, 0x3ec71dee
	;; [unrolled: 3-line block ×9, first 2 shown]
	v_fma_f64 v[10:11], v[8:9], v[10:11], s[0:1]
	v_cmp_ngt_f64_e64 s0, 0xc090cc00, v[2:3]
	v_add_f64 v[2:3], v[0:1], 0
	v_fma_f64 v[10:11], v[8:9], v[10:11], 1.0
	v_fma_f64 v[6:7], v[8:9], v[10:11], 1.0
	v_ldexp_f64 v[6:7], v[6:7], v12
	v_cndmask_b32_e32 v7, 0x7ff00000, v7, vcc_lo
	s_and_b32 vcc_lo, s0, vcc_lo
	v_cndmask_b32_e32 v6, 0, v6, vcc_lo
	v_cndmask_b32_e64 v7, 0, v7, s0
	s_lshl_b64 s[0:1], s[2:3], 3
	v_fma_f64 v[0:1], -v[2:3], v[6:7], v[0:1]
	v_add_co_u32 v2, vcc_lo, v4, s0
	v_add_co_ci_u32_e64 v3, null, s1, v5, vcc_lo
	global_store_dwordx2 v[2:3], v[0:1], off
.LBB205_11:
	s_endpgm
	.section	.rodata,"a",@progbits
	.p2align	6, 0x0
	.amdhsa_kernel _ZN12_GLOBAL__N_121softmax_warp_backwardIdddLi0ELb1ELb0ELi32EEEvPT0_PKT_S5_iiiPKb
		.amdhsa_group_segment_fixed_size 0
		.amdhsa_private_segment_fixed_size 0
		.amdhsa_kernarg_size 304
		.amdhsa_user_sgpr_count 6
		.amdhsa_user_sgpr_private_segment_buffer 1
		.amdhsa_user_sgpr_dispatch_ptr 0
		.amdhsa_user_sgpr_queue_ptr 0
		.amdhsa_user_sgpr_kernarg_segment_ptr 1
		.amdhsa_user_sgpr_dispatch_id 0
		.amdhsa_user_sgpr_flat_scratch_init 0
		.amdhsa_user_sgpr_private_segment_size 0
		.amdhsa_wavefront_size32 1
		.amdhsa_uses_dynamic_stack 0
		.amdhsa_system_sgpr_private_segment_wavefront_offset 0
		.amdhsa_system_sgpr_workgroup_id_x 1
		.amdhsa_system_sgpr_workgroup_id_y 0
		.amdhsa_system_sgpr_workgroup_id_z 0
		.amdhsa_system_sgpr_workgroup_info 0
		.amdhsa_system_vgpr_workitem_id 1
		.amdhsa_next_free_vgpr 18
		.amdhsa_next_free_sgpr 12
		.amdhsa_reserve_vcc 1
		.amdhsa_reserve_flat_scratch 0
		.amdhsa_float_round_mode_32 0
		.amdhsa_float_round_mode_16_64 0
		.amdhsa_float_denorm_mode_32 3
		.amdhsa_float_denorm_mode_16_64 3
		.amdhsa_dx10_clamp 1
		.amdhsa_ieee_mode 1
		.amdhsa_fp16_overflow 0
		.amdhsa_workgroup_processor_mode 1
		.amdhsa_memory_ordered 1
		.amdhsa_forward_progress 1
		.amdhsa_shared_vgpr_count 0
		.amdhsa_exception_fp_ieee_invalid_op 0
		.amdhsa_exception_fp_denorm_src 0
		.amdhsa_exception_fp_ieee_div_zero 0
		.amdhsa_exception_fp_ieee_overflow 0
		.amdhsa_exception_fp_ieee_underflow 0
		.amdhsa_exception_fp_ieee_inexact 0
		.amdhsa_exception_int_div_zero 0
	.end_amdhsa_kernel
	.section	.text._ZN12_GLOBAL__N_121softmax_warp_backwardIdddLi0ELb1ELb0ELi32EEEvPT0_PKT_S5_iiiPKb,"axG",@progbits,_ZN12_GLOBAL__N_121softmax_warp_backwardIdddLi0ELb1ELb0ELi32EEEvPT0_PKT_S5_iiiPKb,comdat
.Lfunc_end205:
	.size	_ZN12_GLOBAL__N_121softmax_warp_backwardIdddLi0ELb1ELb0ELi32EEEvPT0_PKT_S5_iiiPKb, .Lfunc_end205-_ZN12_GLOBAL__N_121softmax_warp_backwardIdddLi0ELb1ELb0ELi32EEEvPT0_PKT_S5_iiiPKb
                                        ; -- End function
	.set _ZN12_GLOBAL__N_121softmax_warp_backwardIdddLi0ELb1ELb0ELi32EEEvPT0_PKT_S5_iiiPKb.num_vgpr, 18
	.set _ZN12_GLOBAL__N_121softmax_warp_backwardIdddLi0ELb1ELb0ELi32EEEvPT0_PKT_S5_iiiPKb.num_agpr, 0
	.set _ZN12_GLOBAL__N_121softmax_warp_backwardIdddLi0ELb1ELb0ELi32EEEvPT0_PKT_S5_iiiPKb.numbered_sgpr, 12
	.set _ZN12_GLOBAL__N_121softmax_warp_backwardIdddLi0ELb1ELb0ELi32EEEvPT0_PKT_S5_iiiPKb.num_named_barrier, 0
	.set _ZN12_GLOBAL__N_121softmax_warp_backwardIdddLi0ELb1ELb0ELi32EEEvPT0_PKT_S5_iiiPKb.private_seg_size, 0
	.set _ZN12_GLOBAL__N_121softmax_warp_backwardIdddLi0ELb1ELb0ELi32EEEvPT0_PKT_S5_iiiPKb.uses_vcc, 1
	.set _ZN12_GLOBAL__N_121softmax_warp_backwardIdddLi0ELb1ELb0ELi32EEEvPT0_PKT_S5_iiiPKb.uses_flat_scratch, 0
	.set _ZN12_GLOBAL__N_121softmax_warp_backwardIdddLi0ELb1ELb0ELi32EEEvPT0_PKT_S5_iiiPKb.has_dyn_sized_stack, 0
	.set _ZN12_GLOBAL__N_121softmax_warp_backwardIdddLi0ELb1ELb0ELi32EEEvPT0_PKT_S5_iiiPKb.has_recursion, 0
	.set _ZN12_GLOBAL__N_121softmax_warp_backwardIdddLi0ELb1ELb0ELi32EEEvPT0_PKT_S5_iiiPKb.has_indirect_call, 0
	.section	.AMDGPU.csdata,"",@progbits
; Kernel info:
; codeLenInByte = 1180
; TotalNumSgprs: 14
; NumVgprs: 18
; ScratchSize: 0
; MemoryBound: 1
; FloatMode: 240
; IeeeMode: 1
; LDSByteSize: 0 bytes/workgroup (compile time only)
; SGPRBlocks: 0
; VGPRBlocks: 2
; NumSGPRsForWavesPerEU: 14
; NumVGPRsForWavesPerEU: 18
; Occupancy: 16
; WaveLimiterHint : 0
; COMPUTE_PGM_RSRC2:SCRATCH_EN: 0
; COMPUTE_PGM_RSRC2:USER_SGPR: 6
; COMPUTE_PGM_RSRC2:TRAP_HANDLER: 0
; COMPUTE_PGM_RSRC2:TGID_X_EN: 1
; COMPUTE_PGM_RSRC2:TGID_Y_EN: 0
; COMPUTE_PGM_RSRC2:TGID_Z_EN: 0
; COMPUTE_PGM_RSRC2:TIDIG_COMP_CNT: 1
	.section	.text._ZN12_GLOBAL__N_121softmax_warp_backwardIdddLi1ELb1ELb0ELi64EEEvPT0_PKT_S5_iiiPKb,"axG",@progbits,_ZN12_GLOBAL__N_121softmax_warp_backwardIdddLi1ELb1ELb0ELi64EEEvPT0_PKT_S5_iiiPKb,comdat
	.globl	_ZN12_GLOBAL__N_121softmax_warp_backwardIdddLi1ELb1ELb0ELi64EEEvPT0_PKT_S5_iiiPKb ; -- Begin function _ZN12_GLOBAL__N_121softmax_warp_backwardIdddLi1ELb1ELb0ELi64EEEvPT0_PKT_S5_iiiPKb
	.p2align	8
	.type	_ZN12_GLOBAL__N_121softmax_warp_backwardIdddLi1ELb1ELb0ELi64EEEvPT0_PKT_S5_iiiPKb,@function
_ZN12_GLOBAL__N_121softmax_warp_backwardIdddLi1ELb1ELb0ELi64EEEvPT0_PKT_S5_iiiPKb: ; @_ZN12_GLOBAL__N_121softmax_warp_backwardIdddLi1ELb1ELb0ELi64EEEvPT0_PKT_S5_iiiPKb
; %bb.0:
	s_clause 0x1
	s_load_dword s7, s[4:5], 0x3c
	s_load_dwordx4 s[0:3], s[4:5], 0x18
	v_and_b32_e32 v3, 1, v0
	s_clause 0x1
	s_load_dwordx4 s[8:11], s[4:5], 0x0
	s_load_dwordx2 s[4:5], s[4:5], 0x10
	v_mov_b32_e32 v12, 0
	v_mov_b32_e32 v8, 0
	;; [unrolled: 1-line block ×4, first 2 shown]
	s_waitcnt lgkmcnt(0)
	s_lshr_b32 s3, s7, 16
	v_cmp_gt_i32_e32 vcc_lo, s2, v3
	s_and_b32 s3, s3, 0xffff
	s_mul_i32 s6, s6, s3
	v_add_lshl_u32 v2, s6, v1, 1
	v_mul_lo_u32 v1, v2, s1
	v_sub_nc_u32_e32 v18, s0, v2
	v_cmp_lt_i32_e64 s0, 0, v18
	v_or_b32_e32 v0, v1, v3
	s_and_b32 s3, vcc_lo, s0
	v_ashrrev_i32_e32 v1, 31, v0
	v_lshlrev_b64 v[6:7], 3, v[0:1]
	v_add_co_u32 v10, s1, s10, v6
	v_add_co_ci_u32_e64 v11, null, s11, v7, s1
	v_add_co_u32 v4, s1, s4, v6
	v_add_co_ci_u32_e64 v5, null, s5, v7, s1
	s_and_saveexec_b32 s1, s3
	s_cbranch_execz .LBB206_2
; %bb.1:
	global_load_dwordx2 v[8:9], v[10:11], off
	global_load_dwordx2 v[12:13], v[4:5], off
.LBB206_2:
	s_or_b32 exec_lo, exec_lo, s1
	v_cmp_gt_i32_e64 s1, 2, v18
	s_xor_b32 s3, vcc_lo, -1
	s_or_b32 s1, s3, s1
	s_and_saveexec_b32 s3, s1
	s_xor_b32 s1, exec_lo, s3
                                        ; implicit-def: $vgpr0_vgpr1
; %bb.3:
	s_mov_b32 s3, 0
                                        ; implicit-def: $vgpr4
                                        ; implicit-def: $vgpr10
	v_mov_b32_e32 v0, s3
	v_mov_b32_e32 v1, s3
; %bb.4:
	s_or_saveexec_b32 s4, s1
	v_mov_b32_e32 v2, 0
	v_mov_b32_e32 v3, 0
	s_xor_b32 exec_lo, exec_lo, s4
	s_cbranch_execz .LBB206_6
; %bb.5:
	s_mov_b32 s3, 0
	s_lshl_b64 s[6:7], s[2:3], 3
	v_add_co_u32 v0, s1, v10, s6
	v_add_co_ci_u32_e64 v1, null, s7, v11, s1
	v_add_co_u32 v2, s1, v4, s6
	v_add_co_ci_u32_e64 v3, null, s7, v5, s1
	global_load_dwordx2 v[0:1], v[0:1], off
	global_load_dwordx2 v[2:3], v[2:3], off
.LBB206_6:
	s_or_b32 exec_lo, exec_lo, s4
	v_mbcnt_lo_u32_b32 v10, -1, 0
	s_waitcnt vmcnt(1)
	v_add_f64 v[14:15], v[8:9], 0
	v_add_f64 v[4:5], v[0:1], 0
	v_and_b32_e32 v11, 30, v10
	v_xor_b32_e32 v16, 1, v10
	v_add_nc_u32_e32 v11, 2, v11
	v_cmp_lt_i32_e64 s1, v16, v11
	v_cndmask_b32_e64 v10, v10, v16, s1
	v_lshlrev_b32_e32 v11, 2, v10
	ds_bpermute_b32 v16, v11, v14
	ds_bpermute_b32 v17, v11, v15
	;; [unrolled: 1-line block ×4, first 2 shown]
	s_and_saveexec_b32 s1, s0
	s_cbranch_execz .LBB206_11
; %bb.7:
	v_add_co_u32 v6, s0, s8, v6
	v_add_co_ci_u32_e64 v7, null, s9, v7, s0
	s_and_saveexec_b32 s3, vcc_lo
	s_cbranch_execz .LBB206_9
; %bb.8:
	s_mov_b32 s0, 0x652b82fe
	s_mov_b32 s1, 0x3ff71547
	;; [unrolled: 1-line block ×3, first 2 shown]
	s_waitcnt vmcnt(0)
	v_mul_f64 v[19:20], v[12:13], s[0:1]
	s_mov_b32 s0, 0xfefa39ef
	s_mov_b32 s1, 0xbfe62e42
	;; [unrolled: 1-line block ×3, first 2 shown]
	v_rndne_f64_e32 v[19:20], v[19:20]
	v_fma_f64 v[21:22], v[19:20], s[0:1], v[12:13]
	s_mov_b32 s0, 0x3b39803f
	s_mov_b32 s1, 0xbc7abc9e
	v_cvt_i32_f64_e32 v25, v[19:20]
	v_fma_f64 v[21:22], v[19:20], s[0:1], v[21:22]
	s_mov_b32 s0, 0xfca7ab0c
	s_mov_b32 s1, 0x3e928af3
	v_fma_f64 v[23:24], v[21:22], s[4:5], s[0:1]
	s_mov_b32 s0, 0x623fde64
	s_mov_b32 s1, 0x3ec71dee
	v_fma_f64 v[23:24], v[21:22], v[23:24], s[0:1]
	s_mov_b32 s0, 0x7c89e6b0
	s_mov_b32 s1, 0x3efa0199
	v_fma_f64 v[23:24], v[21:22], v[23:24], s[0:1]
	s_mov_b32 s0, 0x14761f6e
	s_mov_b32 s1, 0x3f2a01a0
	v_fma_f64 v[23:24], v[21:22], v[23:24], s[0:1]
	s_mov_b32 s0, 0x1852b7b0
	s_mov_b32 s1, 0x3f56c16c
	v_fma_f64 v[23:24], v[21:22], v[23:24], s[0:1]
	s_mov_b32 s0, 0x11122322
	s_mov_b32 s1, 0x3f811111
	v_fma_f64 v[23:24], v[21:22], v[23:24], s[0:1]
	s_mov_b32 s0, 0x555502a1
	s_mov_b32 s1, 0x3fa55555
	v_fma_f64 v[23:24], v[21:22], v[23:24], s[0:1]
	s_mov_b32 s0, 0x55555511
	s_mov_b32 s1, 0x3fc55555
	v_fma_f64 v[23:24], v[21:22], v[23:24], s[0:1]
	s_mov_b32 s0, 11
	s_mov_b32 s1, 0x3fe00000
	v_fma_f64 v[23:24], v[21:22], v[23:24], s[0:1]
	v_cmp_nlt_f64_e64 s0, 0x40900000, v[12:13]
	v_cmp_ngt_f64_e64 s1, 0xc090cc00, v[12:13]
	s_waitcnt lgkmcnt(2)
	v_add_f64 v[12:13], v[14:15], v[16:17]
	v_fma_f64 v[23:24], v[21:22], v[23:24], 1.0
	v_fma_f64 v[19:20], v[21:22], v[23:24], 1.0
	v_ldexp_f64 v[19:20], v[19:20], v25
	v_cndmask_b32_e64 v20, 0x7ff00000, v20, s0
	s_and_b32 s0, s1, s0
	v_cndmask_b32_e64 v14, 0, v19, s0
	v_cndmask_b32_e64 v15, 0, v20, s1
	v_fma_f64 v[8:9], -v[12:13], v[14:15], v[8:9]
	global_store_dwordx2 v[6:7], v[8:9], off
.LBB206_9:
	s_or_b32 exec_lo, exec_lo, s3
	v_cmp_ne_u32_e64 s0, 1, v18
	s_and_b32 s0, s0, vcc_lo
	s_and_b32 exec_lo, exec_lo, s0
	s_cbranch_execz .LBB206_11
; %bb.10:
	s_mov_b32 s0, 0x652b82fe
	s_mov_b32 s1, 0x3ff71547
	;; [unrolled: 1-line block ×3, first 2 shown]
	s_waitcnt vmcnt(0)
	v_mul_f64 v[8:9], v[2:3], s[0:1]
	s_mov_b32 s0, 0xfefa39ef
	s_mov_b32 s1, 0xbfe62e42
	;; [unrolled: 1-line block ×3, first 2 shown]
	v_cmp_nlt_f64_e32 vcc_lo, 0x40900000, v[2:3]
	s_mov_b32 s3, 0
	v_rndne_f64_e32 v[8:9], v[8:9]
	v_fma_f64 v[12:13], v[8:9], s[0:1], v[2:3]
	s_mov_b32 s0, 0x3b39803f
	s_mov_b32 s1, 0xbc7abc9e
	s_waitcnt lgkmcnt(3)
	v_cvt_i32_f64_e32 v16, v[8:9]
	v_fma_f64 v[12:13], v[8:9], s[0:1], v[12:13]
	s_mov_b32 s0, 0xfca7ab0c
	s_mov_b32 s1, 0x3e928af3
	v_fma_f64 v[14:15], v[12:13], s[4:5], s[0:1]
	s_mov_b32 s0, 0x623fde64
	s_mov_b32 s1, 0x3ec71dee
	;; [unrolled: 3-line block ×9, first 2 shown]
	v_fma_f64 v[14:15], v[12:13], v[14:15], s[0:1]
	v_cmp_ngt_f64_e64 s0, 0xc090cc00, v[2:3]
	s_waitcnt lgkmcnt(0)
	v_add_f64 v[2:3], v[4:5], v[10:11]
	v_fma_f64 v[14:15], v[12:13], v[14:15], 1.0
	v_fma_f64 v[8:9], v[12:13], v[14:15], 1.0
	v_ldexp_f64 v[8:9], v[8:9], v16
	v_cndmask_b32_e32 v9, 0x7ff00000, v9, vcc_lo
	s_and_b32 vcc_lo, s0, vcc_lo
	v_cndmask_b32_e32 v4, 0, v8, vcc_lo
	v_cndmask_b32_e64 v5, 0, v9, s0
	s_lshl_b64 s[0:1], s[2:3], 3
	v_fma_f64 v[0:1], -v[2:3], v[4:5], v[0:1]
	v_add_co_u32 v2, vcc_lo, v6, s0
	v_add_co_ci_u32_e64 v3, null, s1, v7, vcc_lo
	global_store_dwordx2 v[2:3], v[0:1], off
.LBB206_11:
	s_endpgm
	.section	.rodata,"a",@progbits
	.p2align	6, 0x0
	.amdhsa_kernel _ZN12_GLOBAL__N_121softmax_warp_backwardIdddLi1ELb1ELb0ELi64EEEvPT0_PKT_S5_iiiPKb
		.amdhsa_group_segment_fixed_size 0
		.amdhsa_private_segment_fixed_size 0
		.amdhsa_kernarg_size 304
		.amdhsa_user_sgpr_count 6
		.amdhsa_user_sgpr_private_segment_buffer 1
		.amdhsa_user_sgpr_dispatch_ptr 0
		.amdhsa_user_sgpr_queue_ptr 0
		.amdhsa_user_sgpr_kernarg_segment_ptr 1
		.amdhsa_user_sgpr_dispatch_id 0
		.amdhsa_user_sgpr_flat_scratch_init 0
		.amdhsa_user_sgpr_private_segment_size 0
		.amdhsa_wavefront_size32 1
		.amdhsa_uses_dynamic_stack 0
		.amdhsa_system_sgpr_private_segment_wavefront_offset 0
		.amdhsa_system_sgpr_workgroup_id_x 1
		.amdhsa_system_sgpr_workgroup_id_y 0
		.amdhsa_system_sgpr_workgroup_id_z 0
		.amdhsa_system_sgpr_workgroup_info 0
		.amdhsa_system_vgpr_workitem_id 1
		.amdhsa_next_free_vgpr 26
		.amdhsa_next_free_sgpr 12
		.amdhsa_reserve_vcc 1
		.amdhsa_reserve_flat_scratch 0
		.amdhsa_float_round_mode_32 0
		.amdhsa_float_round_mode_16_64 0
		.amdhsa_float_denorm_mode_32 3
		.amdhsa_float_denorm_mode_16_64 3
		.amdhsa_dx10_clamp 1
		.amdhsa_ieee_mode 1
		.amdhsa_fp16_overflow 0
		.amdhsa_workgroup_processor_mode 1
		.amdhsa_memory_ordered 1
		.amdhsa_forward_progress 1
		.amdhsa_shared_vgpr_count 0
		.amdhsa_exception_fp_ieee_invalid_op 0
		.amdhsa_exception_fp_denorm_src 0
		.amdhsa_exception_fp_ieee_div_zero 0
		.amdhsa_exception_fp_ieee_overflow 0
		.amdhsa_exception_fp_ieee_underflow 0
		.amdhsa_exception_fp_ieee_inexact 0
		.amdhsa_exception_int_div_zero 0
	.end_amdhsa_kernel
	.section	.text._ZN12_GLOBAL__N_121softmax_warp_backwardIdddLi1ELb1ELb0ELi64EEEvPT0_PKT_S5_iiiPKb,"axG",@progbits,_ZN12_GLOBAL__N_121softmax_warp_backwardIdddLi1ELb1ELb0ELi64EEEvPT0_PKT_S5_iiiPKb,comdat
.Lfunc_end206:
	.size	_ZN12_GLOBAL__N_121softmax_warp_backwardIdddLi1ELb1ELb0ELi64EEEvPT0_PKT_S5_iiiPKb, .Lfunc_end206-_ZN12_GLOBAL__N_121softmax_warp_backwardIdddLi1ELb1ELb0ELi64EEEvPT0_PKT_S5_iiiPKb
                                        ; -- End function
	.set _ZN12_GLOBAL__N_121softmax_warp_backwardIdddLi1ELb1ELb0ELi64EEEvPT0_PKT_S5_iiiPKb.num_vgpr, 26
	.set _ZN12_GLOBAL__N_121softmax_warp_backwardIdddLi1ELb1ELb0ELi64EEEvPT0_PKT_S5_iiiPKb.num_agpr, 0
	.set _ZN12_GLOBAL__N_121softmax_warp_backwardIdddLi1ELb1ELb0ELi64EEEvPT0_PKT_S5_iiiPKb.numbered_sgpr, 12
	.set _ZN12_GLOBAL__N_121softmax_warp_backwardIdddLi1ELb1ELb0ELi64EEEvPT0_PKT_S5_iiiPKb.num_named_barrier, 0
	.set _ZN12_GLOBAL__N_121softmax_warp_backwardIdddLi1ELb1ELb0ELi64EEEvPT0_PKT_S5_iiiPKb.private_seg_size, 0
	.set _ZN12_GLOBAL__N_121softmax_warp_backwardIdddLi1ELb1ELb0ELi64EEEvPT0_PKT_S5_iiiPKb.uses_vcc, 1
	.set _ZN12_GLOBAL__N_121softmax_warp_backwardIdddLi1ELb1ELb0ELi64EEEvPT0_PKT_S5_iiiPKb.uses_flat_scratch, 0
	.set _ZN12_GLOBAL__N_121softmax_warp_backwardIdddLi1ELb1ELb0ELi64EEEvPT0_PKT_S5_iiiPKb.has_dyn_sized_stack, 0
	.set _ZN12_GLOBAL__N_121softmax_warp_backwardIdddLi1ELb1ELb0ELi64EEEvPT0_PKT_S5_iiiPKb.has_recursion, 0
	.set _ZN12_GLOBAL__N_121softmax_warp_backwardIdddLi1ELb1ELb0ELi64EEEvPT0_PKT_S5_iiiPKb.has_indirect_call, 0
	.section	.AMDGPU.csdata,"",@progbits
; Kernel info:
; codeLenInByte = 1316
; TotalNumSgprs: 14
; NumVgprs: 26
; ScratchSize: 0
; MemoryBound: 1
; FloatMode: 240
; IeeeMode: 1
; LDSByteSize: 0 bytes/workgroup (compile time only)
; SGPRBlocks: 0
; VGPRBlocks: 3
; NumSGPRsForWavesPerEU: 14
; NumVGPRsForWavesPerEU: 26
; Occupancy: 16
; WaveLimiterHint : 0
; COMPUTE_PGM_RSRC2:SCRATCH_EN: 0
; COMPUTE_PGM_RSRC2:USER_SGPR: 6
; COMPUTE_PGM_RSRC2:TRAP_HANDLER: 0
; COMPUTE_PGM_RSRC2:TGID_X_EN: 1
; COMPUTE_PGM_RSRC2:TGID_Y_EN: 0
; COMPUTE_PGM_RSRC2:TGID_Z_EN: 0
; COMPUTE_PGM_RSRC2:TIDIG_COMP_CNT: 1
	.section	.text._ZN12_GLOBAL__N_121softmax_warp_backwardIdddLi1ELb1ELb0ELi32EEEvPT0_PKT_S5_iiiPKb,"axG",@progbits,_ZN12_GLOBAL__N_121softmax_warp_backwardIdddLi1ELb1ELb0ELi32EEEvPT0_PKT_S5_iiiPKb,comdat
	.globl	_ZN12_GLOBAL__N_121softmax_warp_backwardIdddLi1ELb1ELb0ELi32EEEvPT0_PKT_S5_iiiPKb ; -- Begin function _ZN12_GLOBAL__N_121softmax_warp_backwardIdddLi1ELb1ELb0ELi32EEEvPT0_PKT_S5_iiiPKb
	.p2align	8
	.type	_ZN12_GLOBAL__N_121softmax_warp_backwardIdddLi1ELb1ELb0ELi32EEEvPT0_PKT_S5_iiiPKb,@function
_ZN12_GLOBAL__N_121softmax_warp_backwardIdddLi1ELb1ELb0ELi32EEEvPT0_PKT_S5_iiiPKb: ; @_ZN12_GLOBAL__N_121softmax_warp_backwardIdddLi1ELb1ELb0ELi32EEEvPT0_PKT_S5_iiiPKb
; %bb.0:
	s_clause 0x1
	s_load_dword s7, s[4:5], 0x3c
	s_load_dwordx4 s[0:3], s[4:5], 0x18
	v_and_b32_e32 v3, 1, v0
	s_clause 0x1
	s_load_dwordx4 s[8:11], s[4:5], 0x0
	s_load_dwordx2 s[4:5], s[4:5], 0x10
	v_mov_b32_e32 v12, 0
	v_mov_b32_e32 v8, 0
	;; [unrolled: 1-line block ×4, first 2 shown]
	s_waitcnt lgkmcnt(0)
	s_lshr_b32 s3, s7, 16
	v_cmp_gt_i32_e32 vcc_lo, s2, v3
	s_and_b32 s3, s3, 0xffff
	s_mul_i32 s6, s6, s3
	v_add_lshl_u32 v2, s6, v1, 1
	v_mul_lo_u32 v1, v2, s1
	v_sub_nc_u32_e32 v18, s0, v2
	v_cmp_lt_i32_e64 s0, 0, v18
	v_or_b32_e32 v0, v1, v3
	s_and_b32 s3, vcc_lo, s0
	v_ashrrev_i32_e32 v1, 31, v0
	v_lshlrev_b64 v[6:7], 3, v[0:1]
	v_add_co_u32 v10, s1, s10, v6
	v_add_co_ci_u32_e64 v11, null, s11, v7, s1
	v_add_co_u32 v4, s1, s4, v6
	v_add_co_ci_u32_e64 v5, null, s5, v7, s1
	s_and_saveexec_b32 s1, s3
	s_cbranch_execz .LBB207_2
; %bb.1:
	global_load_dwordx2 v[8:9], v[10:11], off
	global_load_dwordx2 v[12:13], v[4:5], off
.LBB207_2:
	s_or_b32 exec_lo, exec_lo, s1
	v_cmp_gt_i32_e64 s1, 2, v18
	s_xor_b32 s3, vcc_lo, -1
	s_or_b32 s1, s3, s1
	s_and_saveexec_b32 s3, s1
	s_xor_b32 s1, exec_lo, s3
                                        ; implicit-def: $vgpr0_vgpr1
; %bb.3:
	s_mov_b32 s3, 0
                                        ; implicit-def: $vgpr4
                                        ; implicit-def: $vgpr10
	v_mov_b32_e32 v0, s3
	v_mov_b32_e32 v1, s3
; %bb.4:
	s_or_saveexec_b32 s4, s1
	v_mov_b32_e32 v2, 0
	v_mov_b32_e32 v3, 0
	s_xor_b32 exec_lo, exec_lo, s4
	s_cbranch_execz .LBB207_6
; %bb.5:
	s_mov_b32 s3, 0
	s_lshl_b64 s[6:7], s[2:3], 3
	v_add_co_u32 v0, s1, v10, s6
	v_add_co_ci_u32_e64 v1, null, s7, v11, s1
	v_add_co_u32 v2, s1, v4, s6
	v_add_co_ci_u32_e64 v3, null, s7, v5, s1
	global_load_dwordx2 v[0:1], v[0:1], off
	global_load_dwordx2 v[2:3], v[2:3], off
.LBB207_6:
	s_or_b32 exec_lo, exec_lo, s4
	v_mbcnt_lo_u32_b32 v10, -1, 0
	s_waitcnt vmcnt(1)
	v_add_f64 v[14:15], v[8:9], 0
	v_add_f64 v[4:5], v[0:1], 0
	v_and_b32_e32 v11, 30, v10
	v_xor_b32_e32 v16, 1, v10
	v_add_nc_u32_e32 v11, 2, v11
	v_cmp_lt_i32_e64 s1, v16, v11
	v_cndmask_b32_e64 v10, v10, v16, s1
	v_lshlrev_b32_e32 v11, 2, v10
	ds_bpermute_b32 v16, v11, v14
	ds_bpermute_b32 v17, v11, v15
	;; [unrolled: 1-line block ×4, first 2 shown]
	s_and_saveexec_b32 s1, s0
	s_cbranch_execz .LBB207_11
; %bb.7:
	v_add_co_u32 v6, s0, s8, v6
	v_add_co_ci_u32_e64 v7, null, s9, v7, s0
	s_and_saveexec_b32 s3, vcc_lo
	s_cbranch_execz .LBB207_9
; %bb.8:
	s_mov_b32 s0, 0x652b82fe
	s_mov_b32 s1, 0x3ff71547
	;; [unrolled: 1-line block ×3, first 2 shown]
	s_waitcnt vmcnt(0)
	v_mul_f64 v[19:20], v[12:13], s[0:1]
	s_mov_b32 s0, 0xfefa39ef
	s_mov_b32 s1, 0xbfe62e42
	;; [unrolled: 1-line block ×3, first 2 shown]
	v_rndne_f64_e32 v[19:20], v[19:20]
	v_fma_f64 v[21:22], v[19:20], s[0:1], v[12:13]
	s_mov_b32 s0, 0x3b39803f
	s_mov_b32 s1, 0xbc7abc9e
	v_cvt_i32_f64_e32 v25, v[19:20]
	v_fma_f64 v[21:22], v[19:20], s[0:1], v[21:22]
	s_mov_b32 s0, 0xfca7ab0c
	s_mov_b32 s1, 0x3e928af3
	v_fma_f64 v[23:24], v[21:22], s[4:5], s[0:1]
	s_mov_b32 s0, 0x623fde64
	s_mov_b32 s1, 0x3ec71dee
	;; [unrolled: 3-line block ×9, first 2 shown]
	v_fma_f64 v[23:24], v[21:22], v[23:24], s[0:1]
	v_cmp_nlt_f64_e64 s0, 0x40900000, v[12:13]
	v_cmp_ngt_f64_e64 s1, 0xc090cc00, v[12:13]
	s_waitcnt lgkmcnt(2)
	v_add_f64 v[12:13], v[14:15], v[16:17]
	v_fma_f64 v[23:24], v[21:22], v[23:24], 1.0
	v_fma_f64 v[19:20], v[21:22], v[23:24], 1.0
	v_ldexp_f64 v[19:20], v[19:20], v25
	v_cndmask_b32_e64 v20, 0x7ff00000, v20, s0
	s_and_b32 s0, s1, s0
	v_cndmask_b32_e64 v14, 0, v19, s0
	v_cndmask_b32_e64 v15, 0, v20, s1
	v_fma_f64 v[8:9], -v[12:13], v[14:15], v[8:9]
	global_store_dwordx2 v[6:7], v[8:9], off
.LBB207_9:
	s_or_b32 exec_lo, exec_lo, s3
	v_cmp_ne_u32_e64 s0, 1, v18
	s_and_b32 s0, s0, vcc_lo
	s_and_b32 exec_lo, exec_lo, s0
	s_cbranch_execz .LBB207_11
; %bb.10:
	s_mov_b32 s0, 0x652b82fe
	s_mov_b32 s1, 0x3ff71547
	;; [unrolled: 1-line block ×3, first 2 shown]
	s_waitcnt vmcnt(0)
	v_mul_f64 v[8:9], v[2:3], s[0:1]
	s_mov_b32 s0, 0xfefa39ef
	s_mov_b32 s1, 0xbfe62e42
	;; [unrolled: 1-line block ×3, first 2 shown]
	v_cmp_nlt_f64_e32 vcc_lo, 0x40900000, v[2:3]
	s_mov_b32 s3, 0
	v_rndne_f64_e32 v[8:9], v[8:9]
	v_fma_f64 v[12:13], v[8:9], s[0:1], v[2:3]
	s_mov_b32 s0, 0x3b39803f
	s_mov_b32 s1, 0xbc7abc9e
	s_waitcnt lgkmcnt(3)
	v_cvt_i32_f64_e32 v16, v[8:9]
	v_fma_f64 v[12:13], v[8:9], s[0:1], v[12:13]
	s_mov_b32 s0, 0xfca7ab0c
	s_mov_b32 s1, 0x3e928af3
	v_fma_f64 v[14:15], v[12:13], s[4:5], s[0:1]
	s_mov_b32 s0, 0x623fde64
	s_mov_b32 s1, 0x3ec71dee
	v_fma_f64 v[14:15], v[12:13], v[14:15], s[0:1]
	s_mov_b32 s0, 0x7c89e6b0
	s_mov_b32 s1, 0x3efa0199
	v_fma_f64 v[14:15], v[12:13], v[14:15], s[0:1]
	s_mov_b32 s0, 0x14761f6e
	s_mov_b32 s1, 0x3f2a01a0
	v_fma_f64 v[14:15], v[12:13], v[14:15], s[0:1]
	s_mov_b32 s0, 0x1852b7b0
	s_mov_b32 s1, 0x3f56c16c
	v_fma_f64 v[14:15], v[12:13], v[14:15], s[0:1]
	s_mov_b32 s0, 0x11122322
	s_mov_b32 s1, 0x3f811111
	v_fma_f64 v[14:15], v[12:13], v[14:15], s[0:1]
	s_mov_b32 s0, 0x555502a1
	s_mov_b32 s1, 0x3fa55555
	v_fma_f64 v[14:15], v[12:13], v[14:15], s[0:1]
	s_mov_b32 s0, 0x55555511
	s_mov_b32 s1, 0x3fc55555
	v_fma_f64 v[14:15], v[12:13], v[14:15], s[0:1]
	s_mov_b32 s0, 11
	s_mov_b32 s1, 0x3fe00000
	v_fma_f64 v[14:15], v[12:13], v[14:15], s[0:1]
	v_cmp_ngt_f64_e64 s0, 0xc090cc00, v[2:3]
	s_waitcnt lgkmcnt(0)
	v_add_f64 v[2:3], v[4:5], v[10:11]
	v_fma_f64 v[14:15], v[12:13], v[14:15], 1.0
	v_fma_f64 v[8:9], v[12:13], v[14:15], 1.0
	v_ldexp_f64 v[8:9], v[8:9], v16
	v_cndmask_b32_e32 v9, 0x7ff00000, v9, vcc_lo
	s_and_b32 vcc_lo, s0, vcc_lo
	v_cndmask_b32_e32 v4, 0, v8, vcc_lo
	v_cndmask_b32_e64 v5, 0, v9, s0
	s_lshl_b64 s[0:1], s[2:3], 3
	v_fma_f64 v[0:1], -v[2:3], v[4:5], v[0:1]
	v_add_co_u32 v2, vcc_lo, v6, s0
	v_add_co_ci_u32_e64 v3, null, s1, v7, vcc_lo
	global_store_dwordx2 v[2:3], v[0:1], off
.LBB207_11:
	s_endpgm
	.section	.rodata,"a",@progbits
	.p2align	6, 0x0
	.amdhsa_kernel _ZN12_GLOBAL__N_121softmax_warp_backwardIdddLi1ELb1ELb0ELi32EEEvPT0_PKT_S5_iiiPKb
		.amdhsa_group_segment_fixed_size 0
		.amdhsa_private_segment_fixed_size 0
		.amdhsa_kernarg_size 304
		.amdhsa_user_sgpr_count 6
		.amdhsa_user_sgpr_private_segment_buffer 1
		.amdhsa_user_sgpr_dispatch_ptr 0
		.amdhsa_user_sgpr_queue_ptr 0
		.amdhsa_user_sgpr_kernarg_segment_ptr 1
		.amdhsa_user_sgpr_dispatch_id 0
		.amdhsa_user_sgpr_flat_scratch_init 0
		.amdhsa_user_sgpr_private_segment_size 0
		.amdhsa_wavefront_size32 1
		.amdhsa_uses_dynamic_stack 0
		.amdhsa_system_sgpr_private_segment_wavefront_offset 0
		.amdhsa_system_sgpr_workgroup_id_x 1
		.amdhsa_system_sgpr_workgroup_id_y 0
		.amdhsa_system_sgpr_workgroup_id_z 0
		.amdhsa_system_sgpr_workgroup_info 0
		.amdhsa_system_vgpr_workitem_id 1
		.amdhsa_next_free_vgpr 26
		.amdhsa_next_free_sgpr 12
		.amdhsa_reserve_vcc 1
		.amdhsa_reserve_flat_scratch 0
		.amdhsa_float_round_mode_32 0
		.amdhsa_float_round_mode_16_64 0
		.amdhsa_float_denorm_mode_32 3
		.amdhsa_float_denorm_mode_16_64 3
		.amdhsa_dx10_clamp 1
		.amdhsa_ieee_mode 1
		.amdhsa_fp16_overflow 0
		.amdhsa_workgroup_processor_mode 1
		.amdhsa_memory_ordered 1
		.amdhsa_forward_progress 1
		.amdhsa_shared_vgpr_count 0
		.amdhsa_exception_fp_ieee_invalid_op 0
		.amdhsa_exception_fp_denorm_src 0
		.amdhsa_exception_fp_ieee_div_zero 0
		.amdhsa_exception_fp_ieee_overflow 0
		.amdhsa_exception_fp_ieee_underflow 0
		.amdhsa_exception_fp_ieee_inexact 0
		.amdhsa_exception_int_div_zero 0
	.end_amdhsa_kernel
	.section	.text._ZN12_GLOBAL__N_121softmax_warp_backwardIdddLi1ELb1ELb0ELi32EEEvPT0_PKT_S5_iiiPKb,"axG",@progbits,_ZN12_GLOBAL__N_121softmax_warp_backwardIdddLi1ELb1ELb0ELi32EEEvPT0_PKT_S5_iiiPKb,comdat
.Lfunc_end207:
	.size	_ZN12_GLOBAL__N_121softmax_warp_backwardIdddLi1ELb1ELb0ELi32EEEvPT0_PKT_S5_iiiPKb, .Lfunc_end207-_ZN12_GLOBAL__N_121softmax_warp_backwardIdddLi1ELb1ELb0ELi32EEEvPT0_PKT_S5_iiiPKb
                                        ; -- End function
	.set _ZN12_GLOBAL__N_121softmax_warp_backwardIdddLi1ELb1ELb0ELi32EEEvPT0_PKT_S5_iiiPKb.num_vgpr, 26
	.set _ZN12_GLOBAL__N_121softmax_warp_backwardIdddLi1ELb1ELb0ELi32EEEvPT0_PKT_S5_iiiPKb.num_agpr, 0
	.set _ZN12_GLOBAL__N_121softmax_warp_backwardIdddLi1ELb1ELb0ELi32EEEvPT0_PKT_S5_iiiPKb.numbered_sgpr, 12
	.set _ZN12_GLOBAL__N_121softmax_warp_backwardIdddLi1ELb1ELb0ELi32EEEvPT0_PKT_S5_iiiPKb.num_named_barrier, 0
	.set _ZN12_GLOBAL__N_121softmax_warp_backwardIdddLi1ELb1ELb0ELi32EEEvPT0_PKT_S5_iiiPKb.private_seg_size, 0
	.set _ZN12_GLOBAL__N_121softmax_warp_backwardIdddLi1ELb1ELb0ELi32EEEvPT0_PKT_S5_iiiPKb.uses_vcc, 1
	.set _ZN12_GLOBAL__N_121softmax_warp_backwardIdddLi1ELb1ELb0ELi32EEEvPT0_PKT_S5_iiiPKb.uses_flat_scratch, 0
	.set _ZN12_GLOBAL__N_121softmax_warp_backwardIdddLi1ELb1ELb0ELi32EEEvPT0_PKT_S5_iiiPKb.has_dyn_sized_stack, 0
	.set _ZN12_GLOBAL__N_121softmax_warp_backwardIdddLi1ELb1ELb0ELi32EEEvPT0_PKT_S5_iiiPKb.has_recursion, 0
	.set _ZN12_GLOBAL__N_121softmax_warp_backwardIdddLi1ELb1ELb0ELi32EEEvPT0_PKT_S5_iiiPKb.has_indirect_call, 0
	.section	.AMDGPU.csdata,"",@progbits
; Kernel info:
; codeLenInByte = 1316
; TotalNumSgprs: 14
; NumVgprs: 26
; ScratchSize: 0
; MemoryBound: 1
; FloatMode: 240
; IeeeMode: 1
; LDSByteSize: 0 bytes/workgroup (compile time only)
; SGPRBlocks: 0
; VGPRBlocks: 3
; NumSGPRsForWavesPerEU: 14
; NumVGPRsForWavesPerEU: 26
; Occupancy: 16
; WaveLimiterHint : 0
; COMPUTE_PGM_RSRC2:SCRATCH_EN: 0
; COMPUTE_PGM_RSRC2:USER_SGPR: 6
; COMPUTE_PGM_RSRC2:TRAP_HANDLER: 0
; COMPUTE_PGM_RSRC2:TGID_X_EN: 1
; COMPUTE_PGM_RSRC2:TGID_Y_EN: 0
; COMPUTE_PGM_RSRC2:TGID_Z_EN: 0
; COMPUTE_PGM_RSRC2:TIDIG_COMP_CNT: 1
	.section	.text._ZN12_GLOBAL__N_121softmax_warp_backwardIdddLi2ELb1ELb0ELi64EEEvPT0_PKT_S5_iiiPKb,"axG",@progbits,_ZN12_GLOBAL__N_121softmax_warp_backwardIdddLi2ELb1ELb0ELi64EEEvPT0_PKT_S5_iiiPKb,comdat
	.globl	_ZN12_GLOBAL__N_121softmax_warp_backwardIdddLi2ELb1ELb0ELi64EEEvPT0_PKT_S5_iiiPKb ; -- Begin function _ZN12_GLOBAL__N_121softmax_warp_backwardIdddLi2ELb1ELb0ELi64EEEvPT0_PKT_S5_iiiPKb
	.p2align	8
	.type	_ZN12_GLOBAL__N_121softmax_warp_backwardIdddLi2ELb1ELb0ELi64EEEvPT0_PKT_S5_iiiPKb,@function
_ZN12_GLOBAL__N_121softmax_warp_backwardIdddLi2ELb1ELb0ELi64EEEvPT0_PKT_S5_iiiPKb: ; @_ZN12_GLOBAL__N_121softmax_warp_backwardIdddLi2ELb1ELb0ELi64EEEvPT0_PKT_S5_iiiPKb
; %bb.0:
	s_clause 0x1
	s_load_dword s7, s[4:5], 0x3c
	s_load_dwordx4 s[0:3], s[4:5], 0x18
	v_and_b32_e32 v0, 3, v0
	s_clause 0x1
	s_load_dwordx4 s[8:11], s[4:5], 0x0
	s_load_dwordx2 s[4:5], s[4:5], 0x10
	v_mov_b32_e32 v6, 0
	v_mov_b32_e32 v4, 0
	;; [unrolled: 1-line block ×4, first 2 shown]
	s_waitcnt lgkmcnt(0)
	s_lshr_b32 s3, s7, 16
	v_cmp_gt_i32_e32 vcc_lo, s2, v0
	s_and_b32 s3, s3, 0xffff
	s_mul_i32 s6, s6, s3
	v_add_lshl_u32 v3, s6, v1, 1
	v_mad_u64_u32 v[1:2], null, v3, s1, v[0:1]
	v_sub_nc_u32_e32 v18, s0, v3
	v_cmp_lt_i32_e64 s0, 0, v18
	v_ashrrev_i32_e32 v2, 31, v1
	s_and_b32 s3, vcc_lo, s0
	v_lshlrev_b64 v[10:11], 3, v[1:2]
	v_add_co_u32 v12, s1, s10, v10
	v_add_co_ci_u32_e64 v13, null, s11, v11, s1
	v_add_co_u32 v8, s1, s4, v10
	v_add_co_ci_u32_e64 v9, null, s5, v11, s1
	s_and_saveexec_b32 s1, s3
	s_cbranch_execz .LBB208_2
; %bb.1:
	global_load_dwordx2 v[4:5], v[12:13], off
	global_load_dwordx2 v[6:7], v[8:9], off
.LBB208_2:
	s_or_b32 exec_lo, exec_lo, s1
	v_cmp_gt_i32_e64 s1, 2, v18
	s_xor_b32 s3, vcc_lo, -1
	s_or_b32 s1, s3, s1
	s_and_saveexec_b32 s3, s1
	s_xor_b32 s1, exec_lo, s3
                                        ; implicit-def: $vgpr0_vgpr1
; %bb.3:
	s_mov_b32 s3, 0
                                        ; implicit-def: $vgpr8
                                        ; implicit-def: $vgpr12
	v_mov_b32_e32 v0, s3
	v_mov_b32_e32 v1, s3
; %bb.4:
	s_or_saveexec_b32 s4, s1
	v_mov_b32_e32 v2, 0
	v_mov_b32_e32 v3, 0
	s_xor_b32 exec_lo, exec_lo, s4
	s_cbranch_execz .LBB208_6
; %bb.5:
	s_mov_b32 s3, 0
	s_lshl_b64 s[6:7], s[2:3], 3
	v_add_co_u32 v0, s1, v12, s6
	v_add_co_ci_u32_e64 v1, null, s7, v13, s1
	v_add_co_u32 v2, s1, v8, s6
	v_add_co_ci_u32_e64 v3, null, s7, v9, s1
	global_load_dwordx2 v[0:1], v[0:1], off
	global_load_dwordx2 v[2:3], v[2:3], off
.LBB208_6:
	s_or_b32 exec_lo, exec_lo, s4
	v_mbcnt_lo_u32_b32 v19, -1, 0
	s_waitcnt vmcnt(1)
	v_add_f64 v[8:9], v[4:5], 0
	v_add_f64 v[12:13], v[0:1], 0
	v_and_b32_e32 v14, 28, v19
	v_xor_b32_e32 v15, 2, v19
	v_add_nc_u32_e32 v20, 4, v14
	v_cmp_lt_i32_e64 s1, v15, v20
	v_cndmask_b32_e64 v14, v19, v15, s1
	v_lshlrev_b32_e32 v17, 2, v14
	ds_bpermute_b32 v14, v17, v8
	ds_bpermute_b32 v15, v17, v9
	;; [unrolled: 1-line block ×4, first 2 shown]
	s_waitcnt lgkmcnt(2)
	v_add_f64 v[14:15], v[8:9], v[14:15]
	s_waitcnt lgkmcnt(0)
	v_add_f64 v[8:9], v[12:13], v[16:17]
	v_xor_b32_e32 v12, 1, v19
	v_cmp_lt_i32_e64 s1, v12, v20
	v_cndmask_b32_e64 v12, v19, v12, s1
	v_lshlrev_b32_e32 v13, 2, v12
	ds_bpermute_b32 v16, v13, v14
	ds_bpermute_b32 v17, v13, v15
	;; [unrolled: 1-line block ×4, first 2 shown]
	s_and_saveexec_b32 s1, s0
	s_cbranch_execz .LBB208_11
; %bb.7:
	v_add_co_u32 v10, s0, s8, v10
	v_add_co_ci_u32_e64 v11, null, s9, v11, s0
	s_and_saveexec_b32 s3, vcc_lo
	s_cbranch_execz .LBB208_9
; %bb.8:
	s_mov_b32 s0, 0x652b82fe
	s_mov_b32 s1, 0x3ff71547
	;; [unrolled: 1-line block ×3, first 2 shown]
	s_waitcnt vmcnt(0)
	v_mul_f64 v[19:20], v[6:7], s[0:1]
	s_mov_b32 s0, 0xfefa39ef
	s_mov_b32 s1, 0xbfe62e42
	;; [unrolled: 1-line block ×3, first 2 shown]
	v_rndne_f64_e32 v[19:20], v[19:20]
	v_fma_f64 v[21:22], v[19:20], s[0:1], v[6:7]
	s_mov_b32 s0, 0x3b39803f
	s_mov_b32 s1, 0xbc7abc9e
	v_cvt_i32_f64_e32 v25, v[19:20]
	v_fma_f64 v[21:22], v[19:20], s[0:1], v[21:22]
	s_mov_b32 s0, 0xfca7ab0c
	s_mov_b32 s1, 0x3e928af3
	v_fma_f64 v[23:24], v[21:22], s[4:5], s[0:1]
	s_mov_b32 s0, 0x623fde64
	s_mov_b32 s1, 0x3ec71dee
	;; [unrolled: 3-line block ×9, first 2 shown]
	v_fma_f64 v[23:24], v[21:22], v[23:24], s[0:1]
	v_cmp_nlt_f64_e64 s0, 0x40900000, v[6:7]
	v_cmp_ngt_f64_e64 s1, 0xc090cc00, v[6:7]
	s_waitcnt lgkmcnt(2)
	v_add_f64 v[6:7], v[14:15], v[16:17]
	v_fma_f64 v[23:24], v[21:22], v[23:24], 1.0
	v_fma_f64 v[19:20], v[21:22], v[23:24], 1.0
	v_ldexp_f64 v[19:20], v[19:20], v25
	v_cndmask_b32_e64 v20, 0x7ff00000, v20, s0
	s_and_b32 s0, s1, s0
	v_cndmask_b32_e64 v14, 0, v19, s0
	v_cndmask_b32_e64 v15, 0, v20, s1
	v_fma_f64 v[4:5], -v[6:7], v[14:15], v[4:5]
	global_store_dwordx2 v[10:11], v[4:5], off
.LBB208_9:
	s_or_b32 exec_lo, exec_lo, s3
	v_cmp_ne_u32_e64 s0, 1, v18
	s_and_b32 s0, s0, vcc_lo
	s_and_b32 exec_lo, exec_lo, s0
	s_cbranch_execz .LBB208_11
; %bb.10:
	s_mov_b32 s0, 0x652b82fe
	s_mov_b32 s1, 0x3ff71547
	;; [unrolled: 1-line block ×3, first 2 shown]
	s_waitcnt vmcnt(0)
	v_mul_f64 v[4:5], v[2:3], s[0:1]
	s_mov_b32 s0, 0xfefa39ef
	s_mov_b32 s1, 0xbfe62e42
	;; [unrolled: 1-line block ×3, first 2 shown]
	v_cmp_nlt_f64_e32 vcc_lo, 0x40900000, v[2:3]
	s_mov_b32 s3, 0
	v_rndne_f64_e32 v[4:5], v[4:5]
	v_fma_f64 v[6:7], v[4:5], s[0:1], v[2:3]
	s_mov_b32 s0, 0x3b39803f
	s_mov_b32 s1, 0xbc7abc9e
	s_waitcnt lgkmcnt(3)
	v_cvt_i32_f64_e32 v16, v[4:5]
	v_fma_f64 v[6:7], v[4:5], s[0:1], v[6:7]
	s_mov_b32 s0, 0xfca7ab0c
	s_mov_b32 s1, 0x3e928af3
	v_fma_f64 v[14:15], v[6:7], s[4:5], s[0:1]
	s_mov_b32 s0, 0x623fde64
	s_mov_b32 s1, 0x3ec71dee
	;; [unrolled: 3-line block ×9, first 2 shown]
	v_fma_f64 v[14:15], v[6:7], v[14:15], s[0:1]
	v_cmp_ngt_f64_e64 s0, 0xc090cc00, v[2:3]
	s_waitcnt lgkmcnt(0)
	v_add_f64 v[2:3], v[8:9], v[12:13]
	v_fma_f64 v[14:15], v[6:7], v[14:15], 1.0
	v_fma_f64 v[4:5], v[6:7], v[14:15], 1.0
	v_ldexp_f64 v[4:5], v[4:5], v16
	v_cndmask_b32_e32 v5, 0x7ff00000, v5, vcc_lo
	s_and_b32 vcc_lo, s0, vcc_lo
	v_cndmask_b32_e32 v4, 0, v4, vcc_lo
	v_cndmask_b32_e64 v5, 0, v5, s0
	s_lshl_b64 s[0:1], s[2:3], 3
	v_fma_f64 v[0:1], -v[2:3], v[4:5], v[0:1]
	v_add_co_u32 v2, vcc_lo, v10, s0
	v_add_co_ci_u32_e64 v3, null, s1, v11, vcc_lo
	global_store_dwordx2 v[2:3], v[0:1], off
.LBB208_11:
	s_endpgm
	.section	.rodata,"a",@progbits
	.p2align	6, 0x0
	.amdhsa_kernel _ZN12_GLOBAL__N_121softmax_warp_backwardIdddLi2ELb1ELb0ELi64EEEvPT0_PKT_S5_iiiPKb
		.amdhsa_group_segment_fixed_size 0
		.amdhsa_private_segment_fixed_size 0
		.amdhsa_kernarg_size 304
		.amdhsa_user_sgpr_count 6
		.amdhsa_user_sgpr_private_segment_buffer 1
		.amdhsa_user_sgpr_dispatch_ptr 0
		.amdhsa_user_sgpr_queue_ptr 0
		.amdhsa_user_sgpr_kernarg_segment_ptr 1
		.amdhsa_user_sgpr_dispatch_id 0
		.amdhsa_user_sgpr_flat_scratch_init 0
		.amdhsa_user_sgpr_private_segment_size 0
		.amdhsa_wavefront_size32 1
		.amdhsa_uses_dynamic_stack 0
		.amdhsa_system_sgpr_private_segment_wavefront_offset 0
		.amdhsa_system_sgpr_workgroup_id_x 1
		.amdhsa_system_sgpr_workgroup_id_y 0
		.amdhsa_system_sgpr_workgroup_id_z 0
		.amdhsa_system_sgpr_workgroup_info 0
		.amdhsa_system_vgpr_workitem_id 1
		.amdhsa_next_free_vgpr 26
		.amdhsa_next_free_sgpr 12
		.amdhsa_reserve_vcc 1
		.amdhsa_reserve_flat_scratch 0
		.amdhsa_float_round_mode_32 0
		.amdhsa_float_round_mode_16_64 0
		.amdhsa_float_denorm_mode_32 3
		.amdhsa_float_denorm_mode_16_64 3
		.amdhsa_dx10_clamp 1
		.amdhsa_ieee_mode 1
		.amdhsa_fp16_overflow 0
		.amdhsa_workgroup_processor_mode 1
		.amdhsa_memory_ordered 1
		.amdhsa_forward_progress 1
		.amdhsa_shared_vgpr_count 0
		.amdhsa_exception_fp_ieee_invalid_op 0
		.amdhsa_exception_fp_denorm_src 0
		.amdhsa_exception_fp_ieee_div_zero 0
		.amdhsa_exception_fp_ieee_overflow 0
		.amdhsa_exception_fp_ieee_underflow 0
		.amdhsa_exception_fp_ieee_inexact 0
		.amdhsa_exception_int_div_zero 0
	.end_amdhsa_kernel
	.section	.text._ZN12_GLOBAL__N_121softmax_warp_backwardIdddLi2ELb1ELb0ELi64EEEvPT0_PKT_S5_iiiPKb,"axG",@progbits,_ZN12_GLOBAL__N_121softmax_warp_backwardIdddLi2ELb1ELb0ELi64EEEvPT0_PKT_S5_iiiPKb,comdat
.Lfunc_end208:
	.size	_ZN12_GLOBAL__N_121softmax_warp_backwardIdddLi2ELb1ELb0ELi64EEEvPT0_PKT_S5_iiiPKb, .Lfunc_end208-_ZN12_GLOBAL__N_121softmax_warp_backwardIdddLi2ELb1ELb0ELi64EEEvPT0_PKT_S5_iiiPKb
                                        ; -- End function
	.set _ZN12_GLOBAL__N_121softmax_warp_backwardIdddLi2ELb1ELb0ELi64EEEvPT0_PKT_S5_iiiPKb.num_vgpr, 26
	.set _ZN12_GLOBAL__N_121softmax_warp_backwardIdddLi2ELb1ELb0ELi64EEEvPT0_PKT_S5_iiiPKb.num_agpr, 0
	.set _ZN12_GLOBAL__N_121softmax_warp_backwardIdddLi2ELb1ELb0ELi64EEEvPT0_PKT_S5_iiiPKb.numbered_sgpr, 12
	.set _ZN12_GLOBAL__N_121softmax_warp_backwardIdddLi2ELb1ELb0ELi64EEEvPT0_PKT_S5_iiiPKb.num_named_barrier, 0
	.set _ZN12_GLOBAL__N_121softmax_warp_backwardIdddLi2ELb1ELb0ELi64EEEvPT0_PKT_S5_iiiPKb.private_seg_size, 0
	.set _ZN12_GLOBAL__N_121softmax_warp_backwardIdddLi2ELb1ELb0ELi64EEEvPT0_PKT_S5_iiiPKb.uses_vcc, 1
	.set _ZN12_GLOBAL__N_121softmax_warp_backwardIdddLi2ELb1ELb0ELi64EEEvPT0_PKT_S5_iiiPKb.uses_flat_scratch, 0
	.set _ZN12_GLOBAL__N_121softmax_warp_backwardIdddLi2ELb1ELb0ELi64EEEvPT0_PKT_S5_iiiPKb.has_dyn_sized_stack, 0
	.set _ZN12_GLOBAL__N_121softmax_warp_backwardIdddLi2ELb1ELb0ELi64EEEvPT0_PKT_S5_iiiPKb.has_recursion, 0
	.set _ZN12_GLOBAL__N_121softmax_warp_backwardIdddLi2ELb1ELb0ELi64EEEvPT0_PKT_S5_iiiPKb.has_indirect_call, 0
	.section	.AMDGPU.csdata,"",@progbits
; Kernel info:
; codeLenInByte = 1392
; TotalNumSgprs: 14
; NumVgprs: 26
; ScratchSize: 0
; MemoryBound: 1
; FloatMode: 240
; IeeeMode: 1
; LDSByteSize: 0 bytes/workgroup (compile time only)
; SGPRBlocks: 0
; VGPRBlocks: 3
; NumSGPRsForWavesPerEU: 14
; NumVGPRsForWavesPerEU: 26
; Occupancy: 16
; WaveLimiterHint : 0
; COMPUTE_PGM_RSRC2:SCRATCH_EN: 0
; COMPUTE_PGM_RSRC2:USER_SGPR: 6
; COMPUTE_PGM_RSRC2:TRAP_HANDLER: 0
; COMPUTE_PGM_RSRC2:TGID_X_EN: 1
; COMPUTE_PGM_RSRC2:TGID_Y_EN: 0
; COMPUTE_PGM_RSRC2:TGID_Z_EN: 0
; COMPUTE_PGM_RSRC2:TIDIG_COMP_CNT: 1
	.section	.text._ZN12_GLOBAL__N_121softmax_warp_backwardIdddLi2ELb1ELb0ELi32EEEvPT0_PKT_S5_iiiPKb,"axG",@progbits,_ZN12_GLOBAL__N_121softmax_warp_backwardIdddLi2ELb1ELb0ELi32EEEvPT0_PKT_S5_iiiPKb,comdat
	.globl	_ZN12_GLOBAL__N_121softmax_warp_backwardIdddLi2ELb1ELb0ELi32EEEvPT0_PKT_S5_iiiPKb ; -- Begin function _ZN12_GLOBAL__N_121softmax_warp_backwardIdddLi2ELb1ELb0ELi32EEEvPT0_PKT_S5_iiiPKb
	.p2align	8
	.type	_ZN12_GLOBAL__N_121softmax_warp_backwardIdddLi2ELb1ELb0ELi32EEEvPT0_PKT_S5_iiiPKb,@function
_ZN12_GLOBAL__N_121softmax_warp_backwardIdddLi2ELb1ELb0ELi32EEEvPT0_PKT_S5_iiiPKb: ; @_ZN12_GLOBAL__N_121softmax_warp_backwardIdddLi2ELb1ELb0ELi32EEEvPT0_PKT_S5_iiiPKb
; %bb.0:
	s_clause 0x1
	s_load_dword s7, s[4:5], 0x3c
	s_load_dwordx4 s[0:3], s[4:5], 0x18
	v_and_b32_e32 v0, 3, v0
	s_clause 0x1
	s_load_dwordx4 s[8:11], s[4:5], 0x0
	s_load_dwordx2 s[4:5], s[4:5], 0x10
	v_mov_b32_e32 v6, 0
	v_mov_b32_e32 v4, 0
	v_mov_b32_e32 v7, 0
	v_mov_b32_e32 v5, 0
	s_waitcnt lgkmcnt(0)
	s_lshr_b32 s3, s7, 16
	v_cmp_gt_i32_e32 vcc_lo, s2, v0
	s_and_b32 s3, s3, 0xffff
	s_mul_i32 s6, s6, s3
	v_add_lshl_u32 v3, s6, v1, 1
	v_mad_u64_u32 v[1:2], null, v3, s1, v[0:1]
	v_sub_nc_u32_e32 v18, s0, v3
	v_cmp_lt_i32_e64 s0, 0, v18
	v_ashrrev_i32_e32 v2, 31, v1
	s_and_b32 s3, vcc_lo, s0
	v_lshlrev_b64 v[10:11], 3, v[1:2]
	v_add_co_u32 v12, s1, s10, v10
	v_add_co_ci_u32_e64 v13, null, s11, v11, s1
	v_add_co_u32 v8, s1, s4, v10
	v_add_co_ci_u32_e64 v9, null, s5, v11, s1
	s_and_saveexec_b32 s1, s3
	s_cbranch_execz .LBB209_2
; %bb.1:
	global_load_dwordx2 v[4:5], v[12:13], off
	global_load_dwordx2 v[6:7], v[8:9], off
.LBB209_2:
	s_or_b32 exec_lo, exec_lo, s1
	v_cmp_gt_i32_e64 s1, 2, v18
	s_xor_b32 s3, vcc_lo, -1
	s_or_b32 s1, s3, s1
	s_and_saveexec_b32 s3, s1
	s_xor_b32 s1, exec_lo, s3
                                        ; implicit-def: $vgpr0_vgpr1
; %bb.3:
	s_mov_b32 s3, 0
                                        ; implicit-def: $vgpr8
                                        ; implicit-def: $vgpr12
	v_mov_b32_e32 v0, s3
	v_mov_b32_e32 v1, s3
; %bb.4:
	s_or_saveexec_b32 s4, s1
	v_mov_b32_e32 v2, 0
	v_mov_b32_e32 v3, 0
	s_xor_b32 exec_lo, exec_lo, s4
	s_cbranch_execz .LBB209_6
; %bb.5:
	s_mov_b32 s3, 0
	s_lshl_b64 s[6:7], s[2:3], 3
	v_add_co_u32 v0, s1, v12, s6
	v_add_co_ci_u32_e64 v1, null, s7, v13, s1
	v_add_co_u32 v2, s1, v8, s6
	v_add_co_ci_u32_e64 v3, null, s7, v9, s1
	global_load_dwordx2 v[0:1], v[0:1], off
	global_load_dwordx2 v[2:3], v[2:3], off
.LBB209_6:
	s_or_b32 exec_lo, exec_lo, s4
	v_mbcnt_lo_u32_b32 v19, -1, 0
	s_waitcnt vmcnt(1)
	v_add_f64 v[8:9], v[4:5], 0
	v_add_f64 v[12:13], v[0:1], 0
	v_and_b32_e32 v14, 28, v19
	v_xor_b32_e32 v15, 2, v19
	v_add_nc_u32_e32 v20, 4, v14
	v_cmp_lt_i32_e64 s1, v15, v20
	v_cndmask_b32_e64 v14, v19, v15, s1
	v_lshlrev_b32_e32 v17, 2, v14
	ds_bpermute_b32 v14, v17, v8
	ds_bpermute_b32 v15, v17, v9
	;; [unrolled: 1-line block ×4, first 2 shown]
	s_waitcnt lgkmcnt(2)
	v_add_f64 v[14:15], v[8:9], v[14:15]
	s_waitcnt lgkmcnt(0)
	v_add_f64 v[8:9], v[12:13], v[16:17]
	v_xor_b32_e32 v12, 1, v19
	v_cmp_lt_i32_e64 s1, v12, v20
	v_cndmask_b32_e64 v12, v19, v12, s1
	v_lshlrev_b32_e32 v13, 2, v12
	ds_bpermute_b32 v16, v13, v14
	ds_bpermute_b32 v17, v13, v15
	;; [unrolled: 1-line block ×4, first 2 shown]
	s_and_saveexec_b32 s1, s0
	s_cbranch_execz .LBB209_11
; %bb.7:
	v_add_co_u32 v10, s0, s8, v10
	v_add_co_ci_u32_e64 v11, null, s9, v11, s0
	s_and_saveexec_b32 s3, vcc_lo
	s_cbranch_execz .LBB209_9
; %bb.8:
	s_mov_b32 s0, 0x652b82fe
	s_mov_b32 s1, 0x3ff71547
	;; [unrolled: 1-line block ×3, first 2 shown]
	s_waitcnt vmcnt(0)
	v_mul_f64 v[19:20], v[6:7], s[0:1]
	s_mov_b32 s0, 0xfefa39ef
	s_mov_b32 s1, 0xbfe62e42
	;; [unrolled: 1-line block ×3, first 2 shown]
	v_rndne_f64_e32 v[19:20], v[19:20]
	v_fma_f64 v[21:22], v[19:20], s[0:1], v[6:7]
	s_mov_b32 s0, 0x3b39803f
	s_mov_b32 s1, 0xbc7abc9e
	v_cvt_i32_f64_e32 v25, v[19:20]
	v_fma_f64 v[21:22], v[19:20], s[0:1], v[21:22]
	s_mov_b32 s0, 0xfca7ab0c
	s_mov_b32 s1, 0x3e928af3
	v_fma_f64 v[23:24], v[21:22], s[4:5], s[0:1]
	s_mov_b32 s0, 0x623fde64
	s_mov_b32 s1, 0x3ec71dee
	;; [unrolled: 3-line block ×9, first 2 shown]
	v_fma_f64 v[23:24], v[21:22], v[23:24], s[0:1]
	v_cmp_nlt_f64_e64 s0, 0x40900000, v[6:7]
	v_cmp_ngt_f64_e64 s1, 0xc090cc00, v[6:7]
	s_waitcnt lgkmcnt(2)
	v_add_f64 v[6:7], v[14:15], v[16:17]
	v_fma_f64 v[23:24], v[21:22], v[23:24], 1.0
	v_fma_f64 v[19:20], v[21:22], v[23:24], 1.0
	v_ldexp_f64 v[19:20], v[19:20], v25
	v_cndmask_b32_e64 v20, 0x7ff00000, v20, s0
	s_and_b32 s0, s1, s0
	v_cndmask_b32_e64 v14, 0, v19, s0
	v_cndmask_b32_e64 v15, 0, v20, s1
	v_fma_f64 v[4:5], -v[6:7], v[14:15], v[4:5]
	global_store_dwordx2 v[10:11], v[4:5], off
.LBB209_9:
	s_or_b32 exec_lo, exec_lo, s3
	v_cmp_ne_u32_e64 s0, 1, v18
	s_and_b32 s0, s0, vcc_lo
	s_and_b32 exec_lo, exec_lo, s0
	s_cbranch_execz .LBB209_11
; %bb.10:
	s_mov_b32 s0, 0x652b82fe
	s_mov_b32 s1, 0x3ff71547
	;; [unrolled: 1-line block ×3, first 2 shown]
	s_waitcnt vmcnt(0)
	v_mul_f64 v[4:5], v[2:3], s[0:1]
	s_mov_b32 s0, 0xfefa39ef
	s_mov_b32 s1, 0xbfe62e42
	;; [unrolled: 1-line block ×3, first 2 shown]
	v_cmp_nlt_f64_e32 vcc_lo, 0x40900000, v[2:3]
	s_mov_b32 s3, 0
	v_rndne_f64_e32 v[4:5], v[4:5]
	v_fma_f64 v[6:7], v[4:5], s[0:1], v[2:3]
	s_mov_b32 s0, 0x3b39803f
	s_mov_b32 s1, 0xbc7abc9e
	s_waitcnt lgkmcnt(3)
	v_cvt_i32_f64_e32 v16, v[4:5]
	v_fma_f64 v[6:7], v[4:5], s[0:1], v[6:7]
	s_mov_b32 s0, 0xfca7ab0c
	s_mov_b32 s1, 0x3e928af3
	v_fma_f64 v[14:15], v[6:7], s[4:5], s[0:1]
	s_mov_b32 s0, 0x623fde64
	s_mov_b32 s1, 0x3ec71dee
	;; [unrolled: 3-line block ×9, first 2 shown]
	v_fma_f64 v[14:15], v[6:7], v[14:15], s[0:1]
	v_cmp_ngt_f64_e64 s0, 0xc090cc00, v[2:3]
	s_waitcnt lgkmcnt(0)
	v_add_f64 v[2:3], v[8:9], v[12:13]
	v_fma_f64 v[14:15], v[6:7], v[14:15], 1.0
	v_fma_f64 v[4:5], v[6:7], v[14:15], 1.0
	v_ldexp_f64 v[4:5], v[4:5], v16
	v_cndmask_b32_e32 v5, 0x7ff00000, v5, vcc_lo
	s_and_b32 vcc_lo, s0, vcc_lo
	v_cndmask_b32_e32 v4, 0, v4, vcc_lo
	v_cndmask_b32_e64 v5, 0, v5, s0
	s_lshl_b64 s[0:1], s[2:3], 3
	v_fma_f64 v[0:1], -v[2:3], v[4:5], v[0:1]
	v_add_co_u32 v2, vcc_lo, v10, s0
	v_add_co_ci_u32_e64 v3, null, s1, v11, vcc_lo
	global_store_dwordx2 v[2:3], v[0:1], off
.LBB209_11:
	s_endpgm
	.section	.rodata,"a",@progbits
	.p2align	6, 0x0
	.amdhsa_kernel _ZN12_GLOBAL__N_121softmax_warp_backwardIdddLi2ELb1ELb0ELi32EEEvPT0_PKT_S5_iiiPKb
		.amdhsa_group_segment_fixed_size 0
		.amdhsa_private_segment_fixed_size 0
		.amdhsa_kernarg_size 304
		.amdhsa_user_sgpr_count 6
		.amdhsa_user_sgpr_private_segment_buffer 1
		.amdhsa_user_sgpr_dispatch_ptr 0
		.amdhsa_user_sgpr_queue_ptr 0
		.amdhsa_user_sgpr_kernarg_segment_ptr 1
		.amdhsa_user_sgpr_dispatch_id 0
		.amdhsa_user_sgpr_flat_scratch_init 0
		.amdhsa_user_sgpr_private_segment_size 0
		.amdhsa_wavefront_size32 1
		.amdhsa_uses_dynamic_stack 0
		.amdhsa_system_sgpr_private_segment_wavefront_offset 0
		.amdhsa_system_sgpr_workgroup_id_x 1
		.amdhsa_system_sgpr_workgroup_id_y 0
		.amdhsa_system_sgpr_workgroup_id_z 0
		.amdhsa_system_sgpr_workgroup_info 0
		.amdhsa_system_vgpr_workitem_id 1
		.amdhsa_next_free_vgpr 26
		.amdhsa_next_free_sgpr 12
		.amdhsa_reserve_vcc 1
		.amdhsa_reserve_flat_scratch 0
		.amdhsa_float_round_mode_32 0
		.amdhsa_float_round_mode_16_64 0
		.amdhsa_float_denorm_mode_32 3
		.amdhsa_float_denorm_mode_16_64 3
		.amdhsa_dx10_clamp 1
		.amdhsa_ieee_mode 1
		.amdhsa_fp16_overflow 0
		.amdhsa_workgroup_processor_mode 1
		.amdhsa_memory_ordered 1
		.amdhsa_forward_progress 1
		.amdhsa_shared_vgpr_count 0
		.amdhsa_exception_fp_ieee_invalid_op 0
		.amdhsa_exception_fp_denorm_src 0
		.amdhsa_exception_fp_ieee_div_zero 0
		.amdhsa_exception_fp_ieee_overflow 0
		.amdhsa_exception_fp_ieee_underflow 0
		.amdhsa_exception_fp_ieee_inexact 0
		.amdhsa_exception_int_div_zero 0
	.end_amdhsa_kernel
	.section	.text._ZN12_GLOBAL__N_121softmax_warp_backwardIdddLi2ELb1ELb0ELi32EEEvPT0_PKT_S5_iiiPKb,"axG",@progbits,_ZN12_GLOBAL__N_121softmax_warp_backwardIdddLi2ELb1ELb0ELi32EEEvPT0_PKT_S5_iiiPKb,comdat
.Lfunc_end209:
	.size	_ZN12_GLOBAL__N_121softmax_warp_backwardIdddLi2ELb1ELb0ELi32EEEvPT0_PKT_S5_iiiPKb, .Lfunc_end209-_ZN12_GLOBAL__N_121softmax_warp_backwardIdddLi2ELb1ELb0ELi32EEEvPT0_PKT_S5_iiiPKb
                                        ; -- End function
	.set _ZN12_GLOBAL__N_121softmax_warp_backwardIdddLi2ELb1ELb0ELi32EEEvPT0_PKT_S5_iiiPKb.num_vgpr, 26
	.set _ZN12_GLOBAL__N_121softmax_warp_backwardIdddLi2ELb1ELb0ELi32EEEvPT0_PKT_S5_iiiPKb.num_agpr, 0
	.set _ZN12_GLOBAL__N_121softmax_warp_backwardIdddLi2ELb1ELb0ELi32EEEvPT0_PKT_S5_iiiPKb.numbered_sgpr, 12
	.set _ZN12_GLOBAL__N_121softmax_warp_backwardIdddLi2ELb1ELb0ELi32EEEvPT0_PKT_S5_iiiPKb.num_named_barrier, 0
	.set _ZN12_GLOBAL__N_121softmax_warp_backwardIdddLi2ELb1ELb0ELi32EEEvPT0_PKT_S5_iiiPKb.private_seg_size, 0
	.set _ZN12_GLOBAL__N_121softmax_warp_backwardIdddLi2ELb1ELb0ELi32EEEvPT0_PKT_S5_iiiPKb.uses_vcc, 1
	.set _ZN12_GLOBAL__N_121softmax_warp_backwardIdddLi2ELb1ELb0ELi32EEEvPT0_PKT_S5_iiiPKb.uses_flat_scratch, 0
	.set _ZN12_GLOBAL__N_121softmax_warp_backwardIdddLi2ELb1ELb0ELi32EEEvPT0_PKT_S5_iiiPKb.has_dyn_sized_stack, 0
	.set _ZN12_GLOBAL__N_121softmax_warp_backwardIdddLi2ELb1ELb0ELi32EEEvPT0_PKT_S5_iiiPKb.has_recursion, 0
	.set _ZN12_GLOBAL__N_121softmax_warp_backwardIdddLi2ELb1ELb0ELi32EEEvPT0_PKT_S5_iiiPKb.has_indirect_call, 0
	.section	.AMDGPU.csdata,"",@progbits
; Kernel info:
; codeLenInByte = 1392
; TotalNumSgprs: 14
; NumVgprs: 26
; ScratchSize: 0
; MemoryBound: 1
; FloatMode: 240
; IeeeMode: 1
; LDSByteSize: 0 bytes/workgroup (compile time only)
; SGPRBlocks: 0
; VGPRBlocks: 3
; NumSGPRsForWavesPerEU: 14
; NumVGPRsForWavesPerEU: 26
; Occupancy: 16
; WaveLimiterHint : 0
; COMPUTE_PGM_RSRC2:SCRATCH_EN: 0
; COMPUTE_PGM_RSRC2:USER_SGPR: 6
; COMPUTE_PGM_RSRC2:TRAP_HANDLER: 0
; COMPUTE_PGM_RSRC2:TGID_X_EN: 1
; COMPUTE_PGM_RSRC2:TGID_Y_EN: 0
; COMPUTE_PGM_RSRC2:TGID_Z_EN: 0
; COMPUTE_PGM_RSRC2:TIDIG_COMP_CNT: 1
	.section	.text._ZN12_GLOBAL__N_121softmax_warp_backwardIdddLi3ELb1ELb0ELi64EEEvPT0_PKT_S5_iiiPKb,"axG",@progbits,_ZN12_GLOBAL__N_121softmax_warp_backwardIdddLi3ELb1ELb0ELi64EEEvPT0_PKT_S5_iiiPKb,comdat
	.globl	_ZN12_GLOBAL__N_121softmax_warp_backwardIdddLi3ELb1ELb0ELi64EEEvPT0_PKT_S5_iiiPKb ; -- Begin function _ZN12_GLOBAL__N_121softmax_warp_backwardIdddLi3ELb1ELb0ELi64EEEvPT0_PKT_S5_iiiPKb
	.p2align	8
	.type	_ZN12_GLOBAL__N_121softmax_warp_backwardIdddLi3ELb1ELb0ELi64EEEvPT0_PKT_S5_iiiPKb,@function
_ZN12_GLOBAL__N_121softmax_warp_backwardIdddLi3ELb1ELb0ELi64EEEvPT0_PKT_S5_iiiPKb: ; @_ZN12_GLOBAL__N_121softmax_warp_backwardIdddLi3ELb1ELb0ELi64EEEvPT0_PKT_S5_iiiPKb
; %bb.0:
	s_clause 0x1
	s_load_dword s7, s[4:5], 0x3c
	s_load_dwordx4 s[0:3], s[4:5], 0x18
	v_and_b32_e32 v0, 7, v0
	s_clause 0x1
	s_load_dwordx4 s[8:11], s[4:5], 0x0
	s_load_dwordx2 s[4:5], s[4:5], 0x10
	v_mov_b32_e32 v6, 0
	v_mov_b32_e32 v4, 0
	v_mov_b32_e32 v7, 0
	v_mov_b32_e32 v5, 0
	s_waitcnt lgkmcnt(0)
	s_lshr_b32 s3, s7, 16
	v_cmp_gt_i32_e32 vcc_lo, s2, v0
	s_and_b32 s3, s3, 0xffff
	s_mul_i32 s6, s6, s3
	v_add_lshl_u32 v3, s6, v1, 1
	v_mad_u64_u32 v[1:2], null, v3, s1, v[0:1]
	v_sub_nc_u32_e32 v18, s0, v3
	v_cmp_lt_i32_e64 s0, 0, v18
	v_ashrrev_i32_e32 v2, 31, v1
	s_and_b32 s3, vcc_lo, s0
	v_lshlrev_b64 v[10:11], 3, v[1:2]
	v_add_co_u32 v12, s1, s10, v10
	v_add_co_ci_u32_e64 v13, null, s11, v11, s1
	v_add_co_u32 v8, s1, s4, v10
	v_add_co_ci_u32_e64 v9, null, s5, v11, s1
	s_and_saveexec_b32 s1, s3
	s_cbranch_execz .LBB210_2
; %bb.1:
	global_load_dwordx2 v[4:5], v[12:13], off
	global_load_dwordx2 v[6:7], v[8:9], off
.LBB210_2:
	s_or_b32 exec_lo, exec_lo, s1
	v_cmp_gt_i32_e64 s1, 2, v18
	s_xor_b32 s3, vcc_lo, -1
	s_or_b32 s1, s3, s1
	s_and_saveexec_b32 s3, s1
	s_xor_b32 s1, exec_lo, s3
                                        ; implicit-def: $vgpr0_vgpr1
; %bb.3:
	s_mov_b32 s3, 0
                                        ; implicit-def: $vgpr8
                                        ; implicit-def: $vgpr12
	v_mov_b32_e32 v0, s3
	v_mov_b32_e32 v1, s3
; %bb.4:
	s_or_saveexec_b32 s4, s1
	v_mov_b32_e32 v2, 0
	v_mov_b32_e32 v3, 0
	s_xor_b32 exec_lo, exec_lo, s4
	s_cbranch_execz .LBB210_6
; %bb.5:
	s_mov_b32 s3, 0
	s_lshl_b64 s[6:7], s[2:3], 3
	v_add_co_u32 v0, s1, v12, s6
	v_add_co_ci_u32_e64 v1, null, s7, v13, s1
	v_add_co_u32 v2, s1, v8, s6
	v_add_co_ci_u32_e64 v3, null, s7, v9, s1
	global_load_dwordx2 v[0:1], v[0:1], off
	global_load_dwordx2 v[2:3], v[2:3], off
.LBB210_6:
	s_or_b32 exec_lo, exec_lo, s4
	v_mbcnt_lo_u32_b32 v19, -1, 0
	s_waitcnt vmcnt(1)
	v_add_f64 v[8:9], v[4:5], 0
	v_add_f64 v[12:13], v[0:1], 0
	v_and_b32_e32 v14, 24, v19
	v_xor_b32_e32 v15, 4, v19
	v_add_nc_u32_e32 v20, 8, v14
	v_cmp_lt_i32_e64 s1, v15, v20
	v_cndmask_b32_e64 v14, v19, v15, s1
	v_lshlrev_b32_e32 v17, 2, v14
	ds_bpermute_b32 v14, v17, v8
	ds_bpermute_b32 v15, v17, v9
	ds_bpermute_b32 v16, v17, v12
	ds_bpermute_b32 v17, v17, v13
	s_waitcnt lgkmcnt(2)
	v_add_f64 v[8:9], v[8:9], v[14:15]
	v_xor_b32_e32 v14, 2, v19
	s_waitcnt lgkmcnt(0)
	v_add_f64 v[12:13], v[12:13], v[16:17]
	v_cmp_lt_i32_e64 s1, v14, v20
	v_cndmask_b32_e64 v14, v19, v14, s1
	v_lshlrev_b32_e32 v17, 2, v14
	ds_bpermute_b32 v14, v17, v8
	ds_bpermute_b32 v15, v17, v9
	;; [unrolled: 1-line block ×4, first 2 shown]
	s_waitcnt lgkmcnt(2)
	v_add_f64 v[14:15], v[8:9], v[14:15]
	s_waitcnt lgkmcnt(0)
	v_add_f64 v[8:9], v[12:13], v[16:17]
	v_xor_b32_e32 v12, 1, v19
	v_cmp_lt_i32_e64 s1, v12, v20
	v_cndmask_b32_e64 v12, v19, v12, s1
	v_lshlrev_b32_e32 v13, 2, v12
	ds_bpermute_b32 v16, v13, v14
	ds_bpermute_b32 v17, v13, v15
	;; [unrolled: 1-line block ×4, first 2 shown]
	s_and_saveexec_b32 s1, s0
	s_cbranch_execz .LBB210_11
; %bb.7:
	v_add_co_u32 v10, s0, s8, v10
	v_add_co_ci_u32_e64 v11, null, s9, v11, s0
	s_and_saveexec_b32 s3, vcc_lo
	s_cbranch_execz .LBB210_9
; %bb.8:
	s_mov_b32 s0, 0x652b82fe
	s_mov_b32 s1, 0x3ff71547
	;; [unrolled: 1-line block ×3, first 2 shown]
	s_waitcnt vmcnt(0)
	v_mul_f64 v[19:20], v[6:7], s[0:1]
	s_mov_b32 s0, 0xfefa39ef
	s_mov_b32 s1, 0xbfe62e42
	;; [unrolled: 1-line block ×3, first 2 shown]
	v_rndne_f64_e32 v[19:20], v[19:20]
	v_fma_f64 v[21:22], v[19:20], s[0:1], v[6:7]
	s_mov_b32 s0, 0x3b39803f
	s_mov_b32 s1, 0xbc7abc9e
	v_cvt_i32_f64_e32 v25, v[19:20]
	v_fma_f64 v[21:22], v[19:20], s[0:1], v[21:22]
	s_mov_b32 s0, 0xfca7ab0c
	s_mov_b32 s1, 0x3e928af3
	v_fma_f64 v[23:24], v[21:22], s[4:5], s[0:1]
	s_mov_b32 s0, 0x623fde64
	s_mov_b32 s1, 0x3ec71dee
	;; [unrolled: 3-line block ×9, first 2 shown]
	v_fma_f64 v[23:24], v[21:22], v[23:24], s[0:1]
	v_cmp_nlt_f64_e64 s0, 0x40900000, v[6:7]
	v_cmp_ngt_f64_e64 s1, 0xc090cc00, v[6:7]
	s_waitcnt lgkmcnt(2)
	v_add_f64 v[6:7], v[14:15], v[16:17]
	v_fma_f64 v[23:24], v[21:22], v[23:24], 1.0
	v_fma_f64 v[19:20], v[21:22], v[23:24], 1.0
	v_ldexp_f64 v[19:20], v[19:20], v25
	v_cndmask_b32_e64 v20, 0x7ff00000, v20, s0
	s_and_b32 s0, s1, s0
	v_cndmask_b32_e64 v14, 0, v19, s0
	v_cndmask_b32_e64 v15, 0, v20, s1
	v_fma_f64 v[4:5], -v[6:7], v[14:15], v[4:5]
	global_store_dwordx2 v[10:11], v[4:5], off
.LBB210_9:
	s_or_b32 exec_lo, exec_lo, s3
	v_cmp_ne_u32_e64 s0, 1, v18
	s_and_b32 s0, s0, vcc_lo
	s_and_b32 exec_lo, exec_lo, s0
	s_cbranch_execz .LBB210_11
; %bb.10:
	s_mov_b32 s0, 0x652b82fe
	s_mov_b32 s1, 0x3ff71547
	;; [unrolled: 1-line block ×3, first 2 shown]
	s_waitcnt vmcnt(0)
	v_mul_f64 v[4:5], v[2:3], s[0:1]
	s_mov_b32 s0, 0xfefa39ef
	s_mov_b32 s1, 0xbfe62e42
	;; [unrolled: 1-line block ×3, first 2 shown]
	v_cmp_nlt_f64_e32 vcc_lo, 0x40900000, v[2:3]
	s_mov_b32 s3, 0
	v_rndne_f64_e32 v[4:5], v[4:5]
	v_fma_f64 v[6:7], v[4:5], s[0:1], v[2:3]
	s_mov_b32 s0, 0x3b39803f
	s_mov_b32 s1, 0xbc7abc9e
	s_waitcnt lgkmcnt(3)
	v_cvt_i32_f64_e32 v16, v[4:5]
	v_fma_f64 v[6:7], v[4:5], s[0:1], v[6:7]
	s_mov_b32 s0, 0xfca7ab0c
	s_mov_b32 s1, 0x3e928af3
	v_fma_f64 v[14:15], v[6:7], s[4:5], s[0:1]
	s_mov_b32 s0, 0x623fde64
	s_mov_b32 s1, 0x3ec71dee
	;; [unrolled: 3-line block ×9, first 2 shown]
	v_fma_f64 v[14:15], v[6:7], v[14:15], s[0:1]
	v_cmp_ngt_f64_e64 s0, 0xc090cc00, v[2:3]
	s_waitcnt lgkmcnt(0)
	v_add_f64 v[2:3], v[8:9], v[12:13]
	v_fma_f64 v[14:15], v[6:7], v[14:15], 1.0
	v_fma_f64 v[4:5], v[6:7], v[14:15], 1.0
	v_ldexp_f64 v[4:5], v[4:5], v16
	v_cndmask_b32_e32 v5, 0x7ff00000, v5, vcc_lo
	s_and_b32 vcc_lo, s0, vcc_lo
	v_cndmask_b32_e32 v4, 0, v4, vcc_lo
	v_cndmask_b32_e64 v5, 0, v5, s0
	s_lshl_b64 s[0:1], s[2:3], 3
	v_fma_f64 v[0:1], -v[2:3], v[4:5], v[0:1]
	v_add_co_u32 v2, vcc_lo, v10, s0
	v_add_co_ci_u32_e64 v3, null, s1, v11, vcc_lo
	global_store_dwordx2 v[2:3], v[0:1], off
.LBB210_11:
	s_endpgm
	.section	.rodata,"a",@progbits
	.p2align	6, 0x0
	.amdhsa_kernel _ZN12_GLOBAL__N_121softmax_warp_backwardIdddLi3ELb1ELb0ELi64EEEvPT0_PKT_S5_iiiPKb
		.amdhsa_group_segment_fixed_size 0
		.amdhsa_private_segment_fixed_size 0
		.amdhsa_kernarg_size 304
		.amdhsa_user_sgpr_count 6
		.amdhsa_user_sgpr_private_segment_buffer 1
		.amdhsa_user_sgpr_dispatch_ptr 0
		.amdhsa_user_sgpr_queue_ptr 0
		.amdhsa_user_sgpr_kernarg_segment_ptr 1
		.amdhsa_user_sgpr_dispatch_id 0
		.amdhsa_user_sgpr_flat_scratch_init 0
		.amdhsa_user_sgpr_private_segment_size 0
		.amdhsa_wavefront_size32 1
		.amdhsa_uses_dynamic_stack 0
		.amdhsa_system_sgpr_private_segment_wavefront_offset 0
		.amdhsa_system_sgpr_workgroup_id_x 1
		.amdhsa_system_sgpr_workgroup_id_y 0
		.amdhsa_system_sgpr_workgroup_id_z 0
		.amdhsa_system_sgpr_workgroup_info 0
		.amdhsa_system_vgpr_workitem_id 1
		.amdhsa_next_free_vgpr 26
		.amdhsa_next_free_sgpr 12
		.amdhsa_reserve_vcc 1
		.amdhsa_reserve_flat_scratch 0
		.amdhsa_float_round_mode_32 0
		.amdhsa_float_round_mode_16_64 0
		.amdhsa_float_denorm_mode_32 3
		.amdhsa_float_denorm_mode_16_64 3
		.amdhsa_dx10_clamp 1
		.amdhsa_ieee_mode 1
		.amdhsa_fp16_overflow 0
		.amdhsa_workgroup_processor_mode 1
		.amdhsa_memory_ordered 1
		.amdhsa_forward_progress 1
		.amdhsa_shared_vgpr_count 0
		.amdhsa_exception_fp_ieee_invalid_op 0
		.amdhsa_exception_fp_denorm_src 0
		.amdhsa_exception_fp_ieee_div_zero 0
		.amdhsa_exception_fp_ieee_overflow 0
		.amdhsa_exception_fp_ieee_underflow 0
		.amdhsa_exception_fp_ieee_inexact 0
		.amdhsa_exception_int_div_zero 0
	.end_amdhsa_kernel
	.section	.text._ZN12_GLOBAL__N_121softmax_warp_backwardIdddLi3ELb1ELb0ELi64EEEvPT0_PKT_S5_iiiPKb,"axG",@progbits,_ZN12_GLOBAL__N_121softmax_warp_backwardIdddLi3ELb1ELb0ELi64EEEvPT0_PKT_S5_iiiPKb,comdat
.Lfunc_end210:
	.size	_ZN12_GLOBAL__N_121softmax_warp_backwardIdddLi3ELb1ELb0ELi64EEEvPT0_PKT_S5_iiiPKb, .Lfunc_end210-_ZN12_GLOBAL__N_121softmax_warp_backwardIdddLi3ELb1ELb0ELi64EEEvPT0_PKT_S5_iiiPKb
                                        ; -- End function
	.set _ZN12_GLOBAL__N_121softmax_warp_backwardIdddLi3ELb1ELb0ELi64EEEvPT0_PKT_S5_iiiPKb.num_vgpr, 26
	.set _ZN12_GLOBAL__N_121softmax_warp_backwardIdddLi3ELb1ELb0ELi64EEEvPT0_PKT_S5_iiiPKb.num_agpr, 0
	.set _ZN12_GLOBAL__N_121softmax_warp_backwardIdddLi3ELb1ELb0ELi64EEEvPT0_PKT_S5_iiiPKb.numbered_sgpr, 12
	.set _ZN12_GLOBAL__N_121softmax_warp_backwardIdddLi3ELb1ELb0ELi64EEEvPT0_PKT_S5_iiiPKb.num_named_barrier, 0
	.set _ZN12_GLOBAL__N_121softmax_warp_backwardIdddLi3ELb1ELb0ELi64EEEvPT0_PKT_S5_iiiPKb.private_seg_size, 0
	.set _ZN12_GLOBAL__N_121softmax_warp_backwardIdddLi3ELb1ELb0ELi64EEEvPT0_PKT_S5_iiiPKb.uses_vcc, 1
	.set _ZN12_GLOBAL__N_121softmax_warp_backwardIdddLi3ELb1ELb0ELi64EEEvPT0_PKT_S5_iiiPKb.uses_flat_scratch, 0
	.set _ZN12_GLOBAL__N_121softmax_warp_backwardIdddLi3ELb1ELb0ELi64EEEvPT0_PKT_S5_iiiPKb.has_dyn_sized_stack, 0
	.set _ZN12_GLOBAL__N_121softmax_warp_backwardIdddLi3ELb1ELb0ELi64EEEvPT0_PKT_S5_iiiPKb.has_recursion, 0
	.set _ZN12_GLOBAL__N_121softmax_warp_backwardIdddLi3ELb1ELb0ELi64EEEvPT0_PKT_S5_iiiPKb.has_indirect_call, 0
	.section	.AMDGPU.csdata,"",@progbits
; Kernel info:
; codeLenInByte = 1472
; TotalNumSgprs: 14
; NumVgprs: 26
; ScratchSize: 0
; MemoryBound: 1
; FloatMode: 240
; IeeeMode: 1
; LDSByteSize: 0 bytes/workgroup (compile time only)
; SGPRBlocks: 0
; VGPRBlocks: 3
; NumSGPRsForWavesPerEU: 14
; NumVGPRsForWavesPerEU: 26
; Occupancy: 16
; WaveLimiterHint : 0
; COMPUTE_PGM_RSRC2:SCRATCH_EN: 0
; COMPUTE_PGM_RSRC2:USER_SGPR: 6
; COMPUTE_PGM_RSRC2:TRAP_HANDLER: 0
; COMPUTE_PGM_RSRC2:TGID_X_EN: 1
; COMPUTE_PGM_RSRC2:TGID_Y_EN: 0
; COMPUTE_PGM_RSRC2:TGID_Z_EN: 0
; COMPUTE_PGM_RSRC2:TIDIG_COMP_CNT: 1
	.section	.text._ZN12_GLOBAL__N_121softmax_warp_backwardIdddLi3ELb1ELb0ELi32EEEvPT0_PKT_S5_iiiPKb,"axG",@progbits,_ZN12_GLOBAL__N_121softmax_warp_backwardIdddLi3ELb1ELb0ELi32EEEvPT0_PKT_S5_iiiPKb,comdat
	.globl	_ZN12_GLOBAL__N_121softmax_warp_backwardIdddLi3ELb1ELb0ELi32EEEvPT0_PKT_S5_iiiPKb ; -- Begin function _ZN12_GLOBAL__N_121softmax_warp_backwardIdddLi3ELb1ELb0ELi32EEEvPT0_PKT_S5_iiiPKb
	.p2align	8
	.type	_ZN12_GLOBAL__N_121softmax_warp_backwardIdddLi3ELb1ELb0ELi32EEEvPT0_PKT_S5_iiiPKb,@function
_ZN12_GLOBAL__N_121softmax_warp_backwardIdddLi3ELb1ELb0ELi32EEEvPT0_PKT_S5_iiiPKb: ; @_ZN12_GLOBAL__N_121softmax_warp_backwardIdddLi3ELb1ELb0ELi32EEEvPT0_PKT_S5_iiiPKb
; %bb.0:
	s_clause 0x1
	s_load_dword s7, s[4:5], 0x3c
	s_load_dwordx4 s[0:3], s[4:5], 0x18
	v_and_b32_e32 v0, 7, v0
	s_clause 0x1
	s_load_dwordx4 s[8:11], s[4:5], 0x0
	s_load_dwordx2 s[4:5], s[4:5], 0x10
	v_mov_b32_e32 v6, 0
	v_mov_b32_e32 v4, 0
	;; [unrolled: 1-line block ×4, first 2 shown]
	s_waitcnt lgkmcnt(0)
	s_lshr_b32 s3, s7, 16
	v_cmp_gt_i32_e32 vcc_lo, s2, v0
	s_and_b32 s3, s3, 0xffff
	s_mul_i32 s6, s6, s3
	v_add_lshl_u32 v3, s6, v1, 1
	v_mad_u64_u32 v[1:2], null, v3, s1, v[0:1]
	v_sub_nc_u32_e32 v18, s0, v3
	v_cmp_lt_i32_e64 s0, 0, v18
	v_ashrrev_i32_e32 v2, 31, v1
	s_and_b32 s3, vcc_lo, s0
	v_lshlrev_b64 v[10:11], 3, v[1:2]
	v_add_co_u32 v12, s1, s10, v10
	v_add_co_ci_u32_e64 v13, null, s11, v11, s1
	v_add_co_u32 v8, s1, s4, v10
	v_add_co_ci_u32_e64 v9, null, s5, v11, s1
	s_and_saveexec_b32 s1, s3
	s_cbranch_execz .LBB211_2
; %bb.1:
	global_load_dwordx2 v[4:5], v[12:13], off
	global_load_dwordx2 v[6:7], v[8:9], off
.LBB211_2:
	s_or_b32 exec_lo, exec_lo, s1
	v_cmp_gt_i32_e64 s1, 2, v18
	s_xor_b32 s3, vcc_lo, -1
	s_or_b32 s1, s3, s1
	s_and_saveexec_b32 s3, s1
	s_xor_b32 s1, exec_lo, s3
                                        ; implicit-def: $vgpr0_vgpr1
; %bb.3:
	s_mov_b32 s3, 0
                                        ; implicit-def: $vgpr8
                                        ; implicit-def: $vgpr12
	v_mov_b32_e32 v0, s3
	v_mov_b32_e32 v1, s3
; %bb.4:
	s_or_saveexec_b32 s4, s1
	v_mov_b32_e32 v2, 0
	v_mov_b32_e32 v3, 0
	s_xor_b32 exec_lo, exec_lo, s4
	s_cbranch_execz .LBB211_6
; %bb.5:
	s_mov_b32 s3, 0
	s_lshl_b64 s[6:7], s[2:3], 3
	v_add_co_u32 v0, s1, v12, s6
	v_add_co_ci_u32_e64 v1, null, s7, v13, s1
	v_add_co_u32 v2, s1, v8, s6
	v_add_co_ci_u32_e64 v3, null, s7, v9, s1
	global_load_dwordx2 v[0:1], v[0:1], off
	global_load_dwordx2 v[2:3], v[2:3], off
.LBB211_6:
	s_or_b32 exec_lo, exec_lo, s4
	v_mbcnt_lo_u32_b32 v19, -1, 0
	s_waitcnt vmcnt(1)
	v_add_f64 v[8:9], v[4:5], 0
	v_add_f64 v[12:13], v[0:1], 0
	v_and_b32_e32 v14, 24, v19
	v_xor_b32_e32 v15, 4, v19
	v_add_nc_u32_e32 v20, 8, v14
	v_cmp_lt_i32_e64 s1, v15, v20
	v_cndmask_b32_e64 v14, v19, v15, s1
	v_lshlrev_b32_e32 v17, 2, v14
	ds_bpermute_b32 v14, v17, v8
	ds_bpermute_b32 v15, v17, v9
	;; [unrolled: 1-line block ×4, first 2 shown]
	s_waitcnt lgkmcnt(2)
	v_add_f64 v[8:9], v[8:9], v[14:15]
	v_xor_b32_e32 v14, 2, v19
	s_waitcnt lgkmcnt(0)
	v_add_f64 v[12:13], v[12:13], v[16:17]
	v_cmp_lt_i32_e64 s1, v14, v20
	v_cndmask_b32_e64 v14, v19, v14, s1
	v_lshlrev_b32_e32 v17, 2, v14
	ds_bpermute_b32 v14, v17, v8
	ds_bpermute_b32 v15, v17, v9
	;; [unrolled: 1-line block ×4, first 2 shown]
	s_waitcnt lgkmcnt(2)
	v_add_f64 v[14:15], v[8:9], v[14:15]
	s_waitcnt lgkmcnt(0)
	v_add_f64 v[8:9], v[12:13], v[16:17]
	v_xor_b32_e32 v12, 1, v19
	v_cmp_lt_i32_e64 s1, v12, v20
	v_cndmask_b32_e64 v12, v19, v12, s1
	v_lshlrev_b32_e32 v13, 2, v12
	ds_bpermute_b32 v16, v13, v14
	ds_bpermute_b32 v17, v13, v15
	;; [unrolled: 1-line block ×4, first 2 shown]
	s_and_saveexec_b32 s1, s0
	s_cbranch_execz .LBB211_11
; %bb.7:
	v_add_co_u32 v10, s0, s8, v10
	v_add_co_ci_u32_e64 v11, null, s9, v11, s0
	s_and_saveexec_b32 s3, vcc_lo
	s_cbranch_execz .LBB211_9
; %bb.8:
	s_mov_b32 s0, 0x652b82fe
	s_mov_b32 s1, 0x3ff71547
	;; [unrolled: 1-line block ×3, first 2 shown]
	s_waitcnt vmcnt(0)
	v_mul_f64 v[19:20], v[6:7], s[0:1]
	s_mov_b32 s0, 0xfefa39ef
	s_mov_b32 s1, 0xbfe62e42
	;; [unrolled: 1-line block ×3, first 2 shown]
	v_rndne_f64_e32 v[19:20], v[19:20]
	v_fma_f64 v[21:22], v[19:20], s[0:1], v[6:7]
	s_mov_b32 s0, 0x3b39803f
	s_mov_b32 s1, 0xbc7abc9e
	v_cvt_i32_f64_e32 v25, v[19:20]
	v_fma_f64 v[21:22], v[19:20], s[0:1], v[21:22]
	s_mov_b32 s0, 0xfca7ab0c
	s_mov_b32 s1, 0x3e928af3
	v_fma_f64 v[23:24], v[21:22], s[4:5], s[0:1]
	s_mov_b32 s0, 0x623fde64
	s_mov_b32 s1, 0x3ec71dee
	;; [unrolled: 3-line block ×9, first 2 shown]
	v_fma_f64 v[23:24], v[21:22], v[23:24], s[0:1]
	v_cmp_nlt_f64_e64 s0, 0x40900000, v[6:7]
	v_cmp_ngt_f64_e64 s1, 0xc090cc00, v[6:7]
	s_waitcnt lgkmcnt(2)
	v_add_f64 v[6:7], v[14:15], v[16:17]
	v_fma_f64 v[23:24], v[21:22], v[23:24], 1.0
	v_fma_f64 v[19:20], v[21:22], v[23:24], 1.0
	v_ldexp_f64 v[19:20], v[19:20], v25
	v_cndmask_b32_e64 v20, 0x7ff00000, v20, s0
	s_and_b32 s0, s1, s0
	v_cndmask_b32_e64 v14, 0, v19, s0
	v_cndmask_b32_e64 v15, 0, v20, s1
	v_fma_f64 v[4:5], -v[6:7], v[14:15], v[4:5]
	global_store_dwordx2 v[10:11], v[4:5], off
.LBB211_9:
	s_or_b32 exec_lo, exec_lo, s3
	v_cmp_ne_u32_e64 s0, 1, v18
	s_and_b32 s0, s0, vcc_lo
	s_and_b32 exec_lo, exec_lo, s0
	s_cbranch_execz .LBB211_11
; %bb.10:
	s_mov_b32 s0, 0x652b82fe
	s_mov_b32 s1, 0x3ff71547
	;; [unrolled: 1-line block ×3, first 2 shown]
	s_waitcnt vmcnt(0)
	v_mul_f64 v[4:5], v[2:3], s[0:1]
	s_mov_b32 s0, 0xfefa39ef
	s_mov_b32 s1, 0xbfe62e42
	;; [unrolled: 1-line block ×3, first 2 shown]
	v_cmp_nlt_f64_e32 vcc_lo, 0x40900000, v[2:3]
	s_mov_b32 s3, 0
	v_rndne_f64_e32 v[4:5], v[4:5]
	v_fma_f64 v[6:7], v[4:5], s[0:1], v[2:3]
	s_mov_b32 s0, 0x3b39803f
	s_mov_b32 s1, 0xbc7abc9e
	s_waitcnt lgkmcnt(3)
	v_cvt_i32_f64_e32 v16, v[4:5]
	v_fma_f64 v[6:7], v[4:5], s[0:1], v[6:7]
	s_mov_b32 s0, 0xfca7ab0c
	s_mov_b32 s1, 0x3e928af3
	v_fma_f64 v[14:15], v[6:7], s[4:5], s[0:1]
	s_mov_b32 s0, 0x623fde64
	s_mov_b32 s1, 0x3ec71dee
	;; [unrolled: 3-line block ×9, first 2 shown]
	v_fma_f64 v[14:15], v[6:7], v[14:15], s[0:1]
	v_cmp_ngt_f64_e64 s0, 0xc090cc00, v[2:3]
	s_waitcnt lgkmcnt(0)
	v_add_f64 v[2:3], v[8:9], v[12:13]
	v_fma_f64 v[14:15], v[6:7], v[14:15], 1.0
	v_fma_f64 v[4:5], v[6:7], v[14:15], 1.0
	v_ldexp_f64 v[4:5], v[4:5], v16
	v_cndmask_b32_e32 v5, 0x7ff00000, v5, vcc_lo
	s_and_b32 vcc_lo, s0, vcc_lo
	v_cndmask_b32_e32 v4, 0, v4, vcc_lo
	v_cndmask_b32_e64 v5, 0, v5, s0
	s_lshl_b64 s[0:1], s[2:3], 3
	v_fma_f64 v[0:1], -v[2:3], v[4:5], v[0:1]
	v_add_co_u32 v2, vcc_lo, v10, s0
	v_add_co_ci_u32_e64 v3, null, s1, v11, vcc_lo
	global_store_dwordx2 v[2:3], v[0:1], off
.LBB211_11:
	s_endpgm
	.section	.rodata,"a",@progbits
	.p2align	6, 0x0
	.amdhsa_kernel _ZN12_GLOBAL__N_121softmax_warp_backwardIdddLi3ELb1ELb0ELi32EEEvPT0_PKT_S5_iiiPKb
		.amdhsa_group_segment_fixed_size 0
		.amdhsa_private_segment_fixed_size 0
		.amdhsa_kernarg_size 304
		.amdhsa_user_sgpr_count 6
		.amdhsa_user_sgpr_private_segment_buffer 1
		.amdhsa_user_sgpr_dispatch_ptr 0
		.amdhsa_user_sgpr_queue_ptr 0
		.amdhsa_user_sgpr_kernarg_segment_ptr 1
		.amdhsa_user_sgpr_dispatch_id 0
		.amdhsa_user_sgpr_flat_scratch_init 0
		.amdhsa_user_sgpr_private_segment_size 0
		.amdhsa_wavefront_size32 1
		.amdhsa_uses_dynamic_stack 0
		.amdhsa_system_sgpr_private_segment_wavefront_offset 0
		.amdhsa_system_sgpr_workgroup_id_x 1
		.amdhsa_system_sgpr_workgroup_id_y 0
		.amdhsa_system_sgpr_workgroup_id_z 0
		.amdhsa_system_sgpr_workgroup_info 0
		.amdhsa_system_vgpr_workitem_id 1
		.amdhsa_next_free_vgpr 26
		.amdhsa_next_free_sgpr 12
		.amdhsa_reserve_vcc 1
		.amdhsa_reserve_flat_scratch 0
		.amdhsa_float_round_mode_32 0
		.amdhsa_float_round_mode_16_64 0
		.amdhsa_float_denorm_mode_32 3
		.amdhsa_float_denorm_mode_16_64 3
		.amdhsa_dx10_clamp 1
		.amdhsa_ieee_mode 1
		.amdhsa_fp16_overflow 0
		.amdhsa_workgroup_processor_mode 1
		.amdhsa_memory_ordered 1
		.amdhsa_forward_progress 1
		.amdhsa_shared_vgpr_count 0
		.amdhsa_exception_fp_ieee_invalid_op 0
		.amdhsa_exception_fp_denorm_src 0
		.amdhsa_exception_fp_ieee_div_zero 0
		.amdhsa_exception_fp_ieee_overflow 0
		.amdhsa_exception_fp_ieee_underflow 0
		.amdhsa_exception_fp_ieee_inexact 0
		.amdhsa_exception_int_div_zero 0
	.end_amdhsa_kernel
	.section	.text._ZN12_GLOBAL__N_121softmax_warp_backwardIdddLi3ELb1ELb0ELi32EEEvPT0_PKT_S5_iiiPKb,"axG",@progbits,_ZN12_GLOBAL__N_121softmax_warp_backwardIdddLi3ELb1ELb0ELi32EEEvPT0_PKT_S5_iiiPKb,comdat
.Lfunc_end211:
	.size	_ZN12_GLOBAL__N_121softmax_warp_backwardIdddLi3ELb1ELb0ELi32EEEvPT0_PKT_S5_iiiPKb, .Lfunc_end211-_ZN12_GLOBAL__N_121softmax_warp_backwardIdddLi3ELb1ELb0ELi32EEEvPT0_PKT_S5_iiiPKb
                                        ; -- End function
	.set _ZN12_GLOBAL__N_121softmax_warp_backwardIdddLi3ELb1ELb0ELi32EEEvPT0_PKT_S5_iiiPKb.num_vgpr, 26
	.set _ZN12_GLOBAL__N_121softmax_warp_backwardIdddLi3ELb1ELb0ELi32EEEvPT0_PKT_S5_iiiPKb.num_agpr, 0
	.set _ZN12_GLOBAL__N_121softmax_warp_backwardIdddLi3ELb1ELb0ELi32EEEvPT0_PKT_S5_iiiPKb.numbered_sgpr, 12
	.set _ZN12_GLOBAL__N_121softmax_warp_backwardIdddLi3ELb1ELb0ELi32EEEvPT0_PKT_S5_iiiPKb.num_named_barrier, 0
	.set _ZN12_GLOBAL__N_121softmax_warp_backwardIdddLi3ELb1ELb0ELi32EEEvPT0_PKT_S5_iiiPKb.private_seg_size, 0
	.set _ZN12_GLOBAL__N_121softmax_warp_backwardIdddLi3ELb1ELb0ELi32EEEvPT0_PKT_S5_iiiPKb.uses_vcc, 1
	.set _ZN12_GLOBAL__N_121softmax_warp_backwardIdddLi3ELb1ELb0ELi32EEEvPT0_PKT_S5_iiiPKb.uses_flat_scratch, 0
	.set _ZN12_GLOBAL__N_121softmax_warp_backwardIdddLi3ELb1ELb0ELi32EEEvPT0_PKT_S5_iiiPKb.has_dyn_sized_stack, 0
	.set _ZN12_GLOBAL__N_121softmax_warp_backwardIdddLi3ELb1ELb0ELi32EEEvPT0_PKT_S5_iiiPKb.has_recursion, 0
	.set _ZN12_GLOBAL__N_121softmax_warp_backwardIdddLi3ELb1ELb0ELi32EEEvPT0_PKT_S5_iiiPKb.has_indirect_call, 0
	.section	.AMDGPU.csdata,"",@progbits
; Kernel info:
; codeLenInByte = 1472
; TotalNumSgprs: 14
; NumVgprs: 26
; ScratchSize: 0
; MemoryBound: 1
; FloatMode: 240
; IeeeMode: 1
; LDSByteSize: 0 bytes/workgroup (compile time only)
; SGPRBlocks: 0
; VGPRBlocks: 3
; NumSGPRsForWavesPerEU: 14
; NumVGPRsForWavesPerEU: 26
; Occupancy: 16
; WaveLimiterHint : 0
; COMPUTE_PGM_RSRC2:SCRATCH_EN: 0
; COMPUTE_PGM_RSRC2:USER_SGPR: 6
; COMPUTE_PGM_RSRC2:TRAP_HANDLER: 0
; COMPUTE_PGM_RSRC2:TGID_X_EN: 1
; COMPUTE_PGM_RSRC2:TGID_Y_EN: 0
; COMPUTE_PGM_RSRC2:TGID_Z_EN: 0
; COMPUTE_PGM_RSRC2:TIDIG_COMP_CNT: 1
	.section	.text._ZN12_GLOBAL__N_121softmax_warp_backwardIdddLi4ELb1ELb0ELi64EEEvPT0_PKT_S5_iiiPKb,"axG",@progbits,_ZN12_GLOBAL__N_121softmax_warp_backwardIdddLi4ELb1ELb0ELi64EEEvPT0_PKT_S5_iiiPKb,comdat
	.globl	_ZN12_GLOBAL__N_121softmax_warp_backwardIdddLi4ELb1ELb0ELi64EEEvPT0_PKT_S5_iiiPKb ; -- Begin function _ZN12_GLOBAL__N_121softmax_warp_backwardIdddLi4ELb1ELb0ELi64EEEvPT0_PKT_S5_iiiPKb
	.p2align	8
	.type	_ZN12_GLOBAL__N_121softmax_warp_backwardIdddLi4ELb1ELb0ELi64EEEvPT0_PKT_S5_iiiPKb,@function
_ZN12_GLOBAL__N_121softmax_warp_backwardIdddLi4ELb1ELb0ELi64EEEvPT0_PKT_S5_iiiPKb: ; @_ZN12_GLOBAL__N_121softmax_warp_backwardIdddLi4ELb1ELb0ELi64EEEvPT0_PKT_S5_iiiPKb
; %bb.0:
	s_clause 0x1
	s_load_dword s7, s[4:5], 0x3c
	s_load_dwordx4 s[0:3], s[4:5], 0x18
	v_and_b32_e32 v0, 15, v0
	s_clause 0x1
	s_load_dwordx4 s[8:11], s[4:5], 0x0
	s_load_dwordx2 s[4:5], s[4:5], 0x10
	v_mov_b32_e32 v6, 0
	v_mov_b32_e32 v4, 0
	;; [unrolled: 1-line block ×4, first 2 shown]
	s_waitcnt lgkmcnt(0)
	s_lshr_b32 s3, s7, 16
	v_cmp_gt_i32_e32 vcc_lo, s2, v0
	s_and_b32 s3, s3, 0xffff
	s_mul_i32 s6, s6, s3
	v_add_lshl_u32 v3, s6, v1, 1
	v_mad_u64_u32 v[1:2], null, v3, s1, v[0:1]
	v_sub_nc_u32_e32 v18, s0, v3
	v_cmp_lt_i32_e64 s0, 0, v18
	v_ashrrev_i32_e32 v2, 31, v1
	s_and_b32 s3, vcc_lo, s0
	v_lshlrev_b64 v[10:11], 3, v[1:2]
	v_add_co_u32 v12, s1, s10, v10
	v_add_co_ci_u32_e64 v13, null, s11, v11, s1
	v_add_co_u32 v8, s1, s4, v10
	v_add_co_ci_u32_e64 v9, null, s5, v11, s1
	s_and_saveexec_b32 s1, s3
	s_cbranch_execz .LBB212_2
; %bb.1:
	global_load_dwordx2 v[4:5], v[12:13], off
	global_load_dwordx2 v[6:7], v[8:9], off
.LBB212_2:
	s_or_b32 exec_lo, exec_lo, s1
	v_cmp_gt_i32_e64 s1, 2, v18
	s_xor_b32 s3, vcc_lo, -1
	s_or_b32 s1, s3, s1
	s_and_saveexec_b32 s3, s1
	s_xor_b32 s1, exec_lo, s3
                                        ; implicit-def: $vgpr0_vgpr1
; %bb.3:
	s_mov_b32 s3, 0
                                        ; implicit-def: $vgpr8
                                        ; implicit-def: $vgpr12
	v_mov_b32_e32 v0, s3
	v_mov_b32_e32 v1, s3
; %bb.4:
	s_or_saveexec_b32 s4, s1
	v_mov_b32_e32 v2, 0
	v_mov_b32_e32 v3, 0
	s_xor_b32 exec_lo, exec_lo, s4
	s_cbranch_execz .LBB212_6
; %bb.5:
	s_mov_b32 s3, 0
	s_lshl_b64 s[6:7], s[2:3], 3
	v_add_co_u32 v0, s1, v12, s6
	v_add_co_ci_u32_e64 v1, null, s7, v13, s1
	v_add_co_u32 v2, s1, v8, s6
	v_add_co_ci_u32_e64 v3, null, s7, v9, s1
	global_load_dwordx2 v[0:1], v[0:1], off
	global_load_dwordx2 v[2:3], v[2:3], off
.LBB212_6:
	s_or_b32 exec_lo, exec_lo, s4
	v_mbcnt_lo_u32_b32 v19, -1, 0
	s_waitcnt vmcnt(1)
	v_add_f64 v[8:9], v[4:5], 0
	v_add_f64 v[12:13], v[0:1], 0
	v_and_b32_e32 v14, 16, v19
	v_xor_b32_e32 v15, 8, v19
	v_add_nc_u32_e32 v20, 16, v14
	v_cmp_lt_i32_e64 s1, v15, v20
	v_cndmask_b32_e64 v14, v19, v15, s1
	v_lshlrev_b32_e32 v17, 2, v14
	ds_bpermute_b32 v14, v17, v8
	ds_bpermute_b32 v15, v17, v9
	;; [unrolled: 1-line block ×4, first 2 shown]
	s_waitcnt lgkmcnt(2)
	v_add_f64 v[8:9], v[8:9], v[14:15]
	v_xor_b32_e32 v14, 4, v19
	s_waitcnt lgkmcnt(0)
	v_add_f64 v[12:13], v[12:13], v[16:17]
	v_cmp_lt_i32_e64 s1, v14, v20
	v_cndmask_b32_e64 v14, v19, v14, s1
	v_lshlrev_b32_e32 v17, 2, v14
	ds_bpermute_b32 v14, v17, v8
	ds_bpermute_b32 v15, v17, v9
	;; [unrolled: 1-line block ×4, first 2 shown]
	s_waitcnt lgkmcnt(2)
	v_add_f64 v[8:9], v[8:9], v[14:15]
	v_xor_b32_e32 v14, 2, v19
	s_waitcnt lgkmcnt(0)
	v_add_f64 v[12:13], v[12:13], v[16:17]
	v_cmp_lt_i32_e64 s1, v14, v20
	v_cndmask_b32_e64 v14, v19, v14, s1
	v_lshlrev_b32_e32 v17, 2, v14
	ds_bpermute_b32 v14, v17, v8
	ds_bpermute_b32 v15, v17, v9
	ds_bpermute_b32 v16, v17, v12
	ds_bpermute_b32 v17, v17, v13
	s_waitcnt lgkmcnt(2)
	v_add_f64 v[14:15], v[8:9], v[14:15]
	s_waitcnt lgkmcnt(0)
	v_add_f64 v[8:9], v[12:13], v[16:17]
	v_xor_b32_e32 v12, 1, v19
	v_cmp_lt_i32_e64 s1, v12, v20
	v_cndmask_b32_e64 v12, v19, v12, s1
	v_lshlrev_b32_e32 v13, 2, v12
	ds_bpermute_b32 v16, v13, v14
	ds_bpermute_b32 v17, v13, v15
	;; [unrolled: 1-line block ×4, first 2 shown]
	s_and_saveexec_b32 s1, s0
	s_cbranch_execz .LBB212_11
; %bb.7:
	v_add_co_u32 v10, s0, s8, v10
	v_add_co_ci_u32_e64 v11, null, s9, v11, s0
	s_and_saveexec_b32 s3, vcc_lo
	s_cbranch_execz .LBB212_9
; %bb.8:
	s_mov_b32 s0, 0x652b82fe
	s_mov_b32 s1, 0x3ff71547
	s_mov_b32 s4, 0x6a5dcb37
	s_waitcnt vmcnt(0)
	v_mul_f64 v[19:20], v[6:7], s[0:1]
	s_mov_b32 s0, 0xfefa39ef
	s_mov_b32 s1, 0xbfe62e42
	;; [unrolled: 1-line block ×3, first 2 shown]
	v_rndne_f64_e32 v[19:20], v[19:20]
	v_fma_f64 v[21:22], v[19:20], s[0:1], v[6:7]
	s_mov_b32 s0, 0x3b39803f
	s_mov_b32 s1, 0xbc7abc9e
	v_cvt_i32_f64_e32 v25, v[19:20]
	v_fma_f64 v[21:22], v[19:20], s[0:1], v[21:22]
	s_mov_b32 s0, 0xfca7ab0c
	s_mov_b32 s1, 0x3e928af3
	v_fma_f64 v[23:24], v[21:22], s[4:5], s[0:1]
	s_mov_b32 s0, 0x623fde64
	s_mov_b32 s1, 0x3ec71dee
	;; [unrolled: 3-line block ×9, first 2 shown]
	v_fma_f64 v[23:24], v[21:22], v[23:24], s[0:1]
	v_cmp_nlt_f64_e64 s0, 0x40900000, v[6:7]
	v_cmp_ngt_f64_e64 s1, 0xc090cc00, v[6:7]
	s_waitcnt lgkmcnt(2)
	v_add_f64 v[6:7], v[14:15], v[16:17]
	v_fma_f64 v[23:24], v[21:22], v[23:24], 1.0
	v_fma_f64 v[19:20], v[21:22], v[23:24], 1.0
	v_ldexp_f64 v[19:20], v[19:20], v25
	v_cndmask_b32_e64 v20, 0x7ff00000, v20, s0
	s_and_b32 s0, s1, s0
	v_cndmask_b32_e64 v14, 0, v19, s0
	v_cndmask_b32_e64 v15, 0, v20, s1
	v_fma_f64 v[4:5], -v[6:7], v[14:15], v[4:5]
	global_store_dwordx2 v[10:11], v[4:5], off
.LBB212_9:
	s_or_b32 exec_lo, exec_lo, s3
	v_cmp_ne_u32_e64 s0, 1, v18
	s_and_b32 s0, s0, vcc_lo
	s_and_b32 exec_lo, exec_lo, s0
	s_cbranch_execz .LBB212_11
; %bb.10:
	s_mov_b32 s0, 0x652b82fe
	s_mov_b32 s1, 0x3ff71547
	;; [unrolled: 1-line block ×3, first 2 shown]
	s_waitcnt vmcnt(0)
	v_mul_f64 v[4:5], v[2:3], s[0:1]
	s_mov_b32 s0, 0xfefa39ef
	s_mov_b32 s1, 0xbfe62e42
	;; [unrolled: 1-line block ×3, first 2 shown]
	v_cmp_nlt_f64_e32 vcc_lo, 0x40900000, v[2:3]
	s_mov_b32 s3, 0
	v_rndne_f64_e32 v[4:5], v[4:5]
	v_fma_f64 v[6:7], v[4:5], s[0:1], v[2:3]
	s_mov_b32 s0, 0x3b39803f
	s_mov_b32 s1, 0xbc7abc9e
	s_waitcnt lgkmcnt(3)
	v_cvt_i32_f64_e32 v16, v[4:5]
	v_fma_f64 v[6:7], v[4:5], s[0:1], v[6:7]
	s_mov_b32 s0, 0xfca7ab0c
	s_mov_b32 s1, 0x3e928af3
	v_fma_f64 v[14:15], v[6:7], s[4:5], s[0:1]
	s_mov_b32 s0, 0x623fde64
	s_mov_b32 s1, 0x3ec71dee
	;; [unrolled: 3-line block ×9, first 2 shown]
	v_fma_f64 v[14:15], v[6:7], v[14:15], s[0:1]
	v_cmp_ngt_f64_e64 s0, 0xc090cc00, v[2:3]
	s_waitcnt lgkmcnt(0)
	v_add_f64 v[2:3], v[8:9], v[12:13]
	v_fma_f64 v[14:15], v[6:7], v[14:15], 1.0
	v_fma_f64 v[4:5], v[6:7], v[14:15], 1.0
	v_ldexp_f64 v[4:5], v[4:5], v16
	v_cndmask_b32_e32 v5, 0x7ff00000, v5, vcc_lo
	s_and_b32 vcc_lo, s0, vcc_lo
	v_cndmask_b32_e32 v4, 0, v4, vcc_lo
	v_cndmask_b32_e64 v5, 0, v5, s0
	s_lshl_b64 s[0:1], s[2:3], 3
	v_fma_f64 v[0:1], -v[2:3], v[4:5], v[0:1]
	v_add_co_u32 v2, vcc_lo, v10, s0
	v_add_co_ci_u32_e64 v3, null, s1, v11, vcc_lo
	global_store_dwordx2 v[2:3], v[0:1], off
.LBB212_11:
	s_endpgm
	.section	.rodata,"a",@progbits
	.p2align	6, 0x0
	.amdhsa_kernel _ZN12_GLOBAL__N_121softmax_warp_backwardIdddLi4ELb1ELb0ELi64EEEvPT0_PKT_S5_iiiPKb
		.amdhsa_group_segment_fixed_size 0
		.amdhsa_private_segment_fixed_size 0
		.amdhsa_kernarg_size 304
		.amdhsa_user_sgpr_count 6
		.amdhsa_user_sgpr_private_segment_buffer 1
		.amdhsa_user_sgpr_dispatch_ptr 0
		.amdhsa_user_sgpr_queue_ptr 0
		.amdhsa_user_sgpr_kernarg_segment_ptr 1
		.amdhsa_user_sgpr_dispatch_id 0
		.amdhsa_user_sgpr_flat_scratch_init 0
		.amdhsa_user_sgpr_private_segment_size 0
		.amdhsa_wavefront_size32 1
		.amdhsa_uses_dynamic_stack 0
		.amdhsa_system_sgpr_private_segment_wavefront_offset 0
		.amdhsa_system_sgpr_workgroup_id_x 1
		.amdhsa_system_sgpr_workgroup_id_y 0
		.amdhsa_system_sgpr_workgroup_id_z 0
		.amdhsa_system_sgpr_workgroup_info 0
		.amdhsa_system_vgpr_workitem_id 1
		.amdhsa_next_free_vgpr 26
		.amdhsa_next_free_sgpr 12
		.amdhsa_reserve_vcc 1
		.amdhsa_reserve_flat_scratch 0
		.amdhsa_float_round_mode_32 0
		.amdhsa_float_round_mode_16_64 0
		.amdhsa_float_denorm_mode_32 3
		.amdhsa_float_denorm_mode_16_64 3
		.amdhsa_dx10_clamp 1
		.amdhsa_ieee_mode 1
		.amdhsa_fp16_overflow 0
		.amdhsa_workgroup_processor_mode 1
		.amdhsa_memory_ordered 1
		.amdhsa_forward_progress 1
		.amdhsa_shared_vgpr_count 0
		.amdhsa_exception_fp_ieee_invalid_op 0
		.amdhsa_exception_fp_denorm_src 0
		.amdhsa_exception_fp_ieee_div_zero 0
		.amdhsa_exception_fp_ieee_overflow 0
		.amdhsa_exception_fp_ieee_underflow 0
		.amdhsa_exception_fp_ieee_inexact 0
		.amdhsa_exception_int_div_zero 0
	.end_amdhsa_kernel
	.section	.text._ZN12_GLOBAL__N_121softmax_warp_backwardIdddLi4ELb1ELb0ELi64EEEvPT0_PKT_S5_iiiPKb,"axG",@progbits,_ZN12_GLOBAL__N_121softmax_warp_backwardIdddLi4ELb1ELb0ELi64EEEvPT0_PKT_S5_iiiPKb,comdat
.Lfunc_end212:
	.size	_ZN12_GLOBAL__N_121softmax_warp_backwardIdddLi4ELb1ELb0ELi64EEEvPT0_PKT_S5_iiiPKb, .Lfunc_end212-_ZN12_GLOBAL__N_121softmax_warp_backwardIdddLi4ELb1ELb0ELi64EEEvPT0_PKT_S5_iiiPKb
                                        ; -- End function
	.set _ZN12_GLOBAL__N_121softmax_warp_backwardIdddLi4ELb1ELb0ELi64EEEvPT0_PKT_S5_iiiPKb.num_vgpr, 26
	.set _ZN12_GLOBAL__N_121softmax_warp_backwardIdddLi4ELb1ELb0ELi64EEEvPT0_PKT_S5_iiiPKb.num_agpr, 0
	.set _ZN12_GLOBAL__N_121softmax_warp_backwardIdddLi4ELb1ELb0ELi64EEEvPT0_PKT_S5_iiiPKb.numbered_sgpr, 12
	.set _ZN12_GLOBAL__N_121softmax_warp_backwardIdddLi4ELb1ELb0ELi64EEEvPT0_PKT_S5_iiiPKb.num_named_barrier, 0
	.set _ZN12_GLOBAL__N_121softmax_warp_backwardIdddLi4ELb1ELb0ELi64EEEvPT0_PKT_S5_iiiPKb.private_seg_size, 0
	.set _ZN12_GLOBAL__N_121softmax_warp_backwardIdddLi4ELb1ELb0ELi64EEEvPT0_PKT_S5_iiiPKb.uses_vcc, 1
	.set _ZN12_GLOBAL__N_121softmax_warp_backwardIdddLi4ELb1ELb0ELi64EEEvPT0_PKT_S5_iiiPKb.uses_flat_scratch, 0
	.set _ZN12_GLOBAL__N_121softmax_warp_backwardIdddLi4ELb1ELb0ELi64EEEvPT0_PKT_S5_iiiPKb.has_dyn_sized_stack, 0
	.set _ZN12_GLOBAL__N_121softmax_warp_backwardIdddLi4ELb1ELb0ELi64EEEvPT0_PKT_S5_iiiPKb.has_recursion, 0
	.set _ZN12_GLOBAL__N_121softmax_warp_backwardIdddLi4ELb1ELb0ELi64EEEvPT0_PKT_S5_iiiPKb.has_indirect_call, 0
	.section	.AMDGPU.csdata,"",@progbits
; Kernel info:
; codeLenInByte = 1552
; TotalNumSgprs: 14
; NumVgprs: 26
; ScratchSize: 0
; MemoryBound: 1
; FloatMode: 240
; IeeeMode: 1
; LDSByteSize: 0 bytes/workgroup (compile time only)
; SGPRBlocks: 0
; VGPRBlocks: 3
; NumSGPRsForWavesPerEU: 14
; NumVGPRsForWavesPerEU: 26
; Occupancy: 16
; WaveLimiterHint : 0
; COMPUTE_PGM_RSRC2:SCRATCH_EN: 0
; COMPUTE_PGM_RSRC2:USER_SGPR: 6
; COMPUTE_PGM_RSRC2:TRAP_HANDLER: 0
; COMPUTE_PGM_RSRC2:TGID_X_EN: 1
; COMPUTE_PGM_RSRC2:TGID_Y_EN: 0
; COMPUTE_PGM_RSRC2:TGID_Z_EN: 0
; COMPUTE_PGM_RSRC2:TIDIG_COMP_CNT: 1
	.section	.text._ZN12_GLOBAL__N_121softmax_warp_backwardIdddLi4ELb1ELb0ELi32EEEvPT0_PKT_S5_iiiPKb,"axG",@progbits,_ZN12_GLOBAL__N_121softmax_warp_backwardIdddLi4ELb1ELb0ELi32EEEvPT0_PKT_S5_iiiPKb,comdat
	.globl	_ZN12_GLOBAL__N_121softmax_warp_backwardIdddLi4ELb1ELb0ELi32EEEvPT0_PKT_S5_iiiPKb ; -- Begin function _ZN12_GLOBAL__N_121softmax_warp_backwardIdddLi4ELb1ELb0ELi32EEEvPT0_PKT_S5_iiiPKb
	.p2align	8
	.type	_ZN12_GLOBAL__N_121softmax_warp_backwardIdddLi4ELb1ELb0ELi32EEEvPT0_PKT_S5_iiiPKb,@function
_ZN12_GLOBAL__N_121softmax_warp_backwardIdddLi4ELb1ELb0ELi32EEEvPT0_PKT_S5_iiiPKb: ; @_ZN12_GLOBAL__N_121softmax_warp_backwardIdddLi4ELb1ELb0ELi32EEEvPT0_PKT_S5_iiiPKb
; %bb.0:
	s_clause 0x1
	s_load_dword s7, s[4:5], 0x3c
	s_load_dwordx4 s[0:3], s[4:5], 0x18
	v_and_b32_e32 v0, 15, v0
	s_clause 0x1
	s_load_dwordx4 s[8:11], s[4:5], 0x0
	s_load_dwordx2 s[4:5], s[4:5], 0x10
	v_mov_b32_e32 v6, 0
	v_mov_b32_e32 v4, 0
	;; [unrolled: 1-line block ×4, first 2 shown]
	s_waitcnt lgkmcnt(0)
	s_lshr_b32 s3, s7, 16
	v_cmp_gt_i32_e32 vcc_lo, s2, v0
	s_and_b32 s3, s3, 0xffff
	s_mul_i32 s6, s6, s3
	v_add_lshl_u32 v3, s6, v1, 1
	v_mad_u64_u32 v[1:2], null, v3, s1, v[0:1]
	v_sub_nc_u32_e32 v18, s0, v3
	v_cmp_lt_i32_e64 s0, 0, v18
	v_ashrrev_i32_e32 v2, 31, v1
	s_and_b32 s3, vcc_lo, s0
	v_lshlrev_b64 v[10:11], 3, v[1:2]
	v_add_co_u32 v12, s1, s10, v10
	v_add_co_ci_u32_e64 v13, null, s11, v11, s1
	v_add_co_u32 v8, s1, s4, v10
	v_add_co_ci_u32_e64 v9, null, s5, v11, s1
	s_and_saveexec_b32 s1, s3
	s_cbranch_execz .LBB213_2
; %bb.1:
	global_load_dwordx2 v[4:5], v[12:13], off
	global_load_dwordx2 v[6:7], v[8:9], off
.LBB213_2:
	s_or_b32 exec_lo, exec_lo, s1
	v_cmp_gt_i32_e64 s1, 2, v18
	s_xor_b32 s3, vcc_lo, -1
	s_or_b32 s1, s3, s1
	s_and_saveexec_b32 s3, s1
	s_xor_b32 s1, exec_lo, s3
                                        ; implicit-def: $vgpr0_vgpr1
; %bb.3:
	s_mov_b32 s3, 0
                                        ; implicit-def: $vgpr8
                                        ; implicit-def: $vgpr12
	v_mov_b32_e32 v0, s3
	v_mov_b32_e32 v1, s3
; %bb.4:
	s_or_saveexec_b32 s4, s1
	v_mov_b32_e32 v2, 0
	v_mov_b32_e32 v3, 0
	s_xor_b32 exec_lo, exec_lo, s4
	s_cbranch_execz .LBB213_6
; %bb.5:
	s_mov_b32 s3, 0
	s_lshl_b64 s[6:7], s[2:3], 3
	v_add_co_u32 v0, s1, v12, s6
	v_add_co_ci_u32_e64 v1, null, s7, v13, s1
	v_add_co_u32 v2, s1, v8, s6
	v_add_co_ci_u32_e64 v3, null, s7, v9, s1
	global_load_dwordx2 v[0:1], v[0:1], off
	global_load_dwordx2 v[2:3], v[2:3], off
.LBB213_6:
	s_or_b32 exec_lo, exec_lo, s4
	v_mbcnt_lo_u32_b32 v19, -1, 0
	s_waitcnt vmcnt(1)
	v_add_f64 v[8:9], v[4:5], 0
	v_add_f64 v[12:13], v[0:1], 0
	v_and_b32_e32 v14, 16, v19
	v_xor_b32_e32 v15, 8, v19
	v_add_nc_u32_e32 v20, 16, v14
	v_cmp_lt_i32_e64 s1, v15, v20
	v_cndmask_b32_e64 v14, v19, v15, s1
	v_lshlrev_b32_e32 v17, 2, v14
	ds_bpermute_b32 v14, v17, v8
	ds_bpermute_b32 v15, v17, v9
	;; [unrolled: 1-line block ×4, first 2 shown]
	s_waitcnt lgkmcnt(2)
	v_add_f64 v[8:9], v[8:9], v[14:15]
	v_xor_b32_e32 v14, 4, v19
	s_waitcnt lgkmcnt(0)
	v_add_f64 v[12:13], v[12:13], v[16:17]
	v_cmp_lt_i32_e64 s1, v14, v20
	v_cndmask_b32_e64 v14, v19, v14, s1
	v_lshlrev_b32_e32 v17, 2, v14
	ds_bpermute_b32 v14, v17, v8
	ds_bpermute_b32 v15, v17, v9
	;; [unrolled: 1-line block ×4, first 2 shown]
	s_waitcnt lgkmcnt(2)
	v_add_f64 v[8:9], v[8:9], v[14:15]
	v_xor_b32_e32 v14, 2, v19
	s_waitcnt lgkmcnt(0)
	v_add_f64 v[12:13], v[12:13], v[16:17]
	v_cmp_lt_i32_e64 s1, v14, v20
	v_cndmask_b32_e64 v14, v19, v14, s1
	v_lshlrev_b32_e32 v17, 2, v14
	ds_bpermute_b32 v14, v17, v8
	ds_bpermute_b32 v15, v17, v9
	ds_bpermute_b32 v16, v17, v12
	ds_bpermute_b32 v17, v17, v13
	s_waitcnt lgkmcnt(2)
	v_add_f64 v[14:15], v[8:9], v[14:15]
	s_waitcnt lgkmcnt(0)
	v_add_f64 v[8:9], v[12:13], v[16:17]
	v_xor_b32_e32 v12, 1, v19
	v_cmp_lt_i32_e64 s1, v12, v20
	v_cndmask_b32_e64 v12, v19, v12, s1
	v_lshlrev_b32_e32 v13, 2, v12
	ds_bpermute_b32 v16, v13, v14
	ds_bpermute_b32 v17, v13, v15
	;; [unrolled: 1-line block ×4, first 2 shown]
	s_and_saveexec_b32 s1, s0
	s_cbranch_execz .LBB213_11
; %bb.7:
	v_add_co_u32 v10, s0, s8, v10
	v_add_co_ci_u32_e64 v11, null, s9, v11, s0
	s_and_saveexec_b32 s3, vcc_lo
	s_cbranch_execz .LBB213_9
; %bb.8:
	s_mov_b32 s0, 0x652b82fe
	s_mov_b32 s1, 0x3ff71547
	;; [unrolled: 1-line block ×3, first 2 shown]
	s_waitcnt vmcnt(0)
	v_mul_f64 v[19:20], v[6:7], s[0:1]
	s_mov_b32 s0, 0xfefa39ef
	s_mov_b32 s1, 0xbfe62e42
	;; [unrolled: 1-line block ×3, first 2 shown]
	v_rndne_f64_e32 v[19:20], v[19:20]
	v_fma_f64 v[21:22], v[19:20], s[0:1], v[6:7]
	s_mov_b32 s0, 0x3b39803f
	s_mov_b32 s1, 0xbc7abc9e
	v_cvt_i32_f64_e32 v25, v[19:20]
	v_fma_f64 v[21:22], v[19:20], s[0:1], v[21:22]
	s_mov_b32 s0, 0xfca7ab0c
	s_mov_b32 s1, 0x3e928af3
	v_fma_f64 v[23:24], v[21:22], s[4:5], s[0:1]
	s_mov_b32 s0, 0x623fde64
	s_mov_b32 s1, 0x3ec71dee
	;; [unrolled: 3-line block ×9, first 2 shown]
	v_fma_f64 v[23:24], v[21:22], v[23:24], s[0:1]
	v_cmp_nlt_f64_e64 s0, 0x40900000, v[6:7]
	v_cmp_ngt_f64_e64 s1, 0xc090cc00, v[6:7]
	s_waitcnt lgkmcnt(2)
	v_add_f64 v[6:7], v[14:15], v[16:17]
	v_fma_f64 v[23:24], v[21:22], v[23:24], 1.0
	v_fma_f64 v[19:20], v[21:22], v[23:24], 1.0
	v_ldexp_f64 v[19:20], v[19:20], v25
	v_cndmask_b32_e64 v20, 0x7ff00000, v20, s0
	s_and_b32 s0, s1, s0
	v_cndmask_b32_e64 v14, 0, v19, s0
	v_cndmask_b32_e64 v15, 0, v20, s1
	v_fma_f64 v[4:5], -v[6:7], v[14:15], v[4:5]
	global_store_dwordx2 v[10:11], v[4:5], off
.LBB213_9:
	s_or_b32 exec_lo, exec_lo, s3
	v_cmp_ne_u32_e64 s0, 1, v18
	s_and_b32 s0, s0, vcc_lo
	s_and_b32 exec_lo, exec_lo, s0
	s_cbranch_execz .LBB213_11
; %bb.10:
	s_mov_b32 s0, 0x652b82fe
	s_mov_b32 s1, 0x3ff71547
	s_mov_b32 s4, 0x6a5dcb37
	s_waitcnt vmcnt(0)
	v_mul_f64 v[4:5], v[2:3], s[0:1]
	s_mov_b32 s0, 0xfefa39ef
	s_mov_b32 s1, 0xbfe62e42
	;; [unrolled: 1-line block ×3, first 2 shown]
	v_cmp_nlt_f64_e32 vcc_lo, 0x40900000, v[2:3]
	s_mov_b32 s3, 0
	v_rndne_f64_e32 v[4:5], v[4:5]
	v_fma_f64 v[6:7], v[4:5], s[0:1], v[2:3]
	s_mov_b32 s0, 0x3b39803f
	s_mov_b32 s1, 0xbc7abc9e
	s_waitcnt lgkmcnt(3)
	v_cvt_i32_f64_e32 v16, v[4:5]
	v_fma_f64 v[6:7], v[4:5], s[0:1], v[6:7]
	s_mov_b32 s0, 0xfca7ab0c
	s_mov_b32 s1, 0x3e928af3
	v_fma_f64 v[14:15], v[6:7], s[4:5], s[0:1]
	s_mov_b32 s0, 0x623fde64
	s_mov_b32 s1, 0x3ec71dee
	;; [unrolled: 3-line block ×9, first 2 shown]
	v_fma_f64 v[14:15], v[6:7], v[14:15], s[0:1]
	v_cmp_ngt_f64_e64 s0, 0xc090cc00, v[2:3]
	s_waitcnt lgkmcnt(0)
	v_add_f64 v[2:3], v[8:9], v[12:13]
	v_fma_f64 v[14:15], v[6:7], v[14:15], 1.0
	v_fma_f64 v[4:5], v[6:7], v[14:15], 1.0
	v_ldexp_f64 v[4:5], v[4:5], v16
	v_cndmask_b32_e32 v5, 0x7ff00000, v5, vcc_lo
	s_and_b32 vcc_lo, s0, vcc_lo
	v_cndmask_b32_e32 v4, 0, v4, vcc_lo
	v_cndmask_b32_e64 v5, 0, v5, s0
	s_lshl_b64 s[0:1], s[2:3], 3
	v_fma_f64 v[0:1], -v[2:3], v[4:5], v[0:1]
	v_add_co_u32 v2, vcc_lo, v10, s0
	v_add_co_ci_u32_e64 v3, null, s1, v11, vcc_lo
	global_store_dwordx2 v[2:3], v[0:1], off
.LBB213_11:
	s_endpgm
	.section	.rodata,"a",@progbits
	.p2align	6, 0x0
	.amdhsa_kernel _ZN12_GLOBAL__N_121softmax_warp_backwardIdddLi4ELb1ELb0ELi32EEEvPT0_PKT_S5_iiiPKb
		.amdhsa_group_segment_fixed_size 0
		.amdhsa_private_segment_fixed_size 0
		.amdhsa_kernarg_size 304
		.amdhsa_user_sgpr_count 6
		.amdhsa_user_sgpr_private_segment_buffer 1
		.amdhsa_user_sgpr_dispatch_ptr 0
		.amdhsa_user_sgpr_queue_ptr 0
		.amdhsa_user_sgpr_kernarg_segment_ptr 1
		.amdhsa_user_sgpr_dispatch_id 0
		.amdhsa_user_sgpr_flat_scratch_init 0
		.amdhsa_user_sgpr_private_segment_size 0
		.amdhsa_wavefront_size32 1
		.amdhsa_uses_dynamic_stack 0
		.amdhsa_system_sgpr_private_segment_wavefront_offset 0
		.amdhsa_system_sgpr_workgroup_id_x 1
		.amdhsa_system_sgpr_workgroup_id_y 0
		.amdhsa_system_sgpr_workgroup_id_z 0
		.amdhsa_system_sgpr_workgroup_info 0
		.amdhsa_system_vgpr_workitem_id 1
		.amdhsa_next_free_vgpr 26
		.amdhsa_next_free_sgpr 12
		.amdhsa_reserve_vcc 1
		.amdhsa_reserve_flat_scratch 0
		.amdhsa_float_round_mode_32 0
		.amdhsa_float_round_mode_16_64 0
		.amdhsa_float_denorm_mode_32 3
		.amdhsa_float_denorm_mode_16_64 3
		.amdhsa_dx10_clamp 1
		.amdhsa_ieee_mode 1
		.amdhsa_fp16_overflow 0
		.amdhsa_workgroup_processor_mode 1
		.amdhsa_memory_ordered 1
		.amdhsa_forward_progress 1
		.amdhsa_shared_vgpr_count 0
		.amdhsa_exception_fp_ieee_invalid_op 0
		.amdhsa_exception_fp_denorm_src 0
		.amdhsa_exception_fp_ieee_div_zero 0
		.amdhsa_exception_fp_ieee_overflow 0
		.amdhsa_exception_fp_ieee_underflow 0
		.amdhsa_exception_fp_ieee_inexact 0
		.amdhsa_exception_int_div_zero 0
	.end_amdhsa_kernel
	.section	.text._ZN12_GLOBAL__N_121softmax_warp_backwardIdddLi4ELb1ELb0ELi32EEEvPT0_PKT_S5_iiiPKb,"axG",@progbits,_ZN12_GLOBAL__N_121softmax_warp_backwardIdddLi4ELb1ELb0ELi32EEEvPT0_PKT_S5_iiiPKb,comdat
.Lfunc_end213:
	.size	_ZN12_GLOBAL__N_121softmax_warp_backwardIdddLi4ELb1ELb0ELi32EEEvPT0_PKT_S5_iiiPKb, .Lfunc_end213-_ZN12_GLOBAL__N_121softmax_warp_backwardIdddLi4ELb1ELb0ELi32EEEvPT0_PKT_S5_iiiPKb
                                        ; -- End function
	.set _ZN12_GLOBAL__N_121softmax_warp_backwardIdddLi4ELb1ELb0ELi32EEEvPT0_PKT_S5_iiiPKb.num_vgpr, 26
	.set _ZN12_GLOBAL__N_121softmax_warp_backwardIdddLi4ELb1ELb0ELi32EEEvPT0_PKT_S5_iiiPKb.num_agpr, 0
	.set _ZN12_GLOBAL__N_121softmax_warp_backwardIdddLi4ELb1ELb0ELi32EEEvPT0_PKT_S5_iiiPKb.numbered_sgpr, 12
	.set _ZN12_GLOBAL__N_121softmax_warp_backwardIdddLi4ELb1ELb0ELi32EEEvPT0_PKT_S5_iiiPKb.num_named_barrier, 0
	.set _ZN12_GLOBAL__N_121softmax_warp_backwardIdddLi4ELb1ELb0ELi32EEEvPT0_PKT_S5_iiiPKb.private_seg_size, 0
	.set _ZN12_GLOBAL__N_121softmax_warp_backwardIdddLi4ELb1ELb0ELi32EEEvPT0_PKT_S5_iiiPKb.uses_vcc, 1
	.set _ZN12_GLOBAL__N_121softmax_warp_backwardIdddLi4ELb1ELb0ELi32EEEvPT0_PKT_S5_iiiPKb.uses_flat_scratch, 0
	.set _ZN12_GLOBAL__N_121softmax_warp_backwardIdddLi4ELb1ELb0ELi32EEEvPT0_PKT_S5_iiiPKb.has_dyn_sized_stack, 0
	.set _ZN12_GLOBAL__N_121softmax_warp_backwardIdddLi4ELb1ELb0ELi32EEEvPT0_PKT_S5_iiiPKb.has_recursion, 0
	.set _ZN12_GLOBAL__N_121softmax_warp_backwardIdddLi4ELb1ELb0ELi32EEEvPT0_PKT_S5_iiiPKb.has_indirect_call, 0
	.section	.AMDGPU.csdata,"",@progbits
; Kernel info:
; codeLenInByte = 1552
; TotalNumSgprs: 14
; NumVgprs: 26
; ScratchSize: 0
; MemoryBound: 1
; FloatMode: 240
; IeeeMode: 1
; LDSByteSize: 0 bytes/workgroup (compile time only)
; SGPRBlocks: 0
; VGPRBlocks: 3
; NumSGPRsForWavesPerEU: 14
; NumVGPRsForWavesPerEU: 26
; Occupancy: 16
; WaveLimiterHint : 0
; COMPUTE_PGM_RSRC2:SCRATCH_EN: 0
; COMPUTE_PGM_RSRC2:USER_SGPR: 6
; COMPUTE_PGM_RSRC2:TRAP_HANDLER: 0
; COMPUTE_PGM_RSRC2:TGID_X_EN: 1
; COMPUTE_PGM_RSRC2:TGID_Y_EN: 0
; COMPUTE_PGM_RSRC2:TGID_Z_EN: 0
; COMPUTE_PGM_RSRC2:TIDIG_COMP_CNT: 1
	.section	.text._ZN12_GLOBAL__N_121softmax_warp_backwardIdddLi5ELb1ELb0ELi64EEEvPT0_PKT_S5_iiiPKb,"axG",@progbits,_ZN12_GLOBAL__N_121softmax_warp_backwardIdddLi5ELb1ELb0ELi64EEEvPT0_PKT_S5_iiiPKb,comdat
	.globl	_ZN12_GLOBAL__N_121softmax_warp_backwardIdddLi5ELb1ELb0ELi64EEEvPT0_PKT_S5_iiiPKb ; -- Begin function _ZN12_GLOBAL__N_121softmax_warp_backwardIdddLi5ELb1ELb0ELi64EEEvPT0_PKT_S5_iiiPKb
	.p2align	8
	.type	_ZN12_GLOBAL__N_121softmax_warp_backwardIdddLi5ELb1ELb0ELi64EEEvPT0_PKT_S5_iiiPKb,@function
_ZN12_GLOBAL__N_121softmax_warp_backwardIdddLi5ELb1ELb0ELi64EEEvPT0_PKT_S5_iiiPKb: ; @_ZN12_GLOBAL__N_121softmax_warp_backwardIdddLi5ELb1ELb0ELi64EEEvPT0_PKT_S5_iiiPKb
; %bb.0:
	s_clause 0x1
	s_load_dword s7, s[4:5], 0x3c
	s_load_dwordx4 s[0:3], s[4:5], 0x18
	v_and_b32_e32 v0, 31, v0
	s_clause 0x1
	s_load_dwordx4 s[8:11], s[4:5], 0x0
	s_load_dwordx2 s[4:5], s[4:5], 0x10
	v_mov_b32_e32 v6, 0
	v_mov_b32_e32 v4, 0
	;; [unrolled: 1-line block ×4, first 2 shown]
	s_waitcnt lgkmcnt(0)
	s_lshr_b32 s3, s7, 16
	v_cmp_gt_i32_e32 vcc_lo, s2, v0
	s_and_b32 s3, s3, 0xffff
	s_mul_i32 s6, s6, s3
	v_add_lshl_u32 v3, s6, v1, 1
	v_mad_u64_u32 v[1:2], null, v3, s1, v[0:1]
	v_sub_nc_u32_e32 v18, s0, v3
	v_cmp_lt_i32_e64 s0, 0, v18
	v_ashrrev_i32_e32 v2, 31, v1
	s_and_b32 s3, vcc_lo, s0
	v_lshlrev_b64 v[10:11], 3, v[1:2]
	v_add_co_u32 v12, s1, s10, v10
	v_add_co_ci_u32_e64 v13, null, s11, v11, s1
	v_add_co_u32 v8, s1, s4, v10
	v_add_co_ci_u32_e64 v9, null, s5, v11, s1
	s_and_saveexec_b32 s1, s3
	s_cbranch_execz .LBB214_2
; %bb.1:
	global_load_dwordx2 v[4:5], v[12:13], off
	global_load_dwordx2 v[6:7], v[8:9], off
.LBB214_2:
	s_or_b32 exec_lo, exec_lo, s1
	v_cmp_gt_i32_e64 s1, 2, v18
	s_xor_b32 s3, vcc_lo, -1
	s_or_b32 s1, s3, s1
	s_and_saveexec_b32 s3, s1
	s_xor_b32 s1, exec_lo, s3
                                        ; implicit-def: $vgpr0_vgpr1
; %bb.3:
	s_mov_b32 s3, 0
                                        ; implicit-def: $vgpr8
                                        ; implicit-def: $vgpr12
	v_mov_b32_e32 v0, s3
	v_mov_b32_e32 v1, s3
; %bb.4:
	s_or_saveexec_b32 s4, s1
	v_mov_b32_e32 v2, 0
	v_mov_b32_e32 v3, 0
	s_xor_b32 exec_lo, exec_lo, s4
	s_cbranch_execz .LBB214_6
; %bb.5:
	s_mov_b32 s3, 0
	s_lshl_b64 s[6:7], s[2:3], 3
	v_add_co_u32 v0, s1, v12, s6
	v_add_co_ci_u32_e64 v1, null, s7, v13, s1
	v_add_co_u32 v2, s1, v8, s6
	v_add_co_ci_u32_e64 v3, null, s7, v9, s1
	global_load_dwordx2 v[0:1], v[0:1], off
	global_load_dwordx2 v[2:3], v[2:3], off
.LBB214_6:
	s_or_b32 exec_lo, exec_lo, s4
	v_mbcnt_lo_u32_b32 v19, -1, 0
	s_waitcnt vmcnt(1)
	v_add_f64 v[8:9], v[4:5], 0
	v_add_f64 v[12:13], v[0:1], 0
	v_xor_b32_e32 v14, 16, v19
	v_cmp_gt_i32_e64 s1, 32, v14
	v_cndmask_b32_e64 v14, v19, v14, s1
	v_lshlrev_b32_e32 v17, 2, v14
	ds_bpermute_b32 v14, v17, v8
	ds_bpermute_b32 v15, v17, v9
	ds_bpermute_b32 v16, v17, v12
	ds_bpermute_b32 v17, v17, v13
	s_waitcnt lgkmcnt(2)
	v_add_f64 v[8:9], v[8:9], v[14:15]
	v_xor_b32_e32 v14, 8, v19
	s_waitcnt lgkmcnt(0)
	v_add_f64 v[12:13], v[12:13], v[16:17]
	v_cmp_gt_i32_e64 s1, 32, v14
	v_cndmask_b32_e64 v14, v19, v14, s1
	v_lshlrev_b32_e32 v17, 2, v14
	ds_bpermute_b32 v14, v17, v8
	ds_bpermute_b32 v15, v17, v9
	ds_bpermute_b32 v16, v17, v12
	ds_bpermute_b32 v17, v17, v13
	s_waitcnt lgkmcnt(2)
	v_add_f64 v[8:9], v[8:9], v[14:15]
	v_xor_b32_e32 v14, 4, v19
	s_waitcnt lgkmcnt(0)
	v_add_f64 v[12:13], v[12:13], v[16:17]
	;; [unrolled: 12-line block ×3, first 2 shown]
	v_cmp_gt_i32_e64 s1, 32, v14
	v_cndmask_b32_e64 v14, v19, v14, s1
	v_lshlrev_b32_e32 v17, 2, v14
	ds_bpermute_b32 v14, v17, v8
	ds_bpermute_b32 v15, v17, v9
	;; [unrolled: 1-line block ×4, first 2 shown]
	s_waitcnt lgkmcnt(2)
	v_add_f64 v[14:15], v[8:9], v[14:15]
	s_waitcnt lgkmcnt(0)
	v_add_f64 v[8:9], v[12:13], v[16:17]
	v_xor_b32_e32 v12, 1, v19
	v_cmp_gt_i32_e64 s1, 32, v12
	v_cndmask_b32_e64 v12, v19, v12, s1
	v_lshlrev_b32_e32 v13, 2, v12
	ds_bpermute_b32 v16, v13, v14
	ds_bpermute_b32 v17, v13, v15
	;; [unrolled: 1-line block ×4, first 2 shown]
	s_and_saveexec_b32 s1, s0
	s_cbranch_execz .LBB214_11
; %bb.7:
	v_add_co_u32 v10, s0, s8, v10
	v_add_co_ci_u32_e64 v11, null, s9, v11, s0
	s_and_saveexec_b32 s3, vcc_lo
	s_cbranch_execz .LBB214_9
; %bb.8:
	s_mov_b32 s0, 0x652b82fe
	s_mov_b32 s1, 0x3ff71547
	s_mov_b32 s4, 0x6a5dcb37
	s_waitcnt vmcnt(0)
	v_mul_f64 v[19:20], v[6:7], s[0:1]
	s_mov_b32 s0, 0xfefa39ef
	s_mov_b32 s1, 0xbfe62e42
	s_mov_b32 s5, 0x3e5ade15
	v_rndne_f64_e32 v[19:20], v[19:20]
	v_fma_f64 v[21:22], v[19:20], s[0:1], v[6:7]
	s_mov_b32 s0, 0x3b39803f
	s_mov_b32 s1, 0xbc7abc9e
	v_cvt_i32_f64_e32 v25, v[19:20]
	v_fma_f64 v[21:22], v[19:20], s[0:1], v[21:22]
	s_mov_b32 s0, 0xfca7ab0c
	s_mov_b32 s1, 0x3e928af3
	v_fma_f64 v[23:24], v[21:22], s[4:5], s[0:1]
	s_mov_b32 s0, 0x623fde64
	s_mov_b32 s1, 0x3ec71dee
	;; [unrolled: 3-line block ×9, first 2 shown]
	v_fma_f64 v[23:24], v[21:22], v[23:24], s[0:1]
	v_cmp_nlt_f64_e64 s0, 0x40900000, v[6:7]
	v_cmp_ngt_f64_e64 s1, 0xc090cc00, v[6:7]
	s_waitcnt lgkmcnt(2)
	v_add_f64 v[6:7], v[14:15], v[16:17]
	v_fma_f64 v[23:24], v[21:22], v[23:24], 1.0
	v_fma_f64 v[19:20], v[21:22], v[23:24], 1.0
	v_ldexp_f64 v[19:20], v[19:20], v25
	v_cndmask_b32_e64 v20, 0x7ff00000, v20, s0
	s_and_b32 s0, s1, s0
	v_cndmask_b32_e64 v14, 0, v19, s0
	v_cndmask_b32_e64 v15, 0, v20, s1
	v_fma_f64 v[4:5], -v[6:7], v[14:15], v[4:5]
	global_store_dwordx2 v[10:11], v[4:5], off
.LBB214_9:
	s_or_b32 exec_lo, exec_lo, s3
	v_cmp_ne_u32_e64 s0, 1, v18
	s_and_b32 s0, s0, vcc_lo
	s_and_b32 exec_lo, exec_lo, s0
	s_cbranch_execz .LBB214_11
; %bb.10:
	s_mov_b32 s0, 0x652b82fe
	s_mov_b32 s1, 0x3ff71547
	;; [unrolled: 1-line block ×3, first 2 shown]
	s_waitcnt vmcnt(0)
	v_mul_f64 v[4:5], v[2:3], s[0:1]
	s_mov_b32 s0, 0xfefa39ef
	s_mov_b32 s1, 0xbfe62e42
	;; [unrolled: 1-line block ×3, first 2 shown]
	v_cmp_nlt_f64_e32 vcc_lo, 0x40900000, v[2:3]
	s_mov_b32 s3, 0
	v_rndne_f64_e32 v[4:5], v[4:5]
	v_fma_f64 v[6:7], v[4:5], s[0:1], v[2:3]
	s_mov_b32 s0, 0x3b39803f
	s_mov_b32 s1, 0xbc7abc9e
	s_waitcnt lgkmcnt(3)
	v_cvt_i32_f64_e32 v16, v[4:5]
	v_fma_f64 v[6:7], v[4:5], s[0:1], v[6:7]
	s_mov_b32 s0, 0xfca7ab0c
	s_mov_b32 s1, 0x3e928af3
	v_fma_f64 v[14:15], v[6:7], s[4:5], s[0:1]
	s_mov_b32 s0, 0x623fde64
	s_mov_b32 s1, 0x3ec71dee
	;; [unrolled: 3-line block ×9, first 2 shown]
	v_fma_f64 v[14:15], v[6:7], v[14:15], s[0:1]
	v_cmp_ngt_f64_e64 s0, 0xc090cc00, v[2:3]
	s_waitcnt lgkmcnt(0)
	v_add_f64 v[2:3], v[8:9], v[12:13]
	v_fma_f64 v[14:15], v[6:7], v[14:15], 1.0
	v_fma_f64 v[4:5], v[6:7], v[14:15], 1.0
	v_ldexp_f64 v[4:5], v[4:5], v16
	v_cndmask_b32_e32 v5, 0x7ff00000, v5, vcc_lo
	s_and_b32 vcc_lo, s0, vcc_lo
	v_cndmask_b32_e32 v4, 0, v4, vcc_lo
	v_cndmask_b32_e64 v5, 0, v5, s0
	s_lshl_b64 s[0:1], s[2:3], 3
	v_fma_f64 v[0:1], -v[2:3], v[4:5], v[0:1]
	v_add_co_u32 v2, vcc_lo, v10, s0
	v_add_co_ci_u32_e64 v3, null, s1, v11, vcc_lo
	global_store_dwordx2 v[2:3], v[0:1], off
.LBB214_11:
	s_endpgm
	.section	.rodata,"a",@progbits
	.p2align	6, 0x0
	.amdhsa_kernel _ZN12_GLOBAL__N_121softmax_warp_backwardIdddLi5ELb1ELb0ELi64EEEvPT0_PKT_S5_iiiPKb
		.amdhsa_group_segment_fixed_size 0
		.amdhsa_private_segment_fixed_size 0
		.amdhsa_kernarg_size 304
		.amdhsa_user_sgpr_count 6
		.amdhsa_user_sgpr_private_segment_buffer 1
		.amdhsa_user_sgpr_dispatch_ptr 0
		.amdhsa_user_sgpr_queue_ptr 0
		.amdhsa_user_sgpr_kernarg_segment_ptr 1
		.amdhsa_user_sgpr_dispatch_id 0
		.amdhsa_user_sgpr_flat_scratch_init 0
		.amdhsa_user_sgpr_private_segment_size 0
		.amdhsa_wavefront_size32 1
		.amdhsa_uses_dynamic_stack 0
		.amdhsa_system_sgpr_private_segment_wavefront_offset 0
		.amdhsa_system_sgpr_workgroup_id_x 1
		.amdhsa_system_sgpr_workgroup_id_y 0
		.amdhsa_system_sgpr_workgroup_id_z 0
		.amdhsa_system_sgpr_workgroup_info 0
		.amdhsa_system_vgpr_workitem_id 1
		.amdhsa_next_free_vgpr 26
		.amdhsa_next_free_sgpr 12
		.amdhsa_reserve_vcc 1
		.amdhsa_reserve_flat_scratch 0
		.amdhsa_float_round_mode_32 0
		.amdhsa_float_round_mode_16_64 0
		.amdhsa_float_denorm_mode_32 3
		.amdhsa_float_denorm_mode_16_64 3
		.amdhsa_dx10_clamp 1
		.amdhsa_ieee_mode 1
		.amdhsa_fp16_overflow 0
		.amdhsa_workgroup_processor_mode 1
		.amdhsa_memory_ordered 1
		.amdhsa_forward_progress 1
		.amdhsa_shared_vgpr_count 0
		.amdhsa_exception_fp_ieee_invalid_op 0
		.amdhsa_exception_fp_denorm_src 0
		.amdhsa_exception_fp_ieee_div_zero 0
		.amdhsa_exception_fp_ieee_overflow 0
		.amdhsa_exception_fp_ieee_underflow 0
		.amdhsa_exception_fp_ieee_inexact 0
		.amdhsa_exception_int_div_zero 0
	.end_amdhsa_kernel
	.section	.text._ZN12_GLOBAL__N_121softmax_warp_backwardIdddLi5ELb1ELb0ELi64EEEvPT0_PKT_S5_iiiPKb,"axG",@progbits,_ZN12_GLOBAL__N_121softmax_warp_backwardIdddLi5ELb1ELb0ELi64EEEvPT0_PKT_S5_iiiPKb,comdat
.Lfunc_end214:
	.size	_ZN12_GLOBAL__N_121softmax_warp_backwardIdddLi5ELb1ELb0ELi64EEEvPT0_PKT_S5_iiiPKb, .Lfunc_end214-_ZN12_GLOBAL__N_121softmax_warp_backwardIdddLi5ELb1ELb0ELi64EEEvPT0_PKT_S5_iiiPKb
                                        ; -- End function
	.set _ZN12_GLOBAL__N_121softmax_warp_backwardIdddLi5ELb1ELb0ELi64EEEvPT0_PKT_S5_iiiPKb.num_vgpr, 26
	.set _ZN12_GLOBAL__N_121softmax_warp_backwardIdddLi5ELb1ELb0ELi64EEEvPT0_PKT_S5_iiiPKb.num_agpr, 0
	.set _ZN12_GLOBAL__N_121softmax_warp_backwardIdddLi5ELb1ELb0ELi64EEEvPT0_PKT_S5_iiiPKb.numbered_sgpr, 12
	.set _ZN12_GLOBAL__N_121softmax_warp_backwardIdddLi5ELb1ELb0ELi64EEEvPT0_PKT_S5_iiiPKb.num_named_barrier, 0
	.set _ZN12_GLOBAL__N_121softmax_warp_backwardIdddLi5ELb1ELb0ELi64EEEvPT0_PKT_S5_iiiPKb.private_seg_size, 0
	.set _ZN12_GLOBAL__N_121softmax_warp_backwardIdddLi5ELb1ELb0ELi64EEEvPT0_PKT_S5_iiiPKb.uses_vcc, 1
	.set _ZN12_GLOBAL__N_121softmax_warp_backwardIdddLi5ELb1ELb0ELi64EEEvPT0_PKT_S5_iiiPKb.uses_flat_scratch, 0
	.set _ZN12_GLOBAL__N_121softmax_warp_backwardIdddLi5ELb1ELb0ELi64EEEvPT0_PKT_S5_iiiPKb.has_dyn_sized_stack, 0
	.set _ZN12_GLOBAL__N_121softmax_warp_backwardIdddLi5ELb1ELb0ELi64EEEvPT0_PKT_S5_iiiPKb.has_recursion, 0
	.set _ZN12_GLOBAL__N_121softmax_warp_backwardIdddLi5ELb1ELb0ELi64EEEvPT0_PKT_S5_iiiPKb.has_indirect_call, 0
	.section	.AMDGPU.csdata,"",@progbits
; Kernel info:
; codeLenInByte = 1624
; TotalNumSgprs: 14
; NumVgprs: 26
; ScratchSize: 0
; MemoryBound: 1
; FloatMode: 240
; IeeeMode: 1
; LDSByteSize: 0 bytes/workgroup (compile time only)
; SGPRBlocks: 0
; VGPRBlocks: 3
; NumSGPRsForWavesPerEU: 14
; NumVGPRsForWavesPerEU: 26
; Occupancy: 16
; WaveLimiterHint : 0
; COMPUTE_PGM_RSRC2:SCRATCH_EN: 0
; COMPUTE_PGM_RSRC2:USER_SGPR: 6
; COMPUTE_PGM_RSRC2:TRAP_HANDLER: 0
; COMPUTE_PGM_RSRC2:TGID_X_EN: 1
; COMPUTE_PGM_RSRC2:TGID_Y_EN: 0
; COMPUTE_PGM_RSRC2:TGID_Z_EN: 0
; COMPUTE_PGM_RSRC2:TIDIG_COMP_CNT: 1
	.section	.text._ZN12_GLOBAL__N_121softmax_warp_backwardIdddLi5ELb1ELb0ELi32EEEvPT0_PKT_S5_iiiPKb,"axG",@progbits,_ZN12_GLOBAL__N_121softmax_warp_backwardIdddLi5ELb1ELb0ELi32EEEvPT0_PKT_S5_iiiPKb,comdat
	.globl	_ZN12_GLOBAL__N_121softmax_warp_backwardIdddLi5ELb1ELb0ELi32EEEvPT0_PKT_S5_iiiPKb ; -- Begin function _ZN12_GLOBAL__N_121softmax_warp_backwardIdddLi5ELb1ELb0ELi32EEEvPT0_PKT_S5_iiiPKb
	.p2align	8
	.type	_ZN12_GLOBAL__N_121softmax_warp_backwardIdddLi5ELb1ELb0ELi32EEEvPT0_PKT_S5_iiiPKb,@function
_ZN12_GLOBAL__N_121softmax_warp_backwardIdddLi5ELb1ELb0ELi32EEEvPT0_PKT_S5_iiiPKb: ; @_ZN12_GLOBAL__N_121softmax_warp_backwardIdddLi5ELb1ELb0ELi32EEEvPT0_PKT_S5_iiiPKb
; %bb.0:
	s_clause 0x1
	s_load_dword s7, s[4:5], 0x3c
	s_load_dwordx4 s[0:3], s[4:5], 0x18
	v_and_b32_e32 v0, 31, v0
	s_clause 0x1
	s_load_dwordx4 s[8:11], s[4:5], 0x0
	s_load_dwordx2 s[4:5], s[4:5], 0x10
	v_mov_b32_e32 v6, 0
	v_mov_b32_e32 v4, 0
	;; [unrolled: 1-line block ×4, first 2 shown]
	s_waitcnt lgkmcnt(0)
	s_lshr_b32 s3, s7, 16
	v_cmp_gt_i32_e32 vcc_lo, s2, v0
	s_and_b32 s3, s3, 0xffff
	s_mul_i32 s6, s6, s3
	v_add_lshl_u32 v3, s6, v1, 1
	v_mad_u64_u32 v[1:2], null, v3, s1, v[0:1]
	v_sub_nc_u32_e32 v18, s0, v3
	v_cmp_lt_i32_e64 s0, 0, v18
	v_ashrrev_i32_e32 v2, 31, v1
	s_and_b32 s3, vcc_lo, s0
	v_lshlrev_b64 v[10:11], 3, v[1:2]
	v_add_co_u32 v12, s1, s10, v10
	v_add_co_ci_u32_e64 v13, null, s11, v11, s1
	v_add_co_u32 v8, s1, s4, v10
	v_add_co_ci_u32_e64 v9, null, s5, v11, s1
	s_and_saveexec_b32 s1, s3
	s_cbranch_execz .LBB215_2
; %bb.1:
	global_load_dwordx2 v[4:5], v[12:13], off
	global_load_dwordx2 v[6:7], v[8:9], off
.LBB215_2:
	s_or_b32 exec_lo, exec_lo, s1
	v_cmp_gt_i32_e64 s1, 2, v18
	s_xor_b32 s3, vcc_lo, -1
	s_or_b32 s1, s3, s1
	s_and_saveexec_b32 s3, s1
	s_xor_b32 s1, exec_lo, s3
                                        ; implicit-def: $vgpr0_vgpr1
; %bb.3:
	s_mov_b32 s3, 0
                                        ; implicit-def: $vgpr8
                                        ; implicit-def: $vgpr12
	v_mov_b32_e32 v0, s3
	v_mov_b32_e32 v1, s3
; %bb.4:
	s_or_saveexec_b32 s4, s1
	v_mov_b32_e32 v2, 0
	v_mov_b32_e32 v3, 0
	s_xor_b32 exec_lo, exec_lo, s4
	s_cbranch_execz .LBB215_6
; %bb.5:
	s_mov_b32 s3, 0
	s_lshl_b64 s[6:7], s[2:3], 3
	v_add_co_u32 v0, s1, v12, s6
	v_add_co_ci_u32_e64 v1, null, s7, v13, s1
	v_add_co_u32 v2, s1, v8, s6
	v_add_co_ci_u32_e64 v3, null, s7, v9, s1
	global_load_dwordx2 v[0:1], v[0:1], off
	global_load_dwordx2 v[2:3], v[2:3], off
.LBB215_6:
	s_or_b32 exec_lo, exec_lo, s4
	v_mbcnt_lo_u32_b32 v19, -1, 0
	s_waitcnt vmcnt(1)
	v_add_f64 v[8:9], v[4:5], 0
	v_add_f64 v[12:13], v[0:1], 0
	v_xor_b32_e32 v14, 16, v19
	v_cmp_gt_i32_e64 s1, 32, v14
	v_cndmask_b32_e64 v14, v19, v14, s1
	v_lshlrev_b32_e32 v17, 2, v14
	ds_bpermute_b32 v14, v17, v8
	ds_bpermute_b32 v15, v17, v9
	ds_bpermute_b32 v16, v17, v12
	ds_bpermute_b32 v17, v17, v13
	s_waitcnt lgkmcnt(2)
	v_add_f64 v[8:9], v[8:9], v[14:15]
	v_xor_b32_e32 v14, 8, v19
	s_waitcnt lgkmcnt(0)
	v_add_f64 v[12:13], v[12:13], v[16:17]
	v_cmp_gt_i32_e64 s1, 32, v14
	v_cndmask_b32_e64 v14, v19, v14, s1
	v_lshlrev_b32_e32 v17, 2, v14
	ds_bpermute_b32 v14, v17, v8
	ds_bpermute_b32 v15, v17, v9
	ds_bpermute_b32 v16, v17, v12
	ds_bpermute_b32 v17, v17, v13
	s_waitcnt lgkmcnt(2)
	v_add_f64 v[8:9], v[8:9], v[14:15]
	v_xor_b32_e32 v14, 4, v19
	s_waitcnt lgkmcnt(0)
	v_add_f64 v[12:13], v[12:13], v[16:17]
	;; [unrolled: 12-line block ×3, first 2 shown]
	v_cmp_gt_i32_e64 s1, 32, v14
	v_cndmask_b32_e64 v14, v19, v14, s1
	v_lshlrev_b32_e32 v17, 2, v14
	ds_bpermute_b32 v14, v17, v8
	ds_bpermute_b32 v15, v17, v9
	;; [unrolled: 1-line block ×4, first 2 shown]
	s_waitcnt lgkmcnt(2)
	v_add_f64 v[14:15], v[8:9], v[14:15]
	s_waitcnt lgkmcnt(0)
	v_add_f64 v[8:9], v[12:13], v[16:17]
	v_xor_b32_e32 v12, 1, v19
	v_cmp_gt_i32_e64 s1, 32, v12
	v_cndmask_b32_e64 v12, v19, v12, s1
	v_lshlrev_b32_e32 v13, 2, v12
	ds_bpermute_b32 v16, v13, v14
	ds_bpermute_b32 v17, v13, v15
	;; [unrolled: 1-line block ×4, first 2 shown]
	s_and_saveexec_b32 s1, s0
	s_cbranch_execz .LBB215_11
; %bb.7:
	v_add_co_u32 v10, s0, s8, v10
	v_add_co_ci_u32_e64 v11, null, s9, v11, s0
	s_and_saveexec_b32 s3, vcc_lo
	s_cbranch_execz .LBB215_9
; %bb.8:
	s_mov_b32 s0, 0x652b82fe
	s_mov_b32 s1, 0x3ff71547
	;; [unrolled: 1-line block ×3, first 2 shown]
	s_waitcnt vmcnt(0)
	v_mul_f64 v[19:20], v[6:7], s[0:1]
	s_mov_b32 s0, 0xfefa39ef
	s_mov_b32 s1, 0xbfe62e42
	;; [unrolled: 1-line block ×3, first 2 shown]
	v_rndne_f64_e32 v[19:20], v[19:20]
	v_fma_f64 v[21:22], v[19:20], s[0:1], v[6:7]
	s_mov_b32 s0, 0x3b39803f
	s_mov_b32 s1, 0xbc7abc9e
	v_cvt_i32_f64_e32 v25, v[19:20]
	v_fma_f64 v[21:22], v[19:20], s[0:1], v[21:22]
	s_mov_b32 s0, 0xfca7ab0c
	s_mov_b32 s1, 0x3e928af3
	v_fma_f64 v[23:24], v[21:22], s[4:5], s[0:1]
	s_mov_b32 s0, 0x623fde64
	s_mov_b32 s1, 0x3ec71dee
	;; [unrolled: 3-line block ×9, first 2 shown]
	v_fma_f64 v[23:24], v[21:22], v[23:24], s[0:1]
	v_cmp_nlt_f64_e64 s0, 0x40900000, v[6:7]
	v_cmp_ngt_f64_e64 s1, 0xc090cc00, v[6:7]
	s_waitcnt lgkmcnt(2)
	v_add_f64 v[6:7], v[14:15], v[16:17]
	v_fma_f64 v[23:24], v[21:22], v[23:24], 1.0
	v_fma_f64 v[19:20], v[21:22], v[23:24], 1.0
	v_ldexp_f64 v[19:20], v[19:20], v25
	v_cndmask_b32_e64 v20, 0x7ff00000, v20, s0
	s_and_b32 s0, s1, s0
	v_cndmask_b32_e64 v14, 0, v19, s0
	v_cndmask_b32_e64 v15, 0, v20, s1
	v_fma_f64 v[4:5], -v[6:7], v[14:15], v[4:5]
	global_store_dwordx2 v[10:11], v[4:5], off
.LBB215_9:
	s_or_b32 exec_lo, exec_lo, s3
	v_cmp_ne_u32_e64 s0, 1, v18
	s_and_b32 s0, s0, vcc_lo
	s_and_b32 exec_lo, exec_lo, s0
	s_cbranch_execz .LBB215_11
; %bb.10:
	s_mov_b32 s0, 0x652b82fe
	s_mov_b32 s1, 0x3ff71547
	;; [unrolled: 1-line block ×3, first 2 shown]
	s_waitcnt vmcnt(0)
	v_mul_f64 v[4:5], v[2:3], s[0:1]
	s_mov_b32 s0, 0xfefa39ef
	s_mov_b32 s1, 0xbfe62e42
	;; [unrolled: 1-line block ×3, first 2 shown]
	v_cmp_nlt_f64_e32 vcc_lo, 0x40900000, v[2:3]
	s_mov_b32 s3, 0
	v_rndne_f64_e32 v[4:5], v[4:5]
	v_fma_f64 v[6:7], v[4:5], s[0:1], v[2:3]
	s_mov_b32 s0, 0x3b39803f
	s_mov_b32 s1, 0xbc7abc9e
	s_waitcnt lgkmcnt(3)
	v_cvt_i32_f64_e32 v16, v[4:5]
	v_fma_f64 v[6:7], v[4:5], s[0:1], v[6:7]
	s_mov_b32 s0, 0xfca7ab0c
	s_mov_b32 s1, 0x3e928af3
	v_fma_f64 v[14:15], v[6:7], s[4:5], s[0:1]
	s_mov_b32 s0, 0x623fde64
	s_mov_b32 s1, 0x3ec71dee
	v_fma_f64 v[14:15], v[6:7], v[14:15], s[0:1]
	s_mov_b32 s0, 0x7c89e6b0
	s_mov_b32 s1, 0x3efa0199
	v_fma_f64 v[14:15], v[6:7], v[14:15], s[0:1]
	s_mov_b32 s0, 0x14761f6e
	s_mov_b32 s1, 0x3f2a01a0
	v_fma_f64 v[14:15], v[6:7], v[14:15], s[0:1]
	s_mov_b32 s0, 0x1852b7b0
	s_mov_b32 s1, 0x3f56c16c
	v_fma_f64 v[14:15], v[6:7], v[14:15], s[0:1]
	s_mov_b32 s0, 0x11122322
	s_mov_b32 s1, 0x3f811111
	v_fma_f64 v[14:15], v[6:7], v[14:15], s[0:1]
	s_mov_b32 s0, 0x555502a1
	s_mov_b32 s1, 0x3fa55555
	v_fma_f64 v[14:15], v[6:7], v[14:15], s[0:1]
	s_mov_b32 s0, 0x55555511
	s_mov_b32 s1, 0x3fc55555
	v_fma_f64 v[14:15], v[6:7], v[14:15], s[0:1]
	s_mov_b32 s0, 11
	s_mov_b32 s1, 0x3fe00000
	v_fma_f64 v[14:15], v[6:7], v[14:15], s[0:1]
	v_cmp_ngt_f64_e64 s0, 0xc090cc00, v[2:3]
	s_waitcnt lgkmcnt(0)
	v_add_f64 v[2:3], v[8:9], v[12:13]
	v_fma_f64 v[14:15], v[6:7], v[14:15], 1.0
	v_fma_f64 v[4:5], v[6:7], v[14:15], 1.0
	v_ldexp_f64 v[4:5], v[4:5], v16
	v_cndmask_b32_e32 v5, 0x7ff00000, v5, vcc_lo
	s_and_b32 vcc_lo, s0, vcc_lo
	v_cndmask_b32_e32 v4, 0, v4, vcc_lo
	v_cndmask_b32_e64 v5, 0, v5, s0
	s_lshl_b64 s[0:1], s[2:3], 3
	v_fma_f64 v[0:1], -v[2:3], v[4:5], v[0:1]
	v_add_co_u32 v2, vcc_lo, v10, s0
	v_add_co_ci_u32_e64 v3, null, s1, v11, vcc_lo
	global_store_dwordx2 v[2:3], v[0:1], off
.LBB215_11:
	s_endpgm
	.section	.rodata,"a",@progbits
	.p2align	6, 0x0
	.amdhsa_kernel _ZN12_GLOBAL__N_121softmax_warp_backwardIdddLi5ELb1ELb0ELi32EEEvPT0_PKT_S5_iiiPKb
		.amdhsa_group_segment_fixed_size 0
		.amdhsa_private_segment_fixed_size 0
		.amdhsa_kernarg_size 304
		.amdhsa_user_sgpr_count 6
		.amdhsa_user_sgpr_private_segment_buffer 1
		.amdhsa_user_sgpr_dispatch_ptr 0
		.amdhsa_user_sgpr_queue_ptr 0
		.amdhsa_user_sgpr_kernarg_segment_ptr 1
		.amdhsa_user_sgpr_dispatch_id 0
		.amdhsa_user_sgpr_flat_scratch_init 0
		.amdhsa_user_sgpr_private_segment_size 0
		.amdhsa_wavefront_size32 1
		.amdhsa_uses_dynamic_stack 0
		.amdhsa_system_sgpr_private_segment_wavefront_offset 0
		.amdhsa_system_sgpr_workgroup_id_x 1
		.amdhsa_system_sgpr_workgroup_id_y 0
		.amdhsa_system_sgpr_workgroup_id_z 0
		.amdhsa_system_sgpr_workgroup_info 0
		.amdhsa_system_vgpr_workitem_id 1
		.amdhsa_next_free_vgpr 26
		.amdhsa_next_free_sgpr 12
		.amdhsa_reserve_vcc 1
		.amdhsa_reserve_flat_scratch 0
		.amdhsa_float_round_mode_32 0
		.amdhsa_float_round_mode_16_64 0
		.amdhsa_float_denorm_mode_32 3
		.amdhsa_float_denorm_mode_16_64 3
		.amdhsa_dx10_clamp 1
		.amdhsa_ieee_mode 1
		.amdhsa_fp16_overflow 0
		.amdhsa_workgroup_processor_mode 1
		.amdhsa_memory_ordered 1
		.amdhsa_forward_progress 1
		.amdhsa_shared_vgpr_count 0
		.amdhsa_exception_fp_ieee_invalid_op 0
		.amdhsa_exception_fp_denorm_src 0
		.amdhsa_exception_fp_ieee_div_zero 0
		.amdhsa_exception_fp_ieee_overflow 0
		.amdhsa_exception_fp_ieee_underflow 0
		.amdhsa_exception_fp_ieee_inexact 0
		.amdhsa_exception_int_div_zero 0
	.end_amdhsa_kernel
	.section	.text._ZN12_GLOBAL__N_121softmax_warp_backwardIdddLi5ELb1ELb0ELi32EEEvPT0_PKT_S5_iiiPKb,"axG",@progbits,_ZN12_GLOBAL__N_121softmax_warp_backwardIdddLi5ELb1ELb0ELi32EEEvPT0_PKT_S5_iiiPKb,comdat
.Lfunc_end215:
	.size	_ZN12_GLOBAL__N_121softmax_warp_backwardIdddLi5ELb1ELb0ELi32EEEvPT0_PKT_S5_iiiPKb, .Lfunc_end215-_ZN12_GLOBAL__N_121softmax_warp_backwardIdddLi5ELb1ELb0ELi32EEEvPT0_PKT_S5_iiiPKb
                                        ; -- End function
	.set _ZN12_GLOBAL__N_121softmax_warp_backwardIdddLi5ELb1ELb0ELi32EEEvPT0_PKT_S5_iiiPKb.num_vgpr, 26
	.set _ZN12_GLOBAL__N_121softmax_warp_backwardIdddLi5ELb1ELb0ELi32EEEvPT0_PKT_S5_iiiPKb.num_agpr, 0
	.set _ZN12_GLOBAL__N_121softmax_warp_backwardIdddLi5ELb1ELb0ELi32EEEvPT0_PKT_S5_iiiPKb.numbered_sgpr, 12
	.set _ZN12_GLOBAL__N_121softmax_warp_backwardIdddLi5ELb1ELb0ELi32EEEvPT0_PKT_S5_iiiPKb.num_named_barrier, 0
	.set _ZN12_GLOBAL__N_121softmax_warp_backwardIdddLi5ELb1ELb0ELi32EEEvPT0_PKT_S5_iiiPKb.private_seg_size, 0
	.set _ZN12_GLOBAL__N_121softmax_warp_backwardIdddLi5ELb1ELb0ELi32EEEvPT0_PKT_S5_iiiPKb.uses_vcc, 1
	.set _ZN12_GLOBAL__N_121softmax_warp_backwardIdddLi5ELb1ELb0ELi32EEEvPT0_PKT_S5_iiiPKb.uses_flat_scratch, 0
	.set _ZN12_GLOBAL__N_121softmax_warp_backwardIdddLi5ELb1ELb0ELi32EEEvPT0_PKT_S5_iiiPKb.has_dyn_sized_stack, 0
	.set _ZN12_GLOBAL__N_121softmax_warp_backwardIdddLi5ELb1ELb0ELi32EEEvPT0_PKT_S5_iiiPKb.has_recursion, 0
	.set _ZN12_GLOBAL__N_121softmax_warp_backwardIdddLi5ELb1ELb0ELi32EEEvPT0_PKT_S5_iiiPKb.has_indirect_call, 0
	.section	.AMDGPU.csdata,"",@progbits
; Kernel info:
; codeLenInByte = 1624
; TotalNumSgprs: 14
; NumVgprs: 26
; ScratchSize: 0
; MemoryBound: 1
; FloatMode: 240
; IeeeMode: 1
; LDSByteSize: 0 bytes/workgroup (compile time only)
; SGPRBlocks: 0
; VGPRBlocks: 3
; NumSGPRsForWavesPerEU: 14
; NumVGPRsForWavesPerEU: 26
; Occupancy: 16
; WaveLimiterHint : 0
; COMPUTE_PGM_RSRC2:SCRATCH_EN: 0
; COMPUTE_PGM_RSRC2:USER_SGPR: 6
; COMPUTE_PGM_RSRC2:TRAP_HANDLER: 0
; COMPUTE_PGM_RSRC2:TGID_X_EN: 1
; COMPUTE_PGM_RSRC2:TGID_Y_EN: 0
; COMPUTE_PGM_RSRC2:TGID_Z_EN: 0
; COMPUTE_PGM_RSRC2:TIDIG_COMP_CNT: 1
	.section	.text._ZN12_GLOBAL__N_121softmax_warp_backwardIdddLi6ELb1ELb0ELi64EEEvPT0_PKT_S5_iiiPKb,"axG",@progbits,_ZN12_GLOBAL__N_121softmax_warp_backwardIdddLi6ELb1ELb0ELi64EEEvPT0_PKT_S5_iiiPKb,comdat
	.globl	_ZN12_GLOBAL__N_121softmax_warp_backwardIdddLi6ELb1ELb0ELi64EEEvPT0_PKT_S5_iiiPKb ; -- Begin function _ZN12_GLOBAL__N_121softmax_warp_backwardIdddLi6ELb1ELb0ELi64EEEvPT0_PKT_S5_iiiPKb
	.p2align	8
	.type	_ZN12_GLOBAL__N_121softmax_warp_backwardIdddLi6ELb1ELb0ELi64EEEvPT0_PKT_S5_iiiPKb,@function
_ZN12_GLOBAL__N_121softmax_warp_backwardIdddLi6ELb1ELb0ELi64EEEvPT0_PKT_S5_iiiPKb: ; @_ZN12_GLOBAL__N_121softmax_warp_backwardIdddLi6ELb1ELb0ELi64EEEvPT0_PKT_S5_iiiPKb
; %bb.0:
	s_clause 0x1
	s_load_dword s7, s[4:5], 0x3c
	s_load_dwordx4 s[0:3], s[4:5], 0x18
	v_and_b32_e32 v0, 63, v0
	s_clause 0x1
	s_load_dwordx4 s[8:11], s[4:5], 0x0
	s_load_dwordx2 s[4:5], s[4:5], 0x10
	v_mov_b32_e32 v6, 0
	v_mov_b32_e32 v4, 0
	;; [unrolled: 1-line block ×4, first 2 shown]
	s_waitcnt lgkmcnt(0)
	s_lshr_b32 s3, s7, 16
	v_cmp_gt_i32_e32 vcc_lo, s2, v0
	s_and_b32 s3, s3, 0xffff
	s_mul_i32 s6, s6, s3
	v_add_lshl_u32 v3, s6, v1, 1
	v_mad_u64_u32 v[1:2], null, v3, s1, v[0:1]
	v_sub_nc_u32_e32 v18, s0, v3
	v_cmp_lt_i32_e64 s0, 0, v18
	v_ashrrev_i32_e32 v2, 31, v1
	s_and_b32 s3, vcc_lo, s0
	v_lshlrev_b64 v[10:11], 3, v[1:2]
	v_add_co_u32 v12, s1, s10, v10
	v_add_co_ci_u32_e64 v13, null, s11, v11, s1
	v_add_co_u32 v8, s1, s4, v10
	v_add_co_ci_u32_e64 v9, null, s5, v11, s1
	s_and_saveexec_b32 s1, s3
	s_cbranch_execz .LBB216_2
; %bb.1:
	global_load_dwordx2 v[4:5], v[12:13], off
	global_load_dwordx2 v[6:7], v[8:9], off
.LBB216_2:
	s_or_b32 exec_lo, exec_lo, s1
	v_cmp_gt_i32_e64 s1, 2, v18
	s_xor_b32 s3, vcc_lo, -1
	s_or_b32 s1, s3, s1
	s_and_saveexec_b32 s3, s1
	s_xor_b32 s1, exec_lo, s3
                                        ; implicit-def: $vgpr0_vgpr1
; %bb.3:
	s_mov_b32 s3, 0
                                        ; implicit-def: $vgpr8
                                        ; implicit-def: $vgpr12
	v_mov_b32_e32 v0, s3
	v_mov_b32_e32 v1, s3
; %bb.4:
	s_or_saveexec_b32 s4, s1
	v_mov_b32_e32 v2, 0
	v_mov_b32_e32 v3, 0
	s_xor_b32 exec_lo, exec_lo, s4
	s_cbranch_execz .LBB216_6
; %bb.5:
	s_mov_b32 s3, 0
	s_lshl_b64 s[6:7], s[2:3], 3
	v_add_co_u32 v0, s1, v12, s6
	v_add_co_ci_u32_e64 v1, null, s7, v13, s1
	v_add_co_u32 v2, s1, v8, s6
	v_add_co_ci_u32_e64 v3, null, s7, v9, s1
	global_load_dwordx2 v[0:1], v[0:1], off
	global_load_dwordx2 v[2:3], v[2:3], off
.LBB216_6:
	s_or_b32 exec_lo, exec_lo, s4
	v_mbcnt_lo_u32_b32 v19, -1, 0
	s_waitcnt vmcnt(1)
	v_add_f64 v[8:9], v[4:5], 0
	v_add_f64 v[12:13], v[0:1], 0
	v_or_b32_e32 v14, 32, v19
	v_cmp_gt_i32_e64 s1, 64, v14
	v_cndmask_b32_e64 v14, v19, v14, s1
	v_lshlrev_b32_e32 v17, 2, v14
	ds_bpermute_b32 v14, v17, v8
	ds_bpermute_b32 v15, v17, v9
	ds_bpermute_b32 v16, v17, v12
	ds_bpermute_b32 v17, v17, v13
	s_waitcnt lgkmcnt(2)
	v_add_f64 v[8:9], v[8:9], v[14:15]
	v_xor_b32_e32 v14, 16, v19
	s_waitcnt lgkmcnt(0)
	v_add_f64 v[12:13], v[12:13], v[16:17]
	v_cmp_gt_i32_e64 s1, 64, v14
	v_cndmask_b32_e64 v14, v19, v14, s1
	v_lshlrev_b32_e32 v17, 2, v14
	ds_bpermute_b32 v14, v17, v8
	ds_bpermute_b32 v15, v17, v9
	ds_bpermute_b32 v16, v17, v12
	ds_bpermute_b32 v17, v17, v13
	s_waitcnt lgkmcnt(2)
	v_add_f64 v[8:9], v[8:9], v[14:15]
	v_xor_b32_e32 v14, 8, v19
	s_waitcnt lgkmcnt(0)
	v_add_f64 v[12:13], v[12:13], v[16:17]
	;; [unrolled: 12-line block ×4, first 2 shown]
	v_cmp_gt_i32_e64 s1, 64, v14
	v_cndmask_b32_e64 v14, v19, v14, s1
	v_lshlrev_b32_e32 v17, 2, v14
	ds_bpermute_b32 v14, v17, v8
	ds_bpermute_b32 v15, v17, v9
	;; [unrolled: 1-line block ×4, first 2 shown]
	s_waitcnt lgkmcnt(2)
	v_add_f64 v[14:15], v[8:9], v[14:15]
	s_waitcnt lgkmcnt(0)
	v_add_f64 v[8:9], v[12:13], v[16:17]
	v_xor_b32_e32 v12, 1, v19
	v_cmp_gt_i32_e64 s1, 64, v12
	v_cndmask_b32_e64 v12, v19, v12, s1
	v_lshlrev_b32_e32 v13, 2, v12
	ds_bpermute_b32 v16, v13, v14
	ds_bpermute_b32 v17, v13, v15
	;; [unrolled: 1-line block ×4, first 2 shown]
	s_and_saveexec_b32 s1, s0
	s_cbranch_execz .LBB216_11
; %bb.7:
	v_add_co_u32 v10, s0, s8, v10
	v_add_co_ci_u32_e64 v11, null, s9, v11, s0
	s_and_saveexec_b32 s3, vcc_lo
	s_cbranch_execz .LBB216_9
; %bb.8:
	s_mov_b32 s0, 0x652b82fe
	s_mov_b32 s1, 0x3ff71547
	;; [unrolled: 1-line block ×3, first 2 shown]
	s_waitcnt vmcnt(0)
	v_mul_f64 v[19:20], v[6:7], s[0:1]
	s_mov_b32 s0, 0xfefa39ef
	s_mov_b32 s1, 0xbfe62e42
	s_mov_b32 s5, 0x3e5ade15
	v_rndne_f64_e32 v[19:20], v[19:20]
	v_fma_f64 v[21:22], v[19:20], s[0:1], v[6:7]
	s_mov_b32 s0, 0x3b39803f
	s_mov_b32 s1, 0xbc7abc9e
	v_cvt_i32_f64_e32 v25, v[19:20]
	v_fma_f64 v[21:22], v[19:20], s[0:1], v[21:22]
	s_mov_b32 s0, 0xfca7ab0c
	s_mov_b32 s1, 0x3e928af3
	v_fma_f64 v[23:24], v[21:22], s[4:5], s[0:1]
	s_mov_b32 s0, 0x623fde64
	s_mov_b32 s1, 0x3ec71dee
	;; [unrolled: 3-line block ×9, first 2 shown]
	v_fma_f64 v[23:24], v[21:22], v[23:24], s[0:1]
	v_cmp_nlt_f64_e64 s0, 0x40900000, v[6:7]
	v_cmp_ngt_f64_e64 s1, 0xc090cc00, v[6:7]
	s_waitcnt lgkmcnt(2)
	v_add_f64 v[6:7], v[14:15], v[16:17]
	v_fma_f64 v[23:24], v[21:22], v[23:24], 1.0
	v_fma_f64 v[19:20], v[21:22], v[23:24], 1.0
	v_ldexp_f64 v[19:20], v[19:20], v25
	v_cndmask_b32_e64 v20, 0x7ff00000, v20, s0
	s_and_b32 s0, s1, s0
	v_cndmask_b32_e64 v14, 0, v19, s0
	v_cndmask_b32_e64 v15, 0, v20, s1
	v_fma_f64 v[4:5], -v[6:7], v[14:15], v[4:5]
	global_store_dwordx2 v[10:11], v[4:5], off
.LBB216_9:
	s_or_b32 exec_lo, exec_lo, s3
	v_cmp_ne_u32_e64 s0, 1, v18
	s_and_b32 s0, s0, vcc_lo
	s_and_b32 exec_lo, exec_lo, s0
	s_cbranch_execz .LBB216_11
; %bb.10:
	s_mov_b32 s0, 0x652b82fe
	s_mov_b32 s1, 0x3ff71547
	;; [unrolled: 1-line block ×3, first 2 shown]
	s_waitcnt vmcnt(0)
	v_mul_f64 v[4:5], v[2:3], s[0:1]
	s_mov_b32 s0, 0xfefa39ef
	s_mov_b32 s1, 0xbfe62e42
	;; [unrolled: 1-line block ×3, first 2 shown]
	v_cmp_nlt_f64_e32 vcc_lo, 0x40900000, v[2:3]
	s_mov_b32 s3, 0
	v_rndne_f64_e32 v[4:5], v[4:5]
	v_fma_f64 v[6:7], v[4:5], s[0:1], v[2:3]
	s_mov_b32 s0, 0x3b39803f
	s_mov_b32 s1, 0xbc7abc9e
	s_waitcnt lgkmcnt(3)
	v_cvt_i32_f64_e32 v16, v[4:5]
	v_fma_f64 v[6:7], v[4:5], s[0:1], v[6:7]
	s_mov_b32 s0, 0xfca7ab0c
	s_mov_b32 s1, 0x3e928af3
	v_fma_f64 v[14:15], v[6:7], s[4:5], s[0:1]
	s_mov_b32 s0, 0x623fde64
	s_mov_b32 s1, 0x3ec71dee
	;; [unrolled: 3-line block ×9, first 2 shown]
	v_fma_f64 v[14:15], v[6:7], v[14:15], s[0:1]
	v_cmp_ngt_f64_e64 s0, 0xc090cc00, v[2:3]
	s_waitcnt lgkmcnt(0)
	v_add_f64 v[2:3], v[8:9], v[12:13]
	v_fma_f64 v[14:15], v[6:7], v[14:15], 1.0
	v_fma_f64 v[4:5], v[6:7], v[14:15], 1.0
	v_ldexp_f64 v[4:5], v[4:5], v16
	v_cndmask_b32_e32 v5, 0x7ff00000, v5, vcc_lo
	s_and_b32 vcc_lo, s0, vcc_lo
	v_cndmask_b32_e32 v4, 0, v4, vcc_lo
	v_cndmask_b32_e64 v5, 0, v5, s0
	s_lshl_b64 s[0:1], s[2:3], 3
	v_fma_f64 v[0:1], -v[2:3], v[4:5], v[0:1]
	v_add_co_u32 v2, vcc_lo, v10, s0
	v_add_co_ci_u32_e64 v3, null, s1, v11, vcc_lo
	global_store_dwordx2 v[2:3], v[0:1], off
.LBB216_11:
	s_endpgm
	.section	.rodata,"a",@progbits
	.p2align	6, 0x0
	.amdhsa_kernel _ZN12_GLOBAL__N_121softmax_warp_backwardIdddLi6ELb1ELb0ELi64EEEvPT0_PKT_S5_iiiPKb
		.amdhsa_group_segment_fixed_size 0
		.amdhsa_private_segment_fixed_size 0
		.amdhsa_kernarg_size 304
		.amdhsa_user_sgpr_count 6
		.amdhsa_user_sgpr_private_segment_buffer 1
		.amdhsa_user_sgpr_dispatch_ptr 0
		.amdhsa_user_sgpr_queue_ptr 0
		.amdhsa_user_sgpr_kernarg_segment_ptr 1
		.amdhsa_user_sgpr_dispatch_id 0
		.amdhsa_user_sgpr_flat_scratch_init 0
		.amdhsa_user_sgpr_private_segment_size 0
		.amdhsa_wavefront_size32 1
		.amdhsa_uses_dynamic_stack 0
		.amdhsa_system_sgpr_private_segment_wavefront_offset 0
		.amdhsa_system_sgpr_workgroup_id_x 1
		.amdhsa_system_sgpr_workgroup_id_y 0
		.amdhsa_system_sgpr_workgroup_id_z 0
		.amdhsa_system_sgpr_workgroup_info 0
		.amdhsa_system_vgpr_workitem_id 1
		.amdhsa_next_free_vgpr 26
		.amdhsa_next_free_sgpr 12
		.amdhsa_reserve_vcc 1
		.amdhsa_reserve_flat_scratch 0
		.amdhsa_float_round_mode_32 0
		.amdhsa_float_round_mode_16_64 0
		.amdhsa_float_denorm_mode_32 3
		.amdhsa_float_denorm_mode_16_64 3
		.amdhsa_dx10_clamp 1
		.amdhsa_ieee_mode 1
		.amdhsa_fp16_overflow 0
		.amdhsa_workgroup_processor_mode 1
		.amdhsa_memory_ordered 1
		.amdhsa_forward_progress 1
		.amdhsa_shared_vgpr_count 0
		.amdhsa_exception_fp_ieee_invalid_op 0
		.amdhsa_exception_fp_denorm_src 0
		.amdhsa_exception_fp_ieee_div_zero 0
		.amdhsa_exception_fp_ieee_overflow 0
		.amdhsa_exception_fp_ieee_underflow 0
		.amdhsa_exception_fp_ieee_inexact 0
		.amdhsa_exception_int_div_zero 0
	.end_amdhsa_kernel
	.section	.text._ZN12_GLOBAL__N_121softmax_warp_backwardIdddLi6ELb1ELb0ELi64EEEvPT0_PKT_S5_iiiPKb,"axG",@progbits,_ZN12_GLOBAL__N_121softmax_warp_backwardIdddLi6ELb1ELb0ELi64EEEvPT0_PKT_S5_iiiPKb,comdat
.Lfunc_end216:
	.size	_ZN12_GLOBAL__N_121softmax_warp_backwardIdddLi6ELb1ELb0ELi64EEEvPT0_PKT_S5_iiiPKb, .Lfunc_end216-_ZN12_GLOBAL__N_121softmax_warp_backwardIdddLi6ELb1ELb0ELi64EEEvPT0_PKT_S5_iiiPKb
                                        ; -- End function
	.set _ZN12_GLOBAL__N_121softmax_warp_backwardIdddLi6ELb1ELb0ELi64EEEvPT0_PKT_S5_iiiPKb.num_vgpr, 26
	.set _ZN12_GLOBAL__N_121softmax_warp_backwardIdddLi6ELb1ELb0ELi64EEEvPT0_PKT_S5_iiiPKb.num_agpr, 0
	.set _ZN12_GLOBAL__N_121softmax_warp_backwardIdddLi6ELb1ELb0ELi64EEEvPT0_PKT_S5_iiiPKb.numbered_sgpr, 12
	.set _ZN12_GLOBAL__N_121softmax_warp_backwardIdddLi6ELb1ELb0ELi64EEEvPT0_PKT_S5_iiiPKb.num_named_barrier, 0
	.set _ZN12_GLOBAL__N_121softmax_warp_backwardIdddLi6ELb1ELb0ELi64EEEvPT0_PKT_S5_iiiPKb.private_seg_size, 0
	.set _ZN12_GLOBAL__N_121softmax_warp_backwardIdddLi6ELb1ELb0ELi64EEEvPT0_PKT_S5_iiiPKb.uses_vcc, 1
	.set _ZN12_GLOBAL__N_121softmax_warp_backwardIdddLi6ELb1ELb0ELi64EEEvPT0_PKT_S5_iiiPKb.uses_flat_scratch, 0
	.set _ZN12_GLOBAL__N_121softmax_warp_backwardIdddLi6ELb1ELb0ELi64EEEvPT0_PKT_S5_iiiPKb.has_dyn_sized_stack, 0
	.set _ZN12_GLOBAL__N_121softmax_warp_backwardIdddLi6ELb1ELb0ELi64EEEvPT0_PKT_S5_iiiPKb.has_recursion, 0
	.set _ZN12_GLOBAL__N_121softmax_warp_backwardIdddLi6ELb1ELb0ELi64EEEvPT0_PKT_S5_iiiPKb.has_indirect_call, 0
	.section	.AMDGPU.csdata,"",@progbits
; Kernel info:
; codeLenInByte = 1704
; TotalNumSgprs: 14
; NumVgprs: 26
; ScratchSize: 0
; MemoryBound: 1
; FloatMode: 240
; IeeeMode: 1
; LDSByteSize: 0 bytes/workgroup (compile time only)
; SGPRBlocks: 0
; VGPRBlocks: 3
; NumSGPRsForWavesPerEU: 14
; NumVGPRsForWavesPerEU: 26
; Occupancy: 16
; WaveLimiterHint : 0
; COMPUTE_PGM_RSRC2:SCRATCH_EN: 0
; COMPUTE_PGM_RSRC2:USER_SGPR: 6
; COMPUTE_PGM_RSRC2:TRAP_HANDLER: 0
; COMPUTE_PGM_RSRC2:TGID_X_EN: 1
; COMPUTE_PGM_RSRC2:TGID_Y_EN: 0
; COMPUTE_PGM_RSRC2:TGID_Z_EN: 0
; COMPUTE_PGM_RSRC2:TIDIG_COMP_CNT: 1
	.section	.text._ZN12_GLOBAL__N_121softmax_warp_backwardIdddLi6ELb1ELb0ELi32EEEvPT0_PKT_S5_iiiPKb,"axG",@progbits,_ZN12_GLOBAL__N_121softmax_warp_backwardIdddLi6ELb1ELb0ELi32EEEvPT0_PKT_S5_iiiPKb,comdat
	.globl	_ZN12_GLOBAL__N_121softmax_warp_backwardIdddLi6ELb1ELb0ELi32EEEvPT0_PKT_S5_iiiPKb ; -- Begin function _ZN12_GLOBAL__N_121softmax_warp_backwardIdddLi6ELb1ELb0ELi32EEEvPT0_PKT_S5_iiiPKb
	.p2align	8
	.type	_ZN12_GLOBAL__N_121softmax_warp_backwardIdddLi6ELb1ELb0ELi32EEEvPT0_PKT_S5_iiiPKb,@function
_ZN12_GLOBAL__N_121softmax_warp_backwardIdddLi6ELb1ELb0ELi32EEEvPT0_PKT_S5_iiiPKb: ; @_ZN12_GLOBAL__N_121softmax_warp_backwardIdddLi6ELb1ELb0ELi32EEEvPT0_PKT_S5_iiiPKb
; %bb.0:
	s_clause 0x1
	s_load_dword s0, s[4:5], 0x3c
	s_load_dwordx4 s[8:11], s[4:5], 0x18
	v_and_b32_e32 v0, 31, v0
	s_clause 0x1
	s_load_dwordx4 s[12:15], s[4:5], 0x0
	s_load_dwordx2 s[2:3], s[4:5], 0x10
	v_mov_b32_e32 v10, 0
	v_mov_b32_e32 v14, 0
	;; [unrolled: 1-line block ×6, first 2 shown]
	s_waitcnt lgkmcnt(0)
	s_lshr_b32 s0, s0, 16
	s_and_b32 s0, s0, 0xffff
	s_mul_i32 s6, s6, s0
	v_cmp_gt_i32_e64 s0, s10, v0
	v_add_lshl_u32 v3, s6, v1, 1
	v_mad_u64_u32 v[1:2], null, v3, s9, v[0:1]
	v_sub_nc_u32_e32 v26, s8, v3
	v_cmp_lt_i32_e64 s1, 0, v26
	v_ashrrev_i32_e32 v2, 31, v1
	v_lshlrev_b64 v[8:9], 3, v[1:2]
	v_add_co_u32 v20, vcc_lo, s14, v8
	v_add_co_ci_u32_e64 v21, null, s15, v9, vcc_lo
	v_add_co_u32 v18, vcc_lo, s2, v8
	v_add_co_ci_u32_e64 v19, null, s3, v9, vcc_lo
	s_and_b32 s3, s1, s0
	s_and_saveexec_b32 s2, s3
	s_cbranch_execz .LBB217_2
; %bb.1:
	global_load_dwordx2 v[14:15], v[20:21], off
	global_load_dwordx2 v[16:17], v[18:19], off
.LBB217_2:
	s_or_b32 exec_lo, exec_lo, s2
	v_or_b32_e32 v0, 32, v0
	v_mov_b32_e32 v12, 0
	v_mov_b32_e32 v13, 0
	v_cmp_gt_i32_e32 vcc_lo, s10, v0
	s_and_b32 s3, s1, vcc_lo
	s_and_saveexec_b32 s2, s3
	s_cbranch_execz .LBB217_4
; %bb.3:
	global_load_dwordx2 v[10:11], v[20:21], off offset:256
	global_load_dwordx2 v[12:13], v[18:19], off offset:256
.LBB217_4:
	s_or_b32 exec_lo, exec_lo, s2
	v_cmp_lt_i32_e64 s2, 1, v26
	v_mov_b32_e32 v0, 0
	v_mov_b32_e32 v4, 0
	;; [unrolled: 1-line block ×6, first 2 shown]
	s_and_b32 s3, s2, s0
	s_and_saveexec_b32 s4, s3
	s_cbranch_execz .LBB217_6
; %bb.5:
	s_mov_b32 s11, 0
	s_lshl_b64 s[6:7], s[10:11], 3
	v_add_co_u32 v2, s3, v20, s6
	v_add_co_ci_u32_e64 v3, null, s7, v21, s3
	v_add_co_u32 v6, s3, v18, s6
	v_add_co_ci_u32_e64 v7, null, s7, v19, s3
	global_load_dwordx2 v[4:5], v[2:3], off
	global_load_dwordx2 v[6:7], v[6:7], off
.LBB217_6:
	s_or_b32 exec_lo, exec_lo, s4
	v_mov_b32_e32 v2, 0
	v_mov_b32_e32 v3, 0
	s_and_b32 s2, s2, vcc_lo
	s_and_saveexec_b32 s3, s2
	s_cbranch_execz .LBB217_8
; %bb.7:
	s_mov_b32 s11, 0
	s_lshl_b64 s[4:5], s[10:11], 3
	v_add_co_u32 v0, s2, v20, s4
	v_add_co_ci_u32_e64 v1, null, s5, v21, s2
	v_add_co_u32 v2, s2, v18, s4
	v_add_co_ci_u32_e64 v3, null, s5, v19, s2
	global_load_dwordx2 v[0:1], v[0:1], off offset:256
	global_load_dwordx2 v[2:3], v[2:3], off offset:256
.LBB217_8:
	s_or_b32 exec_lo, exec_lo, s3
	s_waitcnt vmcnt(1)
	v_add_f64 v[18:19], v[14:15], 0
	v_add_f64 v[20:21], v[4:5], 0
	v_mbcnt_lo_u32_b32 v27, -1, 0
	v_xor_b32_e32 v22, 16, v27
	v_cmp_gt_i32_e64 s2, 32, v22
	v_cndmask_b32_e64 v22, v27, v22, s2
	v_lshlrev_b32_e32 v25, 2, v22
	v_add_f64 v[18:19], v[18:19], v[10:11]
	v_add_f64 v[20:21], v[20:21], v[0:1]
	ds_bpermute_b32 v22, v25, v18
	ds_bpermute_b32 v23, v25, v19
	ds_bpermute_b32 v24, v25, v20
	ds_bpermute_b32 v25, v25, v21
	s_waitcnt lgkmcnt(2)
	v_add_f64 v[18:19], v[18:19], v[22:23]
	v_xor_b32_e32 v22, 8, v27
	s_waitcnt lgkmcnt(0)
	v_add_f64 v[20:21], v[20:21], v[24:25]
	v_cmp_gt_i32_e64 s2, 32, v22
	v_cndmask_b32_e64 v22, v27, v22, s2
	v_lshlrev_b32_e32 v25, 2, v22
	ds_bpermute_b32 v22, v25, v18
	ds_bpermute_b32 v23, v25, v19
	ds_bpermute_b32 v24, v25, v20
	ds_bpermute_b32 v25, v25, v21
	s_waitcnt lgkmcnt(2)
	v_add_f64 v[18:19], v[18:19], v[22:23]
	v_xor_b32_e32 v22, 4, v27
	s_waitcnt lgkmcnt(0)
	v_add_f64 v[20:21], v[20:21], v[24:25]
	v_cmp_gt_i32_e64 s2, 32, v22
	v_cndmask_b32_e64 v22, v27, v22, s2
	v_lshlrev_b32_e32 v25, 2, v22
	;; [unrolled: 12-line block ×3, first 2 shown]
	ds_bpermute_b32 v22, v25, v18
	ds_bpermute_b32 v23, v25, v19
	;; [unrolled: 1-line block ×4, first 2 shown]
	s_waitcnt lgkmcnt(2)
	v_add_f64 v[22:23], v[18:19], v[22:23]
	s_waitcnt lgkmcnt(0)
	v_add_f64 v[18:19], v[20:21], v[24:25]
	v_xor_b32_e32 v20, 1, v27
	v_cmp_gt_i32_e64 s2, 32, v20
	v_cndmask_b32_e64 v20, v27, v20, s2
	v_lshlrev_b32_e32 v21, 2, v20
	ds_bpermute_b32 v24, v21, v22
	ds_bpermute_b32 v25, v21, v23
	;; [unrolled: 1-line block ×4, first 2 shown]
	s_and_saveexec_b32 s2, s1
	s_cbranch_execz .LBB217_12
; %bb.9:
	s_waitcnt lgkmcnt(2)
	v_add_f64 v[22:23], v[22:23], v[24:25]
	v_add_co_u32 v8, s1, s12, v8
	v_add_co_ci_u32_e64 v9, null, s13, v9, s1
	s_and_saveexec_b32 s3, s0
	s_cbranch_execnz .LBB217_13
; %bb.10:
	s_or_b32 exec_lo, exec_lo, s3
	s_and_saveexec_b32 s3, vcc_lo
	s_cbranch_execnz .LBB217_14
.LBB217_11:
	s_or_b32 exec_lo, exec_lo, s3
	v_cmp_ne_u32_e64 s1, 1, v26
	s_and_b32 exec_lo, exec_lo, s1
	s_cbranch_execnz .LBB217_15
.LBB217_12:
	s_endpgm
.LBB217_13:
	s_mov_b32 s4, 0x652b82fe
	s_mov_b32 s5, 0x3ff71547
	;; [unrolled: 1-line block ×3, first 2 shown]
	s_waitcnt vmcnt(0)
	v_mul_f64 v[24:25], v[16:17], s[4:5]
	s_mov_b32 s4, 0xfefa39ef
	s_mov_b32 s5, 0xbfe62e42
	;; [unrolled: 1-line block ×3, first 2 shown]
	v_cmp_nlt_f64_e64 s1, 0x40900000, v[16:17]
	v_cmp_ngt_f64_e64 s2, 0xc090cc00, v[16:17]
	v_rndne_f64_e32 v[24:25], v[24:25]
	v_fma_f64 v[27:28], v[24:25], s[4:5], v[16:17]
	s_mov_b32 s4, 0x3b39803f
	s_mov_b32 s5, 0xbc7abc9e
	v_cvt_i32_f64_e32 v31, v[24:25]
	v_fma_f64 v[27:28], v[24:25], s[4:5], v[27:28]
	s_mov_b32 s4, 0xfca7ab0c
	s_mov_b32 s5, 0x3e928af3
	v_fma_f64 v[29:30], v[27:28], s[6:7], s[4:5]
	s_mov_b32 s4, 0x623fde64
	s_mov_b32 s5, 0x3ec71dee
	;; [unrolled: 3-line block ×9, first 2 shown]
	v_fma_f64 v[29:30], v[27:28], v[29:30], s[4:5]
	v_fma_f64 v[29:30], v[27:28], v[29:30], 1.0
	v_fma_f64 v[24:25], v[27:28], v[29:30], 1.0
	v_ldexp_f64 v[24:25], v[24:25], v31
	v_cndmask_b32_e64 v25, 0x7ff00000, v25, s1
	s_and_b32 s1, s2, s1
	v_cndmask_b32_e64 v16, 0, v24, s1
	v_cndmask_b32_e64 v17, 0, v25, s2
	v_fma_f64 v[14:15], -v[22:23], v[16:17], v[14:15]
	global_store_dwordx2 v[8:9], v[14:15], off
	s_or_b32 exec_lo, exec_lo, s3
	s_and_saveexec_b32 s3, vcc_lo
	s_cbranch_execz .LBB217_11
.LBB217_14:
	s_mov_b32 s4, 0x652b82fe
	s_mov_b32 s5, 0x3ff71547
	;; [unrolled: 1-line block ×3, first 2 shown]
	s_waitcnt vmcnt(0)
	v_mul_f64 v[14:15], v[12:13], s[4:5]
	s_mov_b32 s4, 0xfefa39ef
	s_mov_b32 s5, 0xbfe62e42
	s_mov_b32 s7, 0x3e5ade15
	v_cmp_nlt_f64_e64 s1, 0x40900000, v[12:13]
	v_cmp_ngt_f64_e64 s2, 0xc090cc00, v[12:13]
	v_rndne_f64_e32 v[14:15], v[14:15]
	v_fma_f64 v[16:17], v[14:15], s[4:5], v[12:13]
	s_mov_b32 s4, 0x3b39803f
	s_mov_b32 s5, 0xbc7abc9e
	v_cvt_i32_f64_e32 v27, v[14:15]
	v_fma_f64 v[16:17], v[14:15], s[4:5], v[16:17]
	s_mov_b32 s4, 0xfca7ab0c
	s_mov_b32 s5, 0x3e928af3
	v_fma_f64 v[24:25], v[16:17], s[6:7], s[4:5]
	s_mov_b32 s4, 0x623fde64
	s_mov_b32 s5, 0x3ec71dee
	;; [unrolled: 3-line block ×9, first 2 shown]
	v_fma_f64 v[24:25], v[16:17], v[24:25], s[4:5]
	v_fma_f64 v[24:25], v[16:17], v[24:25], 1.0
	v_fma_f64 v[14:15], v[16:17], v[24:25], 1.0
	v_ldexp_f64 v[14:15], v[14:15], v27
	v_cndmask_b32_e64 v15, 0x7ff00000, v15, s1
	s_and_b32 s1, s2, s1
	v_cndmask_b32_e64 v12, 0, v14, s1
	v_cndmask_b32_e64 v13, 0, v15, s2
	v_fma_f64 v[10:11], -v[22:23], v[12:13], v[10:11]
	global_store_dwordx2 v[8:9], v[10:11], off offset:256
	s_or_b32 exec_lo, exec_lo, s3
	v_cmp_ne_u32_e64 s1, 1, v26
	s_and_b32 exec_lo, exec_lo, s1
	s_cbranch_execz .LBB217_12
.LBB217_15:
	s_waitcnt lgkmcnt(0)
	v_add_f64 v[10:11], v[18:19], v[20:21]
	s_and_saveexec_b32 s2, s0
	s_cbranch_execz .LBB217_17
; %bb.16:
	s_mov_b32 s0, 0x652b82fe
	s_mov_b32 s1, 0x3ff71547
	;; [unrolled: 1-line block ×3, first 2 shown]
	s_waitcnt vmcnt(0)
	v_mul_f64 v[12:13], v[6:7], s[0:1]
	s_mov_b32 s0, 0xfefa39ef
	s_mov_b32 s1, 0xbfe62e42
	;; [unrolled: 1-line block ×4, first 2 shown]
	v_rndne_f64_e32 v[12:13], v[12:13]
	v_fma_f64 v[14:15], v[12:13], s[0:1], v[6:7]
	s_mov_b32 s0, 0x3b39803f
	s_mov_b32 s1, 0xbc7abc9e
	v_cvt_i32_f64_e32 v18, v[12:13]
	v_fma_f64 v[14:15], v[12:13], s[0:1], v[14:15]
	s_mov_b32 s0, 0xfca7ab0c
	s_mov_b32 s1, 0x3e928af3
	v_fma_f64 v[16:17], v[14:15], s[4:5], s[0:1]
	s_mov_b32 s0, 0x623fde64
	s_mov_b32 s1, 0x3ec71dee
	;; [unrolled: 3-line block ×9, first 2 shown]
	v_fma_f64 v[16:17], v[14:15], v[16:17], s[0:1]
	v_cmp_nlt_f64_e64 s0, 0x40900000, v[6:7]
	v_cmp_ngt_f64_e64 s1, 0xc090cc00, v[6:7]
	v_fma_f64 v[16:17], v[14:15], v[16:17], 1.0
	v_fma_f64 v[12:13], v[14:15], v[16:17], 1.0
	v_ldexp_f64 v[12:13], v[12:13], v18
	v_cndmask_b32_e64 v13, 0x7ff00000, v13, s0
	s_and_b32 s0, s1, s0
	v_cndmask_b32_e64 v6, 0, v12, s0
	v_cndmask_b32_e64 v7, 0, v13, s1
	s_lshl_b64 s[0:1], s[10:11], 3
	v_fma_f64 v[4:5], -v[10:11], v[6:7], v[4:5]
	v_add_co_u32 v6, s0, v8, s0
	v_add_co_ci_u32_e64 v7, null, s1, v9, s0
	global_store_dwordx2 v[6:7], v[4:5], off
.LBB217_17:
	s_or_b32 exec_lo, exec_lo, s2
	s_and_b32 exec_lo, exec_lo, vcc_lo
	s_cbranch_execz .LBB217_12
; %bb.18:
	s_mov_b32 s0, 0x652b82fe
	s_mov_b32 s1, 0x3ff71547
	;; [unrolled: 1-line block ×3, first 2 shown]
	s_waitcnt vmcnt(0)
	v_mul_f64 v[4:5], v[2:3], s[0:1]
	s_mov_b32 s0, 0xfefa39ef
	s_mov_b32 s1, 0xbfe62e42
	;; [unrolled: 1-line block ×3, first 2 shown]
	v_cmp_nlt_f64_e32 vcc_lo, 0x40900000, v[2:3]
	s_mov_b32 s11, 0
	v_rndne_f64_e32 v[4:5], v[4:5]
	v_fma_f64 v[6:7], v[4:5], s[0:1], v[2:3]
	s_mov_b32 s0, 0x3b39803f
	s_mov_b32 s1, 0xbc7abc9e
	v_cvt_i32_f64_e32 v14, v[4:5]
	v_fma_f64 v[6:7], v[4:5], s[0:1], v[6:7]
	s_mov_b32 s0, 0xfca7ab0c
	s_mov_b32 s1, 0x3e928af3
	v_fma_f64 v[12:13], v[6:7], s[2:3], s[0:1]
	s_mov_b32 s0, 0x623fde64
	s_mov_b32 s1, 0x3ec71dee
	;; [unrolled: 3-line block ×9, first 2 shown]
	v_fma_f64 v[12:13], v[6:7], v[12:13], s[0:1]
	v_cmp_ngt_f64_e64 s0, 0xc090cc00, v[2:3]
	v_fma_f64 v[12:13], v[6:7], v[12:13], 1.0
	v_fma_f64 v[4:5], v[6:7], v[12:13], 1.0
	v_ldexp_f64 v[4:5], v[4:5], v14
	v_cndmask_b32_e32 v5, 0x7ff00000, v5, vcc_lo
	s_and_b32 vcc_lo, s0, vcc_lo
	v_cndmask_b32_e32 v2, 0, v4, vcc_lo
	v_cndmask_b32_e64 v3, 0, v5, s0
	s_lshl_b64 s[0:1], s[10:11], 3
	v_fma_f64 v[0:1], -v[10:11], v[2:3], v[0:1]
	v_add_co_u32 v2, vcc_lo, v8, s0
	v_add_co_ci_u32_e64 v3, null, s1, v9, vcc_lo
	global_store_dwordx2 v[2:3], v[0:1], off offset:256
	s_endpgm
	.section	.rodata,"a",@progbits
	.p2align	6, 0x0
	.amdhsa_kernel _ZN12_GLOBAL__N_121softmax_warp_backwardIdddLi6ELb1ELb0ELi32EEEvPT0_PKT_S5_iiiPKb
		.amdhsa_group_segment_fixed_size 0
		.amdhsa_private_segment_fixed_size 0
		.amdhsa_kernarg_size 304
		.amdhsa_user_sgpr_count 6
		.amdhsa_user_sgpr_private_segment_buffer 1
		.amdhsa_user_sgpr_dispatch_ptr 0
		.amdhsa_user_sgpr_queue_ptr 0
		.amdhsa_user_sgpr_kernarg_segment_ptr 1
		.amdhsa_user_sgpr_dispatch_id 0
		.amdhsa_user_sgpr_flat_scratch_init 0
		.amdhsa_user_sgpr_private_segment_size 0
		.amdhsa_wavefront_size32 1
		.amdhsa_uses_dynamic_stack 0
		.amdhsa_system_sgpr_private_segment_wavefront_offset 0
		.amdhsa_system_sgpr_workgroup_id_x 1
		.amdhsa_system_sgpr_workgroup_id_y 0
		.amdhsa_system_sgpr_workgroup_id_z 0
		.amdhsa_system_sgpr_workgroup_info 0
		.amdhsa_system_vgpr_workitem_id 1
		.amdhsa_next_free_vgpr 32
		.amdhsa_next_free_sgpr 16
		.amdhsa_reserve_vcc 1
		.amdhsa_reserve_flat_scratch 0
		.amdhsa_float_round_mode_32 0
		.amdhsa_float_round_mode_16_64 0
		.amdhsa_float_denorm_mode_32 3
		.amdhsa_float_denorm_mode_16_64 3
		.amdhsa_dx10_clamp 1
		.amdhsa_ieee_mode 1
		.amdhsa_fp16_overflow 0
		.amdhsa_workgroup_processor_mode 1
		.amdhsa_memory_ordered 1
		.amdhsa_forward_progress 1
		.amdhsa_shared_vgpr_count 0
		.amdhsa_exception_fp_ieee_invalid_op 0
		.amdhsa_exception_fp_denorm_src 0
		.amdhsa_exception_fp_ieee_div_zero 0
		.amdhsa_exception_fp_ieee_overflow 0
		.amdhsa_exception_fp_ieee_underflow 0
		.amdhsa_exception_fp_ieee_inexact 0
		.amdhsa_exception_int_div_zero 0
	.end_amdhsa_kernel
	.section	.text._ZN12_GLOBAL__N_121softmax_warp_backwardIdddLi6ELb1ELb0ELi32EEEvPT0_PKT_S5_iiiPKb,"axG",@progbits,_ZN12_GLOBAL__N_121softmax_warp_backwardIdddLi6ELb1ELb0ELi32EEEvPT0_PKT_S5_iiiPKb,comdat
.Lfunc_end217:
	.size	_ZN12_GLOBAL__N_121softmax_warp_backwardIdddLi6ELb1ELb0ELi32EEEvPT0_PKT_S5_iiiPKb, .Lfunc_end217-_ZN12_GLOBAL__N_121softmax_warp_backwardIdddLi6ELb1ELb0ELi32EEEvPT0_PKT_S5_iiiPKb
                                        ; -- End function
	.set _ZN12_GLOBAL__N_121softmax_warp_backwardIdddLi6ELb1ELb0ELi32EEEvPT0_PKT_S5_iiiPKb.num_vgpr, 32
	.set _ZN12_GLOBAL__N_121softmax_warp_backwardIdddLi6ELb1ELb0ELi32EEEvPT0_PKT_S5_iiiPKb.num_agpr, 0
	.set _ZN12_GLOBAL__N_121softmax_warp_backwardIdddLi6ELb1ELb0ELi32EEEvPT0_PKT_S5_iiiPKb.numbered_sgpr, 16
	.set _ZN12_GLOBAL__N_121softmax_warp_backwardIdddLi6ELb1ELb0ELi32EEEvPT0_PKT_S5_iiiPKb.num_named_barrier, 0
	.set _ZN12_GLOBAL__N_121softmax_warp_backwardIdddLi6ELb1ELb0ELi32EEEvPT0_PKT_S5_iiiPKb.private_seg_size, 0
	.set _ZN12_GLOBAL__N_121softmax_warp_backwardIdddLi6ELb1ELb0ELi32EEEvPT0_PKT_S5_iiiPKb.uses_vcc, 1
	.set _ZN12_GLOBAL__N_121softmax_warp_backwardIdddLi6ELb1ELb0ELi32EEEvPT0_PKT_S5_iiiPKb.uses_flat_scratch, 0
	.set _ZN12_GLOBAL__N_121softmax_warp_backwardIdddLi6ELb1ELb0ELi32EEEvPT0_PKT_S5_iiiPKb.has_dyn_sized_stack, 0
	.set _ZN12_GLOBAL__N_121softmax_warp_backwardIdddLi6ELb1ELb0ELi32EEEvPT0_PKT_S5_iiiPKb.has_recursion, 0
	.set _ZN12_GLOBAL__N_121softmax_warp_backwardIdddLi6ELb1ELb0ELi32EEEvPT0_PKT_S5_iiiPKb.has_indirect_call, 0
	.section	.AMDGPU.csdata,"",@progbits
; Kernel info:
; codeLenInByte = 2668
; TotalNumSgprs: 18
; NumVgprs: 32
; ScratchSize: 0
; MemoryBound: 0
; FloatMode: 240
; IeeeMode: 1
; LDSByteSize: 0 bytes/workgroup (compile time only)
; SGPRBlocks: 0
; VGPRBlocks: 3
; NumSGPRsForWavesPerEU: 18
; NumVGPRsForWavesPerEU: 32
; Occupancy: 16
; WaveLimiterHint : 0
; COMPUTE_PGM_RSRC2:SCRATCH_EN: 0
; COMPUTE_PGM_RSRC2:USER_SGPR: 6
; COMPUTE_PGM_RSRC2:TRAP_HANDLER: 0
; COMPUTE_PGM_RSRC2:TGID_X_EN: 1
; COMPUTE_PGM_RSRC2:TGID_Y_EN: 0
; COMPUTE_PGM_RSRC2:TGID_Z_EN: 0
; COMPUTE_PGM_RSRC2:TIDIG_COMP_CNT: 1
	.section	.text._ZN12_GLOBAL__N_121softmax_warp_backwardIdddLi7ELb1ELb0ELi64EEEvPT0_PKT_S5_iiiPKb,"axG",@progbits,_ZN12_GLOBAL__N_121softmax_warp_backwardIdddLi7ELb1ELb0ELi64EEEvPT0_PKT_S5_iiiPKb,comdat
	.globl	_ZN12_GLOBAL__N_121softmax_warp_backwardIdddLi7ELb1ELb0ELi64EEEvPT0_PKT_S5_iiiPKb ; -- Begin function _ZN12_GLOBAL__N_121softmax_warp_backwardIdddLi7ELb1ELb0ELi64EEEvPT0_PKT_S5_iiiPKb
	.p2align	8
	.type	_ZN12_GLOBAL__N_121softmax_warp_backwardIdddLi7ELb1ELb0ELi64EEEvPT0_PKT_S5_iiiPKb,@function
_ZN12_GLOBAL__N_121softmax_warp_backwardIdddLi7ELb1ELb0ELi64EEEvPT0_PKT_S5_iiiPKb: ; @_ZN12_GLOBAL__N_121softmax_warp_backwardIdddLi7ELb1ELb0ELi64EEEvPT0_PKT_S5_iiiPKb
; %bb.0:
	s_clause 0x1
	s_load_dword s0, s[4:5], 0x3c
	s_load_dwordx4 s[8:11], s[4:5], 0x18
	v_and_b32_e32 v0, 63, v0
	s_clause 0x1
	s_load_dwordx4 s[12:15], s[4:5], 0x0
	s_load_dwordx2 s[2:3], s[4:5], 0x10
	v_mov_b32_e32 v10, 0
	v_mov_b32_e32 v14, 0
	;; [unrolled: 1-line block ×6, first 2 shown]
	s_waitcnt lgkmcnt(0)
	s_lshr_b32 s0, s0, 16
	s_and_b32 s0, s0, 0xffff
	s_mul_i32 s6, s6, s0
	v_cmp_gt_i32_e64 s0, s10, v0
	v_add_lshl_u32 v3, s6, v1, 1
	v_mad_u64_u32 v[1:2], null, v3, s9, v[0:1]
	v_sub_nc_u32_e32 v26, s8, v3
	v_cmp_lt_i32_e64 s1, 0, v26
	v_ashrrev_i32_e32 v2, 31, v1
	v_lshlrev_b64 v[8:9], 3, v[1:2]
	v_add_co_u32 v20, vcc_lo, s14, v8
	v_add_co_ci_u32_e64 v21, null, s15, v9, vcc_lo
	v_add_co_u32 v18, vcc_lo, s2, v8
	v_add_co_ci_u32_e64 v19, null, s3, v9, vcc_lo
	s_and_b32 s3, s1, s0
	s_and_saveexec_b32 s2, s3
	s_cbranch_execz .LBB218_2
; %bb.1:
	global_load_dwordx2 v[14:15], v[20:21], off
	global_load_dwordx2 v[16:17], v[18:19], off
.LBB218_2:
	s_or_b32 exec_lo, exec_lo, s2
	v_or_b32_e32 v0, 64, v0
	v_mov_b32_e32 v12, 0
	v_mov_b32_e32 v13, 0
	v_cmp_gt_i32_e32 vcc_lo, s10, v0
	s_and_b32 s3, s1, vcc_lo
	s_and_saveexec_b32 s2, s3
	s_cbranch_execz .LBB218_4
; %bb.3:
	global_load_dwordx2 v[10:11], v[20:21], off offset:512
	global_load_dwordx2 v[12:13], v[18:19], off offset:512
.LBB218_4:
	s_or_b32 exec_lo, exec_lo, s2
	v_cmp_lt_i32_e64 s2, 1, v26
	v_mov_b32_e32 v0, 0
	v_mov_b32_e32 v4, 0
	;; [unrolled: 1-line block ×6, first 2 shown]
	s_and_b32 s3, s2, s0
	s_and_saveexec_b32 s4, s3
	s_cbranch_execz .LBB218_6
; %bb.5:
	s_mov_b32 s11, 0
	s_lshl_b64 s[6:7], s[10:11], 3
	v_add_co_u32 v2, s3, v20, s6
	v_add_co_ci_u32_e64 v3, null, s7, v21, s3
	v_add_co_u32 v6, s3, v18, s6
	v_add_co_ci_u32_e64 v7, null, s7, v19, s3
	global_load_dwordx2 v[4:5], v[2:3], off
	global_load_dwordx2 v[6:7], v[6:7], off
.LBB218_6:
	s_or_b32 exec_lo, exec_lo, s4
	v_mov_b32_e32 v2, 0
	v_mov_b32_e32 v3, 0
	s_and_b32 s2, s2, vcc_lo
	s_and_saveexec_b32 s3, s2
	s_cbranch_execz .LBB218_8
; %bb.7:
	s_mov_b32 s11, 0
	s_lshl_b64 s[4:5], s[10:11], 3
	v_add_co_u32 v0, s2, v20, s4
	v_add_co_ci_u32_e64 v1, null, s5, v21, s2
	v_add_co_u32 v2, s2, v18, s4
	v_add_co_ci_u32_e64 v3, null, s5, v19, s2
	global_load_dwordx2 v[0:1], v[0:1], off offset:512
	global_load_dwordx2 v[2:3], v[2:3], off offset:512
.LBB218_8:
	s_or_b32 exec_lo, exec_lo, s3
	s_waitcnt vmcnt(1)
	v_add_f64 v[18:19], v[14:15], 0
	v_add_f64 v[20:21], v[4:5], 0
	v_mbcnt_lo_u32_b32 v27, -1, 0
	v_or_b32_e32 v22, 32, v27
	v_cmp_gt_i32_e64 s2, 64, v22
	v_cndmask_b32_e64 v22, v27, v22, s2
	v_lshlrev_b32_e32 v25, 2, v22
	v_add_f64 v[18:19], v[18:19], v[10:11]
	v_add_f64 v[20:21], v[20:21], v[0:1]
	ds_bpermute_b32 v22, v25, v18
	ds_bpermute_b32 v23, v25, v19
	ds_bpermute_b32 v24, v25, v20
	ds_bpermute_b32 v25, v25, v21
	s_waitcnt lgkmcnt(2)
	v_add_f64 v[18:19], v[18:19], v[22:23]
	v_xor_b32_e32 v22, 16, v27
	s_waitcnt lgkmcnt(0)
	v_add_f64 v[20:21], v[20:21], v[24:25]
	v_cmp_gt_i32_e64 s2, 64, v22
	v_cndmask_b32_e64 v22, v27, v22, s2
	v_lshlrev_b32_e32 v25, 2, v22
	ds_bpermute_b32 v22, v25, v18
	ds_bpermute_b32 v23, v25, v19
	ds_bpermute_b32 v24, v25, v20
	ds_bpermute_b32 v25, v25, v21
	s_waitcnt lgkmcnt(2)
	v_add_f64 v[18:19], v[18:19], v[22:23]
	v_xor_b32_e32 v22, 8, v27
	s_waitcnt lgkmcnt(0)
	v_add_f64 v[20:21], v[20:21], v[24:25]
	v_cmp_gt_i32_e64 s2, 64, v22
	v_cndmask_b32_e64 v22, v27, v22, s2
	v_lshlrev_b32_e32 v25, 2, v22
	;; [unrolled: 12-line block ×4, first 2 shown]
	ds_bpermute_b32 v22, v25, v18
	ds_bpermute_b32 v23, v25, v19
	;; [unrolled: 1-line block ×4, first 2 shown]
	s_waitcnt lgkmcnt(2)
	v_add_f64 v[22:23], v[18:19], v[22:23]
	s_waitcnt lgkmcnt(0)
	v_add_f64 v[18:19], v[20:21], v[24:25]
	v_xor_b32_e32 v20, 1, v27
	v_cmp_gt_i32_e64 s2, 64, v20
	v_cndmask_b32_e64 v20, v27, v20, s2
	v_lshlrev_b32_e32 v21, 2, v20
	ds_bpermute_b32 v24, v21, v22
	ds_bpermute_b32 v25, v21, v23
	ds_bpermute_b32 v20, v21, v18
	ds_bpermute_b32 v21, v21, v19
	s_and_saveexec_b32 s2, s1
	s_cbranch_execz .LBB218_12
; %bb.9:
	s_waitcnt lgkmcnt(2)
	v_add_f64 v[22:23], v[22:23], v[24:25]
	v_add_co_u32 v8, s1, s12, v8
	v_add_co_ci_u32_e64 v9, null, s13, v9, s1
	s_and_saveexec_b32 s3, s0
	s_cbranch_execnz .LBB218_13
; %bb.10:
	s_or_b32 exec_lo, exec_lo, s3
	s_and_saveexec_b32 s3, vcc_lo
	s_cbranch_execnz .LBB218_14
.LBB218_11:
	s_or_b32 exec_lo, exec_lo, s3
	v_cmp_ne_u32_e64 s1, 1, v26
	s_and_b32 exec_lo, exec_lo, s1
	s_cbranch_execnz .LBB218_15
.LBB218_12:
	s_endpgm
.LBB218_13:
	s_mov_b32 s4, 0x652b82fe
	s_mov_b32 s5, 0x3ff71547
	;; [unrolled: 1-line block ×3, first 2 shown]
	s_waitcnt vmcnt(0)
	v_mul_f64 v[24:25], v[16:17], s[4:5]
	s_mov_b32 s4, 0xfefa39ef
	s_mov_b32 s5, 0xbfe62e42
	;; [unrolled: 1-line block ×3, first 2 shown]
	v_cmp_nlt_f64_e64 s1, 0x40900000, v[16:17]
	v_cmp_ngt_f64_e64 s2, 0xc090cc00, v[16:17]
	v_rndne_f64_e32 v[24:25], v[24:25]
	v_fma_f64 v[27:28], v[24:25], s[4:5], v[16:17]
	s_mov_b32 s4, 0x3b39803f
	s_mov_b32 s5, 0xbc7abc9e
	v_cvt_i32_f64_e32 v31, v[24:25]
	v_fma_f64 v[27:28], v[24:25], s[4:5], v[27:28]
	s_mov_b32 s4, 0xfca7ab0c
	s_mov_b32 s5, 0x3e928af3
	v_fma_f64 v[29:30], v[27:28], s[6:7], s[4:5]
	s_mov_b32 s4, 0x623fde64
	s_mov_b32 s5, 0x3ec71dee
	v_fma_f64 v[29:30], v[27:28], v[29:30], s[4:5]
	s_mov_b32 s4, 0x7c89e6b0
	s_mov_b32 s5, 0x3efa0199
	v_fma_f64 v[29:30], v[27:28], v[29:30], s[4:5]
	s_mov_b32 s4, 0x14761f6e
	s_mov_b32 s5, 0x3f2a01a0
	v_fma_f64 v[29:30], v[27:28], v[29:30], s[4:5]
	s_mov_b32 s4, 0x1852b7b0
	s_mov_b32 s5, 0x3f56c16c
	v_fma_f64 v[29:30], v[27:28], v[29:30], s[4:5]
	s_mov_b32 s4, 0x11122322
	s_mov_b32 s5, 0x3f811111
	v_fma_f64 v[29:30], v[27:28], v[29:30], s[4:5]
	s_mov_b32 s4, 0x555502a1
	s_mov_b32 s5, 0x3fa55555
	v_fma_f64 v[29:30], v[27:28], v[29:30], s[4:5]
	s_mov_b32 s4, 0x55555511
	s_mov_b32 s5, 0x3fc55555
	v_fma_f64 v[29:30], v[27:28], v[29:30], s[4:5]
	s_mov_b32 s4, 11
	s_mov_b32 s5, 0x3fe00000
	v_fma_f64 v[29:30], v[27:28], v[29:30], s[4:5]
	v_fma_f64 v[29:30], v[27:28], v[29:30], 1.0
	v_fma_f64 v[24:25], v[27:28], v[29:30], 1.0
	v_ldexp_f64 v[24:25], v[24:25], v31
	v_cndmask_b32_e64 v25, 0x7ff00000, v25, s1
	s_and_b32 s1, s2, s1
	v_cndmask_b32_e64 v16, 0, v24, s1
	v_cndmask_b32_e64 v17, 0, v25, s2
	v_fma_f64 v[14:15], -v[22:23], v[16:17], v[14:15]
	global_store_dwordx2 v[8:9], v[14:15], off
	s_or_b32 exec_lo, exec_lo, s3
	s_and_saveexec_b32 s3, vcc_lo
	s_cbranch_execz .LBB218_11
.LBB218_14:
	s_mov_b32 s4, 0x652b82fe
	s_mov_b32 s5, 0x3ff71547
	;; [unrolled: 1-line block ×3, first 2 shown]
	s_waitcnt vmcnt(0)
	v_mul_f64 v[14:15], v[12:13], s[4:5]
	s_mov_b32 s4, 0xfefa39ef
	s_mov_b32 s5, 0xbfe62e42
	;; [unrolled: 1-line block ×3, first 2 shown]
	v_cmp_nlt_f64_e64 s1, 0x40900000, v[12:13]
	v_cmp_ngt_f64_e64 s2, 0xc090cc00, v[12:13]
	v_rndne_f64_e32 v[14:15], v[14:15]
	v_fma_f64 v[16:17], v[14:15], s[4:5], v[12:13]
	s_mov_b32 s4, 0x3b39803f
	s_mov_b32 s5, 0xbc7abc9e
	v_cvt_i32_f64_e32 v27, v[14:15]
	v_fma_f64 v[16:17], v[14:15], s[4:5], v[16:17]
	s_mov_b32 s4, 0xfca7ab0c
	s_mov_b32 s5, 0x3e928af3
	v_fma_f64 v[24:25], v[16:17], s[6:7], s[4:5]
	s_mov_b32 s4, 0x623fde64
	s_mov_b32 s5, 0x3ec71dee
	;; [unrolled: 3-line block ×9, first 2 shown]
	v_fma_f64 v[24:25], v[16:17], v[24:25], s[4:5]
	v_fma_f64 v[24:25], v[16:17], v[24:25], 1.0
	v_fma_f64 v[14:15], v[16:17], v[24:25], 1.0
	v_ldexp_f64 v[14:15], v[14:15], v27
	v_cndmask_b32_e64 v15, 0x7ff00000, v15, s1
	s_and_b32 s1, s2, s1
	v_cndmask_b32_e64 v12, 0, v14, s1
	v_cndmask_b32_e64 v13, 0, v15, s2
	v_fma_f64 v[10:11], -v[22:23], v[12:13], v[10:11]
	global_store_dwordx2 v[8:9], v[10:11], off offset:512
	s_or_b32 exec_lo, exec_lo, s3
	v_cmp_ne_u32_e64 s1, 1, v26
	s_and_b32 exec_lo, exec_lo, s1
	s_cbranch_execz .LBB218_12
.LBB218_15:
	s_waitcnt lgkmcnt(0)
	v_add_f64 v[10:11], v[18:19], v[20:21]
	s_and_saveexec_b32 s2, s0
	s_cbranch_execz .LBB218_17
; %bb.16:
	s_mov_b32 s0, 0x652b82fe
	s_mov_b32 s1, 0x3ff71547
	;; [unrolled: 1-line block ×3, first 2 shown]
	s_waitcnt vmcnt(0)
	v_mul_f64 v[12:13], v[6:7], s[0:1]
	s_mov_b32 s0, 0xfefa39ef
	s_mov_b32 s1, 0xbfe62e42
	;; [unrolled: 1-line block ×4, first 2 shown]
	v_rndne_f64_e32 v[12:13], v[12:13]
	v_fma_f64 v[14:15], v[12:13], s[0:1], v[6:7]
	s_mov_b32 s0, 0x3b39803f
	s_mov_b32 s1, 0xbc7abc9e
	v_cvt_i32_f64_e32 v18, v[12:13]
	v_fma_f64 v[14:15], v[12:13], s[0:1], v[14:15]
	s_mov_b32 s0, 0xfca7ab0c
	s_mov_b32 s1, 0x3e928af3
	v_fma_f64 v[16:17], v[14:15], s[4:5], s[0:1]
	s_mov_b32 s0, 0x623fde64
	s_mov_b32 s1, 0x3ec71dee
	;; [unrolled: 3-line block ×9, first 2 shown]
	v_fma_f64 v[16:17], v[14:15], v[16:17], s[0:1]
	v_cmp_nlt_f64_e64 s0, 0x40900000, v[6:7]
	v_cmp_ngt_f64_e64 s1, 0xc090cc00, v[6:7]
	v_fma_f64 v[16:17], v[14:15], v[16:17], 1.0
	v_fma_f64 v[12:13], v[14:15], v[16:17], 1.0
	v_ldexp_f64 v[12:13], v[12:13], v18
	v_cndmask_b32_e64 v13, 0x7ff00000, v13, s0
	s_and_b32 s0, s1, s0
	v_cndmask_b32_e64 v6, 0, v12, s0
	v_cndmask_b32_e64 v7, 0, v13, s1
	s_lshl_b64 s[0:1], s[10:11], 3
	v_fma_f64 v[4:5], -v[10:11], v[6:7], v[4:5]
	v_add_co_u32 v6, s0, v8, s0
	v_add_co_ci_u32_e64 v7, null, s1, v9, s0
	global_store_dwordx2 v[6:7], v[4:5], off
.LBB218_17:
	s_or_b32 exec_lo, exec_lo, s2
	s_and_b32 exec_lo, exec_lo, vcc_lo
	s_cbranch_execz .LBB218_12
; %bb.18:
	s_mov_b32 s0, 0x652b82fe
	s_mov_b32 s1, 0x3ff71547
	;; [unrolled: 1-line block ×3, first 2 shown]
	s_waitcnt vmcnt(0)
	v_mul_f64 v[4:5], v[2:3], s[0:1]
	s_mov_b32 s0, 0xfefa39ef
	s_mov_b32 s1, 0xbfe62e42
	;; [unrolled: 1-line block ×3, first 2 shown]
	v_cmp_nlt_f64_e32 vcc_lo, 0x40900000, v[2:3]
	s_mov_b32 s11, 0
	v_rndne_f64_e32 v[4:5], v[4:5]
	v_fma_f64 v[6:7], v[4:5], s[0:1], v[2:3]
	s_mov_b32 s0, 0x3b39803f
	s_mov_b32 s1, 0xbc7abc9e
	v_cvt_i32_f64_e32 v14, v[4:5]
	v_fma_f64 v[6:7], v[4:5], s[0:1], v[6:7]
	s_mov_b32 s0, 0xfca7ab0c
	s_mov_b32 s1, 0x3e928af3
	v_fma_f64 v[12:13], v[6:7], s[2:3], s[0:1]
	s_mov_b32 s0, 0x623fde64
	s_mov_b32 s1, 0x3ec71dee
	;; [unrolled: 3-line block ×9, first 2 shown]
	v_fma_f64 v[12:13], v[6:7], v[12:13], s[0:1]
	v_cmp_ngt_f64_e64 s0, 0xc090cc00, v[2:3]
	v_fma_f64 v[12:13], v[6:7], v[12:13], 1.0
	v_fma_f64 v[4:5], v[6:7], v[12:13], 1.0
	v_ldexp_f64 v[4:5], v[4:5], v14
	v_cndmask_b32_e32 v5, 0x7ff00000, v5, vcc_lo
	s_and_b32 vcc_lo, s0, vcc_lo
	v_cndmask_b32_e32 v2, 0, v4, vcc_lo
	v_cndmask_b32_e64 v3, 0, v5, s0
	s_lshl_b64 s[0:1], s[10:11], 3
	v_fma_f64 v[0:1], -v[10:11], v[2:3], v[0:1]
	v_add_co_u32 v2, vcc_lo, v8, s0
	v_add_co_ci_u32_e64 v3, null, s1, v9, vcc_lo
	global_store_dwordx2 v[2:3], v[0:1], off offset:512
	s_endpgm
	.section	.rodata,"a",@progbits
	.p2align	6, 0x0
	.amdhsa_kernel _ZN12_GLOBAL__N_121softmax_warp_backwardIdddLi7ELb1ELb0ELi64EEEvPT0_PKT_S5_iiiPKb
		.amdhsa_group_segment_fixed_size 0
		.amdhsa_private_segment_fixed_size 0
		.amdhsa_kernarg_size 304
		.amdhsa_user_sgpr_count 6
		.amdhsa_user_sgpr_private_segment_buffer 1
		.amdhsa_user_sgpr_dispatch_ptr 0
		.amdhsa_user_sgpr_queue_ptr 0
		.amdhsa_user_sgpr_kernarg_segment_ptr 1
		.amdhsa_user_sgpr_dispatch_id 0
		.amdhsa_user_sgpr_flat_scratch_init 0
		.amdhsa_user_sgpr_private_segment_size 0
		.amdhsa_wavefront_size32 1
		.amdhsa_uses_dynamic_stack 0
		.amdhsa_system_sgpr_private_segment_wavefront_offset 0
		.amdhsa_system_sgpr_workgroup_id_x 1
		.amdhsa_system_sgpr_workgroup_id_y 0
		.amdhsa_system_sgpr_workgroup_id_z 0
		.amdhsa_system_sgpr_workgroup_info 0
		.amdhsa_system_vgpr_workitem_id 1
		.amdhsa_next_free_vgpr 32
		.amdhsa_next_free_sgpr 16
		.amdhsa_reserve_vcc 1
		.amdhsa_reserve_flat_scratch 0
		.amdhsa_float_round_mode_32 0
		.amdhsa_float_round_mode_16_64 0
		.amdhsa_float_denorm_mode_32 3
		.amdhsa_float_denorm_mode_16_64 3
		.amdhsa_dx10_clamp 1
		.amdhsa_ieee_mode 1
		.amdhsa_fp16_overflow 0
		.amdhsa_workgroup_processor_mode 1
		.amdhsa_memory_ordered 1
		.amdhsa_forward_progress 1
		.amdhsa_shared_vgpr_count 0
		.amdhsa_exception_fp_ieee_invalid_op 0
		.amdhsa_exception_fp_denorm_src 0
		.amdhsa_exception_fp_ieee_div_zero 0
		.amdhsa_exception_fp_ieee_overflow 0
		.amdhsa_exception_fp_ieee_underflow 0
		.amdhsa_exception_fp_ieee_inexact 0
		.amdhsa_exception_int_div_zero 0
	.end_amdhsa_kernel
	.section	.text._ZN12_GLOBAL__N_121softmax_warp_backwardIdddLi7ELb1ELb0ELi64EEEvPT0_PKT_S5_iiiPKb,"axG",@progbits,_ZN12_GLOBAL__N_121softmax_warp_backwardIdddLi7ELb1ELb0ELi64EEEvPT0_PKT_S5_iiiPKb,comdat
.Lfunc_end218:
	.size	_ZN12_GLOBAL__N_121softmax_warp_backwardIdddLi7ELb1ELb0ELi64EEEvPT0_PKT_S5_iiiPKb, .Lfunc_end218-_ZN12_GLOBAL__N_121softmax_warp_backwardIdddLi7ELb1ELb0ELi64EEEvPT0_PKT_S5_iiiPKb
                                        ; -- End function
	.set _ZN12_GLOBAL__N_121softmax_warp_backwardIdddLi7ELb1ELb0ELi64EEEvPT0_PKT_S5_iiiPKb.num_vgpr, 32
	.set _ZN12_GLOBAL__N_121softmax_warp_backwardIdddLi7ELb1ELb0ELi64EEEvPT0_PKT_S5_iiiPKb.num_agpr, 0
	.set _ZN12_GLOBAL__N_121softmax_warp_backwardIdddLi7ELb1ELb0ELi64EEEvPT0_PKT_S5_iiiPKb.numbered_sgpr, 16
	.set _ZN12_GLOBAL__N_121softmax_warp_backwardIdddLi7ELb1ELb0ELi64EEEvPT0_PKT_S5_iiiPKb.num_named_barrier, 0
	.set _ZN12_GLOBAL__N_121softmax_warp_backwardIdddLi7ELb1ELb0ELi64EEEvPT0_PKT_S5_iiiPKb.private_seg_size, 0
	.set _ZN12_GLOBAL__N_121softmax_warp_backwardIdddLi7ELb1ELb0ELi64EEEvPT0_PKT_S5_iiiPKb.uses_vcc, 1
	.set _ZN12_GLOBAL__N_121softmax_warp_backwardIdddLi7ELb1ELb0ELi64EEEvPT0_PKT_S5_iiiPKb.uses_flat_scratch, 0
	.set _ZN12_GLOBAL__N_121softmax_warp_backwardIdddLi7ELb1ELb0ELi64EEEvPT0_PKT_S5_iiiPKb.has_dyn_sized_stack, 0
	.set _ZN12_GLOBAL__N_121softmax_warp_backwardIdddLi7ELb1ELb0ELi64EEEvPT0_PKT_S5_iiiPKb.has_recursion, 0
	.set _ZN12_GLOBAL__N_121softmax_warp_backwardIdddLi7ELb1ELb0ELi64EEEvPT0_PKT_S5_iiiPKb.has_indirect_call, 0
	.section	.AMDGPU.csdata,"",@progbits
; Kernel info:
; codeLenInByte = 2748
; TotalNumSgprs: 18
; NumVgprs: 32
; ScratchSize: 0
; MemoryBound: 0
; FloatMode: 240
; IeeeMode: 1
; LDSByteSize: 0 bytes/workgroup (compile time only)
; SGPRBlocks: 0
; VGPRBlocks: 3
; NumSGPRsForWavesPerEU: 18
; NumVGPRsForWavesPerEU: 32
; Occupancy: 16
; WaveLimiterHint : 0
; COMPUTE_PGM_RSRC2:SCRATCH_EN: 0
; COMPUTE_PGM_RSRC2:USER_SGPR: 6
; COMPUTE_PGM_RSRC2:TRAP_HANDLER: 0
; COMPUTE_PGM_RSRC2:TGID_X_EN: 1
; COMPUTE_PGM_RSRC2:TGID_Y_EN: 0
; COMPUTE_PGM_RSRC2:TGID_Z_EN: 0
; COMPUTE_PGM_RSRC2:TIDIG_COMP_CNT: 1
	.section	.text._ZN12_GLOBAL__N_121softmax_warp_backwardIdddLi7ELb1ELb0ELi32EEEvPT0_PKT_S5_iiiPKb,"axG",@progbits,_ZN12_GLOBAL__N_121softmax_warp_backwardIdddLi7ELb1ELb0ELi32EEEvPT0_PKT_S5_iiiPKb,comdat
	.globl	_ZN12_GLOBAL__N_121softmax_warp_backwardIdddLi7ELb1ELb0ELi32EEEvPT0_PKT_S5_iiiPKb ; -- Begin function _ZN12_GLOBAL__N_121softmax_warp_backwardIdddLi7ELb1ELb0ELi32EEEvPT0_PKT_S5_iiiPKb
	.p2align	8
	.type	_ZN12_GLOBAL__N_121softmax_warp_backwardIdddLi7ELb1ELb0ELi32EEEvPT0_PKT_S5_iiiPKb,@function
_ZN12_GLOBAL__N_121softmax_warp_backwardIdddLi7ELb1ELb0ELi32EEEvPT0_PKT_S5_iiiPKb: ; @_ZN12_GLOBAL__N_121softmax_warp_backwardIdddLi7ELb1ELb0ELi32EEEvPT0_PKT_S5_iiiPKb
; %bb.0:
	s_clause 0x1
	s_load_dword s0, s[4:5], 0x3c
	s_load_dwordx4 s[8:11], s[4:5], 0x18
	v_and_b32_e32 v0, 31, v0
	s_load_dwordx4 s[12:15], s[4:5], 0x0
	v_mov_b32_e32 v26, 0
	v_mov_b32_e32 v36, 0
	;; [unrolled: 1-line block ×6, first 2 shown]
	s_waitcnt lgkmcnt(0)
	s_lshr_b32 s0, s0, 16
	v_cmp_gt_i32_e64 s2, s10, v0
	s_and_b32 s0, s0, 0xffff
	s_mul_i32 s6, s6, s0
	s_load_dwordx2 s[0:1], s[4:5], 0x10
	v_add_lshl_u32 v3, s6, v1, 1
	v_mad_u64_u32 v[1:2], null, v3, s9, v[0:1]
	v_sub_nc_u32_e32 v42, s8, v3
	v_cmp_lt_i32_e64 s3, 0, v42
	v_ashrrev_i32_e32 v2, 31, v1
	v_lshlrev_b64 v[8:9], 3, v[1:2]
	v_add_co_u32 v32, vcc_lo, s14, v8
	v_add_co_ci_u32_e64 v33, null, s15, v9, vcc_lo
	s_waitcnt lgkmcnt(0)
	v_add_co_u32 v30, vcc_lo, s0, v8
	v_add_co_ci_u32_e64 v31, null, s1, v9, vcc_lo
	s_and_b32 s1, s3, s2
	s_and_saveexec_b32 s0, s1
	s_cbranch_execz .LBB219_2
; %bb.1:
	global_load_dwordx2 v[36:37], v[32:33], off
	global_load_dwordx2 v[38:39], v[30:31], off
.LBB219_2:
	s_or_b32 exec_lo, exec_lo, s0
	v_or_b32_e32 v1, 32, v0
	v_mov_b32_e32 v28, 0
	v_mov_b32_e32 v29, 0
	v_cmp_gt_i32_e64 s1, s10, v1
	s_and_b32 s4, s3, s1
	s_and_saveexec_b32 s0, s4
	s_cbranch_execz .LBB219_4
; %bb.3:
	global_load_dwordx2 v[26:27], v[32:33], off offset:256
	global_load_dwordx2 v[28:29], v[30:31], off offset:256
.LBB219_4:
	s_or_b32 exec_lo, exec_lo, s0
	v_or_b32_e32 v1, 64, v0
	v_mov_b32_e32 v18, 0
	v_mov_b32_e32 v22, 0
	;; [unrolled: 1-line block ×4, first 2 shown]
	v_cmp_gt_i32_e64 s0, s10, v1
	v_mov_b32_e32 v23, 0
	v_mov_b32_e32 v25, 0
	s_and_b32 s5, s3, s0
	s_and_saveexec_b32 s4, s5
	s_cbranch_execz .LBB219_6
; %bb.5:
	global_load_dwordx2 v[22:23], v[32:33], off offset:512
	global_load_dwordx2 v[24:25], v[30:31], off offset:512
.LBB219_6:
	s_or_b32 exec_lo, exec_lo, s4
	v_or_b32_e32 v0, 0x60, v0
	v_mov_b32_e32 v20, 0
	v_mov_b32_e32 v21, 0
	v_cmp_gt_i32_e32 vcc_lo, s10, v0
	s_and_b32 s5, s3, vcc_lo
	s_and_saveexec_b32 s4, s5
	s_cbranch_execz .LBB219_8
; %bb.7:
	global_load_dwordx2 v[18:19], v[32:33], off offset:768
	global_load_dwordx2 v[20:21], v[30:31], off offset:768
.LBB219_8:
	s_or_b32 exec_lo, exec_lo, s4
	v_cmp_lt_i32_e64 s4, 1, v42
	v_mov_b32_e32 v10, 0
	v_mov_b32_e32 v14, 0
	;; [unrolled: 1-line block ×6, first 2 shown]
	s_and_b32 s5, s4, s2
	s_and_saveexec_b32 s6, s5
	s_cbranch_execz .LBB219_10
; %bb.9:
	s_mov_b32 s11, 0
	s_lshl_b64 s[8:9], s[10:11], 3
	v_add_co_u32 v0, s5, v32, s8
	v_add_co_ci_u32_e64 v1, null, s9, v33, s5
	v_add_co_u32 v2, s5, v30, s8
	v_add_co_ci_u32_e64 v3, null, s9, v31, s5
	global_load_dwordx2 v[14:15], v[0:1], off
	global_load_dwordx2 v[16:17], v[2:3], off
.LBB219_10:
	s_or_b32 exec_lo, exec_lo, s6
	v_mov_b32_e32 v12, 0
	v_mov_b32_e32 v13, 0
	s_and_b32 s5, s4, s1
	s_and_saveexec_b32 s6, s5
	s_cbranch_execz .LBB219_12
; %bb.11:
	s_mov_b32 s11, 0
	s_lshl_b64 s[8:9], s[10:11], 3
	v_add_co_u32 v0, s5, v32, s8
	v_add_co_ci_u32_e64 v1, null, s9, v33, s5
	v_add_co_u32 v2, s5, v30, s8
	v_add_co_ci_u32_e64 v3, null, s9, v31, s5
	global_load_dwordx2 v[10:11], v[0:1], off offset:256
	global_load_dwordx2 v[12:13], v[2:3], off offset:256
.LBB219_12:
	s_or_b32 exec_lo, exec_lo, s6
	v_mov_b32_e32 v0, 0
	v_mov_b32_e32 v4, 0
	;; [unrolled: 1-line block ×6, first 2 shown]
	s_and_b32 s5, s4, s0
	s_and_saveexec_b32 s6, s5
	s_cbranch_execz .LBB219_14
; %bb.13:
	s_mov_b32 s11, 0
	s_lshl_b64 s[8:9], s[10:11], 3
	v_add_co_u32 v2, s5, v32, s8
	v_add_co_ci_u32_e64 v3, null, s9, v33, s5
	v_add_co_u32 v6, s5, v30, s8
	v_add_co_ci_u32_e64 v7, null, s9, v31, s5
	global_load_dwordx2 v[4:5], v[2:3], off offset:512
	global_load_dwordx2 v[6:7], v[6:7], off offset:512
.LBB219_14:
	s_or_b32 exec_lo, exec_lo, s6
	v_mov_b32_e32 v2, 0
	v_mov_b32_e32 v3, 0
	s_and_b32 s4, s4, vcc_lo
	s_and_saveexec_b32 s5, s4
	s_cbranch_execz .LBB219_16
; %bb.15:
	s_mov_b32 s11, 0
	s_lshl_b64 s[6:7], s[10:11], 3
	v_add_co_u32 v0, s4, v32, s6
	v_add_co_ci_u32_e64 v1, null, s7, v33, s4
	v_add_co_u32 v2, s4, v30, s6
	v_add_co_ci_u32_e64 v3, null, s7, v31, s4
	global_load_dwordx2 v[0:1], v[0:1], off offset:768
	global_load_dwordx2 v[2:3], v[2:3], off offset:768
.LBB219_16:
	s_or_b32 exec_lo, exec_lo, s5
	s_waitcnt vmcnt(1)
	v_add_f64 v[30:31], v[36:37], 0
	v_add_f64 v[32:33], v[14:15], 0
	v_mbcnt_lo_u32_b32 v43, -1, 0
	v_xor_b32_e32 v34, 16, v43
	v_cmp_gt_i32_e64 s4, 32, v34
	v_cndmask_b32_e64 v34, v43, v34, s4
	v_lshlrev_b32_e32 v41, 2, v34
	v_add_f64 v[30:31], v[30:31], v[26:27]
	v_add_f64 v[32:33], v[32:33], v[10:11]
	;; [unrolled: 1-line block ×6, first 2 shown]
	ds_bpermute_b32 v34, v41, v30
	ds_bpermute_b32 v35, v41, v31
	ds_bpermute_b32 v40, v41, v32
	ds_bpermute_b32 v41, v41, v33
	s_waitcnt lgkmcnt(2)
	v_add_f64 v[30:31], v[30:31], v[34:35]
	v_xor_b32_e32 v34, 8, v43
	s_waitcnt lgkmcnt(0)
	v_add_f64 v[32:33], v[32:33], v[40:41]
	v_cmp_gt_i32_e64 s4, 32, v34
	v_cndmask_b32_e64 v34, v43, v34, s4
	v_lshlrev_b32_e32 v41, 2, v34
	ds_bpermute_b32 v34, v41, v30
	ds_bpermute_b32 v35, v41, v31
	ds_bpermute_b32 v40, v41, v32
	ds_bpermute_b32 v41, v41, v33
	s_waitcnt lgkmcnt(2)
	v_add_f64 v[30:31], v[30:31], v[34:35]
	v_xor_b32_e32 v34, 4, v43
	s_waitcnt lgkmcnt(0)
	v_add_f64 v[32:33], v[32:33], v[40:41]
	v_cmp_gt_i32_e64 s4, 32, v34
	v_cndmask_b32_e64 v34, v43, v34, s4
	v_lshlrev_b32_e32 v41, 2, v34
	;; [unrolled: 12-line block ×3, first 2 shown]
	ds_bpermute_b32 v34, v41, v30
	ds_bpermute_b32 v35, v41, v31
	;; [unrolled: 1-line block ×4, first 2 shown]
	s_waitcnt lgkmcnt(2)
	v_add_f64 v[34:35], v[30:31], v[34:35]
	s_waitcnt lgkmcnt(0)
	v_add_f64 v[30:31], v[32:33], v[40:41]
	v_xor_b32_e32 v32, 1, v43
	v_cmp_gt_i32_e64 s4, 32, v32
	v_cndmask_b32_e64 v32, v43, v32, s4
	v_lshlrev_b32_e32 v33, 2, v32
	ds_bpermute_b32 v40, v33, v34
	ds_bpermute_b32 v41, v33, v35
	ds_bpermute_b32 v32, v33, v30
	ds_bpermute_b32 v33, v33, v31
	s_and_saveexec_b32 s4, s3
	s_cbranch_execz .LBB219_22
; %bb.17:
	s_waitcnt lgkmcnt(2)
	v_add_f64 v[34:35], v[34:35], v[40:41]
	v_add_co_u32 v8, s3, s12, v8
	v_add_co_ci_u32_e64 v9, null, s13, v9, s3
	s_and_saveexec_b32 s5, s2
	s_cbranch_execnz .LBB219_23
; %bb.18:
	s_or_b32 exec_lo, exec_lo, s5
	s_and_saveexec_b32 s5, s1
	s_cbranch_execnz .LBB219_24
.LBB219_19:
	s_or_b32 exec_lo, exec_lo, s5
	s_and_saveexec_b32 s5, s0
	s_cbranch_execnz .LBB219_25
.LBB219_20:
	s_or_b32 exec_lo, exec_lo, s5
	s_and_saveexec_b32 s5, vcc_lo
	s_cbranch_execnz .LBB219_26
.LBB219_21:
	s_or_b32 exec_lo, exec_lo, s5
	v_cmp_ne_u32_e64 s3, 1, v42
	s_and_b32 exec_lo, exec_lo, s3
	s_cbranch_execnz .LBB219_27
.LBB219_22:
	s_endpgm
.LBB219_23:
	s_mov_b32 s6, 0x652b82fe
	s_mov_b32 s7, 0x3ff71547
	;; [unrolled: 1-line block ×3, first 2 shown]
	s_waitcnt vmcnt(0)
	v_mul_f64 v[40:41], v[38:39], s[6:7]
	s_mov_b32 s6, 0xfefa39ef
	s_mov_b32 s7, 0xbfe62e42
	s_mov_b32 s9, 0x3e5ade15
	v_cmp_nlt_f64_e64 s3, 0x40900000, v[38:39]
	v_cmp_ngt_f64_e64 s4, 0xc090cc00, v[38:39]
	v_rndne_f64_e32 v[40:41], v[40:41]
	v_fma_f64 v[43:44], v[40:41], s[6:7], v[38:39]
	s_mov_b32 s6, 0x3b39803f
	s_mov_b32 s7, 0xbc7abc9e
	v_cvt_i32_f64_e32 v47, v[40:41]
	v_fma_f64 v[43:44], v[40:41], s[6:7], v[43:44]
	s_mov_b32 s6, 0xfca7ab0c
	s_mov_b32 s7, 0x3e928af3
	v_fma_f64 v[45:46], v[43:44], s[8:9], s[6:7]
	s_mov_b32 s6, 0x623fde64
	s_mov_b32 s7, 0x3ec71dee
	;; [unrolled: 3-line block ×9, first 2 shown]
	v_fma_f64 v[45:46], v[43:44], v[45:46], s[6:7]
	v_fma_f64 v[45:46], v[43:44], v[45:46], 1.0
	v_fma_f64 v[40:41], v[43:44], v[45:46], 1.0
	v_ldexp_f64 v[40:41], v[40:41], v47
	v_cndmask_b32_e64 v41, 0x7ff00000, v41, s3
	s_and_b32 s3, s4, s3
	v_cndmask_b32_e64 v38, 0, v40, s3
	v_cndmask_b32_e64 v39, 0, v41, s4
	v_fma_f64 v[36:37], -v[34:35], v[38:39], v[36:37]
	global_store_dwordx2 v[8:9], v[36:37], off
	s_or_b32 exec_lo, exec_lo, s5
	s_and_saveexec_b32 s5, s1
	s_cbranch_execz .LBB219_19
.LBB219_24:
	s_mov_b32 s6, 0x652b82fe
	s_mov_b32 s7, 0x3ff71547
	;; [unrolled: 1-line block ×3, first 2 shown]
	s_waitcnt vmcnt(0)
	v_mul_f64 v[36:37], v[28:29], s[6:7]
	s_mov_b32 s6, 0xfefa39ef
	s_mov_b32 s7, 0xbfe62e42
	;; [unrolled: 1-line block ×3, first 2 shown]
	v_cmp_nlt_f64_e64 s3, 0x40900000, v[28:29]
	v_cmp_ngt_f64_e64 s4, 0xc090cc00, v[28:29]
	v_rndne_f64_e32 v[36:37], v[36:37]
	v_fma_f64 v[38:39], v[36:37], s[6:7], v[28:29]
	s_mov_b32 s6, 0x3b39803f
	s_mov_b32 s7, 0xbc7abc9e
	v_cvt_i32_f64_e32 v43, v[36:37]
	v_fma_f64 v[38:39], v[36:37], s[6:7], v[38:39]
	s_mov_b32 s6, 0xfca7ab0c
	s_mov_b32 s7, 0x3e928af3
	v_fma_f64 v[40:41], v[38:39], s[8:9], s[6:7]
	s_mov_b32 s6, 0x623fde64
	s_mov_b32 s7, 0x3ec71dee
	;; [unrolled: 3-line block ×9, first 2 shown]
	v_fma_f64 v[40:41], v[38:39], v[40:41], s[6:7]
	v_fma_f64 v[40:41], v[38:39], v[40:41], 1.0
	v_fma_f64 v[36:37], v[38:39], v[40:41], 1.0
	v_ldexp_f64 v[36:37], v[36:37], v43
	v_cndmask_b32_e64 v37, 0x7ff00000, v37, s3
	s_and_b32 s3, s4, s3
	v_cndmask_b32_e64 v28, 0, v36, s3
	v_cndmask_b32_e64 v29, 0, v37, s4
	v_fma_f64 v[26:27], -v[34:35], v[28:29], v[26:27]
	global_store_dwordx2 v[8:9], v[26:27], off offset:256
	s_or_b32 exec_lo, exec_lo, s5
	s_and_saveexec_b32 s5, s0
	s_cbranch_execz .LBB219_20
.LBB219_25:
	s_mov_b32 s6, 0x652b82fe
	s_mov_b32 s7, 0x3ff71547
	;; [unrolled: 1-line block ×3, first 2 shown]
	s_waitcnt vmcnt(0)
	v_mul_f64 v[26:27], v[24:25], s[6:7]
	s_mov_b32 s6, 0xfefa39ef
	s_mov_b32 s7, 0xbfe62e42
	;; [unrolled: 1-line block ×3, first 2 shown]
	v_cmp_nlt_f64_e64 s3, 0x40900000, v[24:25]
	v_cmp_ngt_f64_e64 s4, 0xc090cc00, v[24:25]
	v_rndne_f64_e32 v[26:27], v[26:27]
	v_fma_f64 v[28:29], v[26:27], s[6:7], v[24:25]
	s_mov_b32 s6, 0x3b39803f
	s_mov_b32 s7, 0xbc7abc9e
	v_cvt_i32_f64_e32 v38, v[26:27]
	v_fma_f64 v[28:29], v[26:27], s[6:7], v[28:29]
	s_mov_b32 s6, 0xfca7ab0c
	s_mov_b32 s7, 0x3e928af3
	v_fma_f64 v[36:37], v[28:29], s[8:9], s[6:7]
	s_mov_b32 s6, 0x623fde64
	s_mov_b32 s7, 0x3ec71dee
	;; [unrolled: 3-line block ×9, first 2 shown]
	v_fma_f64 v[36:37], v[28:29], v[36:37], s[6:7]
	v_fma_f64 v[36:37], v[28:29], v[36:37], 1.0
	v_fma_f64 v[26:27], v[28:29], v[36:37], 1.0
	v_ldexp_f64 v[26:27], v[26:27], v38
	v_cndmask_b32_e64 v27, 0x7ff00000, v27, s3
	s_and_b32 s3, s4, s3
	v_cndmask_b32_e64 v24, 0, v26, s3
	v_cndmask_b32_e64 v25, 0, v27, s4
	v_fma_f64 v[22:23], -v[34:35], v[24:25], v[22:23]
	global_store_dwordx2 v[8:9], v[22:23], off offset:512
	s_or_b32 exec_lo, exec_lo, s5
	s_and_saveexec_b32 s5, vcc_lo
	s_cbranch_execz .LBB219_21
.LBB219_26:
	s_mov_b32 s6, 0x652b82fe
	s_mov_b32 s7, 0x3ff71547
	;; [unrolled: 1-line block ×3, first 2 shown]
	s_waitcnt vmcnt(0)
	v_mul_f64 v[22:23], v[20:21], s[6:7]
	s_mov_b32 s6, 0xfefa39ef
	s_mov_b32 s7, 0xbfe62e42
	;; [unrolled: 1-line block ×3, first 2 shown]
	v_cmp_nlt_f64_e64 s3, 0x40900000, v[20:21]
	v_cmp_ngt_f64_e64 s4, 0xc090cc00, v[20:21]
	v_rndne_f64_e32 v[22:23], v[22:23]
	v_fma_f64 v[24:25], v[22:23], s[6:7], v[20:21]
	s_mov_b32 s6, 0x3b39803f
	s_mov_b32 s7, 0xbc7abc9e
	v_cvt_i32_f64_e32 v28, v[22:23]
	v_fma_f64 v[24:25], v[22:23], s[6:7], v[24:25]
	s_mov_b32 s6, 0xfca7ab0c
	s_mov_b32 s7, 0x3e928af3
	v_fma_f64 v[26:27], v[24:25], s[8:9], s[6:7]
	s_mov_b32 s6, 0x623fde64
	s_mov_b32 s7, 0x3ec71dee
	;; [unrolled: 3-line block ×9, first 2 shown]
	v_fma_f64 v[26:27], v[24:25], v[26:27], s[6:7]
	v_fma_f64 v[26:27], v[24:25], v[26:27], 1.0
	v_fma_f64 v[22:23], v[24:25], v[26:27], 1.0
	v_ldexp_f64 v[22:23], v[22:23], v28
	v_cndmask_b32_e64 v23, 0x7ff00000, v23, s3
	s_and_b32 s3, s4, s3
	v_cndmask_b32_e64 v20, 0, v22, s3
	v_cndmask_b32_e64 v21, 0, v23, s4
	v_fma_f64 v[18:19], -v[34:35], v[20:21], v[18:19]
	global_store_dwordx2 v[8:9], v[18:19], off offset:768
	s_or_b32 exec_lo, exec_lo, s5
	v_cmp_ne_u32_e64 s3, 1, v42
	s_and_b32 exec_lo, exec_lo, s3
	s_cbranch_execz .LBB219_22
.LBB219_27:
	s_waitcnt lgkmcnt(0)
	v_add_f64 v[18:19], v[30:31], v[32:33]
	s_and_saveexec_b32 s4, s2
	s_cbranch_execnz .LBB219_31
; %bb.28:
	s_or_b32 exec_lo, exec_lo, s4
	s_and_saveexec_b32 s3, s1
	s_cbranch_execnz .LBB219_32
.LBB219_29:
	s_or_b32 exec_lo, exec_lo, s3
	s_and_saveexec_b32 s2, s0
	s_cbranch_execnz .LBB219_33
.LBB219_30:
	s_or_b32 exec_lo, exec_lo, s2
	s_and_b32 exec_lo, exec_lo, vcc_lo
	s_cbranch_execz .LBB219_22
	s_branch .LBB219_34
.LBB219_31:
	s_mov_b32 s2, 0x652b82fe
	s_mov_b32 s3, 0x3ff71547
	;; [unrolled: 1-line block ×3, first 2 shown]
	s_waitcnt vmcnt(0)
	v_mul_f64 v[20:21], v[16:17], s[2:3]
	s_mov_b32 s2, 0xfefa39ef
	s_mov_b32 s3, 0xbfe62e42
	;; [unrolled: 1-line block ×4, first 2 shown]
	v_rndne_f64_e32 v[20:21], v[20:21]
	v_fma_f64 v[22:23], v[20:21], s[2:3], v[16:17]
	s_mov_b32 s2, 0x3b39803f
	s_mov_b32 s3, 0xbc7abc9e
	v_cvt_i32_f64_e32 v26, v[20:21]
	v_fma_f64 v[22:23], v[20:21], s[2:3], v[22:23]
	s_mov_b32 s2, 0xfca7ab0c
	s_mov_b32 s3, 0x3e928af3
	v_fma_f64 v[24:25], v[22:23], s[6:7], s[2:3]
	s_mov_b32 s2, 0x623fde64
	s_mov_b32 s3, 0x3ec71dee
	;; [unrolled: 3-line block ×9, first 2 shown]
	v_fma_f64 v[24:25], v[22:23], v[24:25], s[2:3]
	v_cmp_nlt_f64_e64 s2, 0x40900000, v[16:17]
	v_cmp_ngt_f64_e64 s3, 0xc090cc00, v[16:17]
	v_fma_f64 v[24:25], v[22:23], v[24:25], 1.0
	v_fma_f64 v[20:21], v[22:23], v[24:25], 1.0
	v_ldexp_f64 v[20:21], v[20:21], v26
	v_cndmask_b32_e64 v21, 0x7ff00000, v21, s2
	s_and_b32 s2, s3, s2
	v_cndmask_b32_e64 v16, 0, v20, s2
	v_cndmask_b32_e64 v17, 0, v21, s3
	s_lshl_b64 s[2:3], s[10:11], 3
	v_fma_f64 v[14:15], -v[18:19], v[16:17], v[14:15]
	v_add_co_u32 v16, s2, v8, s2
	v_add_co_ci_u32_e64 v17, null, s3, v9, s2
	global_store_dwordx2 v[16:17], v[14:15], off
	s_or_b32 exec_lo, exec_lo, s4
	s_and_saveexec_b32 s3, s1
	s_cbranch_execz .LBB219_29
.LBB219_32:
	s_mov_b32 s4, 0x652b82fe
	s_mov_b32 s5, 0x3ff71547
	;; [unrolled: 1-line block ×3, first 2 shown]
	s_waitcnt vmcnt(0)
	v_mul_f64 v[14:15], v[12:13], s[4:5]
	s_mov_b32 s4, 0xfefa39ef
	s_mov_b32 s5, 0xbfe62e42
	s_mov_b32 s7, 0x3e5ade15
	v_cmp_nlt_f64_e64 s1, 0x40900000, v[12:13]
	v_cmp_ngt_f64_e64 s2, 0xc090cc00, v[12:13]
	s_mov_b32 s11, 0
	v_rndne_f64_e32 v[14:15], v[14:15]
	v_fma_f64 v[16:17], v[14:15], s[4:5], v[12:13]
	s_mov_b32 s4, 0x3b39803f
	s_mov_b32 s5, 0xbc7abc9e
	v_cvt_i32_f64_e32 v22, v[14:15]
	v_fma_f64 v[16:17], v[14:15], s[4:5], v[16:17]
	s_mov_b32 s4, 0xfca7ab0c
	s_mov_b32 s5, 0x3e928af3
	v_fma_f64 v[20:21], v[16:17], s[6:7], s[4:5]
	s_mov_b32 s4, 0x623fde64
	s_mov_b32 s5, 0x3ec71dee
	;; [unrolled: 3-line block ×9, first 2 shown]
	v_fma_f64 v[20:21], v[16:17], v[20:21], s[4:5]
	s_lshl_b64 s[4:5], s[10:11], 3
	v_fma_f64 v[20:21], v[16:17], v[20:21], 1.0
	v_fma_f64 v[14:15], v[16:17], v[20:21], 1.0
	v_ldexp_f64 v[14:15], v[14:15], v22
	v_cndmask_b32_e64 v15, 0x7ff00000, v15, s1
	s_and_b32 s1, s2, s1
	v_cndmask_b32_e64 v12, 0, v14, s1
	v_cndmask_b32_e64 v13, 0, v15, s2
	v_fma_f64 v[10:11], -v[18:19], v[12:13], v[10:11]
	v_add_co_u32 v12, s1, v8, s4
	v_add_co_ci_u32_e64 v13, null, s5, v9, s1
	global_store_dwordx2 v[12:13], v[10:11], off offset:256
	s_or_b32 exec_lo, exec_lo, s3
	s_and_saveexec_b32 s2, s0
	s_cbranch_execz .LBB219_30
.LBB219_33:
	s_mov_b32 s0, 0x652b82fe
	s_mov_b32 s1, 0x3ff71547
	;; [unrolled: 1-line block ×3, first 2 shown]
	s_waitcnt vmcnt(0)
	v_mul_f64 v[10:11], v[6:7], s[0:1]
	s_mov_b32 s0, 0xfefa39ef
	s_mov_b32 s1, 0xbfe62e42
	;; [unrolled: 1-line block ×4, first 2 shown]
	v_rndne_f64_e32 v[10:11], v[10:11]
	v_fma_f64 v[12:13], v[10:11], s[0:1], v[6:7]
	s_mov_b32 s0, 0x3b39803f
	s_mov_b32 s1, 0xbc7abc9e
	v_cvt_i32_f64_e32 v16, v[10:11]
	v_fma_f64 v[12:13], v[10:11], s[0:1], v[12:13]
	s_mov_b32 s0, 0xfca7ab0c
	s_mov_b32 s1, 0x3e928af3
	v_fma_f64 v[14:15], v[12:13], s[4:5], s[0:1]
	s_mov_b32 s0, 0x623fde64
	s_mov_b32 s1, 0x3ec71dee
	;; [unrolled: 3-line block ×9, first 2 shown]
	v_fma_f64 v[14:15], v[12:13], v[14:15], s[0:1]
	v_cmp_nlt_f64_e64 s0, 0x40900000, v[6:7]
	v_cmp_ngt_f64_e64 s1, 0xc090cc00, v[6:7]
	v_fma_f64 v[14:15], v[12:13], v[14:15], 1.0
	v_fma_f64 v[10:11], v[12:13], v[14:15], 1.0
	v_ldexp_f64 v[10:11], v[10:11], v16
	v_cndmask_b32_e64 v11, 0x7ff00000, v11, s0
	s_and_b32 s0, s1, s0
	v_cndmask_b32_e64 v6, 0, v10, s0
	v_cndmask_b32_e64 v7, 0, v11, s1
	s_lshl_b64 s[0:1], s[10:11], 3
	v_fma_f64 v[4:5], -v[18:19], v[6:7], v[4:5]
	v_add_co_u32 v6, s0, v8, s0
	v_add_co_ci_u32_e64 v7, null, s1, v9, s0
	global_store_dwordx2 v[6:7], v[4:5], off offset:512
	s_or_b32 exec_lo, exec_lo, s2
	s_and_b32 exec_lo, exec_lo, vcc_lo
	s_cbranch_execz .LBB219_22
.LBB219_34:
	s_mov_b32 s0, 0x652b82fe
	s_mov_b32 s1, 0x3ff71547
	;; [unrolled: 1-line block ×3, first 2 shown]
	s_waitcnt vmcnt(0)
	v_mul_f64 v[4:5], v[2:3], s[0:1]
	s_mov_b32 s0, 0xfefa39ef
	s_mov_b32 s1, 0xbfe62e42
	;; [unrolled: 1-line block ×3, first 2 shown]
	v_cmp_nlt_f64_e32 vcc_lo, 0x40900000, v[2:3]
	s_mov_b32 s11, 0
	v_rndne_f64_e32 v[4:5], v[4:5]
	v_fma_f64 v[6:7], v[4:5], s[0:1], v[2:3]
	s_mov_b32 s0, 0x3b39803f
	s_mov_b32 s1, 0xbc7abc9e
	v_cvt_i32_f64_e32 v12, v[4:5]
	v_fma_f64 v[6:7], v[4:5], s[0:1], v[6:7]
	s_mov_b32 s0, 0xfca7ab0c
	s_mov_b32 s1, 0x3e928af3
	v_fma_f64 v[10:11], v[6:7], s[2:3], s[0:1]
	s_mov_b32 s0, 0x623fde64
	s_mov_b32 s1, 0x3ec71dee
	;; [unrolled: 3-line block ×9, first 2 shown]
	v_fma_f64 v[10:11], v[6:7], v[10:11], s[0:1]
	v_cmp_ngt_f64_e64 s0, 0xc090cc00, v[2:3]
	v_fma_f64 v[10:11], v[6:7], v[10:11], 1.0
	v_fma_f64 v[4:5], v[6:7], v[10:11], 1.0
	v_ldexp_f64 v[4:5], v[4:5], v12
	v_cndmask_b32_e32 v5, 0x7ff00000, v5, vcc_lo
	s_and_b32 vcc_lo, s0, vcc_lo
	v_cndmask_b32_e32 v2, 0, v4, vcc_lo
	v_cndmask_b32_e64 v3, 0, v5, s0
	s_lshl_b64 s[0:1], s[10:11], 3
	v_fma_f64 v[0:1], -v[18:19], v[2:3], v[0:1]
	v_add_co_u32 v2, vcc_lo, v8, s0
	v_add_co_ci_u32_e64 v3, null, s1, v9, vcc_lo
	global_store_dwordx2 v[2:3], v[0:1], off offset:768
	s_endpgm
	.section	.rodata,"a",@progbits
	.p2align	6, 0x0
	.amdhsa_kernel _ZN12_GLOBAL__N_121softmax_warp_backwardIdddLi7ELb1ELb0ELi32EEEvPT0_PKT_S5_iiiPKb
		.amdhsa_group_segment_fixed_size 0
		.amdhsa_private_segment_fixed_size 0
		.amdhsa_kernarg_size 304
		.amdhsa_user_sgpr_count 6
		.amdhsa_user_sgpr_private_segment_buffer 1
		.amdhsa_user_sgpr_dispatch_ptr 0
		.amdhsa_user_sgpr_queue_ptr 0
		.amdhsa_user_sgpr_kernarg_segment_ptr 1
		.amdhsa_user_sgpr_dispatch_id 0
		.amdhsa_user_sgpr_flat_scratch_init 0
		.amdhsa_user_sgpr_private_segment_size 0
		.amdhsa_wavefront_size32 1
		.amdhsa_uses_dynamic_stack 0
		.amdhsa_system_sgpr_private_segment_wavefront_offset 0
		.amdhsa_system_sgpr_workgroup_id_x 1
		.amdhsa_system_sgpr_workgroup_id_y 0
		.amdhsa_system_sgpr_workgroup_id_z 0
		.amdhsa_system_sgpr_workgroup_info 0
		.amdhsa_system_vgpr_workitem_id 1
		.amdhsa_next_free_vgpr 48
		.amdhsa_next_free_sgpr 16
		.amdhsa_reserve_vcc 1
		.amdhsa_reserve_flat_scratch 0
		.amdhsa_float_round_mode_32 0
		.amdhsa_float_round_mode_16_64 0
		.amdhsa_float_denorm_mode_32 3
		.amdhsa_float_denorm_mode_16_64 3
		.amdhsa_dx10_clamp 1
		.amdhsa_ieee_mode 1
		.amdhsa_fp16_overflow 0
		.amdhsa_workgroup_processor_mode 1
		.amdhsa_memory_ordered 1
		.amdhsa_forward_progress 1
		.amdhsa_shared_vgpr_count 0
		.amdhsa_exception_fp_ieee_invalid_op 0
		.amdhsa_exception_fp_denorm_src 0
		.amdhsa_exception_fp_ieee_div_zero 0
		.amdhsa_exception_fp_ieee_overflow 0
		.amdhsa_exception_fp_ieee_underflow 0
		.amdhsa_exception_fp_ieee_inexact 0
		.amdhsa_exception_int_div_zero 0
	.end_amdhsa_kernel
	.section	.text._ZN12_GLOBAL__N_121softmax_warp_backwardIdddLi7ELb1ELb0ELi32EEEvPT0_PKT_S5_iiiPKb,"axG",@progbits,_ZN12_GLOBAL__N_121softmax_warp_backwardIdddLi7ELb1ELb0ELi32EEEvPT0_PKT_S5_iiiPKb,comdat
.Lfunc_end219:
	.size	_ZN12_GLOBAL__N_121softmax_warp_backwardIdddLi7ELb1ELb0ELi32EEEvPT0_PKT_S5_iiiPKb, .Lfunc_end219-_ZN12_GLOBAL__N_121softmax_warp_backwardIdddLi7ELb1ELb0ELi32EEEvPT0_PKT_S5_iiiPKb
                                        ; -- End function
	.set _ZN12_GLOBAL__N_121softmax_warp_backwardIdddLi7ELb1ELb0ELi32EEEvPT0_PKT_S5_iiiPKb.num_vgpr, 48
	.set _ZN12_GLOBAL__N_121softmax_warp_backwardIdddLi7ELb1ELb0ELi32EEEvPT0_PKT_S5_iiiPKb.num_agpr, 0
	.set _ZN12_GLOBAL__N_121softmax_warp_backwardIdddLi7ELb1ELb0ELi32EEEvPT0_PKT_S5_iiiPKb.numbered_sgpr, 16
	.set _ZN12_GLOBAL__N_121softmax_warp_backwardIdddLi7ELb1ELb0ELi32EEEvPT0_PKT_S5_iiiPKb.num_named_barrier, 0
	.set _ZN12_GLOBAL__N_121softmax_warp_backwardIdddLi7ELb1ELb0ELi32EEEvPT0_PKT_S5_iiiPKb.private_seg_size, 0
	.set _ZN12_GLOBAL__N_121softmax_warp_backwardIdddLi7ELb1ELb0ELi32EEEvPT0_PKT_S5_iiiPKb.uses_vcc, 1
	.set _ZN12_GLOBAL__N_121softmax_warp_backwardIdddLi7ELb1ELb0ELi32EEEvPT0_PKT_S5_iiiPKb.uses_flat_scratch, 0
	.set _ZN12_GLOBAL__N_121softmax_warp_backwardIdddLi7ELb1ELb0ELi32EEEvPT0_PKT_S5_iiiPKb.has_dyn_sized_stack, 0
	.set _ZN12_GLOBAL__N_121softmax_warp_backwardIdddLi7ELb1ELb0ELi32EEEvPT0_PKT_S5_iiiPKb.has_recursion, 0
	.set _ZN12_GLOBAL__N_121softmax_warp_backwardIdddLi7ELb1ELb0ELi32EEEvPT0_PKT_S5_iiiPKb.has_indirect_call, 0
	.section	.AMDGPU.csdata,"",@progbits
; Kernel info:
; codeLenInByte = 4792
; TotalNumSgprs: 18
; NumVgprs: 48
; ScratchSize: 0
; MemoryBound: 0
; FloatMode: 240
; IeeeMode: 1
; LDSByteSize: 0 bytes/workgroup (compile time only)
; SGPRBlocks: 0
; VGPRBlocks: 5
; NumSGPRsForWavesPerEU: 18
; NumVGPRsForWavesPerEU: 48
; Occupancy: 16
; WaveLimiterHint : 0
; COMPUTE_PGM_RSRC2:SCRATCH_EN: 0
; COMPUTE_PGM_RSRC2:USER_SGPR: 6
; COMPUTE_PGM_RSRC2:TRAP_HANDLER: 0
; COMPUTE_PGM_RSRC2:TGID_X_EN: 1
; COMPUTE_PGM_RSRC2:TGID_Y_EN: 0
; COMPUTE_PGM_RSRC2:TGID_Z_EN: 0
; COMPUTE_PGM_RSRC2:TIDIG_COMP_CNT: 1
	.section	.text._ZN12_GLOBAL__N_121softmax_warp_backwardIdddLi8ELb1ELb0ELi64EEEvPT0_PKT_S5_iiiPKb,"axG",@progbits,_ZN12_GLOBAL__N_121softmax_warp_backwardIdddLi8ELb1ELb0ELi64EEEvPT0_PKT_S5_iiiPKb,comdat
	.globl	_ZN12_GLOBAL__N_121softmax_warp_backwardIdddLi8ELb1ELb0ELi64EEEvPT0_PKT_S5_iiiPKb ; -- Begin function _ZN12_GLOBAL__N_121softmax_warp_backwardIdddLi8ELb1ELb0ELi64EEEvPT0_PKT_S5_iiiPKb
	.p2align	8
	.type	_ZN12_GLOBAL__N_121softmax_warp_backwardIdddLi8ELb1ELb0ELi64EEEvPT0_PKT_S5_iiiPKb,@function
_ZN12_GLOBAL__N_121softmax_warp_backwardIdddLi8ELb1ELb0ELi64EEEvPT0_PKT_S5_iiiPKb: ; @_ZN12_GLOBAL__N_121softmax_warp_backwardIdddLi8ELb1ELb0ELi64EEEvPT0_PKT_S5_iiiPKb
; %bb.0:
	s_clause 0x1
	s_load_dword s0, s[4:5], 0x3c
	s_load_dwordx4 s[12:15], s[4:5], 0x18
	v_and_b32_e32 v4, 63, v0
	s_load_dwordx4 s[8:11], s[4:5], 0x0
	v_mov_b32_e32 v18, 0
	v_mov_b32_e32 v16, 0
	;; [unrolled: 1-line block ×4, first 2 shown]
	s_waitcnt lgkmcnt(0)
	s_lshr_b32 s0, s0, 16
	v_cmp_gt_i32_e64 s2, s14, v4
	v_mad_u64_u32 v[1:2], null, s6, s0, v[1:2]
	s_load_dwordx2 s[0:1], s[4:5], 0x10
	v_mad_u64_u32 v[2:3], null, v1, s13, v[4:5]
	v_sub_nc_u32_e32 v22, s12, v1
	v_cmp_lt_i32_e64 s3, 0, v22
	v_ashrrev_i32_e32 v3, 31, v2
	v_lshlrev_b64 v[8:9], 3, v[2:3]
	v_add_co_u32 v20, vcc_lo, s10, v8
	v_add_co_ci_u32_e64 v21, null, s11, v9, vcc_lo
	s_waitcnt lgkmcnt(0)
	v_add_co_u32 v10, vcc_lo, s0, v8
	v_add_co_ci_u32_e64 v11, null, s1, v9, vcc_lo
	s_and_b32 s1, s3, s2
	s_and_saveexec_b32 s0, s1
	s_cbranch_execz .LBB220_2
; %bb.1:
	global_load_dwordx2 v[16:17], v[20:21], off
	global_load_dwordx2 v[18:19], v[10:11], off
.LBB220_2:
	s_or_b32 exec_lo, exec_lo, s0
	v_or_b32_e32 v0, 64, v4
	v_cmp_gt_i32_e64 s1, s14, v0
	s_and_b32 s0, s3, s1
	s_xor_b32 s0, s0, -1
	s_and_saveexec_b32 s4, s0
	s_xor_b32 s0, exec_lo, s4
                                        ; implicit-def: $vgpr0_vgpr1
                                        ; implicit-def: $vgpr2_vgpr3
                                        ; implicit-def: $vgpr12_vgpr13
; %bb.3:
	s_mov_b32 s4, 0
                                        ; implicit-def: $vgpr0_vgpr1
                                        ; implicit-def: $vgpr2_vgpr3
	v_mov_b32_e32 v12, s4
	v_mov_b32_e32 v13, s4
; %bb.4:
	s_or_saveexec_b32 s0, s0
	v_mov_b32_e32 v14, 0
	v_mov_b32_e32 v15, 0
	s_xor_b32 exec_lo, exec_lo, s0
	s_cbranch_execz .LBB220_6
; %bb.5:
	global_load_dwordx2 v[12:13], v[20:21], off offset:512
	global_load_dwordx2 v[14:15], v[10:11], off offset:512
.LBB220_6:
	s_or_b32 exec_lo, exec_lo, s0
	v_or_b32_e32 v5, 0x80, v4
	v_cmp_gt_i32_e64 s0, s14, v5
	s_and_b32 s4, s3, s0
	s_xor_b32 s4, s4, -1
	s_and_saveexec_b32 s5, s4
	s_xor_b32 s4, exec_lo, s5
; %bb.7:
	s_mov_b32 s5, 0
	v_mov_b32_e32 v2, s5
	v_mov_b32_e32 v3, s5
; %bb.8:
	s_or_saveexec_b32 s4, s4
	v_mov_b32_e32 v6, 0
	v_mov_b32_e32 v7, 0
	s_xor_b32 exec_lo, exec_lo, s4
	s_cbranch_execz .LBB220_10
; %bb.9:
	global_load_dwordx2 v[2:3], v[20:21], off offset:1024
	global_load_dwordx2 v[6:7], v[10:11], off offset:1024
.LBB220_10:
	s_or_b32 exec_lo, exec_lo, s4
	v_or_b32_e32 v4, 0xc0, v4
	v_cmp_gt_i32_e32 vcc_lo, s14, v4
	s_and_b32 s3, s3, vcc_lo
	s_xor_b32 s3, s3, -1
	s_and_saveexec_b32 s4, s3
	s_xor_b32 s3, exec_lo, s4
; %bb.11:
	s_mov_b32 s4, 0
                                        ; implicit-def: $vgpr20_vgpr21
                                        ; implicit-def: $vgpr10_vgpr11
	v_mov_b32_e32 v0, s4
	v_mov_b32_e32 v1, s4
; %bb.12:
	s_or_saveexec_b32 s3, s3
	v_mov_b32_e32 v4, 0
	v_mov_b32_e32 v5, 0
	s_xor_b32 exec_lo, exec_lo, s3
	s_cbranch_execz .LBB220_14
; %bb.13:
	global_load_dwordx2 v[0:1], v[20:21], off offset:1536
	global_load_dwordx2 v[4:5], v[10:11], off offset:1536
.LBB220_14:
	s_or_b32 exec_lo, exec_lo, s3
	s_waitcnt vmcnt(1)
	v_add_f64 v[10:11], v[16:17], 0
	v_mbcnt_lo_u32_b32 v23, -1, 0
	s_mov_b32 s4, exec_lo
	v_or_b32_e32 v20, 32, v23
	v_cmp_gt_i32_e64 s3, 64, v20
	v_cndmask_b32_e64 v20, v23, v20, s3
	v_lshlrev_b32_e32 v21, 2, v20
	v_add_f64 v[10:11], v[10:11], v[12:13]
	v_add_f64 v[10:11], v[10:11], v[2:3]
	;; [unrolled: 1-line block ×3, first 2 shown]
	ds_bpermute_b32 v20, v21, v10
	ds_bpermute_b32 v21, v21, v11
	s_waitcnt lgkmcnt(0)
	v_add_f64 v[10:11], v[10:11], v[20:21]
	v_xor_b32_e32 v20, 16, v23
	v_cmp_gt_i32_e64 s3, 64, v20
	v_cndmask_b32_e64 v20, v23, v20, s3
	v_lshlrev_b32_e32 v21, 2, v20
	ds_bpermute_b32 v20, v21, v10
	ds_bpermute_b32 v21, v21, v11
	s_waitcnt lgkmcnt(0)
	v_add_f64 v[10:11], v[10:11], v[20:21]
	v_xor_b32_e32 v20, 8, v23
	v_cmp_gt_i32_e64 s3, 64, v20
	v_cndmask_b32_e64 v20, v23, v20, s3
	v_lshlrev_b32_e32 v21, 2, v20
	ds_bpermute_b32 v20, v21, v10
	ds_bpermute_b32 v21, v21, v11
	s_waitcnt lgkmcnt(0)
	v_add_f64 v[10:11], v[10:11], v[20:21]
	v_xor_b32_e32 v20, 4, v23
	v_cmp_gt_i32_e64 s3, 64, v20
	v_cndmask_b32_e64 v20, v23, v20, s3
	v_lshlrev_b32_e32 v21, 2, v20
	ds_bpermute_b32 v20, v21, v10
	ds_bpermute_b32 v21, v21, v11
	s_waitcnt lgkmcnt(0)
	v_add_f64 v[10:11], v[10:11], v[20:21]
	v_xor_b32_e32 v20, 2, v23
	v_cmp_gt_i32_e64 s3, 64, v20
	v_cndmask_b32_e64 v20, v23, v20, s3
	v_lshlrev_b32_e32 v21, 2, v20
	ds_bpermute_b32 v20, v21, v10
	ds_bpermute_b32 v21, v21, v11
	s_waitcnt lgkmcnt(0)
	v_add_f64 v[10:11], v[10:11], v[20:21]
	v_xor_b32_e32 v20, 1, v23
	v_cmp_gt_i32_e64 s3, 64, v20
	v_cndmask_b32_e64 v20, v23, v20, s3
	v_lshlrev_b32_e32 v21, 2, v20
	ds_bpermute_b32 v20, v21, v10
	ds_bpermute_b32 v21, v21, v11
	v_cmpx_lt_i32_e32 0, v22
	s_cbranch_execz .LBB220_20
; %bb.15:
	s_waitcnt lgkmcnt(0)
	v_add_f64 v[10:11], v[10:11], v[20:21]
	v_add_co_u32 v8, s3, s8, v8
	v_add_co_ci_u32_e64 v9, null, s9, v9, s3
	s_and_saveexec_b32 s4, s2
	s_cbranch_execnz .LBB220_21
; %bb.16:
	s_or_b32 exec_lo, exec_lo, s4
	s_and_saveexec_b32 s3, s1
	s_cbranch_execnz .LBB220_22
.LBB220_17:
	s_or_b32 exec_lo, exec_lo, s3
	s_and_saveexec_b32 s2, s0
	s_cbranch_execnz .LBB220_23
.LBB220_18:
	s_or_b32 exec_lo, exec_lo, s2
	s_and_b32 exec_lo, exec_lo, vcc_lo
	s_cbranch_execz .LBB220_20
.LBB220_19:
	s_mov_b32 s0, 0x652b82fe
	s_mov_b32 s1, 0x3ff71547
	;; [unrolled: 1-line block ×3, first 2 shown]
	s_waitcnt vmcnt(0)
	v_mul_f64 v[2:3], v[4:5], s[0:1]
	s_mov_b32 s0, 0xfefa39ef
	s_mov_b32 s1, 0xbfe62e42
	s_mov_b32 s3, 0x3e5ade15
	v_cmp_nlt_f64_e32 vcc_lo, 0x40900000, v[4:5]
	v_rndne_f64_e32 v[2:3], v[2:3]
	v_fma_f64 v[6:7], v[2:3], s[0:1], v[4:5]
	s_mov_b32 s0, 0x3b39803f
	s_mov_b32 s1, 0xbc7abc9e
	v_cvt_i32_f64_e32 v14, v[2:3]
	v_fma_f64 v[6:7], v[2:3], s[0:1], v[6:7]
	s_mov_b32 s0, 0xfca7ab0c
	s_mov_b32 s1, 0x3e928af3
	v_fma_f64 v[12:13], v[6:7], s[2:3], s[0:1]
	s_mov_b32 s0, 0x623fde64
	s_mov_b32 s1, 0x3ec71dee
	;; [unrolled: 3-line block ×9, first 2 shown]
	v_fma_f64 v[12:13], v[6:7], v[12:13], s[0:1]
	v_cmp_ngt_f64_e64 s0, 0xc090cc00, v[4:5]
	v_fma_f64 v[12:13], v[6:7], v[12:13], 1.0
	v_fma_f64 v[2:3], v[6:7], v[12:13], 1.0
	v_ldexp_f64 v[2:3], v[2:3], v14
	v_cndmask_b32_e32 v3, 0x7ff00000, v3, vcc_lo
	s_and_b32 vcc_lo, s0, vcc_lo
	v_cndmask_b32_e32 v2, 0, v2, vcc_lo
	v_cndmask_b32_e64 v3, 0, v3, s0
	v_fma_f64 v[0:1], -v[10:11], v[2:3], v[0:1]
	global_store_dwordx2 v[8:9], v[0:1], off offset:1536
.LBB220_20:
	s_endpgm
.LBB220_21:
	s_mov_b32 s2, 0x652b82fe
	s_mov_b32 s3, 0x3ff71547
	;; [unrolled: 1-line block ×3, first 2 shown]
	s_waitcnt vmcnt(0)
	v_mul_f64 v[20:21], v[18:19], s[2:3]
	s_mov_b32 s2, 0xfefa39ef
	s_mov_b32 s3, 0xbfe62e42
	;; [unrolled: 1-line block ×3, first 2 shown]
	v_rndne_f64_e32 v[20:21], v[20:21]
	v_fma_f64 v[22:23], v[20:21], s[2:3], v[18:19]
	s_mov_b32 s2, 0x3b39803f
	s_mov_b32 s3, 0xbc7abc9e
	v_cvt_i32_f64_e32 v26, v[20:21]
	v_fma_f64 v[22:23], v[20:21], s[2:3], v[22:23]
	s_mov_b32 s2, 0xfca7ab0c
	s_mov_b32 s3, 0x3e928af3
	v_fma_f64 v[24:25], v[22:23], s[6:7], s[2:3]
	s_mov_b32 s2, 0x623fde64
	s_mov_b32 s3, 0x3ec71dee
	;; [unrolled: 3-line block ×9, first 2 shown]
	v_fma_f64 v[24:25], v[22:23], v[24:25], s[2:3]
	v_cmp_nlt_f64_e64 s2, 0x40900000, v[18:19]
	v_cmp_ngt_f64_e64 s3, 0xc090cc00, v[18:19]
	v_fma_f64 v[24:25], v[22:23], v[24:25], 1.0
	v_fma_f64 v[20:21], v[22:23], v[24:25], 1.0
	v_ldexp_f64 v[20:21], v[20:21], v26
	v_cndmask_b32_e64 v21, 0x7ff00000, v21, s2
	s_and_b32 s2, s3, s2
	v_cndmask_b32_e64 v18, 0, v20, s2
	v_cndmask_b32_e64 v19, 0, v21, s3
	v_fma_f64 v[16:17], -v[10:11], v[18:19], v[16:17]
	global_store_dwordx2 v[8:9], v[16:17], off
	s_or_b32 exec_lo, exec_lo, s4
	s_and_saveexec_b32 s3, s1
	s_cbranch_execz .LBB220_17
.LBB220_22:
	s_mov_b32 s4, 0x652b82fe
	s_mov_b32 s5, 0x3ff71547
	;; [unrolled: 1-line block ×3, first 2 shown]
	s_waitcnt vmcnt(0)
	v_mul_f64 v[16:17], v[14:15], s[4:5]
	s_mov_b32 s4, 0xfefa39ef
	s_mov_b32 s5, 0xbfe62e42
	;; [unrolled: 1-line block ×3, first 2 shown]
	v_cmp_nlt_f64_e64 s1, 0x40900000, v[14:15]
	v_cmp_ngt_f64_e64 s2, 0xc090cc00, v[14:15]
	v_rndne_f64_e32 v[16:17], v[16:17]
	v_fma_f64 v[18:19], v[16:17], s[4:5], v[14:15]
	s_mov_b32 s4, 0x3b39803f
	s_mov_b32 s5, 0xbc7abc9e
	v_cvt_i32_f64_e32 v22, v[16:17]
	v_fma_f64 v[18:19], v[16:17], s[4:5], v[18:19]
	s_mov_b32 s4, 0xfca7ab0c
	s_mov_b32 s5, 0x3e928af3
	v_fma_f64 v[20:21], v[18:19], s[6:7], s[4:5]
	s_mov_b32 s4, 0x623fde64
	s_mov_b32 s5, 0x3ec71dee
	;; [unrolled: 3-line block ×9, first 2 shown]
	v_fma_f64 v[20:21], v[18:19], v[20:21], s[4:5]
	v_fma_f64 v[20:21], v[18:19], v[20:21], 1.0
	v_fma_f64 v[16:17], v[18:19], v[20:21], 1.0
	v_ldexp_f64 v[16:17], v[16:17], v22
	v_cndmask_b32_e64 v17, 0x7ff00000, v17, s1
	s_and_b32 s1, s2, s1
	v_cndmask_b32_e64 v14, 0, v16, s1
	v_cndmask_b32_e64 v15, 0, v17, s2
	v_fma_f64 v[12:13], -v[10:11], v[14:15], v[12:13]
	global_store_dwordx2 v[8:9], v[12:13], off offset:512
	s_or_b32 exec_lo, exec_lo, s3
	s_and_saveexec_b32 s2, s0
	s_cbranch_execz .LBB220_18
.LBB220_23:
	s_mov_b32 s0, 0x652b82fe
	s_mov_b32 s1, 0x3ff71547
	;; [unrolled: 1-line block ×3, first 2 shown]
	s_waitcnt vmcnt(0)
	v_mul_f64 v[12:13], v[6:7], s[0:1]
	s_mov_b32 s0, 0xfefa39ef
	s_mov_b32 s1, 0xbfe62e42
	;; [unrolled: 1-line block ×3, first 2 shown]
	v_rndne_f64_e32 v[12:13], v[12:13]
	v_fma_f64 v[14:15], v[12:13], s[0:1], v[6:7]
	s_mov_b32 s0, 0x3b39803f
	s_mov_b32 s1, 0xbc7abc9e
	v_cvt_i32_f64_e32 v18, v[12:13]
	v_fma_f64 v[14:15], v[12:13], s[0:1], v[14:15]
	s_mov_b32 s0, 0xfca7ab0c
	s_mov_b32 s1, 0x3e928af3
	v_fma_f64 v[16:17], v[14:15], s[4:5], s[0:1]
	s_mov_b32 s0, 0x623fde64
	s_mov_b32 s1, 0x3ec71dee
	;; [unrolled: 3-line block ×9, first 2 shown]
	v_fma_f64 v[16:17], v[14:15], v[16:17], s[0:1]
	v_cmp_nlt_f64_e64 s0, 0x40900000, v[6:7]
	v_cmp_ngt_f64_e64 s1, 0xc090cc00, v[6:7]
	v_fma_f64 v[16:17], v[14:15], v[16:17], 1.0
	v_fma_f64 v[12:13], v[14:15], v[16:17], 1.0
	v_ldexp_f64 v[12:13], v[12:13], v18
	v_cndmask_b32_e64 v13, 0x7ff00000, v13, s0
	s_and_b32 s0, s1, s0
	v_cndmask_b32_e64 v6, 0, v12, s0
	v_cndmask_b32_e64 v7, 0, v13, s1
	v_fma_f64 v[2:3], -v[10:11], v[6:7], v[2:3]
	global_store_dwordx2 v[8:9], v[2:3], off offset:1024
	s_or_b32 exec_lo, exec_lo, s2
	s_and_b32 exec_lo, exec_lo, vcc_lo
	s_cbranch_execnz .LBB220_19
	s_branch .LBB220_20
	.section	.rodata,"a",@progbits
	.p2align	6, 0x0
	.amdhsa_kernel _ZN12_GLOBAL__N_121softmax_warp_backwardIdddLi8ELb1ELb0ELi64EEEvPT0_PKT_S5_iiiPKb
		.amdhsa_group_segment_fixed_size 0
		.amdhsa_private_segment_fixed_size 0
		.amdhsa_kernarg_size 304
		.amdhsa_user_sgpr_count 6
		.amdhsa_user_sgpr_private_segment_buffer 1
		.amdhsa_user_sgpr_dispatch_ptr 0
		.amdhsa_user_sgpr_queue_ptr 0
		.amdhsa_user_sgpr_kernarg_segment_ptr 1
		.amdhsa_user_sgpr_dispatch_id 0
		.amdhsa_user_sgpr_flat_scratch_init 0
		.amdhsa_user_sgpr_private_segment_size 0
		.amdhsa_wavefront_size32 1
		.amdhsa_uses_dynamic_stack 0
		.amdhsa_system_sgpr_private_segment_wavefront_offset 0
		.amdhsa_system_sgpr_workgroup_id_x 1
		.amdhsa_system_sgpr_workgroup_id_y 0
		.amdhsa_system_sgpr_workgroup_id_z 0
		.amdhsa_system_sgpr_workgroup_info 0
		.amdhsa_system_vgpr_workitem_id 1
		.amdhsa_next_free_vgpr 27
		.amdhsa_next_free_sgpr 16
		.amdhsa_reserve_vcc 1
		.amdhsa_reserve_flat_scratch 0
		.amdhsa_float_round_mode_32 0
		.amdhsa_float_round_mode_16_64 0
		.amdhsa_float_denorm_mode_32 3
		.amdhsa_float_denorm_mode_16_64 3
		.amdhsa_dx10_clamp 1
		.amdhsa_ieee_mode 1
		.amdhsa_fp16_overflow 0
		.amdhsa_workgroup_processor_mode 1
		.amdhsa_memory_ordered 1
		.amdhsa_forward_progress 1
		.amdhsa_shared_vgpr_count 0
		.amdhsa_exception_fp_ieee_invalid_op 0
		.amdhsa_exception_fp_denorm_src 0
		.amdhsa_exception_fp_ieee_div_zero 0
		.amdhsa_exception_fp_ieee_overflow 0
		.amdhsa_exception_fp_ieee_underflow 0
		.amdhsa_exception_fp_ieee_inexact 0
		.amdhsa_exception_int_div_zero 0
	.end_amdhsa_kernel
	.section	.text._ZN12_GLOBAL__N_121softmax_warp_backwardIdddLi8ELb1ELb0ELi64EEEvPT0_PKT_S5_iiiPKb,"axG",@progbits,_ZN12_GLOBAL__N_121softmax_warp_backwardIdddLi8ELb1ELb0ELi64EEEvPT0_PKT_S5_iiiPKb,comdat
.Lfunc_end220:
	.size	_ZN12_GLOBAL__N_121softmax_warp_backwardIdddLi8ELb1ELb0ELi64EEEvPT0_PKT_S5_iiiPKb, .Lfunc_end220-_ZN12_GLOBAL__N_121softmax_warp_backwardIdddLi8ELb1ELb0ELi64EEEvPT0_PKT_S5_iiiPKb
                                        ; -- End function
	.set _ZN12_GLOBAL__N_121softmax_warp_backwardIdddLi8ELb1ELb0ELi64EEEvPT0_PKT_S5_iiiPKb.num_vgpr, 27
	.set _ZN12_GLOBAL__N_121softmax_warp_backwardIdddLi8ELb1ELb0ELi64EEEvPT0_PKT_S5_iiiPKb.num_agpr, 0
	.set _ZN12_GLOBAL__N_121softmax_warp_backwardIdddLi8ELb1ELb0ELi64EEEvPT0_PKT_S5_iiiPKb.numbered_sgpr, 16
	.set _ZN12_GLOBAL__N_121softmax_warp_backwardIdddLi8ELb1ELb0ELi64EEEvPT0_PKT_S5_iiiPKb.num_named_barrier, 0
	.set _ZN12_GLOBAL__N_121softmax_warp_backwardIdddLi8ELb1ELb0ELi64EEEvPT0_PKT_S5_iiiPKb.private_seg_size, 0
	.set _ZN12_GLOBAL__N_121softmax_warp_backwardIdddLi8ELb1ELb0ELi64EEEvPT0_PKT_S5_iiiPKb.uses_vcc, 1
	.set _ZN12_GLOBAL__N_121softmax_warp_backwardIdddLi8ELb1ELb0ELi64EEEvPT0_PKT_S5_iiiPKb.uses_flat_scratch, 0
	.set _ZN12_GLOBAL__N_121softmax_warp_backwardIdddLi8ELb1ELb0ELi64EEEvPT0_PKT_S5_iiiPKb.has_dyn_sized_stack, 0
	.set _ZN12_GLOBAL__N_121softmax_warp_backwardIdddLi8ELb1ELb0ELi64EEEvPT0_PKT_S5_iiiPKb.has_recursion, 0
	.set _ZN12_GLOBAL__N_121softmax_warp_backwardIdddLi8ELb1ELb0ELi64EEEvPT0_PKT_S5_iiiPKb.has_indirect_call, 0
	.section	.AMDGPU.csdata,"",@progbits
; Kernel info:
; codeLenInByte = 2516
; TotalNumSgprs: 18
; NumVgprs: 27
; ScratchSize: 0
; MemoryBound: 1
; FloatMode: 240
; IeeeMode: 1
; LDSByteSize: 0 bytes/workgroup (compile time only)
; SGPRBlocks: 0
; VGPRBlocks: 3
; NumSGPRsForWavesPerEU: 18
; NumVGPRsForWavesPerEU: 27
; Occupancy: 16
; WaveLimiterHint : 0
; COMPUTE_PGM_RSRC2:SCRATCH_EN: 0
; COMPUTE_PGM_RSRC2:USER_SGPR: 6
; COMPUTE_PGM_RSRC2:TRAP_HANDLER: 0
; COMPUTE_PGM_RSRC2:TGID_X_EN: 1
; COMPUTE_PGM_RSRC2:TGID_Y_EN: 0
; COMPUTE_PGM_RSRC2:TGID_Z_EN: 0
; COMPUTE_PGM_RSRC2:TIDIG_COMP_CNT: 1
	.section	.text._ZN12_GLOBAL__N_121softmax_warp_backwardIdddLi8ELb1ELb0ELi32EEEvPT0_PKT_S5_iiiPKb,"axG",@progbits,_ZN12_GLOBAL__N_121softmax_warp_backwardIdddLi8ELb1ELb0ELi32EEEvPT0_PKT_S5_iiiPKb,comdat
	.globl	_ZN12_GLOBAL__N_121softmax_warp_backwardIdddLi8ELb1ELb0ELi32EEEvPT0_PKT_S5_iiiPKb ; -- Begin function _ZN12_GLOBAL__N_121softmax_warp_backwardIdddLi8ELb1ELb0ELi32EEEvPT0_PKT_S5_iiiPKb
	.p2align	8
	.type	_ZN12_GLOBAL__N_121softmax_warp_backwardIdddLi8ELb1ELb0ELi32EEEvPT0_PKT_S5_iiiPKb,@function
_ZN12_GLOBAL__N_121softmax_warp_backwardIdddLi8ELb1ELb0ELi32EEEvPT0_PKT_S5_iiiPKb: ; @_ZN12_GLOBAL__N_121softmax_warp_backwardIdddLi8ELb1ELb0ELi32EEEvPT0_PKT_S5_iiiPKb
; %bb.0:
	s_clause 0x1
	s_load_dword s0, s[4:5], 0x3c
	s_load_dwordx4 s[12:15], s[4:5], 0x18
	v_and_b32_e32 v6, 31, v0
	s_load_dwordx4 s[8:11], s[4:5], 0x0
	v_mov_b32_e32 v34, 0
	v_mov_b32_e32 v32, 0
	;; [unrolled: 1-line block ×4, first 2 shown]
	s_waitcnt lgkmcnt(0)
	s_lshr_b32 s0, s0, 16
	v_mad_u64_u32 v[1:2], null, s6, s0, v[1:2]
	s_load_dwordx2 s[0:1], s[4:5], 0x10
	v_cmp_gt_i32_e64 s6, s14, v6
	v_mad_u64_u32 v[2:3], null, v1, s13, v[6:7]
	v_sub_nc_u32_e32 v38, s12, v1
	v_cmp_lt_i32_e64 s7, 0, v38
	v_ashrrev_i32_e32 v3, 31, v2
	v_lshlrev_b64 v[12:13], 3, v[2:3]
	v_add_co_u32 v36, vcc_lo, s10, v12
	v_add_co_ci_u32_e64 v37, null, s11, v13, vcc_lo
	s_waitcnt lgkmcnt(0)
	v_add_co_u32 v14, vcc_lo, s0, v12
	v_add_co_ci_u32_e64 v15, null, s1, v13, vcc_lo
	s_and_b32 s1, s7, s6
	s_and_saveexec_b32 s0, s1
	s_cbranch_execz .LBB221_2
; %bb.1:
	global_load_dwordx2 v[32:33], v[36:37], off
	global_load_dwordx2 v[34:35], v[14:15], off
.LBB221_2:
	s_or_b32 exec_lo, exec_lo, s0
	v_or_b32_e32 v0, 32, v6
	v_cmp_gt_i32_e64 s5, s14, v0
	s_and_b32 s0, s7, s5
	s_xor_b32 s0, s0, -1
	s_and_saveexec_b32 s1, s0
	s_xor_b32 s0, exec_lo, s1
                                        ; implicit-def: $vgpr0_vgpr1
                                        ; implicit-def: $vgpr2_vgpr3
                                        ; implicit-def: $vgpr4_vgpr5
                                        ; implicit-def: $vgpr8_vgpr9
                                        ; implicit-def: $vgpr18_vgpr19
                                        ; implicit-def: $vgpr22_vgpr23
                                        ; implicit-def: $vgpr28_vgpr29
; %bb.3:
	s_mov_b32 s1, 0
                                        ; implicit-def: $vgpr0_vgpr1
                                        ; implicit-def: $vgpr2_vgpr3
                                        ; implicit-def: $vgpr4_vgpr5
                                        ; implicit-def: $vgpr8_vgpr9
                                        ; implicit-def: $vgpr18_vgpr19
                                        ; implicit-def: $vgpr22_vgpr23
	v_mov_b32_e32 v28, s1
	v_mov_b32_e32 v29, s1
; %bb.4:
	s_or_saveexec_b32 s0, s0
	v_mov_b32_e32 v30, 0
	v_mov_b32_e32 v31, 0
	s_xor_b32 exec_lo, exec_lo, s0
	s_cbranch_execz .LBB221_6
; %bb.5:
	global_load_dwordx2 v[28:29], v[36:37], off offset:256
	global_load_dwordx2 v[30:31], v[14:15], off offset:256
.LBB221_6:
	s_or_b32 exec_lo, exec_lo, s0
	v_or_b32_e32 v7, 64, v6
	v_cmp_gt_i32_e64 s4, s14, v7
	s_and_b32 s0, s7, s4
	s_xor_b32 s0, s0, -1
	s_and_saveexec_b32 s1, s0
	s_xor_b32 s0, exec_lo, s1
; %bb.7:
	s_mov_b32 s1, 0
	v_mov_b32_e32 v22, s1
	v_mov_b32_e32 v23, s1
; %bb.8:
	s_or_saveexec_b32 s0, s0
	v_mov_b32_e32 v26, 0
	v_mov_b32_e32 v27, 0
	s_xor_b32 exec_lo, exec_lo, s0
	s_cbranch_execz .LBB221_10
; %bb.9:
	global_load_dwordx2 v[22:23], v[36:37], off offset:512
	global_load_dwordx2 v[26:27], v[14:15], off offset:512
.LBB221_10:
	s_or_b32 exec_lo, exec_lo, s0
	v_or_b32_e32 v7, 0x60, v6
	v_cmp_gt_i32_e64 s3, s14, v7
	s_and_b32 s0, s7, s3
	s_xor_b32 s0, s0, -1
	s_and_saveexec_b32 s1, s0
	s_xor_b32 s0, exec_lo, s1
; %bb.11:
	s_mov_b32 s1, 0
	;; [unrolled: 21-line block ×5, first 2 shown]
	v_mov_b32_e32 v2, s11
	v_mov_b32_e32 v3, s11
; %bb.24:
	s_or_saveexec_b32 s10, s10
	v_mov_b32_e32 v10, 0
	v_mov_b32_e32 v11, 0
	s_xor_b32 exec_lo, exec_lo, s10
	s_cbranch_execz .LBB221_26
; %bb.25:
	global_load_dwordx2 v[2:3], v[36:37], off offset:1536
	global_load_dwordx2 v[10:11], v[14:15], off offset:1536
.LBB221_26:
	s_or_b32 exec_lo, exec_lo, s10
	v_or_b32_e32 v6, 0xe0, v6
	v_cmp_gt_i32_e32 vcc_lo, s14, v6
	s_and_b32 s7, s7, vcc_lo
	s_xor_b32 s7, s7, -1
	s_and_saveexec_b32 s10, s7
	s_xor_b32 s7, exec_lo, s10
; %bb.27:
	s_mov_b32 s10, 0
                                        ; implicit-def: $vgpr36_vgpr37
                                        ; implicit-def: $vgpr14_vgpr15
	v_mov_b32_e32 v0, s10
	v_mov_b32_e32 v1, s10
; %bb.28:
	s_or_saveexec_b32 s7, s7
	v_mov_b32_e32 v6, 0
	v_mov_b32_e32 v7, 0
	s_xor_b32 exec_lo, exec_lo, s7
	s_cbranch_execz .LBB221_30
; %bb.29:
	global_load_dwordx2 v[0:1], v[36:37], off offset:1792
	global_load_dwordx2 v[6:7], v[14:15], off offset:1792
.LBB221_30:
	s_or_b32 exec_lo, exec_lo, s7
	s_waitcnt vmcnt(1)
	v_add_f64 v[14:15], v[32:33], 0
	v_mbcnt_lo_u32_b32 v39, -1, 0
	s_mov_b32 s10, exec_lo
	v_xor_b32_e32 v36, 16, v39
	v_cmp_gt_i32_e64 s7, 32, v36
	v_cndmask_b32_e64 v36, v39, v36, s7
	v_lshlrev_b32_e32 v37, 2, v36
	v_add_f64 v[14:15], v[14:15], v[28:29]
	v_add_f64 v[14:15], v[14:15], v[22:23]
	;; [unrolled: 1-line block ×7, first 2 shown]
	ds_bpermute_b32 v36, v37, v14
	ds_bpermute_b32 v37, v37, v15
	s_waitcnt lgkmcnt(0)
	v_add_f64 v[14:15], v[14:15], v[36:37]
	v_xor_b32_e32 v36, 8, v39
	v_cmp_gt_i32_e64 s7, 32, v36
	v_cndmask_b32_e64 v36, v39, v36, s7
	v_lshlrev_b32_e32 v37, 2, v36
	ds_bpermute_b32 v36, v37, v14
	ds_bpermute_b32 v37, v37, v15
	s_waitcnt lgkmcnt(0)
	v_add_f64 v[14:15], v[14:15], v[36:37]
	v_xor_b32_e32 v36, 4, v39
	v_cmp_gt_i32_e64 s7, 32, v36
	v_cndmask_b32_e64 v36, v39, v36, s7
	v_lshlrev_b32_e32 v37, 2, v36
	;; [unrolled: 8-line block ×4, first 2 shown]
	ds_bpermute_b32 v36, v37, v14
	ds_bpermute_b32 v37, v37, v15
	v_cmpx_lt_i32_e32 0, v38
	s_cbranch_execz .LBB221_40
; %bb.31:
	s_waitcnt lgkmcnt(0)
	v_add_f64 v[14:15], v[14:15], v[36:37]
	v_add_co_u32 v12, s7, s8, v12
	v_add_co_ci_u32_e64 v13, null, s9, v13, s7
	s_and_saveexec_b32 s8, s6
	s_cbranch_execnz .LBB221_41
; %bb.32:
	s_or_b32 exec_lo, exec_lo, s8
	s_and_saveexec_b32 s7, s5
	s_cbranch_execnz .LBB221_42
.LBB221_33:
	s_or_b32 exec_lo, exec_lo, s7
	s_and_saveexec_b32 s6, s4
	s_cbranch_execnz .LBB221_43
.LBB221_34:
	s_or_b32 exec_lo, exec_lo, s6
	s_and_saveexec_b32 s5, s3
	s_cbranch_execnz .LBB221_44
.LBB221_35:
	s_or_b32 exec_lo, exec_lo, s5
	s_and_saveexec_b32 s4, s2
	s_cbranch_execnz .LBB221_45
.LBB221_36:
	s_or_b32 exec_lo, exec_lo, s4
	s_and_saveexec_b32 s3, s1
	s_cbranch_execnz .LBB221_46
.LBB221_37:
	s_or_b32 exec_lo, exec_lo, s3
	s_and_saveexec_b32 s2, s0
	s_cbranch_execnz .LBB221_47
.LBB221_38:
	s_or_b32 exec_lo, exec_lo, s2
	s_and_b32 exec_lo, exec_lo, vcc_lo
	s_cbranch_execz .LBB221_40
.LBB221_39:
	s_mov_b32 s0, 0x652b82fe
	s_mov_b32 s1, 0x3ff71547
	;; [unrolled: 1-line block ×3, first 2 shown]
	s_waitcnt vmcnt(0)
	v_mul_f64 v[2:3], v[6:7], s[0:1]
	s_mov_b32 s0, 0xfefa39ef
	s_mov_b32 s1, 0xbfe62e42
	;; [unrolled: 1-line block ×3, first 2 shown]
	v_cmp_nlt_f64_e32 vcc_lo, 0x40900000, v[6:7]
	v_rndne_f64_e32 v[2:3], v[2:3]
	v_fma_f64 v[4:5], v[2:3], s[0:1], v[6:7]
	s_mov_b32 s0, 0x3b39803f
	s_mov_b32 s1, 0xbc7abc9e
	v_cvt_i32_f64_e32 v10, v[2:3]
	v_fma_f64 v[4:5], v[2:3], s[0:1], v[4:5]
	s_mov_b32 s0, 0xfca7ab0c
	s_mov_b32 s1, 0x3e928af3
	v_fma_f64 v[8:9], v[4:5], s[2:3], s[0:1]
	s_mov_b32 s0, 0x623fde64
	s_mov_b32 s1, 0x3ec71dee
	;; [unrolled: 3-line block ×9, first 2 shown]
	v_fma_f64 v[8:9], v[4:5], v[8:9], s[0:1]
	v_cmp_ngt_f64_e64 s0, 0xc090cc00, v[6:7]
	v_fma_f64 v[8:9], v[4:5], v[8:9], 1.0
	v_fma_f64 v[2:3], v[4:5], v[8:9], 1.0
	v_ldexp_f64 v[2:3], v[2:3], v10
	v_cndmask_b32_e32 v3, 0x7ff00000, v3, vcc_lo
	s_and_b32 vcc_lo, s0, vcc_lo
	v_cndmask_b32_e32 v2, 0, v2, vcc_lo
	v_cndmask_b32_e64 v3, 0, v3, s0
	v_fma_f64 v[0:1], -v[14:15], v[2:3], v[0:1]
	global_store_dwordx2 v[12:13], v[0:1], off offset:1792
.LBB221_40:
	s_endpgm
.LBB221_41:
	s_mov_b32 s6, 0x652b82fe
	s_mov_b32 s7, 0x3ff71547
	;; [unrolled: 1-line block ×3, first 2 shown]
	s_waitcnt vmcnt(0)
	v_mul_f64 v[36:37], v[34:35], s[6:7]
	s_mov_b32 s6, 0xfefa39ef
	s_mov_b32 s7, 0xbfe62e42
	;; [unrolled: 1-line block ×3, first 2 shown]
	v_rndne_f64_e32 v[36:37], v[36:37]
	v_fma_f64 v[38:39], v[36:37], s[6:7], v[34:35]
	s_mov_b32 s6, 0x3b39803f
	s_mov_b32 s7, 0xbc7abc9e
	v_cvt_i32_f64_e32 v42, v[36:37]
	v_fma_f64 v[38:39], v[36:37], s[6:7], v[38:39]
	s_mov_b32 s6, 0xfca7ab0c
	s_mov_b32 s7, 0x3e928af3
	v_fma_f64 v[40:41], v[38:39], s[10:11], s[6:7]
	s_mov_b32 s6, 0x623fde64
	s_mov_b32 s7, 0x3ec71dee
	;; [unrolled: 3-line block ×9, first 2 shown]
	v_fma_f64 v[40:41], v[38:39], v[40:41], s[6:7]
	v_cmp_nlt_f64_e64 s6, 0x40900000, v[34:35]
	v_cmp_ngt_f64_e64 s7, 0xc090cc00, v[34:35]
	v_fma_f64 v[40:41], v[38:39], v[40:41], 1.0
	v_fma_f64 v[36:37], v[38:39], v[40:41], 1.0
	v_ldexp_f64 v[36:37], v[36:37], v42
	v_cndmask_b32_e64 v37, 0x7ff00000, v37, s6
	s_and_b32 s6, s7, s6
	v_cndmask_b32_e64 v34, 0, v36, s6
	v_cndmask_b32_e64 v35, 0, v37, s7
	v_fma_f64 v[32:33], -v[14:15], v[34:35], v[32:33]
	global_store_dwordx2 v[12:13], v[32:33], off
	s_or_b32 exec_lo, exec_lo, s8
	s_and_saveexec_b32 s7, s5
	s_cbranch_execz .LBB221_33
.LBB221_42:
	s_mov_b32 s8, 0x652b82fe
	s_mov_b32 s9, 0x3ff71547
	;; [unrolled: 1-line block ×3, first 2 shown]
	s_waitcnt vmcnt(0)
	v_mul_f64 v[32:33], v[30:31], s[8:9]
	s_mov_b32 s8, 0xfefa39ef
	s_mov_b32 s9, 0xbfe62e42
	;; [unrolled: 1-line block ×3, first 2 shown]
	v_cmp_nlt_f64_e64 s5, 0x40900000, v[30:31]
	v_cmp_ngt_f64_e64 s6, 0xc090cc00, v[30:31]
	v_rndne_f64_e32 v[32:33], v[32:33]
	v_fma_f64 v[34:35], v[32:33], s[8:9], v[30:31]
	s_mov_b32 s8, 0x3b39803f
	s_mov_b32 s9, 0xbc7abc9e
	v_cvt_i32_f64_e32 v38, v[32:33]
	v_fma_f64 v[34:35], v[32:33], s[8:9], v[34:35]
	s_mov_b32 s8, 0xfca7ab0c
	s_mov_b32 s9, 0x3e928af3
	v_fma_f64 v[36:37], v[34:35], s[10:11], s[8:9]
	s_mov_b32 s8, 0x623fde64
	s_mov_b32 s9, 0x3ec71dee
	;; [unrolled: 3-line block ×9, first 2 shown]
	v_fma_f64 v[36:37], v[34:35], v[36:37], s[8:9]
	v_fma_f64 v[36:37], v[34:35], v[36:37], 1.0
	v_fma_f64 v[32:33], v[34:35], v[36:37], 1.0
	v_ldexp_f64 v[32:33], v[32:33], v38
	v_cndmask_b32_e64 v33, 0x7ff00000, v33, s5
	s_and_b32 s5, s6, s5
	v_cndmask_b32_e64 v30, 0, v32, s5
	v_cndmask_b32_e64 v31, 0, v33, s6
	v_fma_f64 v[28:29], -v[14:15], v[30:31], v[28:29]
	global_store_dwordx2 v[12:13], v[28:29], off offset:256
	s_or_b32 exec_lo, exec_lo, s7
	s_and_saveexec_b32 s6, s4
	s_cbranch_execz .LBB221_34
.LBB221_43:
	s_mov_b32 s4, 0x652b82fe
	s_mov_b32 s5, 0x3ff71547
	;; [unrolled: 1-line block ×3, first 2 shown]
	s_waitcnt vmcnt(0)
	v_mul_f64 v[28:29], v[26:27], s[4:5]
	s_mov_b32 s4, 0xfefa39ef
	s_mov_b32 s5, 0xbfe62e42
	;; [unrolled: 1-line block ×3, first 2 shown]
	v_rndne_f64_e32 v[28:29], v[28:29]
	v_fma_f64 v[30:31], v[28:29], s[4:5], v[26:27]
	s_mov_b32 s4, 0x3b39803f
	s_mov_b32 s5, 0xbc7abc9e
	v_cvt_i32_f64_e32 v34, v[28:29]
	v_fma_f64 v[30:31], v[28:29], s[4:5], v[30:31]
	s_mov_b32 s4, 0xfca7ab0c
	s_mov_b32 s5, 0x3e928af3
	v_fma_f64 v[32:33], v[30:31], s[8:9], s[4:5]
	s_mov_b32 s4, 0x623fde64
	s_mov_b32 s5, 0x3ec71dee
	;; [unrolled: 3-line block ×9, first 2 shown]
	v_fma_f64 v[32:33], v[30:31], v[32:33], s[4:5]
	v_cmp_nlt_f64_e64 s4, 0x40900000, v[26:27]
	v_cmp_ngt_f64_e64 s5, 0xc090cc00, v[26:27]
	v_fma_f64 v[32:33], v[30:31], v[32:33], 1.0
	v_fma_f64 v[28:29], v[30:31], v[32:33], 1.0
	v_ldexp_f64 v[28:29], v[28:29], v34
	v_cndmask_b32_e64 v29, 0x7ff00000, v29, s4
	s_and_b32 s4, s5, s4
	v_cndmask_b32_e64 v26, 0, v28, s4
	v_cndmask_b32_e64 v27, 0, v29, s5
	v_fma_f64 v[22:23], -v[14:15], v[26:27], v[22:23]
	global_store_dwordx2 v[12:13], v[22:23], off offset:512
	s_or_b32 exec_lo, exec_lo, s6
	s_and_saveexec_b32 s5, s3
	s_cbranch_execz .LBB221_35
.LBB221_44:
	s_mov_b32 s6, 0x652b82fe
	s_mov_b32 s7, 0x3ff71547
	;; [unrolled: 1-line block ×3, first 2 shown]
	s_waitcnt vmcnt(0)
	v_mul_f64 v[22:23], v[24:25], s[6:7]
	s_mov_b32 s6, 0xfefa39ef
	s_mov_b32 s7, 0xbfe62e42
	;; [unrolled: 1-line block ×3, first 2 shown]
	v_cmp_nlt_f64_e64 s3, 0x40900000, v[24:25]
	v_cmp_ngt_f64_e64 s4, 0xc090cc00, v[24:25]
	v_rndne_f64_e32 v[22:23], v[22:23]
	v_fma_f64 v[26:27], v[22:23], s[6:7], v[24:25]
	s_mov_b32 s6, 0x3b39803f
	s_mov_b32 s7, 0xbc7abc9e
	v_cvt_i32_f64_e32 v30, v[22:23]
	v_fma_f64 v[26:27], v[22:23], s[6:7], v[26:27]
	s_mov_b32 s6, 0xfca7ab0c
	s_mov_b32 s7, 0x3e928af3
	v_fma_f64 v[28:29], v[26:27], s[8:9], s[6:7]
	s_mov_b32 s6, 0x623fde64
	s_mov_b32 s7, 0x3ec71dee
	;; [unrolled: 3-line block ×9, first 2 shown]
	v_fma_f64 v[28:29], v[26:27], v[28:29], s[6:7]
	v_fma_f64 v[28:29], v[26:27], v[28:29], 1.0
	v_fma_f64 v[22:23], v[26:27], v[28:29], 1.0
	v_ldexp_f64 v[22:23], v[22:23], v30
	v_cndmask_b32_e64 v23, 0x7ff00000, v23, s3
	s_and_b32 s3, s4, s3
	v_cndmask_b32_e64 v22, 0, v22, s3
	v_cndmask_b32_e64 v23, 0, v23, s4
	v_fma_f64 v[18:19], -v[14:15], v[22:23], v[18:19]
	global_store_dwordx2 v[12:13], v[18:19], off offset:768
	s_or_b32 exec_lo, exec_lo, s5
	s_and_saveexec_b32 s4, s2
	s_cbranch_execz .LBB221_36
.LBB221_45:
	s_mov_b32 s2, 0x652b82fe
	s_mov_b32 s3, 0x3ff71547
	;; [unrolled: 1-line block ×3, first 2 shown]
	s_waitcnt vmcnt(0)
	v_mul_f64 v[18:19], v[20:21], s[2:3]
	s_mov_b32 s2, 0xfefa39ef
	s_mov_b32 s3, 0xbfe62e42
	;; [unrolled: 1-line block ×3, first 2 shown]
	v_rndne_f64_e32 v[18:19], v[18:19]
	v_fma_f64 v[22:23], v[18:19], s[2:3], v[20:21]
	s_mov_b32 s2, 0x3b39803f
	s_mov_b32 s3, 0xbc7abc9e
	v_cvt_i32_f64_e32 v26, v[18:19]
	v_fma_f64 v[22:23], v[18:19], s[2:3], v[22:23]
	s_mov_b32 s2, 0xfca7ab0c
	s_mov_b32 s3, 0x3e928af3
	v_fma_f64 v[24:25], v[22:23], s[6:7], s[2:3]
	s_mov_b32 s2, 0x623fde64
	s_mov_b32 s3, 0x3ec71dee
	;; [unrolled: 3-line block ×9, first 2 shown]
	v_fma_f64 v[24:25], v[22:23], v[24:25], s[2:3]
	v_cmp_nlt_f64_e64 s2, 0x40900000, v[20:21]
	v_cmp_ngt_f64_e64 s3, 0xc090cc00, v[20:21]
	v_fma_f64 v[24:25], v[22:23], v[24:25], 1.0
	v_fma_f64 v[18:19], v[22:23], v[24:25], 1.0
	v_ldexp_f64 v[18:19], v[18:19], v26
	v_cndmask_b32_e64 v19, 0x7ff00000, v19, s2
	s_and_b32 s2, s3, s2
	v_cndmask_b32_e64 v18, 0, v18, s2
	v_cndmask_b32_e64 v19, 0, v19, s3
	v_fma_f64 v[8:9], -v[14:15], v[18:19], v[8:9]
	global_store_dwordx2 v[12:13], v[8:9], off offset:1024
	s_or_b32 exec_lo, exec_lo, s4
	s_and_saveexec_b32 s3, s1
	s_cbranch_execz .LBB221_37
.LBB221_46:
	s_mov_b32 s4, 0x652b82fe
	s_mov_b32 s5, 0x3ff71547
	;; [unrolled: 1-line block ×3, first 2 shown]
	s_waitcnt vmcnt(0)
	v_mul_f64 v[8:9], v[16:17], s[4:5]
	s_mov_b32 s4, 0xfefa39ef
	s_mov_b32 s5, 0xbfe62e42
	;; [unrolled: 1-line block ×3, first 2 shown]
	v_cmp_nlt_f64_e64 s1, 0x40900000, v[16:17]
	v_cmp_ngt_f64_e64 s2, 0xc090cc00, v[16:17]
	v_rndne_f64_e32 v[8:9], v[8:9]
	v_fma_f64 v[18:19], v[8:9], s[4:5], v[16:17]
	s_mov_b32 s4, 0x3b39803f
	s_mov_b32 s5, 0xbc7abc9e
	v_cvt_i32_f64_e32 v22, v[8:9]
	v_fma_f64 v[18:19], v[8:9], s[4:5], v[18:19]
	s_mov_b32 s4, 0xfca7ab0c
	s_mov_b32 s5, 0x3e928af3
	v_fma_f64 v[20:21], v[18:19], s[6:7], s[4:5]
	s_mov_b32 s4, 0x623fde64
	s_mov_b32 s5, 0x3ec71dee
	;; [unrolled: 3-line block ×9, first 2 shown]
	v_fma_f64 v[20:21], v[18:19], v[20:21], s[4:5]
	v_fma_f64 v[20:21], v[18:19], v[20:21], 1.0
	v_fma_f64 v[8:9], v[18:19], v[20:21], 1.0
	v_ldexp_f64 v[8:9], v[8:9], v22
	v_cndmask_b32_e64 v9, 0x7ff00000, v9, s1
	s_and_b32 s1, s2, s1
	v_cndmask_b32_e64 v8, 0, v8, s1
	v_cndmask_b32_e64 v9, 0, v9, s2
	v_fma_f64 v[4:5], -v[14:15], v[8:9], v[4:5]
	global_store_dwordx2 v[12:13], v[4:5], off offset:1280
	s_or_b32 exec_lo, exec_lo, s3
	s_and_saveexec_b32 s2, s0
	s_cbranch_execz .LBB221_38
.LBB221_47:
	s_mov_b32 s0, 0x652b82fe
	s_mov_b32 s1, 0x3ff71547
	;; [unrolled: 1-line block ×3, first 2 shown]
	s_waitcnt vmcnt(0)
	v_mul_f64 v[4:5], v[10:11], s[0:1]
	s_mov_b32 s0, 0xfefa39ef
	s_mov_b32 s1, 0xbfe62e42
	s_mov_b32 s5, 0x3e5ade15
	v_rndne_f64_e32 v[4:5], v[4:5]
	v_fma_f64 v[8:9], v[4:5], s[0:1], v[10:11]
	s_mov_b32 s0, 0x3b39803f
	s_mov_b32 s1, 0xbc7abc9e
	v_cvt_i32_f64_e32 v18, v[4:5]
	v_fma_f64 v[8:9], v[4:5], s[0:1], v[8:9]
	s_mov_b32 s0, 0xfca7ab0c
	s_mov_b32 s1, 0x3e928af3
	v_fma_f64 v[16:17], v[8:9], s[4:5], s[0:1]
	s_mov_b32 s0, 0x623fde64
	s_mov_b32 s1, 0x3ec71dee
	;; [unrolled: 3-line block ×9, first 2 shown]
	v_fma_f64 v[16:17], v[8:9], v[16:17], s[0:1]
	v_cmp_nlt_f64_e64 s0, 0x40900000, v[10:11]
	v_cmp_ngt_f64_e64 s1, 0xc090cc00, v[10:11]
	v_fma_f64 v[16:17], v[8:9], v[16:17], 1.0
	v_fma_f64 v[4:5], v[8:9], v[16:17], 1.0
	v_ldexp_f64 v[4:5], v[4:5], v18
	v_cndmask_b32_e64 v5, 0x7ff00000, v5, s0
	s_and_b32 s0, s1, s0
	v_cndmask_b32_e64 v4, 0, v4, s0
	v_cndmask_b32_e64 v5, 0, v5, s1
	v_fma_f64 v[2:3], -v[14:15], v[4:5], v[2:3]
	global_store_dwordx2 v[12:13], v[2:3], off offset:1536
	s_or_b32 exec_lo, exec_lo, s2
	s_and_b32 exec_lo, exec_lo, vcc_lo
	s_cbranch_execnz .LBB221_39
	s_branch .LBB221_40
	.section	.rodata,"a",@progbits
	.p2align	6, 0x0
	.amdhsa_kernel _ZN12_GLOBAL__N_121softmax_warp_backwardIdddLi8ELb1ELb0ELi32EEEvPT0_PKT_S5_iiiPKb
		.amdhsa_group_segment_fixed_size 0
		.amdhsa_private_segment_fixed_size 0
		.amdhsa_kernarg_size 304
		.amdhsa_user_sgpr_count 6
		.amdhsa_user_sgpr_private_segment_buffer 1
		.amdhsa_user_sgpr_dispatch_ptr 0
		.amdhsa_user_sgpr_queue_ptr 0
		.amdhsa_user_sgpr_kernarg_segment_ptr 1
		.amdhsa_user_sgpr_dispatch_id 0
		.amdhsa_user_sgpr_flat_scratch_init 0
		.amdhsa_user_sgpr_private_segment_size 0
		.amdhsa_wavefront_size32 1
		.amdhsa_uses_dynamic_stack 0
		.amdhsa_system_sgpr_private_segment_wavefront_offset 0
		.amdhsa_system_sgpr_workgroup_id_x 1
		.amdhsa_system_sgpr_workgroup_id_y 0
		.amdhsa_system_sgpr_workgroup_id_z 0
		.amdhsa_system_sgpr_workgroup_info 0
		.amdhsa_system_vgpr_workitem_id 1
		.amdhsa_next_free_vgpr 43
		.amdhsa_next_free_sgpr 16
		.amdhsa_reserve_vcc 1
		.amdhsa_reserve_flat_scratch 0
		.amdhsa_float_round_mode_32 0
		.amdhsa_float_round_mode_16_64 0
		.amdhsa_float_denorm_mode_32 3
		.amdhsa_float_denorm_mode_16_64 3
		.amdhsa_dx10_clamp 1
		.amdhsa_ieee_mode 1
		.amdhsa_fp16_overflow 0
		.amdhsa_workgroup_processor_mode 1
		.amdhsa_memory_ordered 1
		.amdhsa_forward_progress 1
		.amdhsa_shared_vgpr_count 0
		.amdhsa_exception_fp_ieee_invalid_op 0
		.amdhsa_exception_fp_denorm_src 0
		.amdhsa_exception_fp_ieee_div_zero 0
		.amdhsa_exception_fp_ieee_overflow 0
		.amdhsa_exception_fp_ieee_underflow 0
		.amdhsa_exception_fp_ieee_inexact 0
		.amdhsa_exception_int_div_zero 0
	.end_amdhsa_kernel
	.section	.text._ZN12_GLOBAL__N_121softmax_warp_backwardIdddLi8ELb1ELb0ELi32EEEvPT0_PKT_S5_iiiPKb,"axG",@progbits,_ZN12_GLOBAL__N_121softmax_warp_backwardIdddLi8ELb1ELb0ELi32EEEvPT0_PKT_S5_iiiPKb,comdat
.Lfunc_end221:
	.size	_ZN12_GLOBAL__N_121softmax_warp_backwardIdddLi8ELb1ELb0ELi32EEEvPT0_PKT_S5_iiiPKb, .Lfunc_end221-_ZN12_GLOBAL__N_121softmax_warp_backwardIdddLi8ELb1ELb0ELi32EEEvPT0_PKT_S5_iiiPKb
                                        ; -- End function
	.set _ZN12_GLOBAL__N_121softmax_warp_backwardIdddLi8ELb1ELb0ELi32EEEvPT0_PKT_S5_iiiPKb.num_vgpr, 43
	.set _ZN12_GLOBAL__N_121softmax_warp_backwardIdddLi8ELb1ELb0ELi32EEEvPT0_PKT_S5_iiiPKb.num_agpr, 0
	.set _ZN12_GLOBAL__N_121softmax_warp_backwardIdddLi8ELb1ELb0ELi32EEEvPT0_PKT_S5_iiiPKb.numbered_sgpr, 16
	.set _ZN12_GLOBAL__N_121softmax_warp_backwardIdddLi8ELb1ELb0ELi32EEEvPT0_PKT_S5_iiiPKb.num_named_barrier, 0
	.set _ZN12_GLOBAL__N_121softmax_warp_backwardIdddLi8ELb1ELb0ELi32EEEvPT0_PKT_S5_iiiPKb.private_seg_size, 0
	.set _ZN12_GLOBAL__N_121softmax_warp_backwardIdddLi8ELb1ELb0ELi32EEEvPT0_PKT_S5_iiiPKb.uses_vcc, 1
	.set _ZN12_GLOBAL__N_121softmax_warp_backwardIdddLi8ELb1ELb0ELi32EEEvPT0_PKT_S5_iiiPKb.uses_flat_scratch, 0
	.set _ZN12_GLOBAL__N_121softmax_warp_backwardIdddLi8ELb1ELb0ELi32EEEvPT0_PKT_S5_iiiPKb.has_dyn_sized_stack, 0
	.set _ZN12_GLOBAL__N_121softmax_warp_backwardIdddLi8ELb1ELb0ELi32EEEvPT0_PKT_S5_iiiPKb.has_recursion, 0
	.set _ZN12_GLOBAL__N_121softmax_warp_backwardIdddLi8ELb1ELb0ELi32EEEvPT0_PKT_S5_iiiPKb.has_indirect_call, 0
	.section	.AMDGPU.csdata,"",@progbits
; Kernel info:
; codeLenInByte = 4556
; TotalNumSgprs: 18
; NumVgprs: 43
; ScratchSize: 0
; MemoryBound: 1
; FloatMode: 240
; IeeeMode: 1
; LDSByteSize: 0 bytes/workgroup (compile time only)
; SGPRBlocks: 0
; VGPRBlocks: 5
; NumSGPRsForWavesPerEU: 18
; NumVGPRsForWavesPerEU: 43
; Occupancy: 16
; WaveLimiterHint : 0
; COMPUTE_PGM_RSRC2:SCRATCH_EN: 0
; COMPUTE_PGM_RSRC2:USER_SGPR: 6
; COMPUTE_PGM_RSRC2:TRAP_HANDLER: 0
; COMPUTE_PGM_RSRC2:TGID_X_EN: 1
; COMPUTE_PGM_RSRC2:TGID_Y_EN: 0
; COMPUTE_PGM_RSRC2:TGID_Z_EN: 0
; COMPUTE_PGM_RSRC2:TIDIG_COMP_CNT: 1
	.section	.text._ZN12_GLOBAL__N_121softmax_warp_backwardIdddLi9ELb1ELb0ELi64EEEvPT0_PKT_S5_iiiPKb,"axG",@progbits,_ZN12_GLOBAL__N_121softmax_warp_backwardIdddLi9ELb1ELb0ELi64EEEvPT0_PKT_S5_iiiPKb,comdat
	.globl	_ZN12_GLOBAL__N_121softmax_warp_backwardIdddLi9ELb1ELb0ELi64EEEvPT0_PKT_S5_iiiPKb ; -- Begin function _ZN12_GLOBAL__N_121softmax_warp_backwardIdddLi9ELb1ELb0ELi64EEEvPT0_PKT_S5_iiiPKb
	.p2align	8
	.type	_ZN12_GLOBAL__N_121softmax_warp_backwardIdddLi9ELb1ELb0ELi64EEEvPT0_PKT_S5_iiiPKb,@function
_ZN12_GLOBAL__N_121softmax_warp_backwardIdddLi9ELb1ELb0ELi64EEEvPT0_PKT_S5_iiiPKb: ; @_ZN12_GLOBAL__N_121softmax_warp_backwardIdddLi9ELb1ELb0ELi64EEEvPT0_PKT_S5_iiiPKb
; %bb.0:
	s_clause 0x1
	s_load_dword s0, s[4:5], 0x3c
	s_load_dwordx4 s[12:15], s[4:5], 0x18
	v_and_b32_e32 v8, 63, v0
	s_load_dwordx4 s[8:11], s[4:5], 0x0
	v_mov_b32_e32 v34, 0
	v_mov_b32_e32 v32, 0
	;; [unrolled: 1-line block ×4, first 2 shown]
	s_waitcnt lgkmcnt(0)
	s_lshr_b32 s0, s0, 16
	v_mad_u64_u32 v[1:2], null, s6, s0, v[1:2]
	s_load_dwordx2 s[0:1], s[4:5], 0x10
	v_cmp_gt_i32_e64 s6, s14, v8
	v_mad_u64_u32 v[2:3], null, v1, s13, v[8:9]
	v_sub_nc_u32_e32 v38, s12, v1
	v_cmp_lt_i32_e64 s7, 0, v38
	v_ashrrev_i32_e32 v3, 31, v2
	v_lshlrev_b64 v[14:15], 3, v[2:3]
	v_add_co_u32 v36, vcc_lo, s10, v14
	v_add_co_ci_u32_e64 v37, null, s11, v15, vcc_lo
	s_waitcnt lgkmcnt(0)
	v_add_co_u32 v16, vcc_lo, s0, v14
	v_add_co_ci_u32_e64 v17, null, s1, v15, vcc_lo
	s_and_b32 s1, s7, s6
	s_and_saveexec_b32 s0, s1
	s_cbranch_execz .LBB222_2
; %bb.1:
	global_load_dwordx2 v[32:33], v[36:37], off
	global_load_dwordx2 v[34:35], v[16:17], off
.LBB222_2:
	s_or_b32 exec_lo, exec_lo, s0
	v_or_b32_e32 v0, 64, v8
	v_cmp_gt_i32_e64 s5, s14, v0
	s_and_b32 s0, s7, s5
	s_xor_b32 s0, s0, -1
	s_and_saveexec_b32 s1, s0
	s_xor_b32 s0, exec_lo, s1
                                        ; implicit-def: $vgpr0_vgpr1
                                        ; implicit-def: $vgpr2_vgpr3
                                        ; implicit-def: $vgpr4_vgpr5
                                        ; implicit-def: $vgpr6_vgpr7
                                        ; implicit-def: $vgpr12_vgpr13
                                        ; implicit-def: $vgpr22_vgpr23
                                        ; implicit-def: $vgpr28_vgpr29
; %bb.3:
	s_mov_b32 s1, 0
                                        ; implicit-def: $vgpr0_vgpr1
                                        ; implicit-def: $vgpr2_vgpr3
                                        ; implicit-def: $vgpr4_vgpr5
                                        ; implicit-def: $vgpr6_vgpr7
                                        ; implicit-def: $vgpr12_vgpr13
                                        ; implicit-def: $vgpr22_vgpr23
	v_mov_b32_e32 v28, s1
	v_mov_b32_e32 v29, s1
; %bb.4:
	s_or_saveexec_b32 s0, s0
	v_mov_b32_e32 v30, 0
	v_mov_b32_e32 v31, 0
	s_xor_b32 exec_lo, exec_lo, s0
	s_cbranch_execz .LBB222_6
; %bb.5:
	global_load_dwordx2 v[28:29], v[36:37], off offset:512
	global_load_dwordx2 v[30:31], v[16:17], off offset:512
.LBB222_6:
	s_or_b32 exec_lo, exec_lo, s0
	v_or_b32_e32 v9, 0x80, v8
	v_cmp_gt_i32_e64 s4, s14, v9
	s_and_b32 s0, s7, s4
	s_xor_b32 s0, s0, -1
	s_and_saveexec_b32 s1, s0
	s_xor_b32 s0, exec_lo, s1
; %bb.7:
	s_mov_b32 s1, 0
	v_mov_b32_e32 v22, s1
	v_mov_b32_e32 v23, s1
; %bb.8:
	s_or_saveexec_b32 s0, s0
	v_mov_b32_e32 v26, 0
	v_mov_b32_e32 v27, 0
	s_xor_b32 exec_lo, exec_lo, s0
	s_cbranch_execz .LBB222_10
; %bb.9:
	global_load_dwordx2 v[22:23], v[36:37], off offset:1024
	global_load_dwordx2 v[26:27], v[16:17], off offset:1024
.LBB222_10:
	s_or_b32 exec_lo, exec_lo, s0
	v_or_b32_e32 v9, 0xc0, v8
	v_cmp_gt_i32_e64 s3, s14, v9
	s_and_b32 s0, s7, s3
	s_xor_b32 s0, s0, -1
	s_and_saveexec_b32 s1, s0
	s_xor_b32 s0, exec_lo, s1
; %bb.11:
	s_mov_b32 s1, 0
	;; [unrolled: 21-line block ×3, first 2 shown]
	v_mov_b32_e32 v6, s1
	v_mov_b32_e32 v7, s1
; %bb.16:
	s_or_saveexec_b32 s0, s0
	v_mov_b32_e32 v20, 0
	v_mov_b32_e32 v21, 0
	s_xor_b32 exec_lo, exec_lo, s0
	s_cbranch_execz .LBB222_18
; %bb.17:
	v_add_co_u32 v6, vcc_lo, 0x800, v36
	v_add_co_ci_u32_e64 v7, null, 0, v37, vcc_lo
	v_add_co_u32 v9, vcc_lo, 0x800, v16
	v_add_co_ci_u32_e64 v10, null, 0, v17, vcc_lo
	global_load_dwordx2 v[6:7], v[6:7], off
	global_load_dwordx2 v[20:21], v[9:10], off
.LBB222_18:
	s_or_b32 exec_lo, exec_lo, s0
	v_or_b32_e32 v9, 0x140, v8
	v_cmp_gt_i32_e64 s1, s14, v9
	s_and_b32 s0, s7, s1
	s_xor_b32 s0, s0, -1
	s_and_saveexec_b32 s10, s0
	s_xor_b32 s0, exec_lo, s10
; %bb.19:
	s_mov_b32 s10, 0
	v_mov_b32_e32 v4, s10
	v_mov_b32_e32 v5, s10
; %bb.20:
	s_or_saveexec_b32 s0, s0
	v_mov_b32_e32 v18, 0
	v_mov_b32_e32 v19, 0
	s_xor_b32 exec_lo, exec_lo, s0
	s_cbranch_execz .LBB222_22
; %bb.21:
	v_add_co_u32 v4, vcc_lo, 0x800, v36
	v_add_co_ci_u32_e64 v5, null, 0, v37, vcc_lo
	v_add_co_u32 v9, vcc_lo, 0x800, v16
	v_add_co_ci_u32_e64 v10, null, 0, v17, vcc_lo
	global_load_dwordx2 v[4:5], v[4:5], off offset:512
	global_load_dwordx2 v[18:19], v[9:10], off offset:512
.LBB222_22:
	s_or_b32 exec_lo, exec_lo, s0
	v_or_b32_e32 v9, 0x180, v8
	v_cmp_gt_i32_e64 s0, s14, v9
	s_and_b32 s10, s7, s0
	s_xor_b32 s10, s10, -1
	s_and_saveexec_b32 s11, s10
	s_xor_b32 s10, exec_lo, s11
; %bb.23:
	s_mov_b32 s11, 0
	v_mov_b32_e32 v2, s11
	v_mov_b32_e32 v3, s11
; %bb.24:
	s_or_saveexec_b32 s10, s10
	v_mov_b32_e32 v10, 0
	v_mov_b32_e32 v11, 0
	s_xor_b32 exec_lo, exec_lo, s10
	s_cbranch_execz .LBB222_26
; %bb.25:
	v_add_co_u32 v2, vcc_lo, 0x800, v36
	v_add_co_ci_u32_e64 v3, null, 0, v37, vcc_lo
	v_add_co_u32 v9, vcc_lo, 0x800, v16
	v_add_co_ci_u32_e64 v10, null, 0, v17, vcc_lo
	global_load_dwordx2 v[2:3], v[2:3], off offset:1024
	global_load_dwordx2 v[10:11], v[9:10], off offset:1024
.LBB222_26:
	s_or_b32 exec_lo, exec_lo, s10
	v_or_b32_e32 v8, 0x1c0, v8
	v_cmp_gt_i32_e32 vcc_lo, s14, v8
	s_and_b32 s7, s7, vcc_lo
	s_xor_b32 s7, s7, -1
	s_and_saveexec_b32 s10, s7
	s_xor_b32 s7, exec_lo, s10
; %bb.27:
	s_mov_b32 s10, 0
                                        ; implicit-def: $vgpr36
                                        ; implicit-def: $vgpr16
	v_mov_b32_e32 v0, s10
	v_mov_b32_e32 v1, s10
; %bb.28:
	s_or_saveexec_b32 s10, s7
	v_mov_b32_e32 v8, 0
	v_mov_b32_e32 v9, 0
	s_xor_b32 exec_lo, exec_lo, s10
	s_cbranch_execz .LBB222_30
; %bb.29:
	v_add_co_u32 v0, s7, 0x800, v36
	v_add_co_ci_u32_e64 v1, null, 0, v37, s7
	v_add_co_u32 v8, s7, 0x800, v16
	v_add_co_ci_u32_e64 v9, null, 0, v17, s7
	global_load_dwordx2 v[0:1], v[0:1], off offset:1536
	global_load_dwordx2 v[8:9], v[8:9], off offset:1536
.LBB222_30:
	s_or_b32 exec_lo, exec_lo, s10
	s_waitcnt vmcnt(1)
	v_add_f64 v[16:17], v[32:33], 0
	v_mbcnt_lo_u32_b32 v39, -1, 0
	s_mov_b32 s10, exec_lo
	v_or_b32_e32 v36, 32, v39
	v_cmp_gt_i32_e64 s7, 64, v36
	v_cndmask_b32_e64 v36, v39, v36, s7
	v_lshlrev_b32_e32 v37, 2, v36
	v_add_f64 v[16:17], v[16:17], v[28:29]
	v_add_f64 v[16:17], v[16:17], v[22:23]
	;; [unrolled: 1-line block ×7, first 2 shown]
	ds_bpermute_b32 v36, v37, v16
	ds_bpermute_b32 v37, v37, v17
	s_waitcnt lgkmcnt(0)
	v_add_f64 v[16:17], v[16:17], v[36:37]
	v_xor_b32_e32 v36, 16, v39
	v_cmp_gt_i32_e64 s7, 64, v36
	v_cndmask_b32_e64 v36, v39, v36, s7
	v_lshlrev_b32_e32 v37, 2, v36
	ds_bpermute_b32 v36, v37, v16
	ds_bpermute_b32 v37, v37, v17
	s_waitcnt lgkmcnt(0)
	v_add_f64 v[16:17], v[16:17], v[36:37]
	v_xor_b32_e32 v36, 8, v39
	v_cmp_gt_i32_e64 s7, 64, v36
	v_cndmask_b32_e64 v36, v39, v36, s7
	v_lshlrev_b32_e32 v37, 2, v36
	;; [unrolled: 8-line block ×5, first 2 shown]
	ds_bpermute_b32 v36, v37, v16
	ds_bpermute_b32 v37, v37, v17
	v_cmpx_lt_i32_e32 0, v38
	s_cbranch_execz .LBB222_40
; %bb.31:
	s_waitcnt lgkmcnt(0)
	v_add_f64 v[16:17], v[16:17], v[36:37]
	v_add_co_u32 v14, s7, s8, v14
	v_add_co_ci_u32_e64 v15, null, s9, v15, s7
	s_and_saveexec_b32 s8, s6
	s_cbranch_execnz .LBB222_41
; %bb.32:
	s_or_b32 exec_lo, exec_lo, s8
	s_and_saveexec_b32 s7, s5
	s_cbranch_execnz .LBB222_42
.LBB222_33:
	s_or_b32 exec_lo, exec_lo, s7
	s_and_saveexec_b32 s6, s4
	s_cbranch_execnz .LBB222_43
.LBB222_34:
	s_or_b32 exec_lo, exec_lo, s6
	s_and_saveexec_b32 s5, s3
	s_cbranch_execnz .LBB222_44
.LBB222_35:
	s_or_b32 exec_lo, exec_lo, s5
	s_and_saveexec_b32 s4, s2
	s_cbranch_execnz .LBB222_45
.LBB222_36:
	s_or_b32 exec_lo, exec_lo, s4
	s_and_saveexec_b32 s3, s1
	s_cbranch_execnz .LBB222_46
.LBB222_37:
	s_or_b32 exec_lo, exec_lo, s3
	s_and_saveexec_b32 s2, s0
	s_cbranch_execnz .LBB222_47
.LBB222_38:
	s_or_b32 exec_lo, exec_lo, s2
	s_and_b32 exec_lo, exec_lo, vcc_lo
	s_cbranch_execz .LBB222_40
.LBB222_39:
	s_mov_b32 s0, 0x652b82fe
	s_mov_b32 s1, 0x3ff71547
	;; [unrolled: 1-line block ×3, first 2 shown]
	s_waitcnt vmcnt(0)
	v_mul_f64 v[2:3], v[8:9], s[0:1]
	s_mov_b32 s0, 0xfefa39ef
	s_mov_b32 s1, 0xbfe62e42
	;; [unrolled: 1-line block ×3, first 2 shown]
	v_cmp_nlt_f64_e32 vcc_lo, 0x40900000, v[8:9]
	v_rndne_f64_e32 v[2:3], v[2:3]
	v_fma_f64 v[4:5], v[2:3], s[0:1], v[8:9]
	s_mov_b32 s0, 0x3b39803f
	s_mov_b32 s1, 0xbc7abc9e
	v_cvt_i32_f64_e32 v10, v[2:3]
	v_fma_f64 v[4:5], v[2:3], s[0:1], v[4:5]
	s_mov_b32 s0, 0xfca7ab0c
	s_mov_b32 s1, 0x3e928af3
	v_fma_f64 v[6:7], v[4:5], s[2:3], s[0:1]
	s_mov_b32 s0, 0x623fde64
	s_mov_b32 s1, 0x3ec71dee
	;; [unrolled: 3-line block ×9, first 2 shown]
	v_fma_f64 v[6:7], v[4:5], v[6:7], s[0:1]
	v_cmp_ngt_f64_e64 s0, 0xc090cc00, v[8:9]
	v_fma_f64 v[6:7], v[4:5], v[6:7], 1.0
	v_fma_f64 v[2:3], v[4:5], v[6:7], 1.0
	v_ldexp_f64 v[2:3], v[2:3], v10
	v_cndmask_b32_e32 v3, 0x7ff00000, v3, vcc_lo
	s_and_b32 vcc_lo, s0, vcc_lo
	v_cndmask_b32_e32 v2, 0, v2, vcc_lo
	v_cndmask_b32_e64 v3, 0, v3, s0
	v_fma_f64 v[0:1], -v[16:17], v[2:3], v[0:1]
	v_add_co_u32 v2, vcc_lo, 0x800, v14
	v_add_co_ci_u32_e64 v3, null, 0, v15, vcc_lo
	global_store_dwordx2 v[2:3], v[0:1], off offset:1536
.LBB222_40:
	s_endpgm
.LBB222_41:
	s_mov_b32 s6, 0x652b82fe
	s_mov_b32 s7, 0x3ff71547
	s_mov_b32 s10, 0x6a5dcb37
	s_waitcnt vmcnt(0)
	v_mul_f64 v[36:37], v[34:35], s[6:7]
	s_mov_b32 s6, 0xfefa39ef
	s_mov_b32 s7, 0xbfe62e42
	;; [unrolled: 1-line block ×3, first 2 shown]
	v_rndne_f64_e32 v[36:37], v[36:37]
	v_fma_f64 v[38:39], v[36:37], s[6:7], v[34:35]
	s_mov_b32 s6, 0x3b39803f
	s_mov_b32 s7, 0xbc7abc9e
	v_cvt_i32_f64_e32 v42, v[36:37]
	v_fma_f64 v[38:39], v[36:37], s[6:7], v[38:39]
	s_mov_b32 s6, 0xfca7ab0c
	s_mov_b32 s7, 0x3e928af3
	v_fma_f64 v[40:41], v[38:39], s[10:11], s[6:7]
	s_mov_b32 s6, 0x623fde64
	s_mov_b32 s7, 0x3ec71dee
	;; [unrolled: 3-line block ×9, first 2 shown]
	v_fma_f64 v[40:41], v[38:39], v[40:41], s[6:7]
	v_cmp_nlt_f64_e64 s6, 0x40900000, v[34:35]
	v_cmp_ngt_f64_e64 s7, 0xc090cc00, v[34:35]
	v_fma_f64 v[40:41], v[38:39], v[40:41], 1.0
	v_fma_f64 v[36:37], v[38:39], v[40:41], 1.0
	v_ldexp_f64 v[36:37], v[36:37], v42
	v_cndmask_b32_e64 v37, 0x7ff00000, v37, s6
	s_and_b32 s6, s7, s6
	v_cndmask_b32_e64 v34, 0, v36, s6
	v_cndmask_b32_e64 v35, 0, v37, s7
	v_fma_f64 v[32:33], -v[16:17], v[34:35], v[32:33]
	global_store_dwordx2 v[14:15], v[32:33], off
	s_or_b32 exec_lo, exec_lo, s8
	s_and_saveexec_b32 s7, s5
	s_cbranch_execz .LBB222_33
.LBB222_42:
	s_mov_b32 s8, 0x652b82fe
	s_mov_b32 s9, 0x3ff71547
	;; [unrolled: 1-line block ×3, first 2 shown]
	s_waitcnt vmcnt(0)
	v_mul_f64 v[32:33], v[30:31], s[8:9]
	s_mov_b32 s8, 0xfefa39ef
	s_mov_b32 s9, 0xbfe62e42
	s_mov_b32 s11, 0x3e5ade15
	v_cmp_nlt_f64_e64 s5, 0x40900000, v[30:31]
	v_cmp_ngt_f64_e64 s6, 0xc090cc00, v[30:31]
	v_rndne_f64_e32 v[32:33], v[32:33]
	v_fma_f64 v[34:35], v[32:33], s[8:9], v[30:31]
	s_mov_b32 s8, 0x3b39803f
	s_mov_b32 s9, 0xbc7abc9e
	v_cvt_i32_f64_e32 v38, v[32:33]
	v_fma_f64 v[34:35], v[32:33], s[8:9], v[34:35]
	s_mov_b32 s8, 0xfca7ab0c
	s_mov_b32 s9, 0x3e928af3
	v_fma_f64 v[36:37], v[34:35], s[10:11], s[8:9]
	s_mov_b32 s8, 0x623fde64
	s_mov_b32 s9, 0x3ec71dee
	;; [unrolled: 3-line block ×9, first 2 shown]
	v_fma_f64 v[36:37], v[34:35], v[36:37], s[8:9]
	v_fma_f64 v[36:37], v[34:35], v[36:37], 1.0
	v_fma_f64 v[32:33], v[34:35], v[36:37], 1.0
	v_ldexp_f64 v[32:33], v[32:33], v38
	v_cndmask_b32_e64 v33, 0x7ff00000, v33, s5
	s_and_b32 s5, s6, s5
	v_cndmask_b32_e64 v30, 0, v32, s5
	v_cndmask_b32_e64 v31, 0, v33, s6
	v_fma_f64 v[28:29], -v[16:17], v[30:31], v[28:29]
	global_store_dwordx2 v[14:15], v[28:29], off offset:512
	s_or_b32 exec_lo, exec_lo, s7
	s_and_saveexec_b32 s6, s4
	s_cbranch_execz .LBB222_34
.LBB222_43:
	s_mov_b32 s4, 0x652b82fe
	s_mov_b32 s5, 0x3ff71547
	;; [unrolled: 1-line block ×3, first 2 shown]
	s_waitcnt vmcnt(0)
	v_mul_f64 v[28:29], v[26:27], s[4:5]
	s_mov_b32 s4, 0xfefa39ef
	s_mov_b32 s5, 0xbfe62e42
	;; [unrolled: 1-line block ×3, first 2 shown]
	v_rndne_f64_e32 v[28:29], v[28:29]
	v_fma_f64 v[30:31], v[28:29], s[4:5], v[26:27]
	s_mov_b32 s4, 0x3b39803f
	s_mov_b32 s5, 0xbc7abc9e
	v_cvt_i32_f64_e32 v34, v[28:29]
	v_fma_f64 v[30:31], v[28:29], s[4:5], v[30:31]
	s_mov_b32 s4, 0xfca7ab0c
	s_mov_b32 s5, 0x3e928af3
	v_fma_f64 v[32:33], v[30:31], s[8:9], s[4:5]
	s_mov_b32 s4, 0x623fde64
	s_mov_b32 s5, 0x3ec71dee
	;; [unrolled: 3-line block ×9, first 2 shown]
	v_fma_f64 v[32:33], v[30:31], v[32:33], s[4:5]
	v_cmp_nlt_f64_e64 s4, 0x40900000, v[26:27]
	v_cmp_ngt_f64_e64 s5, 0xc090cc00, v[26:27]
	v_fma_f64 v[32:33], v[30:31], v[32:33], 1.0
	v_fma_f64 v[28:29], v[30:31], v[32:33], 1.0
	v_ldexp_f64 v[28:29], v[28:29], v34
	v_cndmask_b32_e64 v29, 0x7ff00000, v29, s4
	s_and_b32 s4, s5, s4
	v_cndmask_b32_e64 v26, 0, v28, s4
	v_cndmask_b32_e64 v27, 0, v29, s5
	v_fma_f64 v[22:23], -v[16:17], v[26:27], v[22:23]
	global_store_dwordx2 v[14:15], v[22:23], off offset:1024
	s_or_b32 exec_lo, exec_lo, s6
	s_and_saveexec_b32 s5, s3
	s_cbranch_execz .LBB222_35
.LBB222_44:
	s_mov_b32 s6, 0x652b82fe
	s_mov_b32 s7, 0x3ff71547
	;; [unrolled: 1-line block ×3, first 2 shown]
	s_waitcnt vmcnt(0)
	v_mul_f64 v[22:23], v[24:25], s[6:7]
	s_mov_b32 s6, 0xfefa39ef
	s_mov_b32 s7, 0xbfe62e42
	;; [unrolled: 1-line block ×3, first 2 shown]
	v_cmp_nlt_f64_e64 s3, 0x40900000, v[24:25]
	v_cmp_ngt_f64_e64 s4, 0xc090cc00, v[24:25]
	v_rndne_f64_e32 v[22:23], v[22:23]
	v_fma_f64 v[26:27], v[22:23], s[6:7], v[24:25]
	s_mov_b32 s6, 0x3b39803f
	s_mov_b32 s7, 0xbc7abc9e
	v_cvt_i32_f64_e32 v30, v[22:23]
	v_fma_f64 v[26:27], v[22:23], s[6:7], v[26:27]
	s_mov_b32 s6, 0xfca7ab0c
	s_mov_b32 s7, 0x3e928af3
	v_fma_f64 v[28:29], v[26:27], s[8:9], s[6:7]
	s_mov_b32 s6, 0x623fde64
	s_mov_b32 s7, 0x3ec71dee
	;; [unrolled: 3-line block ×9, first 2 shown]
	v_fma_f64 v[28:29], v[26:27], v[28:29], s[6:7]
	v_fma_f64 v[28:29], v[26:27], v[28:29], 1.0
	v_fma_f64 v[22:23], v[26:27], v[28:29], 1.0
	v_ldexp_f64 v[22:23], v[22:23], v30
	v_cndmask_b32_e64 v23, 0x7ff00000, v23, s3
	s_and_b32 s3, s4, s3
	v_cndmask_b32_e64 v22, 0, v22, s3
	v_cndmask_b32_e64 v23, 0, v23, s4
	v_fma_f64 v[12:13], -v[16:17], v[22:23], v[12:13]
	global_store_dwordx2 v[14:15], v[12:13], off offset:1536
	s_or_b32 exec_lo, exec_lo, s5
	s_and_saveexec_b32 s4, s2
	s_cbranch_execz .LBB222_36
.LBB222_45:
	s_mov_b32 s2, 0x652b82fe
	s_mov_b32 s3, 0x3ff71547
	;; [unrolled: 1-line block ×3, first 2 shown]
	s_waitcnt vmcnt(0)
	v_mul_f64 v[12:13], v[20:21], s[2:3]
	s_mov_b32 s2, 0xfefa39ef
	s_mov_b32 s3, 0xbfe62e42
	;; [unrolled: 1-line block ×3, first 2 shown]
	v_rndne_f64_e32 v[12:13], v[12:13]
	v_fma_f64 v[22:23], v[12:13], s[2:3], v[20:21]
	s_mov_b32 s2, 0x3b39803f
	s_mov_b32 s3, 0xbc7abc9e
	v_cvt_i32_f64_e32 v26, v[12:13]
	v_fma_f64 v[22:23], v[12:13], s[2:3], v[22:23]
	s_mov_b32 s2, 0xfca7ab0c
	s_mov_b32 s3, 0x3e928af3
	v_fma_f64 v[24:25], v[22:23], s[6:7], s[2:3]
	s_mov_b32 s2, 0x623fde64
	s_mov_b32 s3, 0x3ec71dee
	;; [unrolled: 3-line block ×9, first 2 shown]
	v_fma_f64 v[24:25], v[22:23], v[24:25], s[2:3]
	v_cmp_nlt_f64_e64 s2, 0x40900000, v[20:21]
	v_cmp_ngt_f64_e64 s3, 0xc090cc00, v[20:21]
	v_fma_f64 v[24:25], v[22:23], v[24:25], 1.0
	v_fma_f64 v[12:13], v[22:23], v[24:25], 1.0
	v_ldexp_f64 v[12:13], v[12:13], v26
	v_cndmask_b32_e64 v13, 0x7ff00000, v13, s2
	s_and_b32 s2, s3, s2
	v_cndmask_b32_e64 v12, 0, v12, s2
	v_cndmask_b32_e64 v13, 0, v13, s3
	v_fma_f64 v[6:7], -v[16:17], v[12:13], v[6:7]
	v_add_co_u32 v12, s2, 0x800, v14
	v_add_co_ci_u32_e64 v13, null, 0, v15, s2
	global_store_dwordx2 v[12:13], v[6:7], off
	s_or_b32 exec_lo, exec_lo, s4
	s_and_saveexec_b32 s3, s1
	s_cbranch_execz .LBB222_37
.LBB222_46:
	s_mov_b32 s4, 0x652b82fe
	s_mov_b32 s5, 0x3ff71547
	;; [unrolled: 1-line block ×3, first 2 shown]
	s_waitcnt vmcnt(0)
	v_mul_f64 v[6:7], v[18:19], s[4:5]
	s_mov_b32 s4, 0xfefa39ef
	s_mov_b32 s5, 0xbfe62e42
	;; [unrolled: 1-line block ×3, first 2 shown]
	v_cmp_nlt_f64_e64 s1, 0x40900000, v[18:19]
	v_cmp_ngt_f64_e64 s2, 0xc090cc00, v[18:19]
	v_rndne_f64_e32 v[6:7], v[6:7]
	v_fma_f64 v[12:13], v[6:7], s[4:5], v[18:19]
	s_mov_b32 s4, 0x3b39803f
	s_mov_b32 s5, 0xbc7abc9e
	v_cvt_i32_f64_e32 v22, v[6:7]
	v_fma_f64 v[12:13], v[6:7], s[4:5], v[12:13]
	s_mov_b32 s4, 0xfca7ab0c
	s_mov_b32 s5, 0x3e928af3
	v_fma_f64 v[20:21], v[12:13], s[6:7], s[4:5]
	s_mov_b32 s4, 0x623fde64
	s_mov_b32 s5, 0x3ec71dee
	;; [unrolled: 3-line block ×9, first 2 shown]
	v_fma_f64 v[20:21], v[12:13], v[20:21], s[4:5]
	v_fma_f64 v[20:21], v[12:13], v[20:21], 1.0
	v_fma_f64 v[6:7], v[12:13], v[20:21], 1.0
	v_ldexp_f64 v[6:7], v[6:7], v22
	v_cndmask_b32_e64 v7, 0x7ff00000, v7, s1
	s_and_b32 s1, s2, s1
	v_cndmask_b32_e64 v6, 0, v6, s1
	v_cndmask_b32_e64 v7, 0, v7, s2
	v_fma_f64 v[4:5], -v[16:17], v[6:7], v[4:5]
	v_add_co_u32 v6, s1, 0x800, v14
	v_add_co_ci_u32_e64 v7, null, 0, v15, s1
	global_store_dwordx2 v[6:7], v[4:5], off offset:512
	s_or_b32 exec_lo, exec_lo, s3
	s_and_saveexec_b32 s2, s0
	s_cbranch_execz .LBB222_38
.LBB222_47:
	s_mov_b32 s0, 0x652b82fe
	s_mov_b32 s1, 0x3ff71547
	;; [unrolled: 1-line block ×3, first 2 shown]
	s_waitcnt vmcnt(0)
	v_mul_f64 v[4:5], v[10:11], s[0:1]
	s_mov_b32 s0, 0xfefa39ef
	s_mov_b32 s1, 0xbfe62e42
	;; [unrolled: 1-line block ×3, first 2 shown]
	v_rndne_f64_e32 v[4:5], v[4:5]
	v_fma_f64 v[6:7], v[4:5], s[0:1], v[10:11]
	s_mov_b32 s0, 0x3b39803f
	s_mov_b32 s1, 0xbc7abc9e
	v_cvt_i32_f64_e32 v18, v[4:5]
	v_fma_f64 v[6:7], v[4:5], s[0:1], v[6:7]
	s_mov_b32 s0, 0xfca7ab0c
	s_mov_b32 s1, 0x3e928af3
	v_fma_f64 v[12:13], v[6:7], s[4:5], s[0:1]
	s_mov_b32 s0, 0x623fde64
	s_mov_b32 s1, 0x3ec71dee
	;; [unrolled: 3-line block ×9, first 2 shown]
	v_fma_f64 v[12:13], v[6:7], v[12:13], s[0:1]
	v_cmp_nlt_f64_e64 s0, 0x40900000, v[10:11]
	v_cmp_ngt_f64_e64 s1, 0xc090cc00, v[10:11]
	v_fma_f64 v[12:13], v[6:7], v[12:13], 1.0
	v_fma_f64 v[4:5], v[6:7], v[12:13], 1.0
	v_ldexp_f64 v[4:5], v[4:5], v18
	v_cndmask_b32_e64 v5, 0x7ff00000, v5, s0
	s_and_b32 s0, s1, s0
	v_cndmask_b32_e64 v4, 0, v4, s0
	v_cndmask_b32_e64 v5, 0, v5, s1
	v_fma_f64 v[2:3], -v[16:17], v[4:5], v[2:3]
	v_add_co_u32 v4, s0, 0x800, v14
	v_add_co_ci_u32_e64 v5, null, 0, v15, s0
	global_store_dwordx2 v[4:5], v[2:3], off offset:1024
	s_or_b32 exec_lo, exec_lo, s2
	s_and_b32 exec_lo, exec_lo, vcc_lo
	s_cbranch_execnz .LBB222_39
	s_branch .LBB222_40
	.section	.rodata,"a",@progbits
	.p2align	6, 0x0
	.amdhsa_kernel _ZN12_GLOBAL__N_121softmax_warp_backwardIdddLi9ELb1ELb0ELi64EEEvPT0_PKT_S5_iiiPKb
		.amdhsa_group_segment_fixed_size 0
		.amdhsa_private_segment_fixed_size 0
		.amdhsa_kernarg_size 304
		.amdhsa_user_sgpr_count 6
		.amdhsa_user_sgpr_private_segment_buffer 1
		.amdhsa_user_sgpr_dispatch_ptr 0
		.amdhsa_user_sgpr_queue_ptr 0
		.amdhsa_user_sgpr_kernarg_segment_ptr 1
		.amdhsa_user_sgpr_dispatch_id 0
		.amdhsa_user_sgpr_flat_scratch_init 0
		.amdhsa_user_sgpr_private_segment_size 0
		.amdhsa_wavefront_size32 1
		.amdhsa_uses_dynamic_stack 0
		.amdhsa_system_sgpr_private_segment_wavefront_offset 0
		.amdhsa_system_sgpr_workgroup_id_x 1
		.amdhsa_system_sgpr_workgroup_id_y 0
		.amdhsa_system_sgpr_workgroup_id_z 0
		.amdhsa_system_sgpr_workgroup_info 0
		.amdhsa_system_vgpr_workitem_id 1
		.amdhsa_next_free_vgpr 43
		.amdhsa_next_free_sgpr 16
		.amdhsa_reserve_vcc 1
		.amdhsa_reserve_flat_scratch 0
		.amdhsa_float_round_mode_32 0
		.amdhsa_float_round_mode_16_64 0
		.amdhsa_float_denorm_mode_32 3
		.amdhsa_float_denorm_mode_16_64 3
		.amdhsa_dx10_clamp 1
		.amdhsa_ieee_mode 1
		.amdhsa_fp16_overflow 0
		.amdhsa_workgroup_processor_mode 1
		.amdhsa_memory_ordered 1
		.amdhsa_forward_progress 1
		.amdhsa_shared_vgpr_count 0
		.amdhsa_exception_fp_ieee_invalid_op 0
		.amdhsa_exception_fp_denorm_src 0
		.amdhsa_exception_fp_ieee_div_zero 0
		.amdhsa_exception_fp_ieee_overflow 0
		.amdhsa_exception_fp_ieee_underflow 0
		.amdhsa_exception_fp_ieee_inexact 0
		.amdhsa_exception_int_div_zero 0
	.end_amdhsa_kernel
	.section	.text._ZN12_GLOBAL__N_121softmax_warp_backwardIdddLi9ELb1ELb0ELi64EEEvPT0_PKT_S5_iiiPKb,"axG",@progbits,_ZN12_GLOBAL__N_121softmax_warp_backwardIdddLi9ELb1ELb0ELi64EEEvPT0_PKT_S5_iiiPKb,comdat
.Lfunc_end222:
	.size	_ZN12_GLOBAL__N_121softmax_warp_backwardIdddLi9ELb1ELb0ELi64EEEvPT0_PKT_S5_iiiPKb, .Lfunc_end222-_ZN12_GLOBAL__N_121softmax_warp_backwardIdddLi9ELb1ELb0ELi64EEEvPT0_PKT_S5_iiiPKb
                                        ; -- End function
	.set _ZN12_GLOBAL__N_121softmax_warp_backwardIdddLi9ELb1ELb0ELi64EEEvPT0_PKT_S5_iiiPKb.num_vgpr, 43
	.set _ZN12_GLOBAL__N_121softmax_warp_backwardIdddLi9ELb1ELb0ELi64EEEvPT0_PKT_S5_iiiPKb.num_agpr, 0
	.set _ZN12_GLOBAL__N_121softmax_warp_backwardIdddLi9ELb1ELb0ELi64EEEvPT0_PKT_S5_iiiPKb.numbered_sgpr, 16
	.set _ZN12_GLOBAL__N_121softmax_warp_backwardIdddLi9ELb1ELb0ELi64EEEvPT0_PKT_S5_iiiPKb.num_named_barrier, 0
	.set _ZN12_GLOBAL__N_121softmax_warp_backwardIdddLi9ELb1ELb0ELi64EEEvPT0_PKT_S5_iiiPKb.private_seg_size, 0
	.set _ZN12_GLOBAL__N_121softmax_warp_backwardIdddLi9ELb1ELb0ELi64EEEvPT0_PKT_S5_iiiPKb.uses_vcc, 1
	.set _ZN12_GLOBAL__N_121softmax_warp_backwardIdddLi9ELb1ELb0ELi64EEEvPT0_PKT_S5_iiiPKb.uses_flat_scratch, 0
	.set _ZN12_GLOBAL__N_121softmax_warp_backwardIdddLi9ELb1ELb0ELi64EEEvPT0_PKT_S5_iiiPKb.has_dyn_sized_stack, 0
	.set _ZN12_GLOBAL__N_121softmax_warp_backwardIdddLi9ELb1ELb0ELi64EEEvPT0_PKT_S5_iiiPKb.has_recursion, 0
	.set _ZN12_GLOBAL__N_121softmax_warp_backwardIdddLi9ELb1ELb0ELi64EEEvPT0_PKT_S5_iiiPKb.has_indirect_call, 0
	.section	.AMDGPU.csdata,"",@progbits
; Kernel info:
; codeLenInByte = 4852
; TotalNumSgprs: 18
; NumVgprs: 43
; ScratchSize: 0
; MemoryBound: 1
; FloatMode: 240
; IeeeMode: 1
; LDSByteSize: 0 bytes/workgroup (compile time only)
; SGPRBlocks: 0
; VGPRBlocks: 5
; NumSGPRsForWavesPerEU: 18
; NumVGPRsForWavesPerEU: 43
; Occupancy: 16
; WaveLimiterHint : 0
; COMPUTE_PGM_RSRC2:SCRATCH_EN: 0
; COMPUTE_PGM_RSRC2:USER_SGPR: 6
; COMPUTE_PGM_RSRC2:TRAP_HANDLER: 0
; COMPUTE_PGM_RSRC2:TGID_X_EN: 1
; COMPUTE_PGM_RSRC2:TGID_Y_EN: 0
; COMPUTE_PGM_RSRC2:TGID_Z_EN: 0
; COMPUTE_PGM_RSRC2:TIDIG_COMP_CNT: 1
	.section	.text._ZN12_GLOBAL__N_121softmax_warp_backwardIdddLi9ELb1ELb0ELi32EEEvPT0_PKT_S5_iiiPKb,"axG",@progbits,_ZN12_GLOBAL__N_121softmax_warp_backwardIdddLi9ELb1ELb0ELi32EEEvPT0_PKT_S5_iiiPKb,comdat
	.globl	_ZN12_GLOBAL__N_121softmax_warp_backwardIdddLi9ELb1ELb0ELi32EEEvPT0_PKT_S5_iiiPKb ; -- Begin function _ZN12_GLOBAL__N_121softmax_warp_backwardIdddLi9ELb1ELb0ELi32EEEvPT0_PKT_S5_iiiPKb
	.p2align	8
	.type	_ZN12_GLOBAL__N_121softmax_warp_backwardIdddLi9ELb1ELb0ELi32EEEvPT0_PKT_S5_iiiPKb,@function
_ZN12_GLOBAL__N_121softmax_warp_backwardIdddLi9ELb1ELb0ELi32EEEvPT0_PKT_S5_iiiPKb: ; @_ZN12_GLOBAL__N_121softmax_warp_backwardIdddLi9ELb1ELb0ELi32EEEvPT0_PKT_S5_iiiPKb
; %bb.0:
	s_clause 0x1
	s_load_dword s0, s[4:5], 0x3c
	s_load_dwordx4 s[20:23], s[4:5], 0x18
	v_and_b32_e32 v14, 31, v0
	s_load_dwordx4 s[16:19], s[4:5], 0x0
	v_mov_b32_e32 v66, 0
	v_mov_b32_e32 v64, 0
	;; [unrolled: 1-line block ×4, first 2 shown]
	s_waitcnt lgkmcnt(0)
	s_lshr_b32 s0, s0, 16
	v_cmp_gt_i32_e64 s14, s22, v14
	v_mad_u64_u32 v[1:2], null, s6, s0, v[1:2]
	s_load_dwordx2 s[0:1], s[4:5], 0x10
	v_mad_u64_u32 v[2:3], null, v1, s21, v[14:15]
	v_sub_nc_u32_e32 v70, s20, v1
	v_cmp_lt_i32_e64 s15, 0, v70
	v_ashrrev_i32_e32 v3, 31, v2
	v_lshlrev_b64 v[22:23], 3, v[2:3]
	v_add_co_u32 v68, vcc_lo, s18, v22
	v_add_co_ci_u32_e64 v69, null, s19, v23, vcc_lo
	s_waitcnt lgkmcnt(0)
	v_add_co_u32 v24, vcc_lo, s0, v22
	v_add_co_ci_u32_e64 v25, null, s1, v23, vcc_lo
	s_and_b32 s1, s15, s14
	s_and_saveexec_b32 s0, s1
	s_cbranch_execz .LBB223_2
; %bb.1:
	global_load_dwordx2 v[64:65], v[68:69], off
	global_load_dwordx2 v[66:67], v[24:25], off
.LBB223_2:
	s_or_b32 exec_lo, exec_lo, s0
	v_or_b32_e32 v0, 32, v14
	v_cmp_gt_i32_e64 s13, s22, v0
	s_and_b32 s0, s15, s13
	s_xor_b32 s0, s0, -1
	s_and_saveexec_b32 s1, s0
	s_xor_b32 s0, exec_lo, s1
                                        ; implicit-def: $vgpr0_vgpr1
                                        ; implicit-def: $vgpr2_vgpr3
                                        ; implicit-def: $vgpr4_vgpr5
                                        ; implicit-def: $vgpr6_vgpr7
                                        ; implicit-def: $vgpr8_vgpr9
                                        ; implicit-def: $vgpr10_vgpr11
                                        ; implicit-def: $vgpr12_vgpr13
                                        ; implicit-def: $vgpr16_vgpr17
                                        ; implicit-def: $vgpr26_vgpr27
                                        ; implicit-def: $vgpr32_vgpr33
                                        ; implicit-def: $vgpr38_vgpr39
                                        ; implicit-def: $vgpr44_vgpr45
                                        ; implicit-def: $vgpr50_vgpr51
                                        ; implicit-def: $vgpr54_vgpr55
                                        ; implicit-def: $vgpr60_vgpr61
; %bb.3:
	s_mov_b32 s1, 0
                                        ; implicit-def: $vgpr0_vgpr1
                                        ; implicit-def: $vgpr2_vgpr3
                                        ; implicit-def: $vgpr4_vgpr5
                                        ; implicit-def: $vgpr6_vgpr7
                                        ; implicit-def: $vgpr8_vgpr9
                                        ; implicit-def: $vgpr10_vgpr11
                                        ; implicit-def: $vgpr12_vgpr13
                                        ; implicit-def: $vgpr16_vgpr17
                                        ; implicit-def: $vgpr26_vgpr27
                                        ; implicit-def: $vgpr32_vgpr33
                                        ; implicit-def: $vgpr38_vgpr39
                                        ; implicit-def: $vgpr44_vgpr45
                                        ; implicit-def: $vgpr50_vgpr51
                                        ; implicit-def: $vgpr54_vgpr55
	v_mov_b32_e32 v60, s1
	v_mov_b32_e32 v61, s1
; %bb.4:
	s_or_saveexec_b32 s0, s0
	v_mov_b32_e32 v62, 0
	v_mov_b32_e32 v63, 0
	s_xor_b32 exec_lo, exec_lo, s0
	s_cbranch_execz .LBB223_6
; %bb.5:
	global_load_dwordx2 v[60:61], v[68:69], off offset:256
	global_load_dwordx2 v[62:63], v[24:25], off offset:256
.LBB223_6:
	s_or_b32 exec_lo, exec_lo, s0
	v_or_b32_e32 v15, 64, v14
	v_cmp_gt_i32_e64 s12, s22, v15
	s_and_b32 s0, s15, s12
	s_xor_b32 s0, s0, -1
	s_and_saveexec_b32 s1, s0
	s_xor_b32 s0, exec_lo, s1
; %bb.7:
	s_mov_b32 s1, 0
	v_mov_b32_e32 v54, s1
	v_mov_b32_e32 v55, s1
; %bb.8:
	s_or_saveexec_b32 s0, s0
	v_mov_b32_e32 v58, 0
	v_mov_b32_e32 v59, 0
	s_xor_b32 exec_lo, exec_lo, s0
	s_cbranch_execz .LBB223_10
; %bb.9:
	global_load_dwordx2 v[54:55], v[68:69], off offset:512
	global_load_dwordx2 v[58:59], v[24:25], off offset:512
.LBB223_10:
	s_or_b32 exec_lo, exec_lo, s0
	v_or_b32_e32 v15, 0x60, v14
	v_cmp_gt_i32_e64 s11, s22, v15
	s_and_b32 s0, s15, s11
	s_xor_b32 s0, s0, -1
	s_and_saveexec_b32 s1, s0
	s_xor_b32 s0, exec_lo, s1
; %bb.11:
	s_mov_b32 s1, 0
	;; [unrolled: 21-line block ×7, first 2 shown]
	v_mov_b32_e32 v16, s1
	v_mov_b32_e32 v17, s1
; %bb.32:
	s_or_saveexec_b32 s0, s0
	v_mov_b32_e32 v40, 0
	v_mov_b32_e32 v41, 0
	s_xor_b32 exec_lo, exec_lo, s0
	s_cbranch_execz .LBB223_34
; %bb.33:
	v_add_co_u32 v15, vcc_lo, 0x800, v68
	v_add_co_ci_u32_e64 v16, null, 0, v69, vcc_lo
	v_add_co_u32 v18, vcc_lo, 0x800, v24
	v_add_co_ci_u32_e64 v19, null, 0, v25, vcc_lo
	global_load_dwordx2 v[16:17], v[15:16], off
	global_load_dwordx2 v[40:41], v[18:19], off
.LBB223_34:
	s_or_b32 exec_lo, exec_lo, s0
	v_or_b32_e32 v15, 0x120, v14
	v_cmp_gt_i32_e64 s5, s22, v15
	s_and_b32 s0, s15, s5
	s_xor_b32 s0, s0, -1
	s_and_saveexec_b32 s1, s0
	s_xor_b32 s0, exec_lo, s1
; %bb.35:
	s_mov_b32 s1, 0
	v_mov_b32_e32 v12, s1
	v_mov_b32_e32 v13, s1
; %bb.36:
	s_or_saveexec_b32 s0, s0
	v_mov_b32_e32 v36, 0
	v_mov_b32_e32 v37, 0
	s_xor_b32 exec_lo, exec_lo, s0
	s_cbranch_execz .LBB223_38
; %bb.37:
	v_add_co_u32 v12, vcc_lo, 0x800, v68
	v_add_co_ci_u32_e64 v13, null, 0, v69, vcc_lo
	v_add_co_u32 v18, vcc_lo, 0x800, v24
	v_add_co_ci_u32_e64 v19, null, 0, v25, vcc_lo
	global_load_dwordx2 v[12:13], v[12:13], off offset:256
	global_load_dwordx2 v[36:37], v[18:19], off offset:256
.LBB223_38:
	s_or_b32 exec_lo, exec_lo, s0
	v_or_b32_e32 v15, 0x140, v14
	v_cmp_gt_i32_e64 s4, s22, v15
	s_and_b32 s0, s15, s4
	s_xor_b32 s0, s0, -1
	s_and_saveexec_b32 s1, s0
	s_xor_b32 s0, exec_lo, s1
; %bb.39:
	s_mov_b32 s1, 0
	v_mov_b32_e32 v10, s1
	v_mov_b32_e32 v11, s1
; %bb.40:
	s_or_saveexec_b32 s0, s0
	v_mov_b32_e32 v34, 0
	v_mov_b32_e32 v35, 0
	s_xor_b32 exec_lo, exec_lo, s0
	s_cbranch_execz .LBB223_42
; %bb.41:
	v_add_co_u32 v10, vcc_lo, 0x800, v68
	v_add_co_ci_u32_e64 v11, null, 0, v69, vcc_lo
	v_add_co_u32 v18, vcc_lo, 0x800, v24
	v_add_co_ci_u32_e64 v19, null, 0, v25, vcc_lo
	global_load_dwordx2 v[10:11], v[10:11], off offset:512
	global_load_dwordx2 v[34:35], v[18:19], off offset:512
.LBB223_42:
	s_or_b32 exec_lo, exec_lo, s0
	v_or_b32_e32 v15, 0x160, v14
	v_cmp_gt_i32_e64 s3, s22, v15
	s_and_b32 s0, s15, s3
	s_xor_b32 s0, s0, -1
	s_and_saveexec_b32 s1, s0
	s_xor_b32 s0, exec_lo, s1
; %bb.43:
	s_mov_b32 s1, 0
	v_mov_b32_e32 v8, s1
	v_mov_b32_e32 v9, s1
; %bb.44:
	s_or_saveexec_b32 s0, s0
	v_mov_b32_e32 v30, 0
	v_mov_b32_e32 v31, 0
	s_xor_b32 exec_lo, exec_lo, s0
	s_cbranch_execz .LBB223_46
; %bb.45:
	v_add_co_u32 v8, vcc_lo, 0x800, v68
	v_add_co_ci_u32_e64 v9, null, 0, v69, vcc_lo
	v_add_co_u32 v18, vcc_lo, 0x800, v24
	v_add_co_ci_u32_e64 v19, null, 0, v25, vcc_lo
	global_load_dwordx2 v[8:9], v[8:9], off offset:768
	global_load_dwordx2 v[30:31], v[18:19], off offset:768
.LBB223_46:
	s_or_b32 exec_lo, exec_lo, s0
	v_or_b32_e32 v15, 0x180, v14
	v_cmp_gt_i32_e64 s2, s22, v15
	s_and_b32 s0, s15, s2
	s_xor_b32 s0, s0, -1
	s_and_saveexec_b32 s1, s0
	s_xor_b32 s0, exec_lo, s1
; %bb.47:
	s_mov_b32 s1, 0
	v_mov_b32_e32 v6, s1
	v_mov_b32_e32 v7, s1
; %bb.48:
	s_or_saveexec_b32 s0, s0
	v_mov_b32_e32 v28, 0
	v_mov_b32_e32 v29, 0
	s_xor_b32 exec_lo, exec_lo, s0
	s_cbranch_execz .LBB223_50
; %bb.49:
	v_add_co_u32 v6, vcc_lo, 0x800, v68
	v_add_co_ci_u32_e64 v7, null, 0, v69, vcc_lo
	v_add_co_u32 v18, vcc_lo, 0x800, v24
	v_add_co_ci_u32_e64 v19, null, 0, v25, vcc_lo
	global_load_dwordx2 v[6:7], v[6:7], off offset:1024
	global_load_dwordx2 v[28:29], v[18:19], off offset:1024
.LBB223_50:
	s_or_b32 exec_lo, exec_lo, s0
	v_or_b32_e32 v15, 0x1a0, v14
	v_cmp_gt_i32_e64 s1, s22, v15
	s_and_b32 s0, s15, s1
	s_xor_b32 s0, s0, -1
	s_and_saveexec_b32 s18, s0
	s_xor_b32 s0, exec_lo, s18
; %bb.51:
	s_mov_b32 s18, 0
	v_mov_b32_e32 v4, s18
	v_mov_b32_e32 v5, s18
; %bb.52:
	s_or_saveexec_b32 s0, s0
	v_mov_b32_e32 v20, 0
	v_mov_b32_e32 v21, 0
	s_xor_b32 exec_lo, exec_lo, s0
	s_cbranch_execz .LBB223_54
; %bb.53:
	v_add_co_u32 v4, vcc_lo, 0x800, v68
	v_add_co_ci_u32_e64 v5, null, 0, v69, vcc_lo
	v_add_co_u32 v18, vcc_lo, 0x800, v24
	v_add_co_ci_u32_e64 v19, null, 0, v25, vcc_lo
	global_load_dwordx2 v[4:5], v[4:5], off offset:1280
	global_load_dwordx2 v[20:21], v[18:19], off offset:1280
.LBB223_54:
	s_or_b32 exec_lo, exec_lo, s0
	v_or_b32_e32 v15, 0x1c0, v14
	v_cmp_gt_i32_e64 s0, s22, v15
	s_and_b32 s18, s15, s0
	s_xor_b32 s18, s18, -1
	s_and_saveexec_b32 s19, s18
	s_xor_b32 s18, exec_lo, s19
; %bb.55:
	s_mov_b32 s19, 0
	v_mov_b32_e32 v2, s19
	v_mov_b32_e32 v3, s19
; %bb.56:
	s_or_saveexec_b32 s18, s18
	v_mov_b32_e32 v18, 0
	v_mov_b32_e32 v19, 0
	s_xor_b32 exec_lo, exec_lo, s18
	s_cbranch_execz .LBB223_58
; %bb.57:
	v_add_co_u32 v2, vcc_lo, 0x800, v68
	v_add_co_ci_u32_e64 v3, null, 0, v69, vcc_lo
	v_add_co_u32 v18, vcc_lo, 0x800, v24
	v_add_co_ci_u32_e64 v19, null, 0, v25, vcc_lo
	global_load_dwordx2 v[2:3], v[2:3], off offset:1536
	global_load_dwordx2 v[18:19], v[18:19], off offset:1536
.LBB223_58:
	s_or_b32 exec_lo, exec_lo, s18
	v_or_b32_e32 v14, 0x1e0, v14
	v_cmp_gt_i32_e32 vcc_lo, s22, v14
	s_and_b32 s15, s15, vcc_lo
	s_xor_b32 s15, s15, -1
	s_and_saveexec_b32 s18, s15
	s_xor_b32 s15, exec_lo, s18
; %bb.59:
	s_mov_b32 s18, 0
                                        ; implicit-def: $vgpr68
                                        ; implicit-def: $vgpr24
	v_mov_b32_e32 v0, s18
	v_mov_b32_e32 v1, s18
; %bb.60:
	s_or_saveexec_b32 s18, s15
	v_mov_b32_e32 v14, 0
	v_mov_b32_e32 v15, 0
	s_xor_b32 exec_lo, exec_lo, s18
	s_cbranch_execz .LBB223_62
; %bb.61:
	v_add_co_u32 v0, s15, 0x800, v68
	v_add_co_ci_u32_e64 v1, null, 0, v69, s15
	v_add_co_u32 v14, s15, 0x800, v24
	v_add_co_ci_u32_e64 v15, null, 0, v25, s15
	global_load_dwordx2 v[0:1], v[0:1], off offset:1792
	global_load_dwordx2 v[14:15], v[14:15], off offset:1792
.LBB223_62:
	s_or_b32 exec_lo, exec_lo, s18
	s_waitcnt vmcnt(1)
	v_add_f64 v[24:25], v[64:65], 0
	v_mbcnt_lo_u32_b32 v71, -1, 0
	s_mov_b32 s18, exec_lo
	v_xor_b32_e32 v68, 16, v71
	v_cmp_gt_i32_e64 s15, 32, v68
	v_cndmask_b32_e64 v68, v71, v68, s15
	v_lshlrev_b32_e32 v69, 2, v68
	v_add_f64 v[24:25], v[24:25], v[60:61]
	v_add_f64 v[24:25], v[24:25], v[54:55]
	;; [unrolled: 1-line block ×15, first 2 shown]
	ds_bpermute_b32 v68, v69, v24
	ds_bpermute_b32 v69, v69, v25
	s_waitcnt lgkmcnt(0)
	v_add_f64 v[24:25], v[24:25], v[68:69]
	v_xor_b32_e32 v68, 8, v71
	v_cmp_gt_i32_e64 s15, 32, v68
	v_cndmask_b32_e64 v68, v71, v68, s15
	v_lshlrev_b32_e32 v69, 2, v68
	ds_bpermute_b32 v68, v69, v24
	ds_bpermute_b32 v69, v69, v25
	s_waitcnt lgkmcnt(0)
	v_add_f64 v[24:25], v[24:25], v[68:69]
	v_xor_b32_e32 v68, 4, v71
	v_cmp_gt_i32_e64 s15, 32, v68
	v_cndmask_b32_e64 v68, v71, v68, s15
	v_lshlrev_b32_e32 v69, 2, v68
	;; [unrolled: 8-line block ×4, first 2 shown]
	ds_bpermute_b32 v68, v69, v24
	ds_bpermute_b32 v69, v69, v25
	v_cmpx_lt_i32_e32 0, v70
	s_cbranch_execz .LBB223_80
; %bb.63:
	s_waitcnt lgkmcnt(0)
	v_add_f64 v[24:25], v[24:25], v[68:69]
	v_add_co_u32 v22, s15, s16, v22
	v_add_co_ci_u32_e64 v23, null, s17, v23, s15
	s_and_saveexec_b32 s16, s14
	s_cbranch_execnz .LBB223_81
; %bb.64:
	s_or_b32 exec_lo, exec_lo, s16
	s_and_saveexec_b32 s15, s13
	s_cbranch_execnz .LBB223_82
.LBB223_65:
	s_or_b32 exec_lo, exec_lo, s15
	s_and_saveexec_b32 s14, s12
	s_cbranch_execnz .LBB223_83
.LBB223_66:
	s_or_b32 exec_lo, exec_lo, s14
	s_and_saveexec_b32 s13, s11
	s_cbranch_execnz .LBB223_84
.LBB223_67:
	s_or_b32 exec_lo, exec_lo, s13
	s_and_saveexec_b32 s12, s10
	s_cbranch_execnz .LBB223_85
.LBB223_68:
	s_or_b32 exec_lo, exec_lo, s12
	s_and_saveexec_b32 s11, s9
	s_cbranch_execnz .LBB223_86
.LBB223_69:
	s_or_b32 exec_lo, exec_lo, s11
	s_and_saveexec_b32 s10, s8
	s_cbranch_execnz .LBB223_87
.LBB223_70:
	s_or_b32 exec_lo, exec_lo, s10
	s_and_saveexec_b32 s9, s7
	s_cbranch_execnz .LBB223_88
.LBB223_71:
	s_or_b32 exec_lo, exec_lo, s9
	s_and_saveexec_b32 s8, s6
	s_cbranch_execnz .LBB223_89
.LBB223_72:
	s_or_b32 exec_lo, exec_lo, s8
	s_and_saveexec_b32 s7, s5
	s_cbranch_execnz .LBB223_90
.LBB223_73:
	s_or_b32 exec_lo, exec_lo, s7
	s_and_saveexec_b32 s6, s4
	s_cbranch_execnz .LBB223_91
.LBB223_74:
	s_or_b32 exec_lo, exec_lo, s6
	s_and_saveexec_b32 s5, s3
	s_cbranch_execnz .LBB223_92
.LBB223_75:
	s_or_b32 exec_lo, exec_lo, s5
	s_and_saveexec_b32 s4, s2
	s_cbranch_execnz .LBB223_93
.LBB223_76:
	s_or_b32 exec_lo, exec_lo, s4
	s_and_saveexec_b32 s3, s1
	s_cbranch_execnz .LBB223_94
.LBB223_77:
	s_or_b32 exec_lo, exec_lo, s3
	s_and_saveexec_b32 s2, s0
	s_cbranch_execnz .LBB223_95
.LBB223_78:
	s_or_b32 exec_lo, exec_lo, s2
	s_and_b32 exec_lo, exec_lo, vcc_lo
	s_cbranch_execz .LBB223_80
.LBB223_79:
	s_mov_b32 s0, 0x652b82fe
	s_mov_b32 s1, 0x3ff71547
	s_mov_b32 s2, 0x6a5dcb37
	s_waitcnt vmcnt(0)
	v_mul_f64 v[2:3], v[14:15], s[0:1]
	s_mov_b32 s0, 0xfefa39ef
	s_mov_b32 s1, 0xbfe62e42
	s_mov_b32 s3, 0x3e5ade15
	v_cmp_nlt_f64_e32 vcc_lo, 0x40900000, v[14:15]
	v_rndne_f64_e32 v[2:3], v[2:3]
	v_fma_f64 v[4:5], v[2:3], s[0:1], v[14:15]
	s_mov_b32 s0, 0x3b39803f
	s_mov_b32 s1, 0xbc7abc9e
	v_cvt_i32_f64_e32 v8, v[2:3]
	v_fma_f64 v[4:5], v[2:3], s[0:1], v[4:5]
	s_mov_b32 s0, 0xfca7ab0c
	s_mov_b32 s1, 0x3e928af3
	v_fma_f64 v[6:7], v[4:5], s[2:3], s[0:1]
	s_mov_b32 s0, 0x623fde64
	s_mov_b32 s1, 0x3ec71dee
	;; [unrolled: 3-line block ×9, first 2 shown]
	v_fma_f64 v[6:7], v[4:5], v[6:7], s[0:1]
	v_cmp_ngt_f64_e64 s0, 0xc090cc00, v[14:15]
	v_fma_f64 v[6:7], v[4:5], v[6:7], 1.0
	v_fma_f64 v[2:3], v[4:5], v[6:7], 1.0
	v_ldexp_f64 v[2:3], v[2:3], v8
	v_cndmask_b32_e32 v3, 0x7ff00000, v3, vcc_lo
	s_and_b32 vcc_lo, s0, vcc_lo
	v_cndmask_b32_e32 v2, 0, v2, vcc_lo
	v_cndmask_b32_e64 v3, 0, v3, s0
	v_fma_f64 v[0:1], -v[24:25], v[2:3], v[0:1]
	v_add_co_u32 v2, vcc_lo, 0x800, v22
	v_add_co_ci_u32_e64 v3, null, 0, v23, vcc_lo
	global_store_dwordx2 v[2:3], v[0:1], off offset:1792
.LBB223_80:
	s_endpgm
.LBB223_81:
	s_mov_b32 s14, 0x652b82fe
	s_mov_b32 s15, 0x3ff71547
	s_mov_b32 s18, 0x6a5dcb37
	s_waitcnt vmcnt(0)
	v_mul_f64 v[68:69], v[66:67], s[14:15]
	s_mov_b32 s14, 0xfefa39ef
	s_mov_b32 s15, 0xbfe62e42
	;; [unrolled: 1-line block ×3, first 2 shown]
	v_rndne_f64_e32 v[68:69], v[68:69]
	v_fma_f64 v[70:71], v[68:69], s[14:15], v[66:67]
	s_mov_b32 s14, 0x3b39803f
	s_mov_b32 s15, 0xbc7abc9e
	v_cvt_i32_f64_e32 v74, v[68:69]
	v_fma_f64 v[70:71], v[68:69], s[14:15], v[70:71]
	s_mov_b32 s14, 0xfca7ab0c
	s_mov_b32 s15, 0x3e928af3
	v_fma_f64 v[72:73], v[70:71], s[18:19], s[14:15]
	s_mov_b32 s14, 0x623fde64
	s_mov_b32 s15, 0x3ec71dee
	;; [unrolled: 3-line block ×9, first 2 shown]
	v_fma_f64 v[72:73], v[70:71], v[72:73], s[14:15]
	v_cmp_nlt_f64_e64 s14, 0x40900000, v[66:67]
	v_cmp_ngt_f64_e64 s15, 0xc090cc00, v[66:67]
	v_fma_f64 v[72:73], v[70:71], v[72:73], 1.0
	v_fma_f64 v[68:69], v[70:71], v[72:73], 1.0
	v_ldexp_f64 v[68:69], v[68:69], v74
	v_cndmask_b32_e64 v69, 0x7ff00000, v69, s14
	s_and_b32 s14, s15, s14
	v_cndmask_b32_e64 v66, 0, v68, s14
	v_cndmask_b32_e64 v67, 0, v69, s15
	v_fma_f64 v[64:65], -v[24:25], v[66:67], v[64:65]
	global_store_dwordx2 v[22:23], v[64:65], off
	s_or_b32 exec_lo, exec_lo, s16
	s_and_saveexec_b32 s15, s13
	s_cbranch_execz .LBB223_65
.LBB223_82:
	s_mov_b32 s16, 0x652b82fe
	s_mov_b32 s17, 0x3ff71547
	;; [unrolled: 1-line block ×3, first 2 shown]
	s_waitcnt vmcnt(0)
	v_mul_f64 v[64:65], v[62:63], s[16:17]
	s_mov_b32 s16, 0xfefa39ef
	s_mov_b32 s17, 0xbfe62e42
	;; [unrolled: 1-line block ×3, first 2 shown]
	v_cmp_nlt_f64_e64 s13, 0x40900000, v[62:63]
	v_cmp_ngt_f64_e64 s14, 0xc090cc00, v[62:63]
	v_rndne_f64_e32 v[64:65], v[64:65]
	v_fma_f64 v[66:67], v[64:65], s[16:17], v[62:63]
	s_mov_b32 s16, 0x3b39803f
	s_mov_b32 s17, 0xbc7abc9e
	v_cvt_i32_f64_e32 v70, v[64:65]
	v_fma_f64 v[66:67], v[64:65], s[16:17], v[66:67]
	s_mov_b32 s16, 0xfca7ab0c
	s_mov_b32 s17, 0x3e928af3
	v_fma_f64 v[68:69], v[66:67], s[18:19], s[16:17]
	s_mov_b32 s16, 0x623fde64
	s_mov_b32 s17, 0x3ec71dee
	v_fma_f64 v[68:69], v[66:67], v[68:69], s[16:17]
	s_mov_b32 s16, 0x7c89e6b0
	s_mov_b32 s17, 0x3efa0199
	v_fma_f64 v[68:69], v[66:67], v[68:69], s[16:17]
	s_mov_b32 s16, 0x14761f6e
	s_mov_b32 s17, 0x3f2a01a0
	v_fma_f64 v[68:69], v[66:67], v[68:69], s[16:17]
	s_mov_b32 s16, 0x1852b7b0
	s_mov_b32 s17, 0x3f56c16c
	v_fma_f64 v[68:69], v[66:67], v[68:69], s[16:17]
	s_mov_b32 s16, 0x11122322
	s_mov_b32 s17, 0x3f811111
	v_fma_f64 v[68:69], v[66:67], v[68:69], s[16:17]
	s_mov_b32 s16, 0x555502a1
	s_mov_b32 s17, 0x3fa55555
	v_fma_f64 v[68:69], v[66:67], v[68:69], s[16:17]
	s_mov_b32 s16, 0x55555511
	s_mov_b32 s17, 0x3fc55555
	v_fma_f64 v[68:69], v[66:67], v[68:69], s[16:17]
	s_mov_b32 s16, 11
	s_mov_b32 s17, 0x3fe00000
	v_fma_f64 v[68:69], v[66:67], v[68:69], s[16:17]
	v_fma_f64 v[68:69], v[66:67], v[68:69], 1.0
	v_fma_f64 v[64:65], v[66:67], v[68:69], 1.0
	v_ldexp_f64 v[64:65], v[64:65], v70
	v_cndmask_b32_e64 v65, 0x7ff00000, v65, s13
	s_and_b32 s13, s14, s13
	v_cndmask_b32_e64 v62, 0, v64, s13
	v_cndmask_b32_e64 v63, 0, v65, s14
	v_fma_f64 v[60:61], -v[24:25], v[62:63], v[60:61]
	global_store_dwordx2 v[22:23], v[60:61], off offset:256
	s_or_b32 exec_lo, exec_lo, s15
	s_and_saveexec_b32 s14, s12
	s_cbranch_execz .LBB223_66
.LBB223_83:
	s_mov_b32 s12, 0x652b82fe
	s_mov_b32 s13, 0x3ff71547
	;; [unrolled: 1-line block ×3, first 2 shown]
	s_waitcnt vmcnt(0)
	v_mul_f64 v[60:61], v[58:59], s[12:13]
	s_mov_b32 s12, 0xfefa39ef
	s_mov_b32 s13, 0xbfe62e42
	;; [unrolled: 1-line block ×3, first 2 shown]
	v_rndne_f64_e32 v[60:61], v[60:61]
	v_fma_f64 v[62:63], v[60:61], s[12:13], v[58:59]
	s_mov_b32 s12, 0x3b39803f
	s_mov_b32 s13, 0xbc7abc9e
	v_cvt_i32_f64_e32 v66, v[60:61]
	v_fma_f64 v[62:63], v[60:61], s[12:13], v[62:63]
	s_mov_b32 s12, 0xfca7ab0c
	s_mov_b32 s13, 0x3e928af3
	v_fma_f64 v[64:65], v[62:63], s[16:17], s[12:13]
	s_mov_b32 s12, 0x623fde64
	s_mov_b32 s13, 0x3ec71dee
	v_fma_f64 v[64:65], v[62:63], v[64:65], s[12:13]
	s_mov_b32 s12, 0x7c89e6b0
	s_mov_b32 s13, 0x3efa0199
	v_fma_f64 v[64:65], v[62:63], v[64:65], s[12:13]
	s_mov_b32 s12, 0x14761f6e
	s_mov_b32 s13, 0x3f2a01a0
	v_fma_f64 v[64:65], v[62:63], v[64:65], s[12:13]
	s_mov_b32 s12, 0x1852b7b0
	s_mov_b32 s13, 0x3f56c16c
	v_fma_f64 v[64:65], v[62:63], v[64:65], s[12:13]
	s_mov_b32 s12, 0x11122322
	s_mov_b32 s13, 0x3f811111
	v_fma_f64 v[64:65], v[62:63], v[64:65], s[12:13]
	s_mov_b32 s12, 0x555502a1
	s_mov_b32 s13, 0x3fa55555
	v_fma_f64 v[64:65], v[62:63], v[64:65], s[12:13]
	s_mov_b32 s12, 0x55555511
	s_mov_b32 s13, 0x3fc55555
	v_fma_f64 v[64:65], v[62:63], v[64:65], s[12:13]
	s_mov_b32 s12, 11
	s_mov_b32 s13, 0x3fe00000
	v_fma_f64 v[64:65], v[62:63], v[64:65], s[12:13]
	v_cmp_nlt_f64_e64 s12, 0x40900000, v[58:59]
	v_cmp_ngt_f64_e64 s13, 0xc090cc00, v[58:59]
	v_fma_f64 v[64:65], v[62:63], v[64:65], 1.0
	v_fma_f64 v[60:61], v[62:63], v[64:65], 1.0
	v_ldexp_f64 v[60:61], v[60:61], v66
	v_cndmask_b32_e64 v61, 0x7ff00000, v61, s12
	s_and_b32 s12, s13, s12
	v_cndmask_b32_e64 v58, 0, v60, s12
	v_cndmask_b32_e64 v59, 0, v61, s13
	v_fma_f64 v[54:55], -v[24:25], v[58:59], v[54:55]
	global_store_dwordx2 v[22:23], v[54:55], off offset:512
	s_or_b32 exec_lo, exec_lo, s14
	s_and_saveexec_b32 s13, s11
	s_cbranch_execz .LBB223_67
.LBB223_84:
	s_mov_b32 s14, 0x652b82fe
	s_mov_b32 s15, 0x3ff71547
	;; [unrolled: 1-line block ×3, first 2 shown]
	s_waitcnt vmcnt(0)
	v_mul_f64 v[54:55], v[56:57], s[14:15]
	s_mov_b32 s14, 0xfefa39ef
	s_mov_b32 s15, 0xbfe62e42
	;; [unrolled: 1-line block ×3, first 2 shown]
	v_cmp_nlt_f64_e64 s11, 0x40900000, v[56:57]
	v_cmp_ngt_f64_e64 s12, 0xc090cc00, v[56:57]
	v_rndne_f64_e32 v[54:55], v[54:55]
	v_fma_f64 v[58:59], v[54:55], s[14:15], v[56:57]
	s_mov_b32 s14, 0x3b39803f
	s_mov_b32 s15, 0xbc7abc9e
	v_cvt_i32_f64_e32 v62, v[54:55]
	v_fma_f64 v[58:59], v[54:55], s[14:15], v[58:59]
	s_mov_b32 s14, 0xfca7ab0c
	s_mov_b32 s15, 0x3e928af3
	v_fma_f64 v[60:61], v[58:59], s[16:17], s[14:15]
	s_mov_b32 s14, 0x623fde64
	s_mov_b32 s15, 0x3ec71dee
	;; [unrolled: 3-line block ×9, first 2 shown]
	v_fma_f64 v[60:61], v[58:59], v[60:61], s[14:15]
	v_fma_f64 v[60:61], v[58:59], v[60:61], 1.0
	v_fma_f64 v[54:55], v[58:59], v[60:61], 1.0
	v_ldexp_f64 v[54:55], v[54:55], v62
	v_cndmask_b32_e64 v55, 0x7ff00000, v55, s11
	s_and_b32 s11, s12, s11
	v_cndmask_b32_e64 v54, 0, v54, s11
	v_cndmask_b32_e64 v55, 0, v55, s12
	v_fma_f64 v[50:51], -v[24:25], v[54:55], v[50:51]
	global_store_dwordx2 v[22:23], v[50:51], off offset:768
	s_or_b32 exec_lo, exec_lo, s13
	s_and_saveexec_b32 s12, s10
	s_cbranch_execz .LBB223_68
.LBB223_85:
	s_mov_b32 s10, 0x652b82fe
	s_mov_b32 s11, 0x3ff71547
	;; [unrolled: 1-line block ×3, first 2 shown]
	s_waitcnt vmcnt(0)
	v_mul_f64 v[50:51], v[52:53], s[10:11]
	s_mov_b32 s10, 0xfefa39ef
	s_mov_b32 s11, 0xbfe62e42
	;; [unrolled: 1-line block ×3, first 2 shown]
	v_rndne_f64_e32 v[50:51], v[50:51]
	v_fma_f64 v[54:55], v[50:51], s[10:11], v[52:53]
	s_mov_b32 s10, 0x3b39803f
	s_mov_b32 s11, 0xbc7abc9e
	v_cvt_i32_f64_e32 v58, v[50:51]
	v_fma_f64 v[54:55], v[50:51], s[10:11], v[54:55]
	s_mov_b32 s10, 0xfca7ab0c
	s_mov_b32 s11, 0x3e928af3
	v_fma_f64 v[56:57], v[54:55], s[14:15], s[10:11]
	s_mov_b32 s10, 0x623fde64
	s_mov_b32 s11, 0x3ec71dee
	;; [unrolled: 3-line block ×9, first 2 shown]
	v_fma_f64 v[56:57], v[54:55], v[56:57], s[10:11]
	v_cmp_nlt_f64_e64 s10, 0x40900000, v[52:53]
	v_cmp_ngt_f64_e64 s11, 0xc090cc00, v[52:53]
	v_fma_f64 v[56:57], v[54:55], v[56:57], 1.0
	v_fma_f64 v[50:51], v[54:55], v[56:57], 1.0
	v_ldexp_f64 v[50:51], v[50:51], v58
	v_cndmask_b32_e64 v51, 0x7ff00000, v51, s10
	s_and_b32 s10, s11, s10
	v_cndmask_b32_e64 v50, 0, v50, s10
	v_cndmask_b32_e64 v51, 0, v51, s11
	v_fma_f64 v[44:45], -v[24:25], v[50:51], v[44:45]
	global_store_dwordx2 v[22:23], v[44:45], off offset:1024
	s_or_b32 exec_lo, exec_lo, s12
	s_and_saveexec_b32 s11, s9
	s_cbranch_execz .LBB223_69
.LBB223_86:
	s_mov_b32 s12, 0x652b82fe
	s_mov_b32 s13, 0x3ff71547
	;; [unrolled: 1-line block ×3, first 2 shown]
	s_waitcnt vmcnt(0)
	v_mul_f64 v[44:45], v[48:49], s[12:13]
	s_mov_b32 s12, 0xfefa39ef
	s_mov_b32 s13, 0xbfe62e42
	;; [unrolled: 1-line block ×3, first 2 shown]
	v_cmp_nlt_f64_e64 s9, 0x40900000, v[48:49]
	v_cmp_ngt_f64_e64 s10, 0xc090cc00, v[48:49]
	v_rndne_f64_e32 v[44:45], v[44:45]
	v_fma_f64 v[50:51], v[44:45], s[12:13], v[48:49]
	s_mov_b32 s12, 0x3b39803f
	s_mov_b32 s13, 0xbc7abc9e
	v_cvt_i32_f64_e32 v54, v[44:45]
	v_fma_f64 v[50:51], v[44:45], s[12:13], v[50:51]
	s_mov_b32 s12, 0xfca7ab0c
	s_mov_b32 s13, 0x3e928af3
	v_fma_f64 v[52:53], v[50:51], s[14:15], s[12:13]
	s_mov_b32 s12, 0x623fde64
	s_mov_b32 s13, 0x3ec71dee
	;; [unrolled: 3-line block ×9, first 2 shown]
	v_fma_f64 v[52:53], v[50:51], v[52:53], s[12:13]
	v_fma_f64 v[52:53], v[50:51], v[52:53], 1.0
	v_fma_f64 v[44:45], v[50:51], v[52:53], 1.0
	v_ldexp_f64 v[44:45], v[44:45], v54
	v_cndmask_b32_e64 v45, 0x7ff00000, v45, s9
	s_and_b32 s9, s10, s9
	v_cndmask_b32_e64 v44, 0, v44, s9
	v_cndmask_b32_e64 v45, 0, v45, s10
	v_fma_f64 v[38:39], -v[24:25], v[44:45], v[38:39]
	global_store_dwordx2 v[22:23], v[38:39], off offset:1280
	s_or_b32 exec_lo, exec_lo, s11
	s_and_saveexec_b32 s10, s8
	s_cbranch_execz .LBB223_70
.LBB223_87:
	s_mov_b32 s8, 0x652b82fe
	s_mov_b32 s9, 0x3ff71547
	;; [unrolled: 1-line block ×3, first 2 shown]
	s_waitcnt vmcnt(0)
	v_mul_f64 v[38:39], v[46:47], s[8:9]
	s_mov_b32 s8, 0xfefa39ef
	s_mov_b32 s9, 0xbfe62e42
	;; [unrolled: 1-line block ×3, first 2 shown]
	v_rndne_f64_e32 v[38:39], v[38:39]
	v_fma_f64 v[44:45], v[38:39], s[8:9], v[46:47]
	s_mov_b32 s8, 0x3b39803f
	s_mov_b32 s9, 0xbc7abc9e
	v_cvt_i32_f64_e32 v50, v[38:39]
	v_fma_f64 v[44:45], v[38:39], s[8:9], v[44:45]
	s_mov_b32 s8, 0xfca7ab0c
	s_mov_b32 s9, 0x3e928af3
	v_fma_f64 v[48:49], v[44:45], s[12:13], s[8:9]
	s_mov_b32 s8, 0x623fde64
	s_mov_b32 s9, 0x3ec71dee
	;; [unrolled: 3-line block ×9, first 2 shown]
	v_fma_f64 v[48:49], v[44:45], v[48:49], s[8:9]
	v_cmp_nlt_f64_e64 s8, 0x40900000, v[46:47]
	v_cmp_ngt_f64_e64 s9, 0xc090cc00, v[46:47]
	v_fma_f64 v[48:49], v[44:45], v[48:49], 1.0
	v_fma_f64 v[38:39], v[44:45], v[48:49], 1.0
	v_ldexp_f64 v[38:39], v[38:39], v50
	v_cndmask_b32_e64 v39, 0x7ff00000, v39, s8
	s_and_b32 s8, s9, s8
	v_cndmask_b32_e64 v38, 0, v38, s8
	v_cndmask_b32_e64 v39, 0, v39, s9
	v_fma_f64 v[32:33], -v[24:25], v[38:39], v[32:33]
	global_store_dwordx2 v[22:23], v[32:33], off offset:1536
	s_or_b32 exec_lo, exec_lo, s10
	s_and_saveexec_b32 s9, s7
	s_cbranch_execz .LBB223_71
.LBB223_88:
	s_mov_b32 s10, 0x652b82fe
	s_mov_b32 s11, 0x3ff71547
	;; [unrolled: 1-line block ×3, first 2 shown]
	s_waitcnt vmcnt(0)
	v_mul_f64 v[32:33], v[42:43], s[10:11]
	s_mov_b32 s10, 0xfefa39ef
	s_mov_b32 s11, 0xbfe62e42
	;; [unrolled: 1-line block ×3, first 2 shown]
	v_cmp_nlt_f64_e64 s7, 0x40900000, v[42:43]
	v_cmp_ngt_f64_e64 s8, 0xc090cc00, v[42:43]
	v_rndne_f64_e32 v[32:33], v[32:33]
	v_fma_f64 v[38:39], v[32:33], s[10:11], v[42:43]
	s_mov_b32 s10, 0x3b39803f
	s_mov_b32 s11, 0xbc7abc9e
	v_cvt_i32_f64_e32 v46, v[32:33]
	v_fma_f64 v[38:39], v[32:33], s[10:11], v[38:39]
	s_mov_b32 s10, 0xfca7ab0c
	s_mov_b32 s11, 0x3e928af3
	v_fma_f64 v[44:45], v[38:39], s[12:13], s[10:11]
	s_mov_b32 s10, 0x623fde64
	s_mov_b32 s11, 0x3ec71dee
	;; [unrolled: 3-line block ×9, first 2 shown]
	v_fma_f64 v[44:45], v[38:39], v[44:45], s[10:11]
	v_fma_f64 v[44:45], v[38:39], v[44:45], 1.0
	v_fma_f64 v[32:33], v[38:39], v[44:45], 1.0
	v_ldexp_f64 v[32:33], v[32:33], v46
	v_cndmask_b32_e64 v33, 0x7ff00000, v33, s7
	s_and_b32 s7, s8, s7
	v_cndmask_b32_e64 v32, 0, v32, s7
	v_cndmask_b32_e64 v33, 0, v33, s8
	v_fma_f64 v[26:27], -v[24:25], v[32:33], v[26:27]
	global_store_dwordx2 v[22:23], v[26:27], off offset:1792
	s_or_b32 exec_lo, exec_lo, s9
	s_and_saveexec_b32 s8, s6
	s_cbranch_execz .LBB223_72
.LBB223_89:
	s_mov_b32 s6, 0x652b82fe
	s_mov_b32 s7, 0x3ff71547
	;; [unrolled: 1-line block ×3, first 2 shown]
	s_waitcnt vmcnt(0)
	v_mul_f64 v[26:27], v[40:41], s[6:7]
	s_mov_b32 s6, 0xfefa39ef
	s_mov_b32 s7, 0xbfe62e42
	;; [unrolled: 1-line block ×3, first 2 shown]
	v_rndne_f64_e32 v[26:27], v[26:27]
	v_fma_f64 v[32:33], v[26:27], s[6:7], v[40:41]
	s_mov_b32 s6, 0x3b39803f
	s_mov_b32 s7, 0xbc7abc9e
	v_cvt_i32_f64_e32 v42, v[26:27]
	v_fma_f64 v[32:33], v[26:27], s[6:7], v[32:33]
	s_mov_b32 s6, 0xfca7ab0c
	s_mov_b32 s7, 0x3e928af3
	v_fma_f64 v[38:39], v[32:33], s[10:11], s[6:7]
	s_mov_b32 s6, 0x623fde64
	s_mov_b32 s7, 0x3ec71dee
	;; [unrolled: 3-line block ×9, first 2 shown]
	v_fma_f64 v[38:39], v[32:33], v[38:39], s[6:7]
	v_cmp_nlt_f64_e64 s6, 0x40900000, v[40:41]
	v_cmp_ngt_f64_e64 s7, 0xc090cc00, v[40:41]
	v_fma_f64 v[38:39], v[32:33], v[38:39], 1.0
	v_fma_f64 v[26:27], v[32:33], v[38:39], 1.0
	v_ldexp_f64 v[26:27], v[26:27], v42
	v_cndmask_b32_e64 v27, 0x7ff00000, v27, s6
	s_and_b32 s6, s7, s6
	v_cndmask_b32_e64 v26, 0, v26, s6
	v_cndmask_b32_e64 v27, 0, v27, s7
	v_fma_f64 v[16:17], -v[24:25], v[26:27], v[16:17]
	v_add_co_u32 v26, s6, 0x800, v22
	v_add_co_ci_u32_e64 v27, null, 0, v23, s6
	global_store_dwordx2 v[26:27], v[16:17], off
	s_or_b32 exec_lo, exec_lo, s8
	s_and_saveexec_b32 s7, s5
	s_cbranch_execz .LBB223_73
.LBB223_90:
	s_mov_b32 s8, 0x652b82fe
	s_mov_b32 s9, 0x3ff71547
	;; [unrolled: 1-line block ×3, first 2 shown]
	s_waitcnt vmcnt(0)
	v_mul_f64 v[16:17], v[36:37], s[8:9]
	s_mov_b32 s8, 0xfefa39ef
	s_mov_b32 s9, 0xbfe62e42
	;; [unrolled: 1-line block ×3, first 2 shown]
	v_cmp_nlt_f64_e64 s5, 0x40900000, v[36:37]
	v_cmp_ngt_f64_e64 s6, 0xc090cc00, v[36:37]
	v_rndne_f64_e32 v[16:17], v[16:17]
	v_fma_f64 v[26:27], v[16:17], s[8:9], v[36:37]
	s_mov_b32 s8, 0x3b39803f
	s_mov_b32 s9, 0xbc7abc9e
	v_cvt_i32_f64_e32 v38, v[16:17]
	v_fma_f64 v[26:27], v[16:17], s[8:9], v[26:27]
	s_mov_b32 s8, 0xfca7ab0c
	s_mov_b32 s9, 0x3e928af3
	v_fma_f64 v[32:33], v[26:27], s[10:11], s[8:9]
	s_mov_b32 s8, 0x623fde64
	s_mov_b32 s9, 0x3ec71dee
	;; [unrolled: 3-line block ×9, first 2 shown]
	v_fma_f64 v[32:33], v[26:27], v[32:33], s[8:9]
	v_fma_f64 v[32:33], v[26:27], v[32:33], 1.0
	v_fma_f64 v[16:17], v[26:27], v[32:33], 1.0
	v_ldexp_f64 v[16:17], v[16:17], v38
	v_cndmask_b32_e64 v17, 0x7ff00000, v17, s5
	s_and_b32 s5, s6, s5
	v_cndmask_b32_e64 v16, 0, v16, s5
	v_cndmask_b32_e64 v17, 0, v17, s6
	v_fma_f64 v[12:13], -v[24:25], v[16:17], v[12:13]
	v_add_co_u32 v16, s5, 0x800, v22
	v_add_co_ci_u32_e64 v17, null, 0, v23, s5
	global_store_dwordx2 v[16:17], v[12:13], off offset:256
	s_or_b32 exec_lo, exec_lo, s7
	s_and_saveexec_b32 s6, s4
	s_cbranch_execz .LBB223_74
.LBB223_91:
	s_mov_b32 s4, 0x652b82fe
	s_mov_b32 s5, 0x3ff71547
	;; [unrolled: 1-line block ×3, first 2 shown]
	s_waitcnt vmcnt(0)
	v_mul_f64 v[12:13], v[34:35], s[4:5]
	s_mov_b32 s4, 0xfefa39ef
	s_mov_b32 s5, 0xbfe62e42
	;; [unrolled: 1-line block ×3, first 2 shown]
	v_rndne_f64_e32 v[12:13], v[12:13]
	v_fma_f64 v[16:17], v[12:13], s[4:5], v[34:35]
	s_mov_b32 s4, 0x3b39803f
	s_mov_b32 s5, 0xbc7abc9e
	v_cvt_i32_f64_e32 v32, v[12:13]
	v_fma_f64 v[16:17], v[12:13], s[4:5], v[16:17]
	s_mov_b32 s4, 0xfca7ab0c
	s_mov_b32 s5, 0x3e928af3
	v_fma_f64 v[26:27], v[16:17], s[8:9], s[4:5]
	s_mov_b32 s4, 0x623fde64
	s_mov_b32 s5, 0x3ec71dee
	;; [unrolled: 3-line block ×9, first 2 shown]
	v_fma_f64 v[26:27], v[16:17], v[26:27], s[4:5]
	v_cmp_nlt_f64_e64 s4, 0x40900000, v[34:35]
	v_cmp_ngt_f64_e64 s5, 0xc090cc00, v[34:35]
	v_fma_f64 v[26:27], v[16:17], v[26:27], 1.0
	v_fma_f64 v[12:13], v[16:17], v[26:27], 1.0
	v_ldexp_f64 v[12:13], v[12:13], v32
	v_cndmask_b32_e64 v13, 0x7ff00000, v13, s4
	s_and_b32 s4, s5, s4
	v_cndmask_b32_e64 v12, 0, v12, s4
	v_cndmask_b32_e64 v13, 0, v13, s5
	v_fma_f64 v[10:11], -v[24:25], v[12:13], v[10:11]
	v_add_co_u32 v12, s4, 0x800, v22
	v_add_co_ci_u32_e64 v13, null, 0, v23, s4
	global_store_dwordx2 v[12:13], v[10:11], off offset:512
	s_or_b32 exec_lo, exec_lo, s6
	s_and_saveexec_b32 s5, s3
	s_cbranch_execz .LBB223_75
.LBB223_92:
	s_mov_b32 s6, 0x652b82fe
	s_mov_b32 s7, 0x3ff71547
	;; [unrolled: 1-line block ×3, first 2 shown]
	s_waitcnt vmcnt(0)
	v_mul_f64 v[10:11], v[30:31], s[6:7]
	s_mov_b32 s6, 0xfefa39ef
	s_mov_b32 s7, 0xbfe62e42
	;; [unrolled: 1-line block ×3, first 2 shown]
	v_cmp_nlt_f64_e64 s3, 0x40900000, v[30:31]
	v_cmp_ngt_f64_e64 s4, 0xc090cc00, v[30:31]
	v_rndne_f64_e32 v[10:11], v[10:11]
	v_fma_f64 v[12:13], v[10:11], s[6:7], v[30:31]
	s_mov_b32 s6, 0x3b39803f
	s_mov_b32 s7, 0xbc7abc9e
	v_cvt_i32_f64_e32 v26, v[10:11]
	v_fma_f64 v[12:13], v[10:11], s[6:7], v[12:13]
	s_mov_b32 s6, 0xfca7ab0c
	s_mov_b32 s7, 0x3e928af3
	v_fma_f64 v[16:17], v[12:13], s[8:9], s[6:7]
	s_mov_b32 s6, 0x623fde64
	s_mov_b32 s7, 0x3ec71dee
	;; [unrolled: 3-line block ×9, first 2 shown]
	v_fma_f64 v[16:17], v[12:13], v[16:17], s[6:7]
	v_fma_f64 v[16:17], v[12:13], v[16:17], 1.0
	v_fma_f64 v[10:11], v[12:13], v[16:17], 1.0
	v_ldexp_f64 v[10:11], v[10:11], v26
	v_cndmask_b32_e64 v11, 0x7ff00000, v11, s3
	s_and_b32 s3, s4, s3
	v_cndmask_b32_e64 v10, 0, v10, s3
	v_cndmask_b32_e64 v11, 0, v11, s4
	v_fma_f64 v[8:9], -v[24:25], v[10:11], v[8:9]
	v_add_co_u32 v10, s3, 0x800, v22
	v_add_co_ci_u32_e64 v11, null, 0, v23, s3
	global_store_dwordx2 v[10:11], v[8:9], off offset:768
	s_or_b32 exec_lo, exec_lo, s5
	s_and_saveexec_b32 s4, s2
	s_cbranch_execz .LBB223_76
.LBB223_93:
	s_mov_b32 s2, 0x652b82fe
	s_mov_b32 s3, 0x3ff71547
	;; [unrolled: 1-line block ×3, first 2 shown]
	s_waitcnt vmcnt(0)
	v_mul_f64 v[8:9], v[28:29], s[2:3]
	s_mov_b32 s2, 0xfefa39ef
	s_mov_b32 s3, 0xbfe62e42
	;; [unrolled: 1-line block ×3, first 2 shown]
	v_rndne_f64_e32 v[8:9], v[8:9]
	v_fma_f64 v[10:11], v[8:9], s[2:3], v[28:29]
	s_mov_b32 s2, 0x3b39803f
	s_mov_b32 s3, 0xbc7abc9e
	v_cvt_i32_f64_e32 v16, v[8:9]
	v_fma_f64 v[10:11], v[8:9], s[2:3], v[10:11]
	s_mov_b32 s2, 0xfca7ab0c
	s_mov_b32 s3, 0x3e928af3
	v_fma_f64 v[12:13], v[10:11], s[6:7], s[2:3]
	s_mov_b32 s2, 0x623fde64
	s_mov_b32 s3, 0x3ec71dee
	;; [unrolled: 3-line block ×9, first 2 shown]
	v_fma_f64 v[12:13], v[10:11], v[12:13], s[2:3]
	v_cmp_nlt_f64_e64 s2, 0x40900000, v[28:29]
	v_cmp_ngt_f64_e64 s3, 0xc090cc00, v[28:29]
	v_fma_f64 v[12:13], v[10:11], v[12:13], 1.0
	v_fma_f64 v[8:9], v[10:11], v[12:13], 1.0
	v_ldexp_f64 v[8:9], v[8:9], v16
	v_cndmask_b32_e64 v9, 0x7ff00000, v9, s2
	s_and_b32 s2, s3, s2
	v_cndmask_b32_e64 v8, 0, v8, s2
	v_cndmask_b32_e64 v9, 0, v9, s3
	v_fma_f64 v[6:7], -v[24:25], v[8:9], v[6:7]
	v_add_co_u32 v8, s2, 0x800, v22
	v_add_co_ci_u32_e64 v9, null, 0, v23, s2
	global_store_dwordx2 v[8:9], v[6:7], off offset:1024
	s_or_b32 exec_lo, exec_lo, s4
	s_and_saveexec_b32 s3, s1
	s_cbranch_execz .LBB223_77
.LBB223_94:
	s_mov_b32 s4, 0x652b82fe
	s_mov_b32 s5, 0x3ff71547
	;; [unrolled: 1-line block ×3, first 2 shown]
	s_waitcnt vmcnt(0)
	v_mul_f64 v[6:7], v[20:21], s[4:5]
	s_mov_b32 s4, 0xfefa39ef
	s_mov_b32 s5, 0xbfe62e42
	;; [unrolled: 1-line block ×3, first 2 shown]
	v_cmp_nlt_f64_e64 s1, 0x40900000, v[20:21]
	v_cmp_ngt_f64_e64 s2, 0xc090cc00, v[20:21]
	v_rndne_f64_e32 v[6:7], v[6:7]
	v_fma_f64 v[8:9], v[6:7], s[4:5], v[20:21]
	s_mov_b32 s4, 0x3b39803f
	s_mov_b32 s5, 0xbc7abc9e
	v_cvt_i32_f64_e32 v12, v[6:7]
	v_fma_f64 v[8:9], v[6:7], s[4:5], v[8:9]
	s_mov_b32 s4, 0xfca7ab0c
	s_mov_b32 s5, 0x3e928af3
	v_fma_f64 v[10:11], v[8:9], s[6:7], s[4:5]
	s_mov_b32 s4, 0x623fde64
	s_mov_b32 s5, 0x3ec71dee
	;; [unrolled: 3-line block ×9, first 2 shown]
	v_fma_f64 v[10:11], v[8:9], v[10:11], s[4:5]
	v_fma_f64 v[10:11], v[8:9], v[10:11], 1.0
	v_fma_f64 v[6:7], v[8:9], v[10:11], 1.0
	v_ldexp_f64 v[6:7], v[6:7], v12
	v_cndmask_b32_e64 v7, 0x7ff00000, v7, s1
	s_and_b32 s1, s2, s1
	v_cndmask_b32_e64 v6, 0, v6, s1
	v_cndmask_b32_e64 v7, 0, v7, s2
	v_fma_f64 v[4:5], -v[24:25], v[6:7], v[4:5]
	v_add_co_u32 v6, s1, 0x800, v22
	v_add_co_ci_u32_e64 v7, null, 0, v23, s1
	global_store_dwordx2 v[6:7], v[4:5], off offset:1280
	s_or_b32 exec_lo, exec_lo, s3
	s_and_saveexec_b32 s2, s0
	s_cbranch_execz .LBB223_78
.LBB223_95:
	s_mov_b32 s0, 0x652b82fe
	s_mov_b32 s1, 0x3ff71547
	s_mov_b32 s4, 0x6a5dcb37
	s_waitcnt vmcnt(0)
	v_mul_f64 v[4:5], v[18:19], s[0:1]
	s_mov_b32 s0, 0xfefa39ef
	s_mov_b32 s1, 0xbfe62e42
	;; [unrolled: 1-line block ×3, first 2 shown]
	v_rndne_f64_e32 v[4:5], v[4:5]
	v_fma_f64 v[6:7], v[4:5], s[0:1], v[18:19]
	s_mov_b32 s0, 0x3b39803f
	s_mov_b32 s1, 0xbc7abc9e
	v_cvt_i32_f64_e32 v10, v[4:5]
	v_fma_f64 v[6:7], v[4:5], s[0:1], v[6:7]
	s_mov_b32 s0, 0xfca7ab0c
	s_mov_b32 s1, 0x3e928af3
	v_fma_f64 v[8:9], v[6:7], s[4:5], s[0:1]
	s_mov_b32 s0, 0x623fde64
	s_mov_b32 s1, 0x3ec71dee
	;; [unrolled: 3-line block ×9, first 2 shown]
	v_fma_f64 v[8:9], v[6:7], v[8:9], s[0:1]
	v_cmp_nlt_f64_e64 s0, 0x40900000, v[18:19]
	v_cmp_ngt_f64_e64 s1, 0xc090cc00, v[18:19]
	v_fma_f64 v[8:9], v[6:7], v[8:9], 1.0
	v_fma_f64 v[4:5], v[6:7], v[8:9], 1.0
	v_ldexp_f64 v[4:5], v[4:5], v10
	v_cndmask_b32_e64 v5, 0x7ff00000, v5, s0
	s_and_b32 s0, s1, s0
	v_cndmask_b32_e64 v4, 0, v4, s0
	v_cndmask_b32_e64 v5, 0, v5, s1
	v_fma_f64 v[2:3], -v[24:25], v[4:5], v[2:3]
	v_add_co_u32 v4, s0, 0x800, v22
	v_add_co_ci_u32_e64 v5, null, 0, v23, s0
	global_store_dwordx2 v[4:5], v[2:3], off offset:1536
	s_or_b32 exec_lo, exec_lo, s2
	s_and_b32 exec_lo, exec_lo, vcc_lo
	s_cbranch_execnz .LBB223_79
	s_branch .LBB223_80
	.section	.rodata,"a",@progbits
	.p2align	6, 0x0
	.amdhsa_kernel _ZN12_GLOBAL__N_121softmax_warp_backwardIdddLi9ELb1ELb0ELi32EEEvPT0_PKT_S5_iiiPKb
		.amdhsa_group_segment_fixed_size 0
		.amdhsa_private_segment_fixed_size 0
		.amdhsa_kernarg_size 304
		.amdhsa_user_sgpr_count 6
		.amdhsa_user_sgpr_private_segment_buffer 1
		.amdhsa_user_sgpr_dispatch_ptr 0
		.amdhsa_user_sgpr_queue_ptr 0
		.amdhsa_user_sgpr_kernarg_segment_ptr 1
		.amdhsa_user_sgpr_dispatch_id 0
		.amdhsa_user_sgpr_flat_scratch_init 0
		.amdhsa_user_sgpr_private_segment_size 0
		.amdhsa_wavefront_size32 1
		.amdhsa_uses_dynamic_stack 0
		.amdhsa_system_sgpr_private_segment_wavefront_offset 0
		.amdhsa_system_sgpr_workgroup_id_x 1
		.amdhsa_system_sgpr_workgroup_id_y 0
		.amdhsa_system_sgpr_workgroup_id_z 0
		.amdhsa_system_sgpr_workgroup_info 0
		.amdhsa_system_vgpr_workitem_id 1
		.amdhsa_next_free_vgpr 75
		.amdhsa_next_free_sgpr 24
		.amdhsa_reserve_vcc 1
		.amdhsa_reserve_flat_scratch 0
		.amdhsa_float_round_mode_32 0
		.amdhsa_float_round_mode_16_64 0
		.amdhsa_float_denorm_mode_32 3
		.amdhsa_float_denorm_mode_16_64 3
		.amdhsa_dx10_clamp 1
		.amdhsa_ieee_mode 1
		.amdhsa_fp16_overflow 0
		.amdhsa_workgroup_processor_mode 1
		.amdhsa_memory_ordered 1
		.amdhsa_forward_progress 1
		.amdhsa_shared_vgpr_count 0
		.amdhsa_exception_fp_ieee_invalid_op 0
		.amdhsa_exception_fp_denorm_src 0
		.amdhsa_exception_fp_ieee_div_zero 0
		.amdhsa_exception_fp_ieee_overflow 0
		.amdhsa_exception_fp_ieee_underflow 0
		.amdhsa_exception_fp_ieee_inexact 0
		.amdhsa_exception_int_div_zero 0
	.end_amdhsa_kernel
	.section	.text._ZN12_GLOBAL__N_121softmax_warp_backwardIdddLi9ELb1ELb0ELi32EEEvPT0_PKT_S5_iiiPKb,"axG",@progbits,_ZN12_GLOBAL__N_121softmax_warp_backwardIdddLi9ELb1ELb0ELi32EEEvPT0_PKT_S5_iiiPKb,comdat
.Lfunc_end223:
	.size	_ZN12_GLOBAL__N_121softmax_warp_backwardIdddLi9ELb1ELb0ELi32EEEvPT0_PKT_S5_iiiPKb, .Lfunc_end223-_ZN12_GLOBAL__N_121softmax_warp_backwardIdddLi9ELb1ELb0ELi32EEEvPT0_PKT_S5_iiiPKb
                                        ; -- End function
	.set _ZN12_GLOBAL__N_121softmax_warp_backwardIdddLi9ELb1ELb0ELi32EEEvPT0_PKT_S5_iiiPKb.num_vgpr, 75
	.set _ZN12_GLOBAL__N_121softmax_warp_backwardIdddLi9ELb1ELb0ELi32EEEvPT0_PKT_S5_iiiPKb.num_agpr, 0
	.set _ZN12_GLOBAL__N_121softmax_warp_backwardIdddLi9ELb1ELb0ELi32EEEvPT0_PKT_S5_iiiPKb.numbered_sgpr, 24
	.set _ZN12_GLOBAL__N_121softmax_warp_backwardIdddLi9ELb1ELb0ELi32EEEvPT0_PKT_S5_iiiPKb.num_named_barrier, 0
	.set _ZN12_GLOBAL__N_121softmax_warp_backwardIdddLi9ELb1ELb0ELi32EEEvPT0_PKT_S5_iiiPKb.private_seg_size, 0
	.set _ZN12_GLOBAL__N_121softmax_warp_backwardIdddLi9ELb1ELb0ELi32EEEvPT0_PKT_S5_iiiPKb.uses_vcc, 1
	.set _ZN12_GLOBAL__N_121softmax_warp_backwardIdddLi9ELb1ELb0ELi32EEEvPT0_PKT_S5_iiiPKb.uses_flat_scratch, 0
	.set _ZN12_GLOBAL__N_121softmax_warp_backwardIdddLi9ELb1ELb0ELi32EEEvPT0_PKT_S5_iiiPKb.has_dyn_sized_stack, 0
	.set _ZN12_GLOBAL__N_121softmax_warp_backwardIdddLi9ELb1ELb0ELi32EEEvPT0_PKT_S5_iiiPKb.has_recursion, 0
	.set _ZN12_GLOBAL__N_121softmax_warp_backwardIdddLi9ELb1ELb0ELi32EEEvPT0_PKT_S5_iiiPKb.has_indirect_call, 0
	.section	.AMDGPU.csdata,"",@progbits
; Kernel info:
; codeLenInByte = 9228
; TotalNumSgprs: 26
; NumVgprs: 75
; ScratchSize: 0
; MemoryBound: 0
; FloatMode: 240
; IeeeMode: 1
; LDSByteSize: 0 bytes/workgroup (compile time only)
; SGPRBlocks: 0
; VGPRBlocks: 9
; NumSGPRsForWavesPerEU: 26
; NumVGPRsForWavesPerEU: 75
; Occupancy: 12
; WaveLimiterHint : 0
; COMPUTE_PGM_RSRC2:SCRATCH_EN: 0
; COMPUTE_PGM_RSRC2:USER_SGPR: 6
; COMPUTE_PGM_RSRC2:TRAP_HANDLER: 0
; COMPUTE_PGM_RSRC2:TGID_X_EN: 1
; COMPUTE_PGM_RSRC2:TGID_Y_EN: 0
; COMPUTE_PGM_RSRC2:TGID_Z_EN: 0
; COMPUTE_PGM_RSRC2:TIDIG_COMP_CNT: 1
	.section	.text._ZN12_GLOBAL__N_121softmax_warp_backwardIdddLi10ELb1ELb0ELi64EEEvPT0_PKT_S5_iiiPKb,"axG",@progbits,_ZN12_GLOBAL__N_121softmax_warp_backwardIdddLi10ELb1ELb0ELi64EEEvPT0_PKT_S5_iiiPKb,comdat
	.globl	_ZN12_GLOBAL__N_121softmax_warp_backwardIdddLi10ELb1ELb0ELi64EEEvPT0_PKT_S5_iiiPKb ; -- Begin function _ZN12_GLOBAL__N_121softmax_warp_backwardIdddLi10ELb1ELb0ELi64EEEvPT0_PKT_S5_iiiPKb
	.p2align	8
	.type	_ZN12_GLOBAL__N_121softmax_warp_backwardIdddLi10ELb1ELb0ELi64EEEvPT0_PKT_S5_iiiPKb,@function
_ZN12_GLOBAL__N_121softmax_warp_backwardIdddLi10ELb1ELb0ELi64EEEvPT0_PKT_S5_iiiPKb: ; @_ZN12_GLOBAL__N_121softmax_warp_backwardIdddLi10ELb1ELb0ELi64EEEvPT0_PKT_S5_iiiPKb
; %bb.0:
	s_clause 0x1
	s_load_dword s0, s[4:5], 0x3c
	s_load_dwordx4 s[20:23], s[4:5], 0x18
	v_and_b32_e32 v17, 63, v0
	s_load_dwordx4 s[16:19], s[4:5], 0x0
	v_mov_b32_e32 v67, 0
	v_mov_b32_e32 v65, 0
	;; [unrolled: 1-line block ×4, first 2 shown]
	s_waitcnt lgkmcnt(0)
	s_lshr_b32 s0, s0, 16
	v_cmp_gt_i32_e64 s14, s22, v17
	v_mad_u64_u32 v[1:2], null, s6, s0, v[1:2]
	s_load_dwordx2 s[0:1], s[4:5], 0x10
	v_mad_u64_u32 v[2:3], null, v1, s21, v[17:18]
	v_sub_nc_u32_e32 v71, s20, v1
	v_cmp_lt_i32_e64 s15, 0, v71
	v_ashrrev_i32_e32 v3, 31, v2
	v_lshlrev_b64 v[25:26], 3, v[2:3]
	v_add_co_u32 v69, vcc_lo, s18, v25
	v_add_co_ci_u32_e64 v70, null, s19, v26, vcc_lo
	s_waitcnt lgkmcnt(0)
	v_add_co_u32 v27, vcc_lo, s0, v25
	v_add_co_ci_u32_e64 v28, null, s1, v26, vcc_lo
	s_and_b32 s1, s15, s14
	s_and_saveexec_b32 s0, s1
	s_cbranch_execz .LBB224_2
; %bb.1:
	global_load_dwordx2 v[65:66], v[69:70], off
	global_load_dwordx2 v[67:68], v[27:28], off
.LBB224_2:
	s_or_b32 exec_lo, exec_lo, s0
	v_or_b32_e32 v1, 64, v17
	v_cmp_gt_i32_e64 s13, s22, v1
	s_and_b32 s0, s15, s13
	s_xor_b32 s0, s0, -1
	s_and_saveexec_b32 s1, s0
	s_xor_b32 s0, exec_lo, s1
                                        ; implicit-def: $vgpr1_vgpr2
                                        ; implicit-def: $vgpr3_vgpr4
                                        ; implicit-def: $vgpr5_vgpr6
                                        ; implicit-def: $vgpr7_vgpr8
                                        ; implicit-def: $vgpr9_vgpr10
                                        ; implicit-def: $vgpr11_vgpr12
                                        ; implicit-def: $vgpr13_vgpr14
                                        ; implicit-def: $vgpr15_vgpr16
                                        ; implicit-def: $vgpr21_vgpr22
                                        ; implicit-def: $vgpr31_vgpr32
                                        ; implicit-def: $vgpr37_vgpr38
                                        ; implicit-def: $vgpr45_vgpr46
                                        ; implicit-def: $vgpr49_vgpr50
                                        ; implicit-def: $vgpr55_vgpr56
                                        ; implicit-def: $vgpr61_vgpr62
; %bb.3:
	s_mov_b32 s1, 0
                                        ; implicit-def: $vgpr1_vgpr2
                                        ; implicit-def: $vgpr3_vgpr4
                                        ; implicit-def: $vgpr5_vgpr6
                                        ; implicit-def: $vgpr7_vgpr8
                                        ; implicit-def: $vgpr9_vgpr10
                                        ; implicit-def: $vgpr11_vgpr12
                                        ; implicit-def: $vgpr13_vgpr14
                                        ; implicit-def: $vgpr15_vgpr16
                                        ; implicit-def: $vgpr21_vgpr22
                                        ; implicit-def: $vgpr31_vgpr32
                                        ; implicit-def: $vgpr37_vgpr38
                                        ; implicit-def: $vgpr45_vgpr46
                                        ; implicit-def: $vgpr49_vgpr50
                                        ; implicit-def: $vgpr55_vgpr56
	v_mov_b32_e32 v61, s1
	v_mov_b32_e32 v62, s1
; %bb.4:
	s_or_saveexec_b32 s0, s0
	v_mov_b32_e32 v63, 0
	v_mov_b32_e32 v64, 0
	s_xor_b32 exec_lo, exec_lo, s0
	s_cbranch_execz .LBB224_6
; %bb.5:
	global_load_dwordx2 v[61:62], v[69:70], off offset:512
	global_load_dwordx2 v[63:64], v[27:28], off offset:512
.LBB224_6:
	s_or_b32 exec_lo, exec_lo, s0
	v_or_b32_e32 v18, 0x80, v17
	v_cmp_gt_i32_e64 s12, s22, v18
	s_and_b32 s0, s15, s12
	s_xor_b32 s0, s0, -1
	s_and_saveexec_b32 s1, s0
	s_xor_b32 s0, exec_lo, s1
; %bb.7:
	s_mov_b32 s1, 0
	v_mov_b32_e32 v55, s1
	v_mov_b32_e32 v56, s1
; %bb.8:
	s_or_saveexec_b32 s0, s0
	v_mov_b32_e32 v59, 0
	v_mov_b32_e32 v60, 0
	s_xor_b32 exec_lo, exec_lo, s0
	s_cbranch_execz .LBB224_10
; %bb.9:
	global_load_dwordx2 v[55:56], v[69:70], off offset:1024
	global_load_dwordx2 v[59:60], v[27:28], off offset:1024
.LBB224_10:
	s_or_b32 exec_lo, exec_lo, s0
	v_or_b32_e32 v18, 0xc0, v17
	v_cmp_gt_i32_e64 s11, s22, v18
	s_and_b32 s0, s15, s11
	s_xor_b32 s0, s0, -1
	s_and_saveexec_b32 s1, s0
	s_xor_b32 s0, exec_lo, s1
; %bb.11:
	s_mov_b32 s1, 0
	;; [unrolled: 21-line block ×3, first 2 shown]
	v_mov_b32_e32 v45, s1
	v_mov_b32_e32 v46, s1
; %bb.16:
	s_or_saveexec_b32 s0, s0
	v_mov_b32_e32 v53, 0
	v_mov_b32_e32 v54, 0
	s_xor_b32 exec_lo, exec_lo, s0
	s_cbranch_execz .LBB224_18
; %bb.17:
	v_add_co_u32 v18, vcc_lo, 0x800, v69
	v_add_co_ci_u32_e64 v19, null, 0, v70, vcc_lo
	v_add_co_u32 v23, vcc_lo, 0x800, v27
	v_add_co_ci_u32_e64 v24, null, 0, v28, vcc_lo
	global_load_dwordx2 v[45:46], v[18:19], off
	global_load_dwordx2 v[53:54], v[23:24], off
.LBB224_18:
	s_or_b32 exec_lo, exec_lo, s0
	v_or_b32_e32 v18, 0x140, v17
	v_cmp_gt_i32_e64 s9, s22, v18
	s_and_b32 s0, s15, s9
	s_xor_b32 s0, s0, -1
	s_and_saveexec_b32 s1, s0
	s_xor_b32 s0, exec_lo, s1
; %bb.19:
	s_mov_b32 s1, 0
	v_mov_b32_e32 v37, s1
	v_mov_b32_e32 v38, s1
; %bb.20:
	s_or_saveexec_b32 s0, s0
	v_mov_b32_e32 v51, 0
	v_mov_b32_e32 v52, 0
	s_xor_b32 exec_lo, exec_lo, s0
	s_cbranch_execz .LBB224_22
; %bb.21:
	v_add_co_u32 v18, vcc_lo, 0x800, v69
	v_add_co_ci_u32_e64 v19, null, 0, v70, vcc_lo
	v_add_co_u32 v23, vcc_lo, 0x800, v27
	v_add_co_ci_u32_e64 v24, null, 0, v28, vcc_lo
	global_load_dwordx2 v[37:38], v[18:19], off offset:512
	global_load_dwordx2 v[51:52], v[23:24], off offset:512
.LBB224_22:
	s_or_b32 exec_lo, exec_lo, s0
	v_or_b32_e32 v18, 0x180, v17
	v_cmp_gt_i32_e64 s8, s22, v18
	s_and_b32 s0, s15, s8
	s_xor_b32 s0, s0, -1
	s_and_saveexec_b32 s1, s0
	s_xor_b32 s0, exec_lo, s1
; %bb.23:
	s_mov_b32 s1, 0
	v_mov_b32_e32 v31, s1
	v_mov_b32_e32 v32, s1
; %bb.24:
	s_or_saveexec_b32 s0, s0
	v_mov_b32_e32 v47, 0
	v_mov_b32_e32 v48, 0
	s_xor_b32 exec_lo, exec_lo, s0
	s_cbranch_execz .LBB224_26
; %bb.25:
	v_add_co_u32 v18, vcc_lo, 0x800, v69
	v_add_co_ci_u32_e64 v19, null, 0, v70, vcc_lo
	v_add_co_u32 v23, vcc_lo, 0x800, v27
	v_add_co_ci_u32_e64 v24, null, 0, v28, vcc_lo
	global_load_dwordx2 v[31:32], v[18:19], off offset:1024
	global_load_dwordx2 v[47:48], v[23:24], off offset:1024
.LBB224_26:
	;; [unrolled: 25-line block ×3, first 2 shown]
	s_or_b32 exec_lo, exec_lo, s0
	v_or_b32_e32 v18, 0x200, v17
	v_cmp_gt_i32_e64 s6, s22, v18
	s_and_b32 s0, s15, s6
	s_xor_b32 s0, s0, -1
	s_and_saveexec_b32 s1, s0
	s_xor_b32 s0, exec_lo, s1
; %bb.31:
	s_mov_b32 s1, 0
	v_mov_b32_e32 v15, s1
	v_mov_b32_e32 v16, s1
; %bb.32:
	s_or_saveexec_b32 s0, s0
	v_mov_b32_e32 v41, 0
	v_mov_b32_e32 v42, 0
	s_xor_b32 exec_lo, exec_lo, s0
	s_cbranch_execz .LBB224_34
; %bb.33:
	v_add_co_u32 v15, vcc_lo, 0x1000, v69
	v_add_co_ci_u32_e64 v16, null, 0, v70, vcc_lo
	v_add_co_u32 v18, vcc_lo, 0x1000, v27
	v_add_co_ci_u32_e64 v19, null, 0, v28, vcc_lo
	global_load_dwordx2 v[15:16], v[15:16], off
	global_load_dwordx2 v[41:42], v[18:19], off
.LBB224_34:
	s_or_b32 exec_lo, exec_lo, s0
	v_or_b32_e32 v18, 0x240, v17
	v_cmp_gt_i32_e64 s5, s22, v18
	s_and_b32 s0, s15, s5
	s_xor_b32 s0, s0, -1
	s_and_saveexec_b32 s1, s0
	s_xor_b32 s0, exec_lo, s1
; %bb.35:
	s_mov_b32 s1, 0
	v_mov_b32_e32 v13, s1
	v_mov_b32_e32 v14, s1
; %bb.36:
	s_or_saveexec_b32 s0, s0
	v_mov_b32_e32 v39, 0
	v_mov_b32_e32 v40, 0
	s_xor_b32 exec_lo, exec_lo, s0
	s_cbranch_execz .LBB224_38
; %bb.37:
	v_add_co_u32 v13, vcc_lo, 0x1000, v69
	v_add_co_ci_u32_e64 v14, null, 0, v70, vcc_lo
	v_add_co_u32 v18, vcc_lo, 0x1000, v27
	v_add_co_ci_u32_e64 v19, null, 0, v28, vcc_lo
	global_load_dwordx2 v[13:14], v[13:14], off offset:512
	global_load_dwordx2 v[39:40], v[18:19], off offset:512
.LBB224_38:
	s_or_b32 exec_lo, exec_lo, s0
	v_or_b32_e32 v18, 0x280, v17
	v_cmp_gt_i32_e64 s4, s22, v18
	s_and_b32 s0, s15, s4
	s_xor_b32 s0, s0, -1
	s_and_saveexec_b32 s1, s0
	s_xor_b32 s0, exec_lo, s1
; %bb.39:
	s_mov_b32 s1, 0
	v_mov_b32_e32 v11, s1
	v_mov_b32_e32 v12, s1
; %bb.40:
	s_or_saveexec_b32 s0, s0
	v_mov_b32_e32 v35, 0
	v_mov_b32_e32 v36, 0
	s_xor_b32 exec_lo, exec_lo, s0
	s_cbranch_execz .LBB224_42
; %bb.41:
	v_add_co_u32 v11, vcc_lo, 0x1000, v69
	v_add_co_ci_u32_e64 v12, null, 0, v70, vcc_lo
	v_add_co_u32 v18, vcc_lo, 0x1000, v27
	v_add_co_ci_u32_e64 v19, null, 0, v28, vcc_lo
	global_load_dwordx2 v[11:12], v[11:12], off offset:1024
	global_load_dwordx2 v[35:36], v[18:19], off offset:1024
.LBB224_42:
	s_or_b32 exec_lo, exec_lo, s0
	v_or_b32_e32 v18, 0x2c0, v17
	v_cmp_gt_i32_e64 s3, s22, v18
	s_and_b32 s0, s15, s3
	s_xor_b32 s0, s0, -1
	s_and_saveexec_b32 s1, s0
	s_xor_b32 s0, exec_lo, s1
; %bb.43:
	s_mov_b32 s1, 0
	v_mov_b32_e32 v9, s1
	v_mov_b32_e32 v10, s1
; %bb.44:
	s_or_saveexec_b32 s0, s0
	v_mov_b32_e32 v33, 0
	v_mov_b32_e32 v34, 0
	s_xor_b32 exec_lo, exec_lo, s0
	s_cbranch_execz .LBB224_46
; %bb.45:
	v_add_co_u32 v9, vcc_lo, 0x1000, v69
	v_add_co_ci_u32_e64 v10, null, 0, v70, vcc_lo
	v_add_co_u32 v18, vcc_lo, 0x1000, v27
	v_add_co_ci_u32_e64 v19, null, 0, v28, vcc_lo
	global_load_dwordx2 v[9:10], v[9:10], off offset:1536
	global_load_dwordx2 v[33:34], v[18:19], off offset:1536
.LBB224_46:
	s_or_b32 exec_lo, exec_lo, s0
	v_or_b32_e32 v18, 0x300, v17
	v_cmp_gt_i32_e64 s2, s22, v18
	s_and_b32 s0, s15, s2
	s_xor_b32 s0, s0, -1
	s_and_saveexec_b32 s1, s0
	s_xor_b32 s0, exec_lo, s1
; %bb.47:
	s_mov_b32 s1, 0
	v_mov_b32_e32 v7, s1
	v_mov_b32_e32 v8, s1
; %bb.48:
	s_or_saveexec_b32 s0, s0
	v_mov_b32_e32 v29, 0
	v_mov_b32_e32 v30, 0
	s_xor_b32 exec_lo, exec_lo, s0
	s_cbranch_execz .LBB224_50
; %bb.49:
	v_add_co_u32 v7, vcc_lo, 0x1800, v69
	v_add_co_ci_u32_e64 v8, null, 0, v70, vcc_lo
	v_add_co_u32 v18, vcc_lo, 0x1800, v27
	v_add_co_ci_u32_e64 v19, null, 0, v28, vcc_lo
	global_load_dwordx2 v[7:8], v[7:8], off
	global_load_dwordx2 v[29:30], v[18:19], off
.LBB224_50:
	s_or_b32 exec_lo, exec_lo, s0
	v_or_b32_e32 v18, 0x340, v17
	v_cmp_gt_i32_e64 s1, s22, v18
	s_and_b32 s0, s15, s1
	s_xor_b32 s0, s0, -1
	s_and_saveexec_b32 s18, s0
	s_xor_b32 s0, exec_lo, s18
; %bb.51:
	s_mov_b32 s18, 0
	v_mov_b32_e32 v5, s18
	v_mov_b32_e32 v6, s18
; %bb.52:
	s_or_saveexec_b32 s0, s0
	v_mov_b32_e32 v23, 0
	v_mov_b32_e32 v24, 0
	s_xor_b32 exec_lo, exec_lo, s0
	s_cbranch_execz .LBB224_54
; %bb.53:
	v_add_co_u32 v5, vcc_lo, 0x1800, v69
	v_add_co_ci_u32_e64 v6, null, 0, v70, vcc_lo
	v_add_co_u32 v18, vcc_lo, 0x1800, v27
	v_add_co_ci_u32_e64 v19, null, 0, v28, vcc_lo
	global_load_dwordx2 v[5:6], v[5:6], off offset:512
	global_load_dwordx2 v[23:24], v[18:19], off offset:512
.LBB224_54:
	s_or_b32 exec_lo, exec_lo, s0
	v_or_b32_e32 v17, 0x380, v17
	v_cmp_gt_i32_e64 s0, s22, v17
	s_and_b32 s18, s15, s0
	s_xor_b32 s18, s18, -1
	s_and_saveexec_b32 s19, s18
	s_xor_b32 s18, exec_lo, s19
; %bb.55:
	s_mov_b32 s19, 0
	v_mov_b32_e32 v3, s19
	v_mov_b32_e32 v4, s19
; %bb.56:
	s_or_saveexec_b32 s18, s18
	v_mov_b32_e32 v19, 0
	v_mov_b32_e32 v20, 0
	s_xor_b32 exec_lo, exec_lo, s18
	s_cbranch_execz .LBB224_58
; %bb.57:
	v_add_co_u32 v3, vcc_lo, 0x1800, v69
	v_add_co_ci_u32_e64 v4, null, 0, v70, vcc_lo
	v_add_co_u32 v17, vcc_lo, 0x1800, v27
	v_add_co_ci_u32_e64 v18, null, 0, v28, vcc_lo
	global_load_dwordx2 v[3:4], v[3:4], off offset:1024
	global_load_dwordx2 v[19:20], v[17:18], off offset:1024
.LBB224_58:
	s_or_b32 exec_lo, exec_lo, s18
	v_or_b32_e32 v0, 0x3c0, v0
	v_cmp_gt_i32_e32 vcc_lo, s22, v0
	s_and_b32 s15, s15, vcc_lo
	s_xor_b32 s15, s15, -1
	s_and_saveexec_b32 s18, s15
	s_xor_b32 s15, exec_lo, s18
; %bb.59:
	s_mov_b32 s18, 0
                                        ; implicit-def: $vgpr69
                                        ; implicit-def: $vgpr27
	v_mov_b32_e32 v1, s18
	v_mov_b32_e32 v2, s18
; %bb.60:
	s_or_saveexec_b32 s18, s15
	v_mov_b32_e32 v17, 0
	v_mov_b32_e32 v18, 0
	s_xor_b32 exec_lo, exec_lo, s18
	s_cbranch_execz .LBB224_62
; %bb.61:
	v_add_co_u32 v0, s15, 0x1800, v69
	v_add_co_ci_u32_e64 v1, null, 0, v70, s15
	v_add_co_u32 v17, s15, 0x1800, v27
	v_add_co_ci_u32_e64 v18, null, 0, v28, s15
	global_load_dwordx2 v[1:2], v[0:1], off offset:1536
	global_load_dwordx2 v[17:18], v[17:18], off offset:1536
.LBB224_62:
	s_or_b32 exec_lo, exec_lo, s18
	s_waitcnt vmcnt(1)
	v_add_f64 v[27:28], v[65:66], 0
	v_mbcnt_lo_u32_b32 v0, -1, 0
	s_mov_b32 s18, exec_lo
	v_or_b32_e32 v69, 32, v0
	v_cmp_gt_i32_e64 s15, 64, v69
	v_cndmask_b32_e64 v69, v0, v69, s15
	v_lshlrev_b32_e32 v70, 2, v69
	v_add_f64 v[27:28], v[27:28], v[61:62]
	v_add_f64 v[27:28], v[27:28], v[55:56]
	v_add_f64 v[27:28], v[27:28], v[49:50]
	v_add_f64 v[27:28], v[27:28], v[45:46]
	v_add_f64 v[27:28], v[27:28], v[37:38]
	v_add_f64 v[27:28], v[27:28], v[31:32]
	v_add_f64 v[27:28], v[27:28], v[21:22]
	v_add_f64 v[27:28], v[27:28], v[15:16]
	v_add_f64 v[27:28], v[27:28], v[13:14]
	v_add_f64 v[27:28], v[27:28], v[11:12]
	v_add_f64 v[27:28], v[27:28], v[9:10]
	v_add_f64 v[27:28], v[27:28], v[7:8]
	v_add_f64 v[27:28], v[27:28], v[5:6]
	v_add_f64 v[27:28], v[27:28], v[3:4]
	v_add_f64 v[27:28], v[27:28], v[1:2]
	ds_bpermute_b32 v69, v70, v27
	ds_bpermute_b32 v70, v70, v28
	s_waitcnt lgkmcnt(0)
	v_add_f64 v[27:28], v[27:28], v[69:70]
	v_xor_b32_e32 v69, 16, v0
	v_cmp_gt_i32_e64 s15, 64, v69
	v_cndmask_b32_e64 v69, v0, v69, s15
	v_lshlrev_b32_e32 v70, 2, v69
	ds_bpermute_b32 v69, v70, v27
	ds_bpermute_b32 v70, v70, v28
	s_waitcnt lgkmcnt(0)
	v_add_f64 v[27:28], v[27:28], v[69:70]
	v_xor_b32_e32 v69, 8, v0
	v_cmp_gt_i32_e64 s15, 64, v69
	v_cndmask_b32_e64 v69, v0, v69, s15
	v_lshlrev_b32_e32 v70, 2, v69
	;; [unrolled: 8-line block ×5, first 2 shown]
	ds_bpermute_b32 v69, v0, v27
	ds_bpermute_b32 v70, v0, v28
	v_cmpx_lt_i32_e32 0, v71
	s_cbranch_execz .LBB224_80
; %bb.63:
	s_waitcnt lgkmcnt(0)
	v_add_f64 v[27:28], v[27:28], v[69:70]
	v_add_co_u32 v25, s15, s16, v25
	v_add_co_ci_u32_e64 v26, null, s17, v26, s15
	s_and_saveexec_b32 s16, s14
	s_cbranch_execnz .LBB224_81
; %bb.64:
	s_or_b32 exec_lo, exec_lo, s16
	s_and_saveexec_b32 s15, s13
	s_cbranch_execnz .LBB224_82
.LBB224_65:
	s_or_b32 exec_lo, exec_lo, s15
	s_and_saveexec_b32 s14, s12
	s_cbranch_execnz .LBB224_83
.LBB224_66:
	s_or_b32 exec_lo, exec_lo, s14
	s_and_saveexec_b32 s13, s11
	s_cbranch_execnz .LBB224_84
.LBB224_67:
	s_or_b32 exec_lo, exec_lo, s13
	s_and_saveexec_b32 s12, s10
	s_cbranch_execnz .LBB224_85
.LBB224_68:
	s_or_b32 exec_lo, exec_lo, s12
	s_and_saveexec_b32 s11, s9
	s_cbranch_execnz .LBB224_86
.LBB224_69:
	s_or_b32 exec_lo, exec_lo, s11
	s_and_saveexec_b32 s10, s8
	s_cbranch_execnz .LBB224_87
.LBB224_70:
	s_or_b32 exec_lo, exec_lo, s10
	s_and_saveexec_b32 s9, s7
	s_cbranch_execnz .LBB224_88
.LBB224_71:
	s_or_b32 exec_lo, exec_lo, s9
	s_and_saveexec_b32 s8, s6
	s_cbranch_execnz .LBB224_89
.LBB224_72:
	s_or_b32 exec_lo, exec_lo, s8
	s_and_saveexec_b32 s7, s5
	s_cbranch_execnz .LBB224_90
.LBB224_73:
	s_or_b32 exec_lo, exec_lo, s7
	s_and_saveexec_b32 s6, s4
	s_cbranch_execnz .LBB224_91
.LBB224_74:
	s_or_b32 exec_lo, exec_lo, s6
	s_and_saveexec_b32 s5, s3
	s_cbranch_execnz .LBB224_92
.LBB224_75:
	s_or_b32 exec_lo, exec_lo, s5
	s_and_saveexec_b32 s4, s2
	s_cbranch_execnz .LBB224_93
.LBB224_76:
	s_or_b32 exec_lo, exec_lo, s4
	s_and_saveexec_b32 s3, s1
	s_cbranch_execnz .LBB224_94
.LBB224_77:
	s_or_b32 exec_lo, exec_lo, s3
	s_and_saveexec_b32 s2, s0
	s_cbranch_execnz .LBB224_95
.LBB224_78:
	s_or_b32 exec_lo, exec_lo, s2
	s_and_b32 exec_lo, exec_lo, vcc_lo
	s_cbranch_execz .LBB224_80
.LBB224_79:
	s_mov_b32 s0, 0x652b82fe
	s_mov_b32 s1, 0x3ff71547
	;; [unrolled: 1-line block ×3, first 2 shown]
	s_waitcnt vmcnt(0)
	v_mul_f64 v[3:4], v[17:18], s[0:1]
	s_mov_b32 s0, 0xfefa39ef
	s_mov_b32 s1, 0xbfe62e42
	;; [unrolled: 1-line block ×3, first 2 shown]
	v_cmp_nlt_f64_e32 vcc_lo, 0x40900000, v[17:18]
	v_rndne_f64_e32 v[3:4], v[3:4]
	v_fma_f64 v[5:6], v[3:4], s[0:1], v[17:18]
	s_mov_b32 s0, 0x3b39803f
	s_mov_b32 s1, 0xbc7abc9e
	v_cvt_i32_f64_e32 v0, v[3:4]
	v_fma_f64 v[5:6], v[3:4], s[0:1], v[5:6]
	s_mov_b32 s0, 0xfca7ab0c
	s_mov_b32 s1, 0x3e928af3
	v_fma_f64 v[7:8], v[5:6], s[2:3], s[0:1]
	s_mov_b32 s0, 0x623fde64
	s_mov_b32 s1, 0x3ec71dee
	;; [unrolled: 3-line block ×9, first 2 shown]
	v_fma_f64 v[7:8], v[5:6], v[7:8], s[0:1]
	v_cmp_ngt_f64_e64 s0, 0xc090cc00, v[17:18]
	v_fma_f64 v[7:8], v[5:6], v[7:8], 1.0
	v_fma_f64 v[3:4], v[5:6], v[7:8], 1.0
	v_ldexp_f64 v[3:4], v[3:4], v0
	v_cndmask_b32_e32 v0, 0x7ff00000, v4, vcc_lo
	s_and_b32 vcc_lo, s0, vcc_lo
	v_cndmask_b32_e32 v3, 0, v3, vcc_lo
	v_cndmask_b32_e64 v4, 0, v0, s0
	v_fma_f64 v[0:1], -v[27:28], v[3:4], v[1:2]
	v_add_co_u32 v2, vcc_lo, 0x1800, v25
	v_add_co_ci_u32_e64 v3, null, 0, v26, vcc_lo
	global_store_dwordx2 v[2:3], v[0:1], off offset:1536
.LBB224_80:
	s_endpgm
.LBB224_81:
	s_mov_b32 s14, 0x652b82fe
	s_mov_b32 s15, 0x3ff71547
	;; [unrolled: 1-line block ×3, first 2 shown]
	s_waitcnt vmcnt(0)
	v_mul_f64 v[69:70], v[67:68], s[14:15]
	s_mov_b32 s14, 0xfefa39ef
	s_mov_b32 s15, 0xbfe62e42
	;; [unrolled: 1-line block ×3, first 2 shown]
	v_rndne_f64_e32 v[69:70], v[69:70]
	v_fma_f64 v[71:72], v[69:70], s[14:15], v[67:68]
	s_mov_b32 s14, 0x3b39803f
	s_mov_b32 s15, 0xbc7abc9e
	v_cvt_i32_f64_e32 v0, v[69:70]
	v_fma_f64 v[71:72], v[69:70], s[14:15], v[71:72]
	s_mov_b32 s14, 0xfca7ab0c
	s_mov_b32 s15, 0x3e928af3
	v_fma_f64 v[73:74], v[71:72], s[18:19], s[14:15]
	s_mov_b32 s14, 0x623fde64
	s_mov_b32 s15, 0x3ec71dee
	;; [unrolled: 3-line block ×9, first 2 shown]
	v_fma_f64 v[73:74], v[71:72], v[73:74], s[14:15]
	v_cmp_nlt_f64_e64 s14, 0x40900000, v[67:68]
	v_cmp_ngt_f64_e64 s15, 0xc090cc00, v[67:68]
	v_fma_f64 v[73:74], v[71:72], v[73:74], 1.0
	v_fma_f64 v[69:70], v[71:72], v[73:74], 1.0
	v_ldexp_f64 v[69:70], v[69:70], v0
	v_cndmask_b32_e64 v0, 0x7ff00000, v70, s14
	s_and_b32 s14, s15, s14
	v_cndmask_b32_e64 v67, 0, v69, s14
	v_cndmask_b32_e64 v68, 0, v0, s15
	v_fma_f64 v[65:66], -v[27:28], v[67:68], v[65:66]
	global_store_dwordx2 v[25:26], v[65:66], off
	s_or_b32 exec_lo, exec_lo, s16
	s_and_saveexec_b32 s15, s13
	s_cbranch_execz .LBB224_65
.LBB224_82:
	s_mov_b32 s16, 0x652b82fe
	s_mov_b32 s17, 0x3ff71547
	;; [unrolled: 1-line block ×3, first 2 shown]
	s_waitcnt vmcnt(0)
	v_mul_f64 v[65:66], v[63:64], s[16:17]
	s_mov_b32 s16, 0xfefa39ef
	s_mov_b32 s17, 0xbfe62e42
	;; [unrolled: 1-line block ×3, first 2 shown]
	v_cmp_nlt_f64_e64 s13, 0x40900000, v[63:64]
	v_cmp_ngt_f64_e64 s14, 0xc090cc00, v[63:64]
	v_rndne_f64_e32 v[65:66], v[65:66]
	v_fma_f64 v[67:68], v[65:66], s[16:17], v[63:64]
	s_mov_b32 s16, 0x3b39803f
	s_mov_b32 s17, 0xbc7abc9e
	v_cvt_i32_f64_e32 v0, v[65:66]
	v_fma_f64 v[67:68], v[65:66], s[16:17], v[67:68]
	s_mov_b32 s16, 0xfca7ab0c
	s_mov_b32 s17, 0x3e928af3
	v_fma_f64 v[69:70], v[67:68], s[18:19], s[16:17]
	s_mov_b32 s16, 0x623fde64
	s_mov_b32 s17, 0x3ec71dee
	;; [unrolled: 3-line block ×9, first 2 shown]
	v_fma_f64 v[69:70], v[67:68], v[69:70], s[16:17]
	v_fma_f64 v[69:70], v[67:68], v[69:70], 1.0
	v_fma_f64 v[65:66], v[67:68], v[69:70], 1.0
	v_ldexp_f64 v[65:66], v[65:66], v0
	v_cndmask_b32_e64 v0, 0x7ff00000, v66, s13
	s_and_b32 s13, s14, s13
	v_cndmask_b32_e64 v63, 0, v65, s13
	v_cndmask_b32_e64 v64, 0, v0, s14
	v_fma_f64 v[61:62], -v[27:28], v[63:64], v[61:62]
	global_store_dwordx2 v[25:26], v[61:62], off offset:512
	s_or_b32 exec_lo, exec_lo, s15
	s_and_saveexec_b32 s14, s12
	s_cbranch_execz .LBB224_66
.LBB224_83:
	s_mov_b32 s12, 0x652b82fe
	s_mov_b32 s13, 0x3ff71547
	;; [unrolled: 1-line block ×3, first 2 shown]
	s_waitcnt vmcnt(0)
	v_mul_f64 v[61:62], v[59:60], s[12:13]
	s_mov_b32 s12, 0xfefa39ef
	s_mov_b32 s13, 0xbfe62e42
	;; [unrolled: 1-line block ×3, first 2 shown]
	v_rndne_f64_e32 v[61:62], v[61:62]
	v_fma_f64 v[63:64], v[61:62], s[12:13], v[59:60]
	s_mov_b32 s12, 0x3b39803f
	s_mov_b32 s13, 0xbc7abc9e
	v_cvt_i32_f64_e32 v0, v[61:62]
	v_fma_f64 v[63:64], v[61:62], s[12:13], v[63:64]
	s_mov_b32 s12, 0xfca7ab0c
	s_mov_b32 s13, 0x3e928af3
	v_fma_f64 v[65:66], v[63:64], s[16:17], s[12:13]
	s_mov_b32 s12, 0x623fde64
	s_mov_b32 s13, 0x3ec71dee
	;; [unrolled: 3-line block ×9, first 2 shown]
	v_fma_f64 v[65:66], v[63:64], v[65:66], s[12:13]
	v_cmp_nlt_f64_e64 s12, 0x40900000, v[59:60]
	v_cmp_ngt_f64_e64 s13, 0xc090cc00, v[59:60]
	v_fma_f64 v[65:66], v[63:64], v[65:66], 1.0
	v_fma_f64 v[61:62], v[63:64], v[65:66], 1.0
	v_ldexp_f64 v[61:62], v[61:62], v0
	v_cndmask_b32_e64 v0, 0x7ff00000, v62, s12
	s_and_b32 s12, s13, s12
	v_cndmask_b32_e64 v59, 0, v61, s12
	v_cndmask_b32_e64 v60, 0, v0, s13
	v_fma_f64 v[55:56], -v[27:28], v[59:60], v[55:56]
	global_store_dwordx2 v[25:26], v[55:56], off offset:1024
	s_or_b32 exec_lo, exec_lo, s14
	s_and_saveexec_b32 s13, s11
	s_cbranch_execz .LBB224_67
.LBB224_84:
	s_mov_b32 s14, 0x652b82fe
	s_mov_b32 s15, 0x3ff71547
	;; [unrolled: 1-line block ×3, first 2 shown]
	s_waitcnt vmcnt(0)
	v_mul_f64 v[55:56], v[57:58], s[14:15]
	s_mov_b32 s14, 0xfefa39ef
	s_mov_b32 s15, 0xbfe62e42
	;; [unrolled: 1-line block ×3, first 2 shown]
	v_cmp_nlt_f64_e64 s11, 0x40900000, v[57:58]
	v_cmp_ngt_f64_e64 s12, 0xc090cc00, v[57:58]
	v_rndne_f64_e32 v[55:56], v[55:56]
	v_fma_f64 v[59:60], v[55:56], s[14:15], v[57:58]
	s_mov_b32 s14, 0x3b39803f
	s_mov_b32 s15, 0xbc7abc9e
	v_cvt_i32_f64_e32 v0, v[55:56]
	v_fma_f64 v[59:60], v[55:56], s[14:15], v[59:60]
	s_mov_b32 s14, 0xfca7ab0c
	s_mov_b32 s15, 0x3e928af3
	v_fma_f64 v[61:62], v[59:60], s[16:17], s[14:15]
	s_mov_b32 s14, 0x623fde64
	s_mov_b32 s15, 0x3ec71dee
	;; [unrolled: 3-line block ×9, first 2 shown]
	v_fma_f64 v[61:62], v[59:60], v[61:62], s[14:15]
	v_fma_f64 v[61:62], v[59:60], v[61:62], 1.0
	v_fma_f64 v[55:56], v[59:60], v[61:62], 1.0
	v_ldexp_f64 v[55:56], v[55:56], v0
	v_cndmask_b32_e64 v0, 0x7ff00000, v56, s11
	s_and_b32 s11, s12, s11
	v_cndmask_b32_e64 v55, 0, v55, s11
	v_cndmask_b32_e64 v56, 0, v0, s12
	v_fma_f64 v[49:50], -v[27:28], v[55:56], v[49:50]
	global_store_dwordx2 v[25:26], v[49:50], off offset:1536
	s_or_b32 exec_lo, exec_lo, s13
	s_and_saveexec_b32 s12, s10
	s_cbranch_execz .LBB224_68
.LBB224_85:
	s_mov_b32 s10, 0x652b82fe
	s_mov_b32 s11, 0x3ff71547
	;; [unrolled: 1-line block ×3, first 2 shown]
	s_waitcnt vmcnt(0)
	v_mul_f64 v[49:50], v[53:54], s[10:11]
	s_mov_b32 s10, 0xfefa39ef
	s_mov_b32 s11, 0xbfe62e42
	;; [unrolled: 1-line block ×3, first 2 shown]
	v_rndne_f64_e32 v[49:50], v[49:50]
	v_fma_f64 v[55:56], v[49:50], s[10:11], v[53:54]
	s_mov_b32 s10, 0x3b39803f
	s_mov_b32 s11, 0xbc7abc9e
	v_cvt_i32_f64_e32 v0, v[49:50]
	v_fma_f64 v[55:56], v[49:50], s[10:11], v[55:56]
	s_mov_b32 s10, 0xfca7ab0c
	s_mov_b32 s11, 0x3e928af3
	v_fma_f64 v[57:58], v[55:56], s[14:15], s[10:11]
	s_mov_b32 s10, 0x623fde64
	s_mov_b32 s11, 0x3ec71dee
	;; [unrolled: 3-line block ×9, first 2 shown]
	v_fma_f64 v[57:58], v[55:56], v[57:58], s[10:11]
	v_cmp_nlt_f64_e64 s10, 0x40900000, v[53:54]
	v_cmp_ngt_f64_e64 s11, 0xc090cc00, v[53:54]
	v_fma_f64 v[57:58], v[55:56], v[57:58], 1.0
	v_fma_f64 v[49:50], v[55:56], v[57:58], 1.0
	v_ldexp_f64 v[49:50], v[49:50], v0
	v_cndmask_b32_e64 v0, 0x7ff00000, v50, s10
	s_and_b32 s10, s11, s10
	v_cndmask_b32_e64 v49, 0, v49, s10
	v_cndmask_b32_e64 v50, 0, v0, s11
	v_fma_f64 v[45:46], -v[27:28], v[49:50], v[45:46]
	v_add_co_u32 v49, s10, 0x800, v25
	v_add_co_ci_u32_e64 v50, null, 0, v26, s10
	global_store_dwordx2 v[49:50], v[45:46], off
	s_or_b32 exec_lo, exec_lo, s12
	s_and_saveexec_b32 s11, s9
	s_cbranch_execz .LBB224_69
.LBB224_86:
	s_mov_b32 s12, 0x652b82fe
	s_mov_b32 s13, 0x3ff71547
	;; [unrolled: 1-line block ×3, first 2 shown]
	s_waitcnt vmcnt(0)
	v_mul_f64 v[45:46], v[51:52], s[12:13]
	s_mov_b32 s12, 0xfefa39ef
	s_mov_b32 s13, 0xbfe62e42
	;; [unrolled: 1-line block ×3, first 2 shown]
	v_cmp_nlt_f64_e64 s9, 0x40900000, v[51:52]
	v_cmp_ngt_f64_e64 s10, 0xc090cc00, v[51:52]
	v_rndne_f64_e32 v[45:46], v[45:46]
	v_fma_f64 v[49:50], v[45:46], s[12:13], v[51:52]
	s_mov_b32 s12, 0x3b39803f
	s_mov_b32 s13, 0xbc7abc9e
	v_cvt_i32_f64_e32 v0, v[45:46]
	v_fma_f64 v[49:50], v[45:46], s[12:13], v[49:50]
	s_mov_b32 s12, 0xfca7ab0c
	s_mov_b32 s13, 0x3e928af3
	v_fma_f64 v[53:54], v[49:50], s[14:15], s[12:13]
	s_mov_b32 s12, 0x623fde64
	s_mov_b32 s13, 0x3ec71dee
	;; [unrolled: 3-line block ×9, first 2 shown]
	v_fma_f64 v[53:54], v[49:50], v[53:54], s[12:13]
	v_fma_f64 v[53:54], v[49:50], v[53:54], 1.0
	v_fma_f64 v[45:46], v[49:50], v[53:54], 1.0
	v_ldexp_f64 v[45:46], v[45:46], v0
	v_cndmask_b32_e64 v0, 0x7ff00000, v46, s9
	s_and_b32 s9, s10, s9
	v_cndmask_b32_e64 v45, 0, v45, s9
	v_cndmask_b32_e64 v46, 0, v0, s10
	v_fma_f64 v[37:38], -v[27:28], v[45:46], v[37:38]
	v_add_co_u32 v45, s9, 0x800, v25
	v_add_co_ci_u32_e64 v46, null, 0, v26, s9
	global_store_dwordx2 v[45:46], v[37:38], off offset:512
	s_or_b32 exec_lo, exec_lo, s11
	s_and_saveexec_b32 s10, s8
	s_cbranch_execz .LBB224_70
.LBB224_87:
	s_mov_b32 s8, 0x652b82fe
	s_mov_b32 s9, 0x3ff71547
	;; [unrolled: 1-line block ×3, first 2 shown]
	s_waitcnt vmcnt(0)
	v_mul_f64 v[37:38], v[47:48], s[8:9]
	s_mov_b32 s8, 0xfefa39ef
	s_mov_b32 s9, 0xbfe62e42
	;; [unrolled: 1-line block ×3, first 2 shown]
	v_rndne_f64_e32 v[37:38], v[37:38]
	v_fma_f64 v[45:46], v[37:38], s[8:9], v[47:48]
	s_mov_b32 s8, 0x3b39803f
	s_mov_b32 s9, 0xbc7abc9e
	v_cvt_i32_f64_e32 v0, v[37:38]
	v_fma_f64 v[45:46], v[37:38], s[8:9], v[45:46]
	s_mov_b32 s8, 0xfca7ab0c
	s_mov_b32 s9, 0x3e928af3
	v_fma_f64 v[49:50], v[45:46], s[12:13], s[8:9]
	s_mov_b32 s8, 0x623fde64
	s_mov_b32 s9, 0x3ec71dee
	;; [unrolled: 3-line block ×9, first 2 shown]
	v_fma_f64 v[49:50], v[45:46], v[49:50], s[8:9]
	v_cmp_nlt_f64_e64 s8, 0x40900000, v[47:48]
	v_cmp_ngt_f64_e64 s9, 0xc090cc00, v[47:48]
	v_fma_f64 v[49:50], v[45:46], v[49:50], 1.0
	v_fma_f64 v[37:38], v[45:46], v[49:50], 1.0
	v_ldexp_f64 v[37:38], v[37:38], v0
	v_cndmask_b32_e64 v0, 0x7ff00000, v38, s8
	s_and_b32 s8, s9, s8
	v_cndmask_b32_e64 v37, 0, v37, s8
	v_cndmask_b32_e64 v38, 0, v0, s9
	v_fma_f64 v[31:32], -v[27:28], v[37:38], v[31:32]
	v_add_co_u32 v37, s8, 0x800, v25
	v_add_co_ci_u32_e64 v38, null, 0, v26, s8
	global_store_dwordx2 v[37:38], v[31:32], off offset:1024
	s_or_b32 exec_lo, exec_lo, s10
	s_and_saveexec_b32 s9, s7
	s_cbranch_execz .LBB224_71
.LBB224_88:
	s_mov_b32 s10, 0x652b82fe
	s_mov_b32 s11, 0x3ff71547
	s_mov_b32 s12, 0x6a5dcb37
	s_waitcnt vmcnt(0)
	v_mul_f64 v[31:32], v[43:44], s[10:11]
	s_mov_b32 s10, 0xfefa39ef
	s_mov_b32 s11, 0xbfe62e42
	;; [unrolled: 1-line block ×3, first 2 shown]
	v_cmp_nlt_f64_e64 s7, 0x40900000, v[43:44]
	v_cmp_ngt_f64_e64 s8, 0xc090cc00, v[43:44]
	v_rndne_f64_e32 v[31:32], v[31:32]
	v_fma_f64 v[37:38], v[31:32], s[10:11], v[43:44]
	s_mov_b32 s10, 0x3b39803f
	s_mov_b32 s11, 0xbc7abc9e
	v_cvt_i32_f64_e32 v0, v[31:32]
	v_fma_f64 v[37:38], v[31:32], s[10:11], v[37:38]
	s_mov_b32 s10, 0xfca7ab0c
	s_mov_b32 s11, 0x3e928af3
	v_fma_f64 v[45:46], v[37:38], s[12:13], s[10:11]
	s_mov_b32 s10, 0x623fde64
	s_mov_b32 s11, 0x3ec71dee
	;; [unrolled: 3-line block ×9, first 2 shown]
	v_fma_f64 v[45:46], v[37:38], v[45:46], s[10:11]
	v_fma_f64 v[45:46], v[37:38], v[45:46], 1.0
	v_fma_f64 v[31:32], v[37:38], v[45:46], 1.0
	v_ldexp_f64 v[31:32], v[31:32], v0
	v_cndmask_b32_e64 v0, 0x7ff00000, v32, s7
	s_and_b32 s7, s8, s7
	v_cndmask_b32_e64 v31, 0, v31, s7
	v_cndmask_b32_e64 v32, 0, v0, s8
	v_fma_f64 v[21:22], -v[27:28], v[31:32], v[21:22]
	v_add_co_u32 v31, s7, 0x800, v25
	v_add_co_ci_u32_e64 v32, null, 0, v26, s7
	global_store_dwordx2 v[31:32], v[21:22], off offset:1536
	s_or_b32 exec_lo, exec_lo, s9
	s_and_saveexec_b32 s8, s6
	s_cbranch_execz .LBB224_72
.LBB224_89:
	s_mov_b32 s6, 0x652b82fe
	s_mov_b32 s7, 0x3ff71547
	;; [unrolled: 1-line block ×3, first 2 shown]
	s_waitcnt vmcnt(0)
	v_mul_f64 v[21:22], v[41:42], s[6:7]
	s_mov_b32 s6, 0xfefa39ef
	s_mov_b32 s7, 0xbfe62e42
	;; [unrolled: 1-line block ×3, first 2 shown]
	v_rndne_f64_e32 v[21:22], v[21:22]
	v_fma_f64 v[31:32], v[21:22], s[6:7], v[41:42]
	s_mov_b32 s6, 0x3b39803f
	s_mov_b32 s7, 0xbc7abc9e
	v_cvt_i32_f64_e32 v0, v[21:22]
	v_fma_f64 v[31:32], v[21:22], s[6:7], v[31:32]
	s_mov_b32 s6, 0xfca7ab0c
	s_mov_b32 s7, 0x3e928af3
	v_fma_f64 v[37:38], v[31:32], s[10:11], s[6:7]
	s_mov_b32 s6, 0x623fde64
	s_mov_b32 s7, 0x3ec71dee
	;; [unrolled: 3-line block ×9, first 2 shown]
	v_fma_f64 v[37:38], v[31:32], v[37:38], s[6:7]
	v_cmp_nlt_f64_e64 s6, 0x40900000, v[41:42]
	v_cmp_ngt_f64_e64 s7, 0xc090cc00, v[41:42]
	v_fma_f64 v[37:38], v[31:32], v[37:38], 1.0
	v_fma_f64 v[21:22], v[31:32], v[37:38], 1.0
	v_ldexp_f64 v[21:22], v[21:22], v0
	v_cndmask_b32_e64 v0, 0x7ff00000, v22, s6
	s_and_b32 s6, s7, s6
	v_cndmask_b32_e64 v21, 0, v21, s6
	v_cndmask_b32_e64 v22, 0, v0, s7
	v_fma_f64 v[15:16], -v[27:28], v[21:22], v[15:16]
	v_add_co_u32 v21, s6, 0x1000, v25
	v_add_co_ci_u32_e64 v22, null, 0, v26, s6
	global_store_dwordx2 v[21:22], v[15:16], off
	s_or_b32 exec_lo, exec_lo, s8
	s_and_saveexec_b32 s7, s5
	s_cbranch_execz .LBB224_73
.LBB224_90:
	s_mov_b32 s8, 0x652b82fe
	s_mov_b32 s9, 0x3ff71547
	;; [unrolled: 1-line block ×3, first 2 shown]
	s_waitcnt vmcnt(0)
	v_mul_f64 v[15:16], v[39:40], s[8:9]
	s_mov_b32 s8, 0xfefa39ef
	s_mov_b32 s9, 0xbfe62e42
	;; [unrolled: 1-line block ×3, first 2 shown]
	v_cmp_nlt_f64_e64 s5, 0x40900000, v[39:40]
	v_cmp_ngt_f64_e64 s6, 0xc090cc00, v[39:40]
	v_rndne_f64_e32 v[15:16], v[15:16]
	v_fma_f64 v[21:22], v[15:16], s[8:9], v[39:40]
	s_mov_b32 s8, 0x3b39803f
	s_mov_b32 s9, 0xbc7abc9e
	v_cvt_i32_f64_e32 v0, v[15:16]
	v_fma_f64 v[21:22], v[15:16], s[8:9], v[21:22]
	s_mov_b32 s8, 0xfca7ab0c
	s_mov_b32 s9, 0x3e928af3
	v_fma_f64 v[31:32], v[21:22], s[10:11], s[8:9]
	s_mov_b32 s8, 0x623fde64
	s_mov_b32 s9, 0x3ec71dee
	v_fma_f64 v[31:32], v[21:22], v[31:32], s[8:9]
	s_mov_b32 s8, 0x7c89e6b0
	s_mov_b32 s9, 0x3efa0199
	v_fma_f64 v[31:32], v[21:22], v[31:32], s[8:9]
	s_mov_b32 s8, 0x14761f6e
	s_mov_b32 s9, 0x3f2a01a0
	v_fma_f64 v[31:32], v[21:22], v[31:32], s[8:9]
	s_mov_b32 s8, 0x1852b7b0
	s_mov_b32 s9, 0x3f56c16c
	v_fma_f64 v[31:32], v[21:22], v[31:32], s[8:9]
	s_mov_b32 s8, 0x11122322
	s_mov_b32 s9, 0x3f811111
	v_fma_f64 v[31:32], v[21:22], v[31:32], s[8:9]
	s_mov_b32 s8, 0x555502a1
	s_mov_b32 s9, 0x3fa55555
	v_fma_f64 v[31:32], v[21:22], v[31:32], s[8:9]
	s_mov_b32 s8, 0x55555511
	s_mov_b32 s9, 0x3fc55555
	v_fma_f64 v[31:32], v[21:22], v[31:32], s[8:9]
	s_mov_b32 s8, 11
	s_mov_b32 s9, 0x3fe00000
	v_fma_f64 v[31:32], v[21:22], v[31:32], s[8:9]
	v_fma_f64 v[31:32], v[21:22], v[31:32], 1.0
	v_fma_f64 v[15:16], v[21:22], v[31:32], 1.0
	v_ldexp_f64 v[15:16], v[15:16], v0
	v_cndmask_b32_e64 v0, 0x7ff00000, v16, s5
	s_and_b32 s5, s6, s5
	v_cndmask_b32_e64 v15, 0, v15, s5
	v_cndmask_b32_e64 v16, 0, v0, s6
	v_fma_f64 v[13:14], -v[27:28], v[15:16], v[13:14]
	v_add_co_u32 v15, s5, 0x1000, v25
	v_add_co_ci_u32_e64 v16, null, 0, v26, s5
	global_store_dwordx2 v[15:16], v[13:14], off offset:512
	s_or_b32 exec_lo, exec_lo, s7
	s_and_saveexec_b32 s6, s4
	s_cbranch_execz .LBB224_74
.LBB224_91:
	s_mov_b32 s4, 0x652b82fe
	s_mov_b32 s5, 0x3ff71547
	s_mov_b32 s8, 0x6a5dcb37
	s_waitcnt vmcnt(0)
	v_mul_f64 v[13:14], v[35:36], s[4:5]
	s_mov_b32 s4, 0xfefa39ef
	s_mov_b32 s5, 0xbfe62e42
	;; [unrolled: 1-line block ×3, first 2 shown]
	v_rndne_f64_e32 v[13:14], v[13:14]
	v_fma_f64 v[15:16], v[13:14], s[4:5], v[35:36]
	s_mov_b32 s4, 0x3b39803f
	s_mov_b32 s5, 0xbc7abc9e
	v_cvt_i32_f64_e32 v0, v[13:14]
	v_fma_f64 v[15:16], v[13:14], s[4:5], v[15:16]
	s_mov_b32 s4, 0xfca7ab0c
	s_mov_b32 s5, 0x3e928af3
	v_fma_f64 v[21:22], v[15:16], s[8:9], s[4:5]
	s_mov_b32 s4, 0x623fde64
	s_mov_b32 s5, 0x3ec71dee
	;; [unrolled: 3-line block ×9, first 2 shown]
	v_fma_f64 v[21:22], v[15:16], v[21:22], s[4:5]
	v_cmp_nlt_f64_e64 s4, 0x40900000, v[35:36]
	v_cmp_ngt_f64_e64 s5, 0xc090cc00, v[35:36]
	v_fma_f64 v[21:22], v[15:16], v[21:22], 1.0
	v_fma_f64 v[13:14], v[15:16], v[21:22], 1.0
	v_ldexp_f64 v[13:14], v[13:14], v0
	v_cndmask_b32_e64 v0, 0x7ff00000, v14, s4
	s_and_b32 s4, s5, s4
	v_cndmask_b32_e64 v13, 0, v13, s4
	v_cndmask_b32_e64 v14, 0, v0, s5
	v_fma_f64 v[11:12], -v[27:28], v[13:14], v[11:12]
	v_add_co_u32 v13, s4, 0x1000, v25
	v_add_co_ci_u32_e64 v14, null, 0, v26, s4
	global_store_dwordx2 v[13:14], v[11:12], off offset:1024
	s_or_b32 exec_lo, exec_lo, s6
	s_and_saveexec_b32 s5, s3
	s_cbranch_execz .LBB224_75
.LBB224_92:
	s_mov_b32 s6, 0x652b82fe
	s_mov_b32 s7, 0x3ff71547
	;; [unrolled: 1-line block ×3, first 2 shown]
	s_waitcnt vmcnt(0)
	v_mul_f64 v[11:12], v[33:34], s[6:7]
	s_mov_b32 s6, 0xfefa39ef
	s_mov_b32 s7, 0xbfe62e42
	;; [unrolled: 1-line block ×3, first 2 shown]
	v_cmp_nlt_f64_e64 s3, 0x40900000, v[33:34]
	v_cmp_ngt_f64_e64 s4, 0xc090cc00, v[33:34]
	v_rndne_f64_e32 v[11:12], v[11:12]
	v_fma_f64 v[13:14], v[11:12], s[6:7], v[33:34]
	s_mov_b32 s6, 0x3b39803f
	s_mov_b32 s7, 0xbc7abc9e
	v_cvt_i32_f64_e32 v0, v[11:12]
	v_fma_f64 v[13:14], v[11:12], s[6:7], v[13:14]
	s_mov_b32 s6, 0xfca7ab0c
	s_mov_b32 s7, 0x3e928af3
	v_fma_f64 v[15:16], v[13:14], s[8:9], s[6:7]
	s_mov_b32 s6, 0x623fde64
	s_mov_b32 s7, 0x3ec71dee
	v_fma_f64 v[15:16], v[13:14], v[15:16], s[6:7]
	s_mov_b32 s6, 0x7c89e6b0
	s_mov_b32 s7, 0x3efa0199
	v_fma_f64 v[15:16], v[13:14], v[15:16], s[6:7]
	s_mov_b32 s6, 0x14761f6e
	s_mov_b32 s7, 0x3f2a01a0
	v_fma_f64 v[15:16], v[13:14], v[15:16], s[6:7]
	s_mov_b32 s6, 0x1852b7b0
	s_mov_b32 s7, 0x3f56c16c
	v_fma_f64 v[15:16], v[13:14], v[15:16], s[6:7]
	s_mov_b32 s6, 0x11122322
	s_mov_b32 s7, 0x3f811111
	v_fma_f64 v[15:16], v[13:14], v[15:16], s[6:7]
	s_mov_b32 s6, 0x555502a1
	s_mov_b32 s7, 0x3fa55555
	v_fma_f64 v[15:16], v[13:14], v[15:16], s[6:7]
	s_mov_b32 s6, 0x55555511
	s_mov_b32 s7, 0x3fc55555
	v_fma_f64 v[15:16], v[13:14], v[15:16], s[6:7]
	s_mov_b32 s6, 11
	s_mov_b32 s7, 0x3fe00000
	v_fma_f64 v[15:16], v[13:14], v[15:16], s[6:7]
	v_fma_f64 v[15:16], v[13:14], v[15:16], 1.0
	v_fma_f64 v[11:12], v[13:14], v[15:16], 1.0
	v_ldexp_f64 v[11:12], v[11:12], v0
	v_cndmask_b32_e64 v0, 0x7ff00000, v12, s3
	s_and_b32 s3, s4, s3
	v_cndmask_b32_e64 v11, 0, v11, s3
	v_cndmask_b32_e64 v12, 0, v0, s4
	v_fma_f64 v[9:10], -v[27:28], v[11:12], v[9:10]
	v_add_co_u32 v11, s3, 0x1000, v25
	v_add_co_ci_u32_e64 v12, null, 0, v26, s3
	global_store_dwordx2 v[11:12], v[9:10], off offset:1536
	s_or_b32 exec_lo, exec_lo, s5
	s_and_saveexec_b32 s4, s2
	s_cbranch_execz .LBB224_76
.LBB224_93:
	s_mov_b32 s2, 0x652b82fe
	s_mov_b32 s3, 0x3ff71547
	;; [unrolled: 1-line block ×3, first 2 shown]
	s_waitcnt vmcnt(0)
	v_mul_f64 v[9:10], v[29:30], s[2:3]
	s_mov_b32 s2, 0xfefa39ef
	s_mov_b32 s3, 0xbfe62e42
	s_mov_b32 s7, 0x3e5ade15
	v_rndne_f64_e32 v[9:10], v[9:10]
	v_fma_f64 v[11:12], v[9:10], s[2:3], v[29:30]
	s_mov_b32 s2, 0x3b39803f
	s_mov_b32 s3, 0xbc7abc9e
	v_cvt_i32_f64_e32 v0, v[9:10]
	v_fma_f64 v[11:12], v[9:10], s[2:3], v[11:12]
	s_mov_b32 s2, 0xfca7ab0c
	s_mov_b32 s3, 0x3e928af3
	v_fma_f64 v[13:14], v[11:12], s[6:7], s[2:3]
	s_mov_b32 s2, 0x623fde64
	s_mov_b32 s3, 0x3ec71dee
	;; [unrolled: 3-line block ×9, first 2 shown]
	v_fma_f64 v[13:14], v[11:12], v[13:14], s[2:3]
	v_cmp_nlt_f64_e64 s2, 0x40900000, v[29:30]
	v_cmp_ngt_f64_e64 s3, 0xc090cc00, v[29:30]
	v_fma_f64 v[13:14], v[11:12], v[13:14], 1.0
	v_fma_f64 v[9:10], v[11:12], v[13:14], 1.0
	v_ldexp_f64 v[9:10], v[9:10], v0
	v_cndmask_b32_e64 v0, 0x7ff00000, v10, s2
	s_and_b32 s2, s3, s2
	v_cndmask_b32_e64 v9, 0, v9, s2
	v_cndmask_b32_e64 v10, 0, v0, s3
	v_fma_f64 v[7:8], -v[27:28], v[9:10], v[7:8]
	v_add_co_u32 v9, s2, 0x1800, v25
	v_add_co_ci_u32_e64 v10, null, 0, v26, s2
	global_store_dwordx2 v[9:10], v[7:8], off
	s_or_b32 exec_lo, exec_lo, s4
	s_and_saveexec_b32 s3, s1
	s_cbranch_execz .LBB224_77
.LBB224_94:
	s_mov_b32 s4, 0x652b82fe
	s_mov_b32 s5, 0x3ff71547
	;; [unrolled: 1-line block ×3, first 2 shown]
	s_waitcnt vmcnt(0)
	v_mul_f64 v[7:8], v[23:24], s[4:5]
	s_mov_b32 s4, 0xfefa39ef
	s_mov_b32 s5, 0xbfe62e42
	s_mov_b32 s7, 0x3e5ade15
	v_cmp_nlt_f64_e64 s1, 0x40900000, v[23:24]
	v_cmp_ngt_f64_e64 s2, 0xc090cc00, v[23:24]
	v_rndne_f64_e32 v[7:8], v[7:8]
	v_fma_f64 v[9:10], v[7:8], s[4:5], v[23:24]
	s_mov_b32 s4, 0x3b39803f
	s_mov_b32 s5, 0xbc7abc9e
	v_cvt_i32_f64_e32 v0, v[7:8]
	v_fma_f64 v[9:10], v[7:8], s[4:5], v[9:10]
	s_mov_b32 s4, 0xfca7ab0c
	s_mov_b32 s5, 0x3e928af3
	v_fma_f64 v[11:12], v[9:10], s[6:7], s[4:5]
	s_mov_b32 s4, 0x623fde64
	s_mov_b32 s5, 0x3ec71dee
	;; [unrolled: 3-line block ×9, first 2 shown]
	v_fma_f64 v[11:12], v[9:10], v[11:12], s[4:5]
	v_fma_f64 v[11:12], v[9:10], v[11:12], 1.0
	v_fma_f64 v[7:8], v[9:10], v[11:12], 1.0
	v_ldexp_f64 v[7:8], v[7:8], v0
	v_cndmask_b32_e64 v0, 0x7ff00000, v8, s1
	s_and_b32 s1, s2, s1
	v_cndmask_b32_e64 v7, 0, v7, s1
	v_cndmask_b32_e64 v8, 0, v0, s2
	v_fma_f64 v[5:6], -v[27:28], v[7:8], v[5:6]
	v_add_co_u32 v7, s1, 0x1800, v25
	v_add_co_ci_u32_e64 v8, null, 0, v26, s1
	global_store_dwordx2 v[7:8], v[5:6], off offset:512
	s_or_b32 exec_lo, exec_lo, s3
	s_and_saveexec_b32 s2, s0
	s_cbranch_execz .LBB224_78
.LBB224_95:
	s_mov_b32 s0, 0x652b82fe
	s_mov_b32 s1, 0x3ff71547
	;; [unrolled: 1-line block ×3, first 2 shown]
	s_waitcnt vmcnt(0)
	v_mul_f64 v[5:6], v[19:20], s[0:1]
	s_mov_b32 s0, 0xfefa39ef
	s_mov_b32 s1, 0xbfe62e42
	;; [unrolled: 1-line block ×3, first 2 shown]
	v_rndne_f64_e32 v[5:6], v[5:6]
	v_fma_f64 v[7:8], v[5:6], s[0:1], v[19:20]
	s_mov_b32 s0, 0x3b39803f
	s_mov_b32 s1, 0xbc7abc9e
	v_cvt_i32_f64_e32 v0, v[5:6]
	v_fma_f64 v[7:8], v[5:6], s[0:1], v[7:8]
	s_mov_b32 s0, 0xfca7ab0c
	s_mov_b32 s1, 0x3e928af3
	v_fma_f64 v[9:10], v[7:8], s[4:5], s[0:1]
	s_mov_b32 s0, 0x623fde64
	s_mov_b32 s1, 0x3ec71dee
	;; [unrolled: 3-line block ×9, first 2 shown]
	v_fma_f64 v[9:10], v[7:8], v[9:10], s[0:1]
	v_cmp_nlt_f64_e64 s0, 0x40900000, v[19:20]
	v_cmp_ngt_f64_e64 s1, 0xc090cc00, v[19:20]
	v_fma_f64 v[9:10], v[7:8], v[9:10], 1.0
	v_fma_f64 v[5:6], v[7:8], v[9:10], 1.0
	v_ldexp_f64 v[5:6], v[5:6], v0
	v_cndmask_b32_e64 v0, 0x7ff00000, v6, s0
	s_and_b32 s0, s1, s0
	v_cndmask_b32_e64 v5, 0, v5, s0
	v_cndmask_b32_e64 v6, 0, v0, s1
	v_fma_f64 v[3:4], -v[27:28], v[5:6], v[3:4]
	v_add_co_u32 v5, s0, 0x1800, v25
	v_add_co_ci_u32_e64 v6, null, 0, v26, s0
	global_store_dwordx2 v[5:6], v[3:4], off offset:1024
	s_or_b32 exec_lo, exec_lo, s2
	s_and_b32 exec_lo, exec_lo, vcc_lo
	s_cbranch_execnz .LBB224_79
	s_branch .LBB224_80
	.section	.rodata,"a",@progbits
	.p2align	6, 0x0
	.amdhsa_kernel _ZN12_GLOBAL__N_121softmax_warp_backwardIdddLi10ELb1ELb0ELi64EEEvPT0_PKT_S5_iiiPKb
		.amdhsa_group_segment_fixed_size 0
		.amdhsa_private_segment_fixed_size 0
		.amdhsa_kernarg_size 304
		.amdhsa_user_sgpr_count 6
		.amdhsa_user_sgpr_private_segment_buffer 1
		.amdhsa_user_sgpr_dispatch_ptr 0
		.amdhsa_user_sgpr_queue_ptr 0
		.amdhsa_user_sgpr_kernarg_segment_ptr 1
		.amdhsa_user_sgpr_dispatch_id 0
		.amdhsa_user_sgpr_flat_scratch_init 0
		.amdhsa_user_sgpr_private_segment_size 0
		.amdhsa_wavefront_size32 1
		.amdhsa_uses_dynamic_stack 0
		.amdhsa_system_sgpr_private_segment_wavefront_offset 0
		.amdhsa_system_sgpr_workgroup_id_x 1
		.amdhsa_system_sgpr_workgroup_id_y 0
		.amdhsa_system_sgpr_workgroup_id_z 0
		.amdhsa_system_sgpr_workgroup_info 0
		.amdhsa_system_vgpr_workitem_id 1
		.amdhsa_next_free_vgpr 75
		.amdhsa_next_free_sgpr 24
		.amdhsa_reserve_vcc 1
		.amdhsa_reserve_flat_scratch 0
		.amdhsa_float_round_mode_32 0
		.amdhsa_float_round_mode_16_64 0
		.amdhsa_float_denorm_mode_32 3
		.amdhsa_float_denorm_mode_16_64 3
		.amdhsa_dx10_clamp 1
		.amdhsa_ieee_mode 1
		.amdhsa_fp16_overflow 0
		.amdhsa_workgroup_processor_mode 1
		.amdhsa_memory_ordered 1
		.amdhsa_forward_progress 1
		.amdhsa_shared_vgpr_count 0
		.amdhsa_exception_fp_ieee_invalid_op 0
		.amdhsa_exception_fp_denorm_src 0
		.amdhsa_exception_fp_ieee_div_zero 0
		.amdhsa_exception_fp_ieee_overflow 0
		.amdhsa_exception_fp_ieee_underflow 0
		.amdhsa_exception_fp_ieee_inexact 0
		.amdhsa_exception_int_div_zero 0
	.end_amdhsa_kernel
	.section	.text._ZN12_GLOBAL__N_121softmax_warp_backwardIdddLi10ELb1ELb0ELi64EEEvPT0_PKT_S5_iiiPKb,"axG",@progbits,_ZN12_GLOBAL__N_121softmax_warp_backwardIdddLi10ELb1ELb0ELi64EEEvPT0_PKT_S5_iiiPKb,comdat
.Lfunc_end224:
	.size	_ZN12_GLOBAL__N_121softmax_warp_backwardIdddLi10ELb1ELb0ELi64EEEvPT0_PKT_S5_iiiPKb, .Lfunc_end224-_ZN12_GLOBAL__N_121softmax_warp_backwardIdddLi10ELb1ELb0ELi64EEEvPT0_PKT_S5_iiiPKb
                                        ; -- End function
	.set _ZN12_GLOBAL__N_121softmax_warp_backwardIdddLi10ELb1ELb0ELi64EEEvPT0_PKT_S5_iiiPKb.num_vgpr, 75
	.set _ZN12_GLOBAL__N_121softmax_warp_backwardIdddLi10ELb1ELb0ELi64EEEvPT0_PKT_S5_iiiPKb.num_agpr, 0
	.set _ZN12_GLOBAL__N_121softmax_warp_backwardIdddLi10ELb1ELb0ELi64EEEvPT0_PKT_S5_iiiPKb.numbered_sgpr, 24
	.set _ZN12_GLOBAL__N_121softmax_warp_backwardIdddLi10ELb1ELb0ELi64EEEvPT0_PKT_S5_iiiPKb.num_named_barrier, 0
	.set _ZN12_GLOBAL__N_121softmax_warp_backwardIdddLi10ELb1ELb0ELi64EEEvPT0_PKT_S5_iiiPKb.private_seg_size, 0
	.set _ZN12_GLOBAL__N_121softmax_warp_backwardIdddLi10ELb1ELb0ELi64EEEvPT0_PKT_S5_iiiPKb.uses_vcc, 1
	.set _ZN12_GLOBAL__N_121softmax_warp_backwardIdddLi10ELb1ELb0ELi64EEEvPT0_PKT_S5_iiiPKb.uses_flat_scratch, 0
	.set _ZN12_GLOBAL__N_121softmax_warp_backwardIdddLi10ELb1ELb0ELi64EEEvPT0_PKT_S5_iiiPKb.has_dyn_sized_stack, 0
	.set _ZN12_GLOBAL__N_121softmax_warp_backwardIdddLi10ELb1ELb0ELi64EEEvPT0_PKT_S5_iiiPKb.has_recursion, 0
	.set _ZN12_GLOBAL__N_121softmax_warp_backwardIdddLi10ELb1ELb0ELi64EEEvPT0_PKT_S5_iiiPKb.has_indirect_call, 0
	.section	.AMDGPU.csdata,"",@progbits
; Kernel info:
; codeLenInByte = 9524
; TotalNumSgprs: 26
; NumVgprs: 75
; ScratchSize: 0
; MemoryBound: 0
; FloatMode: 240
; IeeeMode: 1
; LDSByteSize: 0 bytes/workgroup (compile time only)
; SGPRBlocks: 0
; VGPRBlocks: 9
; NumSGPRsForWavesPerEU: 26
; NumVGPRsForWavesPerEU: 75
; Occupancy: 12
; WaveLimiterHint : 0
; COMPUTE_PGM_RSRC2:SCRATCH_EN: 0
; COMPUTE_PGM_RSRC2:USER_SGPR: 6
; COMPUTE_PGM_RSRC2:TRAP_HANDLER: 0
; COMPUTE_PGM_RSRC2:TGID_X_EN: 1
; COMPUTE_PGM_RSRC2:TGID_Y_EN: 0
; COMPUTE_PGM_RSRC2:TGID_Z_EN: 0
; COMPUTE_PGM_RSRC2:TIDIG_COMP_CNT: 1
	.section	.text._ZN12_GLOBAL__N_121softmax_warp_backwardIdddLi10ELb1ELb0ELi32EEEvPT0_PKT_S5_iiiPKb,"axG",@progbits,_ZN12_GLOBAL__N_121softmax_warp_backwardIdddLi10ELb1ELb0ELi32EEEvPT0_PKT_S5_iiiPKb,comdat
	.globl	_ZN12_GLOBAL__N_121softmax_warp_backwardIdddLi10ELb1ELb0ELi32EEEvPT0_PKT_S5_iiiPKb ; -- Begin function _ZN12_GLOBAL__N_121softmax_warp_backwardIdddLi10ELb1ELb0ELi32EEEvPT0_PKT_S5_iiiPKb
	.p2align	8
	.type	_ZN12_GLOBAL__N_121softmax_warp_backwardIdddLi10ELb1ELb0ELi32EEEvPT0_PKT_S5_iiiPKb,@function
_ZN12_GLOBAL__N_121softmax_warp_backwardIdddLi10ELb1ELb0ELi32EEEvPT0_PKT_S5_iiiPKb: ; @_ZN12_GLOBAL__N_121softmax_warp_backwardIdddLi10ELb1ELb0ELi32EEEvPT0_PKT_S5_iiiPKb
; %bb.0:
	s_mov_b64 s[46:47], s[2:3]
	s_mov_b64 s[44:45], s[0:1]
	s_clause 0x1
	s_load_dword s0, s[4:5], 0x3c
	s_load_dwordx4 s[40:43], s[4:5], 0x18
	s_add_u32 s44, s44, s7
	s_addc_u32 s45, s45, 0
	s_load_dwordx4 s[36:39], s[4:5], 0x0
	v_mov_b32_e32 v125, 0
	v_mov_b32_e32 v7, 0
	;; [unrolled: 1-line block ×6, first 2 shown]
	s_waitcnt lgkmcnt(0)
	s_lshr_b32 s0, s0, 16
	v_mad_u64_u32 v[2:3], null, s6, s0, v[1:2]
	v_and_b32_e32 v1, 31, v0
	s_load_dwordx2 s[0:1], s[4:5], 0x10
	v_cmp_gt_i32_e64 s30, s42, v1
	v_mad_u64_u32 v[3:4], null, v2, s41, v[1:2]
	v_sub_nc_u32_e32 v127, s40, v2
	v_cmp_lt_i32_e64 s31, 0, v127
	v_ashrrev_i32_e32 v4, 31, v3
	v_lshlrev_b64 v[9:10], 3, v[3:4]
	v_add_co_u32 v19, vcc_lo, s38, v9
	v_add_co_ci_u32_e64 v20, null, s39, v10, vcc_lo
	s_waitcnt lgkmcnt(0)
	v_add_co_u32 v11, vcc_lo, s0, v9
	v_add_co_ci_u32_e64 v12, null, s1, v10, vcc_lo
	s_and_b32 s1, s31, s30
	s_and_saveexec_b32 s0, s1
	s_cbranch_execz .LBB225_2
; %bb.1:
	global_load_dwordx2 v[7:8], v[19:20], off
	global_load_dwordx2 v[15:16], v[11:12], off
.LBB225_2:
	s_or_b32 exec_lo, exec_lo, s0
	v_or_b32_e32 v2, 32, v1
	v_cmp_gt_i32_e64 s29, s42, v2
	v_mov_b32_e32 v2, 0
	v_mov_b32_e32 v3, 0
	buffer_store_dword v2, off, s[44:47], 0 offset:32 ; 4-byte Folded Spill
	buffer_store_dword v3, off, s[44:47], 0 offset:36 ; 4-byte Folded Spill
	s_and_b32 s1, s31, s29
	s_and_saveexec_b32 s0, s1
	s_cbranch_execz .LBB225_4
; %bb.3:
	global_load_dwordx2 v[125:126], v[19:20], off offset:256
	global_load_dwordx2 v[2:3], v[11:12], off offset:256
	s_waitcnt vmcnt(0)
	buffer_store_dword v2, off, s[44:47], 0 offset:32 ; 4-byte Folded Spill
	buffer_store_dword v3, off, s[44:47], 0 offset:36 ; 4-byte Folded Spill
.LBB225_4:
	s_or_b32 exec_lo, exec_lo, s0
	v_or_b32_e32 v2, 64, v1
	v_mov_b32_e32 v121, 0
	v_mov_b32_e32 v122, 0
	v_cmp_gt_i32_e64 s28, s42, v2
	v_mov_b32_e32 v2, 0
	v_mov_b32_e32 v3, 0
	buffer_store_dword v2, off, s[44:47], 0 ; 4-byte Folded Spill
	buffer_store_dword v3, off, s[44:47], 0 offset:4 ; 4-byte Folded Spill
	v_mov_b32_e32 v2, 0
	v_mov_b32_e32 v3, 0
	s_and_b32 s1, s31, s28
	buffer_store_dword v2, off, s[44:47], 0 offset:24 ; 4-byte Folded Spill
	buffer_store_dword v3, off, s[44:47], 0 offset:28 ; 4-byte Folded Spill
	s_and_saveexec_b32 s0, s1
	s_cbranch_execz .LBB225_6
; %bb.5:
	global_load_dwordx2 v[2:3], v[19:20], off offset:512
	s_waitcnt vmcnt(0)
	buffer_store_dword v2, off, s[44:47], 0 ; 4-byte Folded Spill
	buffer_store_dword v3, off, s[44:47], 0 offset:4 ; 4-byte Folded Spill
	global_load_dwordx2 v[2:3], v[11:12], off offset:512
	s_waitcnt vmcnt(0)
	buffer_store_dword v2, off, s[44:47], 0 offset:24 ; 4-byte Folded Spill
	buffer_store_dword v3, off, s[44:47], 0 offset:28 ; 4-byte Folded Spill
.LBB225_6:
	s_or_b32 exec_lo, exec_lo, s0
	v_or_b32_e32 v2, 0x60, v1
	v_cmp_gt_i32_e64 s27, s42, v2
	v_mov_b32_e32 v2, 0
	v_mov_b32_e32 v3, 0
	buffer_store_dword v2, off, s[44:47], 0 offset:16 ; 4-byte Folded Spill
	buffer_store_dword v3, off, s[44:47], 0 offset:20 ; 4-byte Folded Spill
	s_and_b32 s1, s31, s27
	s_and_saveexec_b32 s0, s1
	s_cbranch_execz .LBB225_8
; %bb.7:
	global_load_dwordx2 v[121:122], v[19:20], off offset:768
	global_load_dwordx2 v[2:3], v[11:12], off offset:768
	s_waitcnt vmcnt(0)
	buffer_store_dword v2, off, s[44:47], 0 offset:16 ; 4-byte Folded Spill
	buffer_store_dword v3, off, s[44:47], 0 offset:20 ; 4-byte Folded Spill
.LBB225_8:
	s_or_b32 exec_lo, exec_lo, s0
	v_or_b32_e32 v2, 0x80, v1
	v_mov_b32_e32 v123, 0
	v_mov_b32_e32 v3, 0
	v_mov_b32_e32 v5, 0
	v_mov_b32_e32 v124, 0
	v_cmp_gt_i32_e64 s26, s42, v2
	v_mov_b32_e32 v4, 0
	v_mov_b32_e32 v6, 0
	buffer_store_dword v5, off, s[44:47], 0 offset:8 ; 4-byte Folded Spill
	buffer_store_dword v6, off, s[44:47], 0 offset:12 ; 4-byte Folded Spill
	s_and_b32 s1, s31, s26
	s_and_saveexec_b32 s0, s1
	s_cbranch_execz .LBB225_10
; %bb.9:
	global_load_dwordx2 v[3:4], v[19:20], off offset:1024
	global_load_dwordx2 v[5:6], v[11:12], off offset:1024
	s_waitcnt vmcnt(0)
	buffer_store_dword v5, off, s[44:47], 0 offset:8 ; 4-byte Folded Spill
	buffer_store_dword v6, off, s[44:47], 0 offset:12 ; 4-byte Folded Spill
.LBB225_10:
	s_or_b32 exec_lo, exec_lo, s0
	v_or_b32_e32 v2, 0xa0, v1
	v_mov_b32_e32 v117, 0
	v_mov_b32_e32 v118, 0
	v_cmp_gt_i32_e64 s25, s42, v2
	s_and_b32 s1, s31, s25
	s_and_saveexec_b32 s0, s1
	s_cbranch_execz .LBB225_12
; %bb.11:
	global_load_dwordx2 v[123:124], v[19:20], off offset:1280
	global_load_dwordx2 v[117:118], v[11:12], off offset:1280
.LBB225_12:
	s_or_b32 exec_lo, exec_lo, s0
	v_or_b32_e32 v2, 0xc0, v1
	v_mov_b32_e32 v115, 0
	v_mov_b32_e32 v119, 0
	v_mov_b32_e32 v113, 0
	v_mov_b32_e32 v116, 0
	v_cmp_gt_i32_e64 s24, s42, v2
	v_mov_b32_e32 v120, 0
	v_mov_b32_e32 v114, 0
	s_and_b32 s1, s31, s24
	s_and_saveexec_b32 s0, s1
	s_cbranch_execz .LBB225_14
; %bb.13:
	global_load_dwordx2 v[119:120], v[19:20], off offset:1536
	global_load_dwordx2 v[113:114], v[11:12], off offset:1536
.LBB225_14:
	s_or_b32 exec_lo, exec_lo, s0
	v_or_b32_e32 v2, 0xe0, v1
	v_mov_b32_e32 v109, 0
	v_mov_b32_e32 v110, 0
	v_cmp_gt_i32_e64 s23, s42, v2
	s_and_b32 s1, s31, s23
	s_and_saveexec_b32 s0, s1
	s_cbranch_execz .LBB225_16
; %bb.15:
	global_load_dwordx2 v[115:116], v[19:20], off offset:1792
	global_load_dwordx2 v[109:110], v[11:12], off offset:1792
.LBB225_16:
	s_or_b32 exec_lo, exec_lo, s0
	v_or_b32_e32 v2, 0x100, v1
	v_mov_b32_e32 v107, 0
	v_mov_b32_e32 v111, 0
	;; [unrolled: 1-line block ×4, first 2 shown]
	v_cmp_gt_i32_e64 s22, s42, v2
	v_mov_b32_e32 v112, 0
	v_mov_b32_e32 v106, 0
	s_and_b32 s1, s31, s22
	s_and_saveexec_b32 s0, s1
	s_cbranch_execz .LBB225_18
; %bb.17:
	v_add_co_u32 v5, vcc_lo, 0x800, v19
	v_add_co_ci_u32_e64 v6, null, 0, v20, vcc_lo
	v_add_co_u32 v13, vcc_lo, 0x800, v11
	v_add_co_ci_u32_e64 v14, null, 0, v12, vcc_lo
	global_load_dwordx2 v[111:112], v[5:6], off
	global_load_dwordx2 v[105:106], v[13:14], off
.LBB225_18:
	s_or_b32 exec_lo, exec_lo, s0
	v_or_b32_e32 v2, 0x120, v1
	v_mov_b32_e32 v101, 0
	v_mov_b32_e32 v102, 0
	v_cmp_gt_i32_e64 s21, s42, v2
	s_and_b32 s1, s31, s21
	s_and_saveexec_b32 s0, s1
	s_cbranch_execz .LBB225_20
; %bb.19:
	v_add_co_u32 v5, vcc_lo, 0x800, v19
	v_add_co_ci_u32_e64 v6, null, 0, v20, vcc_lo
	v_add_co_u32 v13, vcc_lo, 0x800, v11
	v_add_co_ci_u32_e64 v14, null, 0, v12, vcc_lo
	global_load_dwordx2 v[107:108], v[5:6], off offset:256
	global_load_dwordx2 v[101:102], v[13:14], off offset:256
.LBB225_20:
	s_or_b32 exec_lo, exec_lo, s0
	v_or_b32_e32 v2, 0x140, v1
	v_mov_b32_e32 v89, 0
	v_mov_b32_e32 v103, 0
	v_mov_b32_e32 v97, 0
	v_mov_b32_e32 v90, 0
	v_cmp_gt_i32_e64 s20, s42, v2
	v_mov_b32_e32 v104, 0
	v_mov_b32_e32 v98, 0
	s_and_b32 s1, s31, s20
	s_and_saveexec_b32 s0, s1
	s_cbranch_execz .LBB225_22
; %bb.21:
	v_add_co_u32 v5, vcc_lo, 0x800, v19
	v_add_co_ci_u32_e64 v6, null, 0, v20, vcc_lo
	v_add_co_u32 v13, vcc_lo, 0x800, v11
	v_add_co_ci_u32_e64 v14, null, 0, v12, vcc_lo
	global_load_dwordx2 v[103:104], v[5:6], off offset:512
	global_load_dwordx2 v[97:98], v[13:14], off offset:512
.LBB225_22:
	s_or_b32 exec_lo, exec_lo, s0
	v_or_b32_e32 v2, 0x160, v1
	v_mov_b32_e32 v93, 0
	v_mov_b32_e32 v94, 0
	v_cmp_gt_i32_e64 s19, s42, v2
	s_and_b32 s1, s31, s19
	s_and_saveexec_b32 s0, s1
	s_cbranch_execz .LBB225_24
; %bb.23:
	v_add_co_u32 v5, vcc_lo, 0x800, v19
	v_add_co_ci_u32_e64 v6, null, 0, v20, vcc_lo
	v_add_co_u32 v13, vcc_lo, 0x800, v11
	v_add_co_ci_u32_e64 v14, null, 0, v12, vcc_lo
	global_load_dwordx2 v[89:90], v[5:6], off offset:768
	global_load_dwordx2 v[93:94], v[13:14], off offset:768
.LBB225_24:
	s_or_b32 exec_lo, exec_lo, s0
	v_or_b32_e32 v2, 0x180, v1
	v_mov_b32_e32 v81, 0
	v_mov_b32_e32 v95, 0
	v_mov_b32_e32 v99, 0
	v_mov_b32_e32 v82, 0
	v_cmp_gt_i32_e64 s18, s42, v2
	v_mov_b32_e32 v96, 0
	v_mov_b32_e32 v100, 0
	s_and_b32 s1, s31, s18
	s_and_saveexec_b32 s0, s1
	s_cbranch_execz .LBB225_26
; %bb.25:
	v_add_co_u32 v5, vcc_lo, 0x800, v19
	v_add_co_ci_u32_e64 v6, null, 0, v20, vcc_lo
	v_add_co_u32 v13, vcc_lo, 0x800, v11
	v_add_co_ci_u32_e64 v14, null, 0, v12, vcc_lo
	global_load_dwordx2 v[95:96], v[5:6], off offset:1024
	global_load_dwordx2 v[99:100], v[13:14], off offset:1024
.LBB225_26:
	;; [unrolled: 36-line block ×3, first 2 shown]
	s_or_b32 exec_lo, exec_lo, s0
	v_or_b32_e32 v2, 0x1e0, v1
	v_mov_b32_e32 v87, 0
	v_mov_b32_e32 v88, 0
	v_cmp_gt_i32_e64 s15, s42, v2
	s_and_b32 s1, s31, s15
	s_and_saveexec_b32 s0, s1
	s_cbranch_execz .LBB225_32
; %bb.31:
	v_add_co_u32 v5, vcc_lo, 0x800, v19
	v_add_co_ci_u32_e64 v6, null, 0, v20, vcc_lo
	v_add_co_u32 v13, vcc_lo, 0x800, v11
	v_add_co_ci_u32_e64 v14, null, 0, v12, vcc_lo
	global_load_dwordx2 v[73:74], v[5:6], off offset:1792
	global_load_dwordx2 v[87:88], v[13:14], off offset:1792
.LBB225_32:
	s_or_b32 exec_lo, exec_lo, s0
	v_or_b32_e32 v2, 0x200, v1
	v_mov_b32_e32 v65, 0
	v_mov_b32_e32 v69, 0
	;; [unrolled: 1-line block ×4, first 2 shown]
	v_cmp_gt_i32_e64 s14, s42, v2
	v_mov_b32_e32 v70, 0
	v_mov_b32_e32 v84, 0
	s_and_b32 s1, s31, s14
	s_and_saveexec_b32 s0, s1
	s_cbranch_execz .LBB225_34
; %bb.33:
	v_add_co_u32 v5, vcc_lo, 0x1000, v19
	v_add_co_ci_u32_e64 v6, null, 0, v20, vcc_lo
	v_add_co_u32 v13, vcc_lo, 0x1000, v11
	v_add_co_ci_u32_e64 v14, null, 0, v12, vcc_lo
	global_load_dwordx2 v[69:70], v[5:6], off
	global_load_dwordx2 v[83:84], v[13:14], off
.LBB225_34:
	s_or_b32 exec_lo, exec_lo, s0
	v_or_b32_e32 v2, 0x220, v1
	v_mov_b32_e32 v79, 0
	v_mov_b32_e32 v80, 0
	v_cmp_gt_i32_e64 s13, s42, v2
	s_and_b32 s1, s31, s13
	s_and_saveexec_b32 s0, s1
	s_cbranch_execz .LBB225_36
; %bb.35:
	v_add_co_u32 v5, vcc_lo, 0x1000, v19
	v_add_co_ci_u32_e64 v6, null, 0, v20, vcc_lo
	v_add_co_u32 v13, vcc_lo, 0x1000, v11
	v_add_co_ci_u32_e64 v14, null, 0, v12, vcc_lo
	global_load_dwordx2 v[65:66], v[5:6], off offset:256
	global_load_dwordx2 v[79:80], v[13:14], off offset:256
.LBB225_36:
	s_or_b32 exec_lo, exec_lo, s0
	v_or_b32_e32 v2, 0x240, v1
	v_mov_b32_e32 v57, 0
	v_mov_b32_e32 v61, 0
	v_mov_b32_e32 v75, 0
	v_mov_b32_e32 v58, 0
	v_cmp_gt_i32_e64 s12, s42, v2
	v_mov_b32_e32 v62, 0
	v_mov_b32_e32 v76, 0
	s_and_b32 s1, s31, s12
	s_and_saveexec_b32 s0, s1
	s_cbranch_execz .LBB225_38
; %bb.37:
	v_add_co_u32 v5, vcc_lo, 0x1000, v19
	v_add_co_ci_u32_e64 v6, null, 0, v20, vcc_lo
	v_add_co_u32 v13, vcc_lo, 0x1000, v11
	v_add_co_ci_u32_e64 v14, null, 0, v12, vcc_lo
	global_load_dwordx2 v[61:62], v[5:6], off offset:512
	global_load_dwordx2 v[75:76], v[13:14], off offset:512
.LBB225_38:
	s_or_b32 exec_lo, exec_lo, s0
	v_or_b32_e32 v2, 0x260, v1
	v_mov_b32_e32 v71, 0
	v_mov_b32_e32 v72, 0
	v_cmp_gt_i32_e64 s11, s42, v2
	s_and_b32 s1, s31, s11
	s_and_saveexec_b32 s0, s1
	s_cbranch_execz .LBB225_40
; %bb.39:
	v_add_co_u32 v5, vcc_lo, 0x1000, v19
	v_add_co_ci_u32_e64 v6, null, 0, v20, vcc_lo
	v_add_co_u32 v13, vcc_lo, 0x1000, v11
	v_add_co_ci_u32_e64 v14, null, 0, v12, vcc_lo
	global_load_dwordx2 v[57:58], v[5:6], off offset:768
	global_load_dwordx2 v[71:72], v[13:14], off offset:768
.LBB225_40:
	s_or_b32 exec_lo, exec_lo, s0
	v_or_b32_e32 v2, 0x280, v1
	v_mov_b32_e32 v63, 0
	v_mov_b32_e32 v53, 0
	v_mov_b32_e32 v67, 0
	v_mov_b32_e32 v64, 0
	v_cmp_gt_i32_e64 s10, s42, v2
	v_mov_b32_e32 v54, 0
	v_mov_b32_e32 v68, 0
	s_and_b32 s1, s31, s10
	s_and_saveexec_b32 s0, s1
	s_cbranch_execz .LBB225_42
; %bb.41:
	v_add_co_u32 v5, vcc_lo, 0x1000, v19
	v_add_co_ci_u32_e64 v6, null, 0, v20, vcc_lo
	v_add_co_u32 v13, vcc_lo, 0x1000, v11
	v_add_co_ci_u32_e64 v14, null, 0, v12, vcc_lo
	global_load_dwordx2 v[53:54], v[5:6], off offset:1024
	global_load_dwordx2 v[67:68], v[13:14], off offset:1024
.LBB225_42:
	;; [unrolled: 36-line block ×3, first 2 shown]
	s_or_b32 exec_lo, exec_lo, s0
	v_or_b32_e32 v2, 0x2e0, v1
	v_mov_b32_e32 v41, 0
	v_mov_b32_e32 v42, 0
	v_cmp_gt_i32_e64 s7, s42, v2
	s_and_b32 s1, s31, s7
	s_and_saveexec_b32 s0, s1
	s_cbranch_execz .LBB225_48
; %bb.47:
	v_add_co_u32 v5, vcc_lo, 0x1000, v19
	v_add_co_ci_u32_e64 v6, null, 0, v20, vcc_lo
	v_add_co_u32 v13, vcc_lo, 0x1000, v11
	v_add_co_ci_u32_e64 v14, null, 0, v12, vcc_lo
	global_load_dwordx2 v[55:56], v[5:6], off offset:1792
	global_load_dwordx2 v[41:42], v[13:14], off offset:1792
.LBB225_48:
	s_or_b32 exec_lo, exec_lo, s0
	v_or_b32_e32 v2, 0x300, v1
	v_mov_b32_e32 v47, 0
	v_mov_b32_e32 v37, 0
	;; [unrolled: 1-line block ×4, first 2 shown]
	v_cmp_gt_i32_e64 s6, s42, v2
	v_mov_b32_e32 v38, 0
	v_mov_b32_e32 v52, 0
	s_and_b32 s1, s31, s6
	s_and_saveexec_b32 s0, s1
	s_cbranch_execz .LBB225_50
; %bb.49:
	v_add_co_u32 v5, vcc_lo, 0x1800, v19
	v_add_co_ci_u32_e64 v6, null, 0, v20, vcc_lo
	v_add_co_u32 v13, vcc_lo, 0x1800, v11
	v_add_co_ci_u32_e64 v14, null, 0, v12, vcc_lo
	global_load_dwordx2 v[37:38], v[5:6], off
	global_load_dwordx2 v[51:52], v[13:14], off
.LBB225_50:
	s_or_b32 exec_lo, exec_lo, s0
	v_or_b32_e32 v2, 0x320, v1
	v_mov_b32_e32 v33, 0
	v_mov_b32_e32 v34, 0
	v_cmp_gt_i32_e64 s5, s42, v2
	s_and_b32 s1, s31, s5
	s_and_saveexec_b32 s0, s1
	s_cbranch_execz .LBB225_52
; %bb.51:
	v_add_co_u32 v5, vcc_lo, 0x1800, v19
	v_add_co_ci_u32_e64 v6, null, 0, v20, vcc_lo
	v_add_co_u32 v13, vcc_lo, 0x1800, v11
	v_add_co_ci_u32_e64 v14, null, 0, v12, vcc_lo
	global_load_dwordx2 v[47:48], v[5:6], off offset:256
	global_load_dwordx2 v[33:34], v[13:14], off offset:256
.LBB225_52:
	s_or_b32 exec_lo, exec_lo, s0
	v_or_b32_e32 v2, 0x340, v1
	v_mov_b32_e32 v39, 0
	v_mov_b32_e32 v43, 0
	;; [unrolled: 1-line block ×4, first 2 shown]
	v_cmp_gt_i32_e64 s4, s42, v2
	v_mov_b32_e32 v44, 0
	v_mov_b32_e32 v30, 0
	s_and_b32 s1, s31, s4
	s_and_saveexec_b32 s0, s1
	s_cbranch_execz .LBB225_54
; %bb.53:
	v_add_co_u32 v5, vcc_lo, 0x1800, v19
	v_add_co_ci_u32_e64 v6, null, 0, v20, vcc_lo
	v_add_co_u32 v13, vcc_lo, 0x1800, v11
	v_add_co_ci_u32_e64 v14, null, 0, v12, vcc_lo
	global_load_dwordx2 v[43:44], v[5:6], off offset:512
	global_load_dwordx2 v[29:30], v[13:14], off offset:512
.LBB225_54:
	s_or_b32 exec_lo, exec_lo, s0
	v_or_b32_e32 v2, 0x360, v1
	v_mov_b32_e32 v25, 0
	v_mov_b32_e32 v26, 0
	v_cmp_gt_i32_e64 s3, s42, v2
	s_and_b32 s1, s31, s3
	s_and_saveexec_b32 s0, s1
	s_cbranch_execz .LBB225_56
; %bb.55:
	v_add_co_u32 v5, vcc_lo, 0x1800, v19
	v_add_co_ci_u32_e64 v6, null, 0, v20, vcc_lo
	v_add_co_u32 v13, vcc_lo, 0x1800, v11
	v_add_co_ci_u32_e64 v14, null, 0, v12, vcc_lo
	global_load_dwordx2 v[39:40], v[5:6], off offset:768
	global_load_dwordx2 v[25:26], v[13:14], off offset:768
.LBB225_56:
	s_or_b32 exec_lo, exec_lo, s0
	v_or_b32_e32 v2, 0x380, v1
	v_mov_b32_e32 v31, 0
	v_mov_b32_e32 v35, 0
	;; [unrolled: 1-line block ×4, first 2 shown]
	v_cmp_gt_i32_e64 s2, s42, v2
	v_mov_b32_e32 v36, 0
	v_mov_b32_e32 v22, 0
	s_and_b32 s1, s31, s2
	s_and_saveexec_b32 s0, s1
	s_cbranch_execz .LBB225_58
; %bb.57:
	v_add_co_u32 v5, vcc_lo, 0x1800, v19
	v_add_co_ci_u32_e64 v6, null, 0, v20, vcc_lo
	v_add_co_u32 v23, vcc_lo, 0x1800, v11
	v_add_co_ci_u32_e64 v24, null, 0, v12, vcc_lo
	global_load_dwordx2 v[35:36], v[5:6], off offset:1024
	global_load_dwordx2 v[21:22], v[23:24], off offset:1024
.LBB225_58:
	s_or_b32 exec_lo, exec_lo, s0
	v_or_b32_e32 v2, 0x3a0, v1
	v_mov_b32_e32 v17, 0
	v_mov_b32_e32 v18, 0
	v_cmp_gt_i32_e64 s1, s42, v2
	s_and_b32 s33, s31, s1
	s_and_saveexec_b32 s0, s33
	s_cbranch_execz .LBB225_60
; %bb.59:
	v_add_co_u32 v5, vcc_lo, 0x1800, v19
	v_add_co_ci_u32_e64 v6, null, 0, v20, vcc_lo
	v_add_co_u32 v23, vcc_lo, 0x1800, v11
	v_add_co_ci_u32_e64 v24, null, 0, v12, vcc_lo
	global_load_dwordx2 v[31:32], v[5:6], off offset:1280
	global_load_dwordx2 v[17:18], v[23:24], off offset:1280
.LBB225_60:
	s_or_b32 exec_lo, exec_lo, s0
	v_or_b32_e32 v1, 0x3c0, v1
	v_mov_b32_e32 v23, 0
	v_mov_b32_e32 v27, 0
	;; [unrolled: 1-line block ×4, first 2 shown]
	v_cmp_gt_i32_e64 s0, s42, v1
	v_mov_b32_e32 v28, 0
	v_mov_b32_e32 v14, 0
	s_and_b32 s34, s31, s0
	s_and_saveexec_b32 s33, s34
	s_cbranch_execz .LBB225_62
; %bb.61:
	v_add_co_u32 v5, vcc_lo, 0x1800, v19
	v_add_co_ci_u32_e64 v6, null, 0, v20, vcc_lo
	v_add_co_u32 v23, vcc_lo, 0x1800, v11
	v_add_co_ci_u32_e64 v24, null, 0, v12, vcc_lo
	global_load_dwordx2 v[27:28], v[5:6], off offset:1536
	global_load_dwordx2 v[13:14], v[23:24], off offset:1536
	v_mov_b32_e32 v23, 0
	v_mov_b32_e32 v24, 0
.LBB225_62:
	s_or_b32 exec_lo, exec_lo, s33
	v_or_b32_e32 v0, 0x3e0, v0
	v_mov_b32_e32 v5, 0
	v_mov_b32_e32 v6, 0
	v_cmp_gt_i32_e32 vcc_lo, s42, v0
	s_and_b32 s31, s31, vcc_lo
	s_and_saveexec_b32 s33, s31
	s_cbranch_execz .LBB225_64
; %bb.63:
	v_add_co_u32 v0, s31, 0x1800, v19
	v_add_co_ci_u32_e64 v1, null, 0, v20, s31
	v_add_co_u32 v11, s31, 0x1800, v11
	v_add_co_ci_u32_e64 v12, null, 0, v12, s31
	global_load_dwordx2 v[23:24], v[0:1], off offset:1792
	global_load_dwordx2 v[5:6], v[11:12], off offset:1792
.LBB225_64:
	s_or_b32 exec_lo, exec_lo, s33
	s_clause 0x1
	buffer_load_dword v0, off, s[44:47], 0
	buffer_load_dword v1, off, s[44:47], 0 offset:4
	s_waitcnt vmcnt(3)
	v_add_f64 v[11:12], v[7:8], 0
	s_mov_b32 s33, exec_lo
	v_add_f64 v[11:12], v[11:12], v[125:126]
	s_waitcnt vmcnt(0)
	v_add_f64 v[11:12], v[11:12], v[0:1]
	v_mbcnt_lo_u32_b32 v0, -1, 0
	v_xor_b32_e32 v1, 16, v0
	v_cmp_gt_i32_e64 s31, 32, v1
	v_cndmask_b32_e64 v1, v0, v1, s31
	v_lshlrev_b32_e32 v1, 2, v1
	v_add_f64 v[11:12], v[11:12], v[121:122]
	v_add_f64 v[11:12], v[11:12], v[3:4]
	;; [unrolled: 1-line block ×29, first 2 shown]
	ds_bpermute_b32 v19, v1, v11
	ds_bpermute_b32 v20, v1, v12
	v_xor_b32_e32 v1, 8, v0
	v_cmp_gt_i32_e64 s31, 32, v1
	v_cndmask_b32_e64 v1, v0, v1, s31
	v_lshlrev_b32_e32 v1, 2, v1
	s_waitcnt lgkmcnt(0)
	v_add_f64 v[11:12], v[11:12], v[19:20]
	ds_bpermute_b32 v19, v1, v11
	ds_bpermute_b32 v20, v1, v12
	v_xor_b32_e32 v1, 4, v0
	v_cmp_gt_i32_e64 s31, 32, v1
	v_cndmask_b32_e64 v1, v0, v1, s31
	v_lshlrev_b32_e32 v1, 2, v1
	s_waitcnt lgkmcnt(0)
	v_add_f64 v[11:12], v[11:12], v[19:20]
	;; [unrolled: 8-line block ×4, first 2 shown]
	ds_bpermute_b32 v19, v0, v11
	ds_bpermute_b32 v20, v0, v12
	v_cmpx_lt_i32_e32 0, v127
	s_cbranch_execz .LBB225_98
; %bb.65:
	s_waitcnt lgkmcnt(0)
	v_add_f64 v[11:12], v[11:12], v[19:20]
	v_add_co_u32 v9, s31, s36, v9
	v_add_co_ci_u32_e64 v10, null, s37, v10, s31
	buffer_store_dword v121, off, s[44:47], 0 offset:40 ; 4-byte Folded Spill
	buffer_store_dword v122, off, s[44:47], 0 offset:44 ; 4-byte Folded Spill
	s_mov_b32 s33, exec_lo
	v_mov_b32_e32 v122, v4
	v_mov_b32_e32 v121, v3
	s_and_b32 s30, s33, s30
	s_mov_b32 exec_lo, s30
	s_cbranch_execnz .LBB225_99
; %bb.66:
	s_or_b32 exec_lo, exec_lo, s33
	s_and_saveexec_b32 s31, s29
	s_cbranch_execnz .LBB225_100
.LBB225_67:
	s_or_b32 exec_lo, exec_lo, s31
	s_and_saveexec_b32 s30, s28
	s_cbranch_execnz .LBB225_101
.LBB225_68:
	s_or_b32 exec_lo, exec_lo, s30
	s_and_saveexec_b32 s29, s27
	s_cbranch_execnz .LBB225_102
.LBB225_69:
	s_or_b32 exec_lo, exec_lo, s29
	s_and_saveexec_b32 s28, s26
	s_cbranch_execnz .LBB225_103
.LBB225_70:
	s_or_b32 exec_lo, exec_lo, s28
	s_and_saveexec_b32 s27, s25
	s_cbranch_execnz .LBB225_104
.LBB225_71:
	s_or_b32 exec_lo, exec_lo, s27
	s_and_saveexec_b32 s26, s24
	s_cbranch_execnz .LBB225_105
.LBB225_72:
	s_or_b32 exec_lo, exec_lo, s26
	s_and_saveexec_b32 s25, s23
	s_cbranch_execnz .LBB225_106
.LBB225_73:
	s_or_b32 exec_lo, exec_lo, s25
	s_and_saveexec_b32 s24, s22
	s_cbranch_execnz .LBB225_107
.LBB225_74:
	s_or_b32 exec_lo, exec_lo, s24
	s_and_saveexec_b32 s23, s21
	s_cbranch_execnz .LBB225_108
.LBB225_75:
	s_or_b32 exec_lo, exec_lo, s23
	s_and_saveexec_b32 s22, s20
	s_cbranch_execnz .LBB225_109
.LBB225_76:
	s_or_b32 exec_lo, exec_lo, s22
	s_and_saveexec_b32 s21, s19
	s_cbranch_execnz .LBB225_110
.LBB225_77:
	s_or_b32 exec_lo, exec_lo, s21
	s_and_saveexec_b32 s20, s18
	s_cbranch_execnz .LBB225_111
.LBB225_78:
	s_or_b32 exec_lo, exec_lo, s20
	s_and_saveexec_b32 s19, s17
	s_cbranch_execnz .LBB225_112
.LBB225_79:
	s_or_b32 exec_lo, exec_lo, s19
	s_and_saveexec_b32 s18, s16
	s_cbranch_execnz .LBB225_113
.LBB225_80:
	s_or_b32 exec_lo, exec_lo, s18
	s_and_saveexec_b32 s17, s15
	s_cbranch_execnz .LBB225_114
.LBB225_81:
	s_or_b32 exec_lo, exec_lo, s17
	s_and_saveexec_b32 s16, s14
	s_cbranch_execnz .LBB225_115
.LBB225_82:
	s_or_b32 exec_lo, exec_lo, s16
	s_and_saveexec_b32 s15, s13
	s_cbranch_execnz .LBB225_116
.LBB225_83:
	s_or_b32 exec_lo, exec_lo, s15
	s_and_saveexec_b32 s14, s12
	s_cbranch_execnz .LBB225_117
.LBB225_84:
	s_or_b32 exec_lo, exec_lo, s14
	s_and_saveexec_b32 s13, s11
	s_cbranch_execnz .LBB225_118
.LBB225_85:
	s_or_b32 exec_lo, exec_lo, s13
	s_and_saveexec_b32 s12, s10
	s_cbranch_execnz .LBB225_119
.LBB225_86:
	s_or_b32 exec_lo, exec_lo, s12
	s_and_saveexec_b32 s11, s9
	s_cbranch_execnz .LBB225_120
.LBB225_87:
	s_or_b32 exec_lo, exec_lo, s11
	s_and_saveexec_b32 s10, s8
	s_cbranch_execnz .LBB225_121
.LBB225_88:
	s_or_b32 exec_lo, exec_lo, s10
	s_and_saveexec_b32 s9, s7
	s_cbranch_execnz .LBB225_122
.LBB225_89:
	s_or_b32 exec_lo, exec_lo, s9
	s_and_saveexec_b32 s8, s6
	s_cbranch_execnz .LBB225_123
.LBB225_90:
	s_or_b32 exec_lo, exec_lo, s8
	s_and_saveexec_b32 s7, s5
	s_cbranch_execnz .LBB225_124
.LBB225_91:
	s_or_b32 exec_lo, exec_lo, s7
	s_and_saveexec_b32 s6, s4
	s_cbranch_execnz .LBB225_125
.LBB225_92:
	s_or_b32 exec_lo, exec_lo, s6
	s_and_saveexec_b32 s5, s3
	s_cbranch_execnz .LBB225_126
.LBB225_93:
	s_or_b32 exec_lo, exec_lo, s5
	s_and_saveexec_b32 s4, s2
	s_cbranch_execnz .LBB225_127
.LBB225_94:
	s_or_b32 exec_lo, exec_lo, s4
	s_and_saveexec_b32 s3, s1
	s_cbranch_execnz .LBB225_128
.LBB225_95:
	s_or_b32 exec_lo, exec_lo, s3
	s_and_saveexec_b32 s2, s0
	s_cbranch_execnz .LBB225_129
.LBB225_96:
	s_or_b32 exec_lo, exec_lo, s2
	s_and_b32 exec_lo, exec_lo, vcc_lo
	s_cbranch_execz .LBB225_98
.LBB225_97:
	s_mov_b32 s0, 0x652b82fe
	s_mov_b32 s1, 0x3ff71547
	;; [unrolled: 1-line block ×3, first 2 shown]
	v_mul_f64 v[0:1], v[5:6], s[0:1]
	s_mov_b32 s0, 0xfefa39ef
	s_mov_b32 s1, 0xbfe62e42
	;; [unrolled: 1-line block ×3, first 2 shown]
	v_mov_b32_e32 v8, v6
	v_mov_b32_e32 v7, v5
	v_cmp_nlt_f64_e32 vcc_lo, 0x40900000, v[7:8]
	v_rndne_f64_e32 v[0:1], v[0:1]
	v_fma_f64 v[2:3], v[0:1], s[0:1], v[5:6]
	s_mov_b32 s0, 0x3b39803f
	s_mov_b32 s1, 0xbc7abc9e
	v_cvt_i32_f64_e32 v6, v[0:1]
	v_fma_f64 v[2:3], v[0:1], s[0:1], v[2:3]
	s_mov_b32 s0, 0xfca7ab0c
	s_mov_b32 s1, 0x3e928af3
	v_fma_f64 v[4:5], v[2:3], s[2:3], s[0:1]
	s_mov_b32 s0, 0x623fde64
	s_mov_b32 s1, 0x3ec71dee
	;; [unrolled: 3-line block ×9, first 2 shown]
	v_fma_f64 v[4:5], v[2:3], v[4:5], s[0:1]
	v_cmp_ngt_f64_e64 s0, 0xc090cc00, v[7:8]
	v_fma_f64 v[4:5], v[2:3], v[4:5], 1.0
	v_fma_f64 v[0:1], v[2:3], v[4:5], 1.0
	v_ldexp_f64 v[0:1], v[0:1], v6
	v_cndmask_b32_e32 v1, 0x7ff00000, v1, vcc_lo
	s_and_b32 vcc_lo, s0, vcc_lo
	v_cndmask_b32_e32 v0, 0, v0, vcc_lo
	v_add_co_u32 v2, vcc_lo, 0x1800, v9
	v_cndmask_b32_e64 v1, 0, v1, s0
	v_add_co_ci_u32_e64 v3, null, 0, v10, vcc_lo
	v_fma_f64 v[0:1], -v[11:12], v[0:1], v[23:24]
	global_store_dwordx2 v[2:3], v[0:1], off offset:1792
.LBB225_98:
	s_endpgm
.LBB225_99:
	v_mov_b32_e32 v3, v117
	v_mov_b32_e32 v4, v118
	;; [unrolled: 1-line block ×13, first 2 shown]
	s_mov_b32 s30, 0x652b82fe
	v_mov_b32_e32 v115, v105
	v_mov_b32_e32 v105, v111
	s_mov_b32 s31, 0x3ff71547
	v_mov_b32_e32 v106, v112
	v_mov_b32_e32 v112, v102
	;; [unrolled: 1-line block ×4, first 2 shown]
	v_mul_f64 v[19:20], v[15:16], s[30:31]
	v_mov_b32_e32 v102, v108
	v_mov_b32_e32 v108, v98
	;; [unrolled: 1-line block ×44, first 2 shown]
	v_rndne_f64_e32 v[19:20], v[19:20]
	v_mov_b32_e32 v67, v53
	v_mov_b32_e32 v54, v50
	;; [unrolled: 1-line block ×38, first 2 shown]
	s_mov_b32 s30, 0xfefa39ef
	v_mov_b32_e32 v31, v13
	v_mov_b32_e32 v13, v27
	s_mov_b32 s31, 0xbfe62e42
	v_mov_b32_e32 v14, v28
	v_mov_b32_e32 v28, v6
	;; [unrolled: 1-line block ×5, first 2 shown]
	v_fma_f64 v[23:24], v[19:20], s[30:31], v[15:16]
	s_mov_b32 s30, 0x3b39803f
	s_mov_b32 s31, 0xbc7abc9e
	s_mov_b32 s34, 0x6a5dcb37
	s_mov_b32 s35, 0x3e5ade15
	v_cvt_i32_f64_e32 v2, v[19:20]
	v_fma_f64 v[23:24], v[19:20], s[30:31], v[23:24]
	s_mov_b32 s30, 0xfca7ab0c
	s_mov_b32 s31, 0x3e928af3
	v_fma_f64 v[0:1], v[23:24], s[34:35], s[30:31]
	s_mov_b32 s30, 0x623fde64
	s_mov_b32 s31, 0x3ec71dee
	;; [unrolled: 3-line block ×9, first 2 shown]
	v_fma_f64 v[0:1], v[23:24], v[0:1], s[30:31]
	v_cmp_nlt_f64_e64 s30, 0x40900000, v[15:16]
	v_cmp_ngt_f64_e64 s31, 0xc090cc00, v[15:16]
	v_fma_f64 v[0:1], v[23:24], v[0:1], 1.0
	v_fma_f64 v[0:1], v[23:24], v[0:1], 1.0
	v_mov_b32_e32 v24, v6
	v_mov_b32_e32 v23, v5
	;; [unrolled: 1-line block ×21, first 2 shown]
	v_ldexp_f64 v[0:1], v[0:1], v2
	v_mov_b32_e32 v43, v29
	v_mov_b32_e32 v29, v47
	;; [unrolled: 1-line block ×36, first 2 shown]
	v_cndmask_b32_e64 v1, 0x7ff00000, v1, s30
	v_mov_b32_e32 v66, v80
	v_mov_b32_e32 v80, v70
	;; [unrolled: 1-line block ×6, first 2 shown]
	s_and_b32 s30, s31, s30
	v_mov_b32_e32 v83, v73
	v_mov_b32_e32 v73, v87
	;; [unrolled: 1-line block ×4, first 2 shown]
	v_cndmask_b32_e64 v1, 0, v1, s31
	v_cndmask_b32_e64 v0, 0, v0, s30
	v_mov_b32_e32 v87, v77
	v_mov_b32_e32 v77, v91
	v_mov_b32_e32 v78, v92
	v_mov_b32_e32 v92, v82
	v_mov_b32_e32 v91, v81
	v_mov_b32_e32 v81, v85
	v_mov_b32_e32 v82, v86
	v_mov_b32_e32 v85, v95
	v_mov_b32_e32 v86, v96
	v_mov_b32_e32 v95, v99
	v_fma_f64 v[0:1], -v[11:12], v[0:1], v[7:8]
	v_mov_b32_e32 v96, v100
	v_mov_b32_e32 v100, v90
	;; [unrolled: 1-line block ×33, first 2 shown]
	global_store_dwordx2 v[9:10], v[0:1], off
	s_or_b32 exec_lo, exec_lo, s33
	s_and_saveexec_b32 s31, s29
	s_cbranch_execz .LBB225_67
.LBB225_100:
	s_clause 0x1
	buffer_load_dword v19, off, s[44:47], 0 offset:32
	buffer_load_dword v20, off, s[44:47], 0 offset:36
	s_mov_b32 s34, 0x652b82fe
	s_mov_b32 s35, 0x3ff71547
	;; [unrolled: 1-line block ×4, first 2 shown]
	s_waitcnt vmcnt(0)
	v_mul_f64 v[0:1], v[19:20], s[34:35]
	s_mov_b32 s34, 0xfefa39ef
	s_mov_b32 s35, 0xbfe62e42
	v_cmp_nlt_f64_e64 s29, 0x40900000, v[19:20]
	v_cmp_ngt_f64_e64 s30, 0xc090cc00, v[19:20]
	v_rndne_f64_e32 v[0:1], v[0:1]
	v_fma_f64 v[7:8], v[0:1], s[34:35], v[19:20]
	s_mov_b32 s34, 0x3b39803f
	s_mov_b32 s35, 0xbc7abc9e
	v_cvt_i32_f64_e32 v2, v[0:1]
	v_fma_f64 v[7:8], v[0:1], s[34:35], v[7:8]
	s_mov_b32 s34, 0xfca7ab0c
	s_mov_b32 s35, 0x3e928af3
	v_fma_f64 v[15:16], v[7:8], s[36:37], s[34:35]
	s_mov_b32 s34, 0x623fde64
	s_mov_b32 s35, 0x3ec71dee
	;; [unrolled: 3-line block ×9, first 2 shown]
	v_fma_f64 v[15:16], v[7:8], v[15:16], s[34:35]
	v_fma_f64 v[15:16], v[7:8], v[15:16], 1.0
	v_fma_f64 v[0:1], v[7:8], v[15:16], 1.0
	v_ldexp_f64 v[0:1], v[0:1], v2
	v_cndmask_b32_e64 v1, 0x7ff00000, v1, s29
	s_and_b32 s29, s30, s29
	v_cndmask_b32_e64 v0, 0, v0, s29
	v_cndmask_b32_e64 v1, 0, v1, s30
	v_fma_f64 v[0:1], -v[11:12], v[0:1], v[125:126]
	global_store_dwordx2 v[9:10], v[0:1], off offset:256
	s_or_b32 exec_lo, exec_lo, s31
	s_and_saveexec_b32 s30, s28
	s_cbranch_execz .LBB225_68
.LBB225_101:
	s_clause 0x1
	buffer_load_dword v15, off, s[44:47], 0 offset:24
	buffer_load_dword v16, off, s[44:47], 0 offset:28
	s_mov_b32 s28, 0x652b82fe
	s_mov_b32 s29, 0x3ff71547
	;; [unrolled: 1-line block ×4, first 2 shown]
	s_waitcnt vmcnt(0)
	v_mul_f64 v[0:1], v[15:16], s[28:29]
	s_mov_b32 s28, 0xfefa39ef
	s_mov_b32 s29, 0xbfe62e42
	v_rndne_f64_e32 v[0:1], v[0:1]
	v_fma_f64 v[2:3], v[0:1], s[28:29], v[15:16]
	s_mov_b32 s28, 0x3b39803f
	s_mov_b32 s29, 0xbc7abc9e
	v_cvt_i32_f64_e32 v4, v[0:1]
	v_fma_f64 v[2:3], v[0:1], s[28:29], v[2:3]
	s_mov_b32 s28, 0xfca7ab0c
	s_mov_b32 s29, 0x3e928af3
	v_fma_f64 v[7:8], v[2:3], s[34:35], s[28:29]
	s_mov_b32 s28, 0x623fde64
	s_mov_b32 s29, 0x3ec71dee
	v_fma_f64 v[7:8], v[2:3], v[7:8], s[28:29]
	s_mov_b32 s28, 0x7c89e6b0
	s_mov_b32 s29, 0x3efa0199
	v_fma_f64 v[7:8], v[2:3], v[7:8], s[28:29]
	s_mov_b32 s28, 0x14761f6e
	s_mov_b32 s29, 0x3f2a01a0
	v_fma_f64 v[7:8], v[2:3], v[7:8], s[28:29]
	s_mov_b32 s28, 0x1852b7b0
	s_mov_b32 s29, 0x3f56c16c
	v_fma_f64 v[7:8], v[2:3], v[7:8], s[28:29]
	s_mov_b32 s28, 0x11122322
	s_mov_b32 s29, 0x3f811111
	v_fma_f64 v[7:8], v[2:3], v[7:8], s[28:29]
	s_mov_b32 s28, 0x555502a1
	s_mov_b32 s29, 0x3fa55555
	v_fma_f64 v[7:8], v[2:3], v[7:8], s[28:29]
	s_mov_b32 s28, 0x55555511
	s_mov_b32 s29, 0x3fc55555
	v_fma_f64 v[7:8], v[2:3], v[7:8], s[28:29]
	s_mov_b32 s28, 11
	s_mov_b32 s29, 0x3fe00000
	v_fma_f64 v[7:8], v[2:3], v[7:8], s[28:29]
	v_cmp_nlt_f64_e64 s28, 0x40900000, v[15:16]
	v_cmp_ngt_f64_e64 s29, 0xc090cc00, v[15:16]
	v_fma_f64 v[7:8], v[2:3], v[7:8], 1.0
	v_fma_f64 v[0:1], v[2:3], v[7:8], 1.0
	s_clause 0x1
	buffer_load_dword v7, off, s[44:47], 0
	buffer_load_dword v8, off, s[44:47], 0 offset:4
	v_ldexp_f64 v[0:1], v[0:1], v4
	v_mov_b32_e32 v3, v121
	v_mov_b32_e32 v4, v122
	v_cndmask_b32_e64 v1, 0x7ff00000, v1, s28
	s_and_b32 s28, s29, s28
	v_cndmask_b32_e64 v0, 0, v0, s28
	v_cndmask_b32_e64 v1, 0, v1, s29
	s_waitcnt vmcnt(0)
	v_fma_f64 v[0:1], -v[11:12], v[0:1], v[7:8]
	global_store_dwordx2 v[9:10], v[0:1], off offset:512
	s_or_b32 exec_lo, exec_lo, s30
	s_and_saveexec_b32 s29, s27
	s_cbranch_execz .LBB225_69
.LBB225_102:
	s_clause 0x1
	buffer_load_dword v15, off, s[44:47], 0 offset:16
	buffer_load_dword v16, off, s[44:47], 0 offset:20
	s_mov_b32 s30, 0x652b82fe
	s_mov_b32 s31, 0x3ff71547
	;; [unrolled: 1-line block ×4, first 2 shown]
	s_waitcnt vmcnt(0)
	v_mul_f64 v[0:1], v[15:16], s[30:31]
	s_mov_b32 s30, 0xfefa39ef
	s_mov_b32 s31, 0xbfe62e42
	v_cmp_nlt_f64_e64 s27, 0x40900000, v[15:16]
	v_cmp_ngt_f64_e64 s28, 0xc090cc00, v[15:16]
	v_rndne_f64_e32 v[0:1], v[0:1]
	v_fma_f64 v[2:3], v[0:1], s[30:31], v[15:16]
	s_mov_b32 s30, 0x3b39803f
	s_mov_b32 s31, 0xbc7abc9e
	v_cvt_i32_f64_e32 v4, v[0:1]
	v_fma_f64 v[2:3], v[0:1], s[30:31], v[2:3]
	s_mov_b32 s30, 0xfca7ab0c
	s_mov_b32 s31, 0x3e928af3
	v_fma_f64 v[7:8], v[2:3], s[34:35], s[30:31]
	s_mov_b32 s30, 0x623fde64
	s_mov_b32 s31, 0x3ec71dee
	;; [unrolled: 3-line block ×9, first 2 shown]
	v_fma_f64 v[7:8], v[2:3], v[7:8], s[30:31]
	v_fma_f64 v[7:8], v[2:3], v[7:8], 1.0
	v_fma_f64 v[0:1], v[2:3], v[7:8], 1.0
	s_clause 0x1
	buffer_load_dword v7, off, s[44:47], 0 offset:40
	buffer_load_dword v8, off, s[44:47], 0 offset:44
	v_ldexp_f64 v[0:1], v[0:1], v4
	v_mov_b32_e32 v3, v121
	v_mov_b32_e32 v4, v122
	v_cndmask_b32_e64 v1, 0x7ff00000, v1, s27
	s_and_b32 s27, s28, s27
	v_cndmask_b32_e64 v0, 0, v0, s27
	v_cndmask_b32_e64 v1, 0, v1, s28
	s_waitcnt vmcnt(0)
	v_fma_f64 v[0:1], -v[11:12], v[0:1], v[7:8]
	global_store_dwordx2 v[9:10], v[0:1], off offset:768
	s_or_b32 exec_lo, exec_lo, s29
	s_and_saveexec_b32 s28, s26
	s_cbranch_execz .LBB225_70
.LBB225_103:
	s_clause 0x1
	buffer_load_dword v19, off, s[44:47], 0 offset:8
	buffer_load_dword v20, off, s[44:47], 0 offset:12
	s_mov_b32 s26, 0x652b82fe
	s_mov_b32 s27, 0x3ff71547
	v_mov_b32_e32 v16, v4
	v_mov_b32_e32 v15, v3
	s_mov_b32 s30, 0x6a5dcb37
	s_mov_b32 s31, 0x3e5ade15
	s_waitcnt vmcnt(0)
	v_mul_f64 v[0:1], v[19:20], s[26:27]
	s_mov_b32 s26, 0xfefa39ef
	s_mov_b32 s27, 0xbfe62e42
	v_rndne_f64_e32 v[0:1], v[0:1]
	v_fma_f64 v[2:3], v[0:1], s[26:27], v[19:20]
	s_mov_b32 s26, 0x3b39803f
	s_mov_b32 s27, 0xbc7abc9e
	v_cvt_i32_f64_e32 v4, v[0:1]
	v_fma_f64 v[2:3], v[0:1], s[26:27], v[2:3]
	s_mov_b32 s26, 0xfca7ab0c
	s_mov_b32 s27, 0x3e928af3
	v_fma_f64 v[7:8], v[2:3], s[30:31], s[26:27]
	s_mov_b32 s26, 0x623fde64
	s_mov_b32 s27, 0x3ec71dee
	;; [unrolled: 3-line block ×9, first 2 shown]
	v_fma_f64 v[7:8], v[2:3], v[7:8], s[26:27]
	v_cmp_nlt_f64_e64 s26, 0x40900000, v[19:20]
	v_cmp_ngt_f64_e64 s27, 0xc090cc00, v[19:20]
	v_fma_f64 v[7:8], v[2:3], v[7:8], 1.0
	v_fma_f64 v[0:1], v[2:3], v[7:8], 1.0
	v_ldexp_f64 v[0:1], v[0:1], v4
	v_cndmask_b32_e64 v1, 0x7ff00000, v1, s26
	s_and_b32 s26, s27, s26
	v_cndmask_b32_e64 v0, 0, v0, s26
	v_cndmask_b32_e64 v1, 0, v1, s27
	v_fma_f64 v[0:1], -v[11:12], v[0:1], v[15:16]
	global_store_dwordx2 v[9:10], v[0:1], off offset:1024
	s_or_b32 exec_lo, exec_lo, s28
	s_and_saveexec_b32 s27, s25
	s_cbranch_execz .LBB225_71
.LBB225_104:
	s_mov_b32 s28, 0x652b82fe
	s_mov_b32 s29, 0x3ff71547
	;; [unrolled: 1-line block ×3, first 2 shown]
	v_mul_f64 v[0:1], v[117:118], s[28:29]
	s_mov_b32 s28, 0xfefa39ef
	s_mov_b32 s29, 0xbfe62e42
	;; [unrolled: 1-line block ×3, first 2 shown]
	v_cmp_nlt_f64_e64 s25, 0x40900000, v[117:118]
	v_cmp_ngt_f64_e64 s26, 0xc090cc00, v[117:118]
	v_rndne_f64_e32 v[0:1], v[0:1]
	v_fma_f64 v[2:3], v[0:1], s[28:29], v[117:118]
	s_mov_b32 s28, 0x3b39803f
	s_mov_b32 s29, 0xbc7abc9e
	v_cvt_i32_f64_e32 v4, v[0:1]
	v_fma_f64 v[2:3], v[0:1], s[28:29], v[2:3]
	s_mov_b32 s28, 0xfca7ab0c
	s_mov_b32 s29, 0x3e928af3
	v_fma_f64 v[7:8], v[2:3], s[30:31], s[28:29]
	s_mov_b32 s28, 0x623fde64
	s_mov_b32 s29, 0x3ec71dee
	;; [unrolled: 3-line block ×9, first 2 shown]
	v_fma_f64 v[7:8], v[2:3], v[7:8], s[28:29]
	v_fma_f64 v[7:8], v[2:3], v[7:8], 1.0
	v_fma_f64 v[0:1], v[2:3], v[7:8], 1.0
	v_ldexp_f64 v[0:1], v[0:1], v4
	v_cndmask_b32_e64 v1, 0x7ff00000, v1, s25
	s_and_b32 s25, s26, s25
	v_cndmask_b32_e64 v0, 0, v0, s25
	v_cndmask_b32_e64 v1, 0, v1, s26
	v_fma_f64 v[0:1], -v[11:12], v[0:1], v[123:124]
	global_store_dwordx2 v[9:10], v[0:1], off offset:1280
	s_or_b32 exec_lo, exec_lo, s27
	s_and_saveexec_b32 s26, s24
	s_cbranch_execz .LBB225_72
.LBB225_105:
	s_mov_b32 s24, 0x652b82fe
	s_mov_b32 s25, 0x3ff71547
	;; [unrolled: 1-line block ×3, first 2 shown]
	v_mul_f64 v[0:1], v[113:114], s[24:25]
	s_mov_b32 s24, 0xfefa39ef
	s_mov_b32 s25, 0xbfe62e42
	;; [unrolled: 1-line block ×3, first 2 shown]
	v_rndne_f64_e32 v[0:1], v[0:1]
	v_fma_f64 v[2:3], v[0:1], s[24:25], v[113:114]
	s_mov_b32 s24, 0x3b39803f
	s_mov_b32 s25, 0xbc7abc9e
	v_cvt_i32_f64_e32 v4, v[0:1]
	v_fma_f64 v[2:3], v[0:1], s[24:25], v[2:3]
	s_mov_b32 s24, 0xfca7ab0c
	s_mov_b32 s25, 0x3e928af3
	v_fma_f64 v[7:8], v[2:3], s[28:29], s[24:25]
	s_mov_b32 s24, 0x623fde64
	s_mov_b32 s25, 0x3ec71dee
	v_fma_f64 v[7:8], v[2:3], v[7:8], s[24:25]
	s_mov_b32 s24, 0x7c89e6b0
	s_mov_b32 s25, 0x3efa0199
	v_fma_f64 v[7:8], v[2:3], v[7:8], s[24:25]
	s_mov_b32 s24, 0x14761f6e
	s_mov_b32 s25, 0x3f2a01a0
	v_fma_f64 v[7:8], v[2:3], v[7:8], s[24:25]
	s_mov_b32 s24, 0x1852b7b0
	s_mov_b32 s25, 0x3f56c16c
	v_fma_f64 v[7:8], v[2:3], v[7:8], s[24:25]
	s_mov_b32 s24, 0x11122322
	s_mov_b32 s25, 0x3f811111
	v_fma_f64 v[7:8], v[2:3], v[7:8], s[24:25]
	s_mov_b32 s24, 0x555502a1
	s_mov_b32 s25, 0x3fa55555
	v_fma_f64 v[7:8], v[2:3], v[7:8], s[24:25]
	s_mov_b32 s24, 0x55555511
	s_mov_b32 s25, 0x3fc55555
	v_fma_f64 v[7:8], v[2:3], v[7:8], s[24:25]
	s_mov_b32 s24, 11
	s_mov_b32 s25, 0x3fe00000
	v_fma_f64 v[7:8], v[2:3], v[7:8], s[24:25]
	v_cmp_nlt_f64_e64 s24, 0x40900000, v[113:114]
	v_cmp_ngt_f64_e64 s25, 0xc090cc00, v[113:114]
	v_fma_f64 v[7:8], v[2:3], v[7:8], 1.0
	v_fma_f64 v[0:1], v[2:3], v[7:8], 1.0
	v_ldexp_f64 v[0:1], v[0:1], v4
	v_cndmask_b32_e64 v1, 0x7ff00000, v1, s24
	s_and_b32 s24, s25, s24
	v_cndmask_b32_e64 v0, 0, v0, s24
	v_cndmask_b32_e64 v1, 0, v1, s25
	v_fma_f64 v[0:1], -v[11:12], v[0:1], v[119:120]
	global_store_dwordx2 v[9:10], v[0:1], off offset:1536
	s_or_b32 exec_lo, exec_lo, s26
	s_and_saveexec_b32 s25, s23
	s_cbranch_execz .LBB225_73
.LBB225_106:
	s_mov_b32 s26, 0x652b82fe
	s_mov_b32 s27, 0x3ff71547
	;; [unrolled: 1-line block ×3, first 2 shown]
	v_mul_f64 v[0:1], v[109:110], s[26:27]
	s_mov_b32 s26, 0xfefa39ef
	s_mov_b32 s27, 0xbfe62e42
	;; [unrolled: 1-line block ×3, first 2 shown]
	v_cmp_nlt_f64_e64 s23, 0x40900000, v[109:110]
	v_cmp_ngt_f64_e64 s24, 0xc090cc00, v[109:110]
	v_rndne_f64_e32 v[0:1], v[0:1]
	v_fma_f64 v[2:3], v[0:1], s[26:27], v[109:110]
	s_mov_b32 s26, 0x3b39803f
	s_mov_b32 s27, 0xbc7abc9e
	v_cvt_i32_f64_e32 v4, v[0:1]
	v_fma_f64 v[2:3], v[0:1], s[26:27], v[2:3]
	s_mov_b32 s26, 0xfca7ab0c
	s_mov_b32 s27, 0x3e928af3
	v_fma_f64 v[7:8], v[2:3], s[28:29], s[26:27]
	s_mov_b32 s26, 0x623fde64
	s_mov_b32 s27, 0x3ec71dee
	;; [unrolled: 3-line block ×9, first 2 shown]
	v_fma_f64 v[7:8], v[2:3], v[7:8], s[26:27]
	v_fma_f64 v[7:8], v[2:3], v[7:8], 1.0
	v_fma_f64 v[0:1], v[2:3], v[7:8], 1.0
	v_ldexp_f64 v[0:1], v[0:1], v4
	v_cndmask_b32_e64 v1, 0x7ff00000, v1, s23
	s_and_b32 s23, s24, s23
	v_cndmask_b32_e64 v0, 0, v0, s23
	v_cndmask_b32_e64 v1, 0, v1, s24
	v_fma_f64 v[0:1], -v[11:12], v[0:1], v[115:116]
	global_store_dwordx2 v[9:10], v[0:1], off offset:1792
	s_or_b32 exec_lo, exec_lo, s25
	s_and_saveexec_b32 s24, s22
	s_cbranch_execz .LBB225_74
.LBB225_107:
	s_mov_b32 s22, 0x652b82fe
	s_mov_b32 s23, 0x3ff71547
	;; [unrolled: 1-line block ×3, first 2 shown]
	v_mul_f64 v[0:1], v[105:106], s[22:23]
	s_mov_b32 s22, 0xfefa39ef
	s_mov_b32 s23, 0xbfe62e42
	;; [unrolled: 1-line block ×3, first 2 shown]
	v_rndne_f64_e32 v[0:1], v[0:1]
	v_fma_f64 v[2:3], v[0:1], s[22:23], v[105:106]
	s_mov_b32 s22, 0x3b39803f
	s_mov_b32 s23, 0xbc7abc9e
	v_cvt_i32_f64_e32 v4, v[0:1]
	v_fma_f64 v[2:3], v[0:1], s[22:23], v[2:3]
	s_mov_b32 s22, 0xfca7ab0c
	s_mov_b32 s23, 0x3e928af3
	v_fma_f64 v[7:8], v[2:3], s[26:27], s[22:23]
	s_mov_b32 s22, 0x623fde64
	s_mov_b32 s23, 0x3ec71dee
	v_fma_f64 v[7:8], v[2:3], v[7:8], s[22:23]
	s_mov_b32 s22, 0x7c89e6b0
	s_mov_b32 s23, 0x3efa0199
	v_fma_f64 v[7:8], v[2:3], v[7:8], s[22:23]
	s_mov_b32 s22, 0x14761f6e
	s_mov_b32 s23, 0x3f2a01a0
	v_fma_f64 v[7:8], v[2:3], v[7:8], s[22:23]
	s_mov_b32 s22, 0x1852b7b0
	s_mov_b32 s23, 0x3f56c16c
	v_fma_f64 v[7:8], v[2:3], v[7:8], s[22:23]
	s_mov_b32 s22, 0x11122322
	s_mov_b32 s23, 0x3f811111
	v_fma_f64 v[7:8], v[2:3], v[7:8], s[22:23]
	s_mov_b32 s22, 0x555502a1
	s_mov_b32 s23, 0x3fa55555
	v_fma_f64 v[7:8], v[2:3], v[7:8], s[22:23]
	s_mov_b32 s22, 0x55555511
	s_mov_b32 s23, 0x3fc55555
	v_fma_f64 v[7:8], v[2:3], v[7:8], s[22:23]
	s_mov_b32 s22, 11
	s_mov_b32 s23, 0x3fe00000
	v_fma_f64 v[7:8], v[2:3], v[7:8], s[22:23]
	v_cmp_nlt_f64_e64 s22, 0x40900000, v[105:106]
	v_cmp_ngt_f64_e64 s23, 0xc090cc00, v[105:106]
	v_fma_f64 v[7:8], v[2:3], v[7:8], 1.0
	v_fma_f64 v[0:1], v[2:3], v[7:8], 1.0
	v_ldexp_f64 v[0:1], v[0:1], v4
	v_cndmask_b32_e64 v1, 0x7ff00000, v1, s22
	s_and_b32 s22, s23, s22
	v_cndmask_b32_e64 v0, 0, v0, s22
	v_add_co_u32 v2, s22, 0x800, v9
	v_cndmask_b32_e64 v1, 0, v1, s23
	v_add_co_ci_u32_e64 v3, null, 0, v10, s22
	v_fma_f64 v[0:1], -v[11:12], v[0:1], v[111:112]
	global_store_dwordx2 v[2:3], v[0:1], off
	s_or_b32 exec_lo, exec_lo, s24
	s_and_saveexec_b32 s23, s21
	s_cbranch_execz .LBB225_75
.LBB225_108:
	s_mov_b32 s24, 0x652b82fe
	s_mov_b32 s25, 0x3ff71547
	s_mov_b32 s26, 0x6a5dcb37
	v_mul_f64 v[0:1], v[101:102], s[24:25]
	s_mov_b32 s24, 0xfefa39ef
	s_mov_b32 s25, 0xbfe62e42
	;; [unrolled: 1-line block ×3, first 2 shown]
	v_cmp_nlt_f64_e64 s21, 0x40900000, v[101:102]
	v_cmp_ngt_f64_e64 s22, 0xc090cc00, v[101:102]
	v_rndne_f64_e32 v[0:1], v[0:1]
	v_fma_f64 v[2:3], v[0:1], s[24:25], v[101:102]
	s_mov_b32 s24, 0x3b39803f
	s_mov_b32 s25, 0xbc7abc9e
	v_cvt_i32_f64_e32 v4, v[0:1]
	v_fma_f64 v[2:3], v[0:1], s[24:25], v[2:3]
	s_mov_b32 s24, 0xfca7ab0c
	s_mov_b32 s25, 0x3e928af3
	v_fma_f64 v[7:8], v[2:3], s[26:27], s[24:25]
	s_mov_b32 s24, 0x623fde64
	s_mov_b32 s25, 0x3ec71dee
	;; [unrolled: 3-line block ×9, first 2 shown]
	v_fma_f64 v[7:8], v[2:3], v[7:8], s[24:25]
	v_fma_f64 v[7:8], v[2:3], v[7:8], 1.0
	v_fma_f64 v[0:1], v[2:3], v[7:8], 1.0
	v_ldexp_f64 v[0:1], v[0:1], v4
	v_cndmask_b32_e64 v1, 0x7ff00000, v1, s21
	s_and_b32 s21, s22, s21
	v_cndmask_b32_e64 v0, 0, v0, s21
	v_add_co_u32 v2, s21, 0x800, v9
	v_cndmask_b32_e64 v1, 0, v1, s22
	v_add_co_ci_u32_e64 v3, null, 0, v10, s21
	v_fma_f64 v[0:1], -v[11:12], v[0:1], v[107:108]
	global_store_dwordx2 v[2:3], v[0:1], off offset:256
	s_or_b32 exec_lo, exec_lo, s23
	s_and_saveexec_b32 s22, s20
	s_cbranch_execz .LBB225_76
.LBB225_109:
	s_mov_b32 s20, 0x652b82fe
	s_mov_b32 s21, 0x3ff71547
	;; [unrolled: 1-line block ×3, first 2 shown]
	v_mul_f64 v[0:1], v[97:98], s[20:21]
	s_mov_b32 s20, 0xfefa39ef
	s_mov_b32 s21, 0xbfe62e42
	;; [unrolled: 1-line block ×3, first 2 shown]
	v_rndne_f64_e32 v[0:1], v[0:1]
	v_fma_f64 v[2:3], v[0:1], s[20:21], v[97:98]
	s_mov_b32 s20, 0x3b39803f
	s_mov_b32 s21, 0xbc7abc9e
	v_cvt_i32_f64_e32 v4, v[0:1]
	v_fma_f64 v[2:3], v[0:1], s[20:21], v[2:3]
	s_mov_b32 s20, 0xfca7ab0c
	s_mov_b32 s21, 0x3e928af3
	v_fma_f64 v[7:8], v[2:3], s[24:25], s[20:21]
	s_mov_b32 s20, 0x623fde64
	s_mov_b32 s21, 0x3ec71dee
	;; [unrolled: 3-line block ×9, first 2 shown]
	v_fma_f64 v[7:8], v[2:3], v[7:8], s[20:21]
	v_cmp_nlt_f64_e64 s20, 0x40900000, v[97:98]
	v_cmp_ngt_f64_e64 s21, 0xc090cc00, v[97:98]
	v_fma_f64 v[7:8], v[2:3], v[7:8], 1.0
	v_fma_f64 v[0:1], v[2:3], v[7:8], 1.0
	v_ldexp_f64 v[0:1], v[0:1], v4
	v_cndmask_b32_e64 v1, 0x7ff00000, v1, s20
	s_and_b32 s20, s21, s20
	v_cndmask_b32_e64 v0, 0, v0, s20
	v_add_co_u32 v2, s20, 0x800, v9
	v_cndmask_b32_e64 v1, 0, v1, s21
	v_add_co_ci_u32_e64 v3, null, 0, v10, s20
	v_fma_f64 v[0:1], -v[11:12], v[0:1], v[103:104]
	global_store_dwordx2 v[2:3], v[0:1], off offset:512
	s_or_b32 exec_lo, exec_lo, s22
	s_and_saveexec_b32 s21, s19
	s_cbranch_execz .LBB225_77
.LBB225_110:
	s_mov_b32 s22, 0x652b82fe
	s_mov_b32 s23, 0x3ff71547
	;; [unrolled: 1-line block ×3, first 2 shown]
	v_mul_f64 v[0:1], v[93:94], s[22:23]
	s_mov_b32 s22, 0xfefa39ef
	s_mov_b32 s23, 0xbfe62e42
	;; [unrolled: 1-line block ×3, first 2 shown]
	v_cmp_nlt_f64_e64 s19, 0x40900000, v[93:94]
	v_cmp_ngt_f64_e64 s20, 0xc090cc00, v[93:94]
	v_rndne_f64_e32 v[0:1], v[0:1]
	v_fma_f64 v[2:3], v[0:1], s[22:23], v[93:94]
	s_mov_b32 s22, 0x3b39803f
	s_mov_b32 s23, 0xbc7abc9e
	v_cvt_i32_f64_e32 v4, v[0:1]
	v_fma_f64 v[2:3], v[0:1], s[22:23], v[2:3]
	s_mov_b32 s22, 0xfca7ab0c
	s_mov_b32 s23, 0x3e928af3
	v_fma_f64 v[7:8], v[2:3], s[24:25], s[22:23]
	s_mov_b32 s22, 0x623fde64
	s_mov_b32 s23, 0x3ec71dee
	;; [unrolled: 3-line block ×9, first 2 shown]
	v_fma_f64 v[7:8], v[2:3], v[7:8], s[22:23]
	v_fma_f64 v[7:8], v[2:3], v[7:8], 1.0
	v_fma_f64 v[0:1], v[2:3], v[7:8], 1.0
	v_ldexp_f64 v[0:1], v[0:1], v4
	v_cndmask_b32_e64 v1, 0x7ff00000, v1, s19
	s_and_b32 s19, s20, s19
	v_cndmask_b32_e64 v0, 0, v0, s19
	v_add_co_u32 v2, s19, 0x800, v9
	v_cndmask_b32_e64 v1, 0, v1, s20
	v_add_co_ci_u32_e64 v3, null, 0, v10, s19
	v_fma_f64 v[0:1], -v[11:12], v[0:1], v[89:90]
	global_store_dwordx2 v[2:3], v[0:1], off offset:768
	s_or_b32 exec_lo, exec_lo, s21
	s_and_saveexec_b32 s20, s18
	s_cbranch_execz .LBB225_78
.LBB225_111:
	s_mov_b32 s18, 0x652b82fe
	s_mov_b32 s19, 0x3ff71547
	;; [unrolled: 1-line block ×3, first 2 shown]
	v_mul_f64 v[0:1], v[99:100], s[18:19]
	s_mov_b32 s18, 0xfefa39ef
	s_mov_b32 s19, 0xbfe62e42
	;; [unrolled: 1-line block ×3, first 2 shown]
	v_rndne_f64_e32 v[0:1], v[0:1]
	v_fma_f64 v[2:3], v[0:1], s[18:19], v[99:100]
	s_mov_b32 s18, 0x3b39803f
	s_mov_b32 s19, 0xbc7abc9e
	v_cvt_i32_f64_e32 v4, v[0:1]
	v_fma_f64 v[2:3], v[0:1], s[18:19], v[2:3]
	s_mov_b32 s18, 0xfca7ab0c
	s_mov_b32 s19, 0x3e928af3
	v_fma_f64 v[7:8], v[2:3], s[22:23], s[18:19]
	s_mov_b32 s18, 0x623fde64
	s_mov_b32 s19, 0x3ec71dee
	;; [unrolled: 3-line block ×9, first 2 shown]
	v_fma_f64 v[7:8], v[2:3], v[7:8], s[18:19]
	v_cmp_nlt_f64_e64 s18, 0x40900000, v[99:100]
	v_cmp_ngt_f64_e64 s19, 0xc090cc00, v[99:100]
	v_fma_f64 v[7:8], v[2:3], v[7:8], 1.0
	v_fma_f64 v[0:1], v[2:3], v[7:8], 1.0
	v_ldexp_f64 v[0:1], v[0:1], v4
	v_cndmask_b32_e64 v1, 0x7ff00000, v1, s18
	s_and_b32 s18, s19, s18
	v_cndmask_b32_e64 v0, 0, v0, s18
	v_add_co_u32 v2, s18, 0x800, v9
	v_cndmask_b32_e64 v1, 0, v1, s19
	v_add_co_ci_u32_e64 v3, null, 0, v10, s18
	v_fma_f64 v[0:1], -v[11:12], v[0:1], v[95:96]
	global_store_dwordx2 v[2:3], v[0:1], off offset:1024
	s_or_b32 exec_lo, exec_lo, s20
	s_and_saveexec_b32 s19, s17
	s_cbranch_execz .LBB225_79
.LBB225_112:
	s_mov_b32 s20, 0x652b82fe
	s_mov_b32 s21, 0x3ff71547
	;; [unrolled: 1-line block ×3, first 2 shown]
	v_mul_f64 v[0:1], v[85:86], s[20:21]
	s_mov_b32 s20, 0xfefa39ef
	s_mov_b32 s21, 0xbfe62e42
	;; [unrolled: 1-line block ×3, first 2 shown]
	v_cmp_nlt_f64_e64 s17, 0x40900000, v[85:86]
	v_cmp_ngt_f64_e64 s18, 0xc090cc00, v[85:86]
	v_rndne_f64_e32 v[0:1], v[0:1]
	v_fma_f64 v[2:3], v[0:1], s[20:21], v[85:86]
	s_mov_b32 s20, 0x3b39803f
	s_mov_b32 s21, 0xbc7abc9e
	v_cvt_i32_f64_e32 v4, v[0:1]
	v_fma_f64 v[2:3], v[0:1], s[20:21], v[2:3]
	s_mov_b32 s20, 0xfca7ab0c
	s_mov_b32 s21, 0x3e928af3
	v_fma_f64 v[7:8], v[2:3], s[22:23], s[20:21]
	s_mov_b32 s20, 0x623fde64
	s_mov_b32 s21, 0x3ec71dee
	v_fma_f64 v[7:8], v[2:3], v[7:8], s[20:21]
	s_mov_b32 s20, 0x7c89e6b0
	s_mov_b32 s21, 0x3efa0199
	v_fma_f64 v[7:8], v[2:3], v[7:8], s[20:21]
	s_mov_b32 s20, 0x14761f6e
	s_mov_b32 s21, 0x3f2a01a0
	v_fma_f64 v[7:8], v[2:3], v[7:8], s[20:21]
	s_mov_b32 s20, 0x1852b7b0
	s_mov_b32 s21, 0x3f56c16c
	v_fma_f64 v[7:8], v[2:3], v[7:8], s[20:21]
	s_mov_b32 s20, 0x11122322
	s_mov_b32 s21, 0x3f811111
	v_fma_f64 v[7:8], v[2:3], v[7:8], s[20:21]
	s_mov_b32 s20, 0x555502a1
	s_mov_b32 s21, 0x3fa55555
	v_fma_f64 v[7:8], v[2:3], v[7:8], s[20:21]
	s_mov_b32 s20, 0x55555511
	s_mov_b32 s21, 0x3fc55555
	v_fma_f64 v[7:8], v[2:3], v[7:8], s[20:21]
	s_mov_b32 s20, 11
	s_mov_b32 s21, 0x3fe00000
	v_fma_f64 v[7:8], v[2:3], v[7:8], s[20:21]
	v_fma_f64 v[7:8], v[2:3], v[7:8], 1.0
	v_fma_f64 v[0:1], v[2:3], v[7:8], 1.0
	v_ldexp_f64 v[0:1], v[0:1], v4
	v_cndmask_b32_e64 v1, 0x7ff00000, v1, s17
	s_and_b32 s17, s18, s17
	v_cndmask_b32_e64 v0, 0, v0, s17
	v_add_co_u32 v2, s17, 0x800, v9
	v_cndmask_b32_e64 v1, 0, v1, s18
	v_add_co_ci_u32_e64 v3, null, 0, v10, s17
	v_fma_f64 v[0:1], -v[11:12], v[0:1], v[81:82]
	global_store_dwordx2 v[2:3], v[0:1], off offset:1280
	s_or_b32 exec_lo, exec_lo, s19
	s_and_saveexec_b32 s18, s16
	s_cbranch_execz .LBB225_80
.LBB225_113:
	s_mov_b32 s16, 0x652b82fe
	s_mov_b32 s17, 0x3ff71547
	;; [unrolled: 1-line block ×3, first 2 shown]
	v_mul_f64 v[0:1], v[91:92], s[16:17]
	s_mov_b32 s16, 0xfefa39ef
	s_mov_b32 s17, 0xbfe62e42
	;; [unrolled: 1-line block ×3, first 2 shown]
	v_rndne_f64_e32 v[0:1], v[0:1]
	v_fma_f64 v[2:3], v[0:1], s[16:17], v[91:92]
	s_mov_b32 s16, 0x3b39803f
	s_mov_b32 s17, 0xbc7abc9e
	v_cvt_i32_f64_e32 v4, v[0:1]
	v_fma_f64 v[2:3], v[0:1], s[16:17], v[2:3]
	s_mov_b32 s16, 0xfca7ab0c
	s_mov_b32 s17, 0x3e928af3
	v_fma_f64 v[7:8], v[2:3], s[20:21], s[16:17]
	s_mov_b32 s16, 0x623fde64
	s_mov_b32 s17, 0x3ec71dee
	;; [unrolled: 3-line block ×9, first 2 shown]
	v_fma_f64 v[7:8], v[2:3], v[7:8], s[16:17]
	v_cmp_nlt_f64_e64 s16, 0x40900000, v[91:92]
	v_cmp_ngt_f64_e64 s17, 0xc090cc00, v[91:92]
	v_fma_f64 v[7:8], v[2:3], v[7:8], 1.0
	v_fma_f64 v[0:1], v[2:3], v[7:8], 1.0
	v_ldexp_f64 v[0:1], v[0:1], v4
	v_cndmask_b32_e64 v1, 0x7ff00000, v1, s16
	s_and_b32 s16, s17, s16
	v_cndmask_b32_e64 v0, 0, v0, s16
	v_add_co_u32 v2, s16, 0x800, v9
	v_cndmask_b32_e64 v1, 0, v1, s17
	v_add_co_ci_u32_e64 v3, null, 0, v10, s16
	v_fma_f64 v[0:1], -v[11:12], v[0:1], v[77:78]
	global_store_dwordx2 v[2:3], v[0:1], off offset:1536
	s_or_b32 exec_lo, exec_lo, s18
	s_and_saveexec_b32 s17, s15
	s_cbranch_execz .LBB225_81
.LBB225_114:
	s_mov_b32 s18, 0x652b82fe
	s_mov_b32 s19, 0x3ff71547
	;; [unrolled: 1-line block ×3, first 2 shown]
	v_mul_f64 v[0:1], v[87:88], s[18:19]
	s_mov_b32 s18, 0xfefa39ef
	s_mov_b32 s19, 0xbfe62e42
	;; [unrolled: 1-line block ×3, first 2 shown]
	v_cmp_nlt_f64_e64 s15, 0x40900000, v[87:88]
	v_cmp_ngt_f64_e64 s16, 0xc090cc00, v[87:88]
	v_rndne_f64_e32 v[0:1], v[0:1]
	v_fma_f64 v[2:3], v[0:1], s[18:19], v[87:88]
	s_mov_b32 s18, 0x3b39803f
	s_mov_b32 s19, 0xbc7abc9e
	v_cvt_i32_f64_e32 v4, v[0:1]
	v_fma_f64 v[2:3], v[0:1], s[18:19], v[2:3]
	s_mov_b32 s18, 0xfca7ab0c
	s_mov_b32 s19, 0x3e928af3
	v_fma_f64 v[7:8], v[2:3], s[20:21], s[18:19]
	s_mov_b32 s18, 0x623fde64
	s_mov_b32 s19, 0x3ec71dee
	;; [unrolled: 3-line block ×9, first 2 shown]
	v_fma_f64 v[7:8], v[2:3], v[7:8], s[18:19]
	v_fma_f64 v[7:8], v[2:3], v[7:8], 1.0
	v_fma_f64 v[0:1], v[2:3], v[7:8], 1.0
	v_ldexp_f64 v[0:1], v[0:1], v4
	v_cndmask_b32_e64 v1, 0x7ff00000, v1, s15
	s_and_b32 s15, s16, s15
	v_cndmask_b32_e64 v0, 0, v0, s15
	v_add_co_u32 v2, s15, 0x800, v9
	v_cndmask_b32_e64 v1, 0, v1, s16
	v_add_co_ci_u32_e64 v3, null, 0, v10, s15
	v_fma_f64 v[0:1], -v[11:12], v[0:1], v[73:74]
	global_store_dwordx2 v[2:3], v[0:1], off offset:1792
	s_or_b32 exec_lo, exec_lo, s17
	s_and_saveexec_b32 s16, s14
	s_cbranch_execz .LBB225_82
.LBB225_115:
	s_mov_b32 s14, 0x652b82fe
	s_mov_b32 s15, 0x3ff71547
	;; [unrolled: 1-line block ×3, first 2 shown]
	v_mul_f64 v[0:1], v[83:84], s[14:15]
	s_mov_b32 s14, 0xfefa39ef
	s_mov_b32 s15, 0xbfe62e42
	;; [unrolled: 1-line block ×3, first 2 shown]
	v_rndne_f64_e32 v[0:1], v[0:1]
	v_fma_f64 v[2:3], v[0:1], s[14:15], v[83:84]
	s_mov_b32 s14, 0x3b39803f
	s_mov_b32 s15, 0xbc7abc9e
	v_cvt_i32_f64_e32 v4, v[0:1]
	v_fma_f64 v[2:3], v[0:1], s[14:15], v[2:3]
	s_mov_b32 s14, 0xfca7ab0c
	s_mov_b32 s15, 0x3e928af3
	v_fma_f64 v[7:8], v[2:3], s[18:19], s[14:15]
	s_mov_b32 s14, 0x623fde64
	s_mov_b32 s15, 0x3ec71dee
	v_fma_f64 v[7:8], v[2:3], v[7:8], s[14:15]
	s_mov_b32 s14, 0x7c89e6b0
	s_mov_b32 s15, 0x3efa0199
	v_fma_f64 v[7:8], v[2:3], v[7:8], s[14:15]
	s_mov_b32 s14, 0x14761f6e
	s_mov_b32 s15, 0x3f2a01a0
	v_fma_f64 v[7:8], v[2:3], v[7:8], s[14:15]
	s_mov_b32 s14, 0x1852b7b0
	s_mov_b32 s15, 0x3f56c16c
	v_fma_f64 v[7:8], v[2:3], v[7:8], s[14:15]
	s_mov_b32 s14, 0x11122322
	s_mov_b32 s15, 0x3f811111
	v_fma_f64 v[7:8], v[2:3], v[7:8], s[14:15]
	s_mov_b32 s14, 0x555502a1
	s_mov_b32 s15, 0x3fa55555
	v_fma_f64 v[7:8], v[2:3], v[7:8], s[14:15]
	s_mov_b32 s14, 0x55555511
	s_mov_b32 s15, 0x3fc55555
	v_fma_f64 v[7:8], v[2:3], v[7:8], s[14:15]
	s_mov_b32 s14, 11
	s_mov_b32 s15, 0x3fe00000
	v_fma_f64 v[7:8], v[2:3], v[7:8], s[14:15]
	v_cmp_nlt_f64_e64 s14, 0x40900000, v[83:84]
	v_cmp_ngt_f64_e64 s15, 0xc090cc00, v[83:84]
	v_fma_f64 v[7:8], v[2:3], v[7:8], 1.0
	v_fma_f64 v[0:1], v[2:3], v[7:8], 1.0
	v_ldexp_f64 v[0:1], v[0:1], v4
	v_cndmask_b32_e64 v1, 0x7ff00000, v1, s14
	s_and_b32 s14, s15, s14
	v_cndmask_b32_e64 v0, 0, v0, s14
	v_add_co_u32 v2, s14, 0x1000, v9
	v_cndmask_b32_e64 v1, 0, v1, s15
	v_add_co_ci_u32_e64 v3, null, 0, v10, s14
	v_fma_f64 v[0:1], -v[11:12], v[0:1], v[69:70]
	global_store_dwordx2 v[2:3], v[0:1], off
	s_or_b32 exec_lo, exec_lo, s16
	s_and_saveexec_b32 s15, s13
	s_cbranch_execz .LBB225_83
.LBB225_116:
	s_mov_b32 s16, 0x652b82fe
	s_mov_b32 s17, 0x3ff71547
	;; [unrolled: 1-line block ×3, first 2 shown]
	v_mul_f64 v[0:1], v[79:80], s[16:17]
	s_mov_b32 s16, 0xfefa39ef
	s_mov_b32 s17, 0xbfe62e42
	;; [unrolled: 1-line block ×3, first 2 shown]
	v_cmp_nlt_f64_e64 s13, 0x40900000, v[79:80]
	v_cmp_ngt_f64_e64 s14, 0xc090cc00, v[79:80]
	v_rndne_f64_e32 v[0:1], v[0:1]
	v_fma_f64 v[2:3], v[0:1], s[16:17], v[79:80]
	s_mov_b32 s16, 0x3b39803f
	s_mov_b32 s17, 0xbc7abc9e
	v_cvt_i32_f64_e32 v4, v[0:1]
	v_fma_f64 v[2:3], v[0:1], s[16:17], v[2:3]
	s_mov_b32 s16, 0xfca7ab0c
	s_mov_b32 s17, 0x3e928af3
	v_fma_f64 v[7:8], v[2:3], s[18:19], s[16:17]
	s_mov_b32 s16, 0x623fde64
	s_mov_b32 s17, 0x3ec71dee
	;; [unrolled: 3-line block ×9, first 2 shown]
	v_fma_f64 v[7:8], v[2:3], v[7:8], s[16:17]
	v_fma_f64 v[7:8], v[2:3], v[7:8], 1.0
	v_fma_f64 v[0:1], v[2:3], v[7:8], 1.0
	v_ldexp_f64 v[0:1], v[0:1], v4
	v_cndmask_b32_e64 v1, 0x7ff00000, v1, s13
	s_and_b32 s13, s14, s13
	v_cndmask_b32_e64 v0, 0, v0, s13
	v_add_co_u32 v2, s13, 0x1000, v9
	v_cndmask_b32_e64 v1, 0, v1, s14
	v_add_co_ci_u32_e64 v3, null, 0, v10, s13
	v_fma_f64 v[0:1], -v[11:12], v[0:1], v[65:66]
	global_store_dwordx2 v[2:3], v[0:1], off offset:256
	s_or_b32 exec_lo, exec_lo, s15
	s_and_saveexec_b32 s14, s12
	s_cbranch_execz .LBB225_84
.LBB225_117:
	s_mov_b32 s12, 0x652b82fe
	s_mov_b32 s13, 0x3ff71547
	s_mov_b32 s16, 0x6a5dcb37
	v_mul_f64 v[0:1], v[75:76], s[12:13]
	s_mov_b32 s12, 0xfefa39ef
	s_mov_b32 s13, 0xbfe62e42
	s_mov_b32 s17, 0x3e5ade15
	v_rndne_f64_e32 v[0:1], v[0:1]
	v_fma_f64 v[2:3], v[0:1], s[12:13], v[75:76]
	s_mov_b32 s12, 0x3b39803f
	s_mov_b32 s13, 0xbc7abc9e
	v_cvt_i32_f64_e32 v4, v[0:1]
	v_fma_f64 v[2:3], v[0:1], s[12:13], v[2:3]
	s_mov_b32 s12, 0xfca7ab0c
	s_mov_b32 s13, 0x3e928af3
	v_fma_f64 v[7:8], v[2:3], s[16:17], s[12:13]
	s_mov_b32 s12, 0x623fde64
	s_mov_b32 s13, 0x3ec71dee
	v_fma_f64 v[7:8], v[2:3], v[7:8], s[12:13]
	s_mov_b32 s12, 0x7c89e6b0
	s_mov_b32 s13, 0x3efa0199
	v_fma_f64 v[7:8], v[2:3], v[7:8], s[12:13]
	s_mov_b32 s12, 0x14761f6e
	s_mov_b32 s13, 0x3f2a01a0
	v_fma_f64 v[7:8], v[2:3], v[7:8], s[12:13]
	s_mov_b32 s12, 0x1852b7b0
	s_mov_b32 s13, 0x3f56c16c
	v_fma_f64 v[7:8], v[2:3], v[7:8], s[12:13]
	s_mov_b32 s12, 0x11122322
	s_mov_b32 s13, 0x3f811111
	v_fma_f64 v[7:8], v[2:3], v[7:8], s[12:13]
	s_mov_b32 s12, 0x555502a1
	s_mov_b32 s13, 0x3fa55555
	v_fma_f64 v[7:8], v[2:3], v[7:8], s[12:13]
	s_mov_b32 s12, 0x55555511
	s_mov_b32 s13, 0x3fc55555
	v_fma_f64 v[7:8], v[2:3], v[7:8], s[12:13]
	s_mov_b32 s12, 11
	s_mov_b32 s13, 0x3fe00000
	v_fma_f64 v[7:8], v[2:3], v[7:8], s[12:13]
	v_cmp_nlt_f64_e64 s12, 0x40900000, v[75:76]
	v_cmp_ngt_f64_e64 s13, 0xc090cc00, v[75:76]
	v_fma_f64 v[7:8], v[2:3], v[7:8], 1.0
	v_fma_f64 v[0:1], v[2:3], v[7:8], 1.0
	v_ldexp_f64 v[0:1], v[0:1], v4
	v_cndmask_b32_e64 v1, 0x7ff00000, v1, s12
	s_and_b32 s12, s13, s12
	v_cndmask_b32_e64 v0, 0, v0, s12
	v_add_co_u32 v2, s12, 0x1000, v9
	v_cndmask_b32_e64 v1, 0, v1, s13
	v_add_co_ci_u32_e64 v3, null, 0, v10, s12
	v_fma_f64 v[0:1], -v[11:12], v[0:1], v[61:62]
	global_store_dwordx2 v[2:3], v[0:1], off offset:512
	s_or_b32 exec_lo, exec_lo, s14
	s_and_saveexec_b32 s13, s11
	s_cbranch_execz .LBB225_85
.LBB225_118:
	s_mov_b32 s14, 0x652b82fe
	s_mov_b32 s15, 0x3ff71547
	;; [unrolled: 1-line block ×3, first 2 shown]
	v_mul_f64 v[0:1], v[71:72], s[14:15]
	s_mov_b32 s14, 0xfefa39ef
	s_mov_b32 s15, 0xbfe62e42
	;; [unrolled: 1-line block ×3, first 2 shown]
	v_cmp_nlt_f64_e64 s11, 0x40900000, v[71:72]
	v_cmp_ngt_f64_e64 s12, 0xc090cc00, v[71:72]
	v_rndne_f64_e32 v[0:1], v[0:1]
	v_fma_f64 v[2:3], v[0:1], s[14:15], v[71:72]
	s_mov_b32 s14, 0x3b39803f
	s_mov_b32 s15, 0xbc7abc9e
	v_cvt_i32_f64_e32 v4, v[0:1]
	v_fma_f64 v[2:3], v[0:1], s[14:15], v[2:3]
	s_mov_b32 s14, 0xfca7ab0c
	s_mov_b32 s15, 0x3e928af3
	v_fma_f64 v[7:8], v[2:3], s[16:17], s[14:15]
	s_mov_b32 s14, 0x623fde64
	s_mov_b32 s15, 0x3ec71dee
	;; [unrolled: 3-line block ×9, first 2 shown]
	v_fma_f64 v[7:8], v[2:3], v[7:8], s[14:15]
	v_fma_f64 v[7:8], v[2:3], v[7:8], 1.0
	v_fma_f64 v[0:1], v[2:3], v[7:8], 1.0
	v_ldexp_f64 v[0:1], v[0:1], v4
	v_cndmask_b32_e64 v1, 0x7ff00000, v1, s11
	s_and_b32 s11, s12, s11
	v_cndmask_b32_e64 v0, 0, v0, s11
	v_add_co_u32 v2, s11, 0x1000, v9
	v_cndmask_b32_e64 v1, 0, v1, s12
	v_add_co_ci_u32_e64 v3, null, 0, v10, s11
	v_fma_f64 v[0:1], -v[11:12], v[0:1], v[57:58]
	global_store_dwordx2 v[2:3], v[0:1], off offset:768
	s_or_b32 exec_lo, exec_lo, s13
	s_and_saveexec_b32 s12, s10
	s_cbranch_execz .LBB225_86
.LBB225_119:
	s_mov_b32 s10, 0x652b82fe
	s_mov_b32 s11, 0x3ff71547
	;; [unrolled: 1-line block ×3, first 2 shown]
	v_mul_f64 v[0:1], v[67:68], s[10:11]
	s_mov_b32 s10, 0xfefa39ef
	s_mov_b32 s11, 0xbfe62e42
	;; [unrolled: 1-line block ×3, first 2 shown]
	v_rndne_f64_e32 v[0:1], v[0:1]
	v_fma_f64 v[2:3], v[0:1], s[10:11], v[67:68]
	s_mov_b32 s10, 0x3b39803f
	s_mov_b32 s11, 0xbc7abc9e
	v_cvt_i32_f64_e32 v4, v[0:1]
	v_fma_f64 v[2:3], v[0:1], s[10:11], v[2:3]
	s_mov_b32 s10, 0xfca7ab0c
	s_mov_b32 s11, 0x3e928af3
	v_fma_f64 v[7:8], v[2:3], s[14:15], s[10:11]
	s_mov_b32 s10, 0x623fde64
	s_mov_b32 s11, 0x3ec71dee
	;; [unrolled: 3-line block ×9, first 2 shown]
	v_fma_f64 v[7:8], v[2:3], v[7:8], s[10:11]
	v_cmp_nlt_f64_e64 s10, 0x40900000, v[67:68]
	v_cmp_ngt_f64_e64 s11, 0xc090cc00, v[67:68]
	v_fma_f64 v[7:8], v[2:3], v[7:8], 1.0
	v_fma_f64 v[0:1], v[2:3], v[7:8], 1.0
	v_ldexp_f64 v[0:1], v[0:1], v4
	v_cndmask_b32_e64 v1, 0x7ff00000, v1, s10
	s_and_b32 s10, s11, s10
	v_cndmask_b32_e64 v0, 0, v0, s10
	v_add_co_u32 v2, s10, 0x1000, v9
	v_cndmask_b32_e64 v1, 0, v1, s11
	v_add_co_ci_u32_e64 v3, null, 0, v10, s10
	v_fma_f64 v[0:1], -v[11:12], v[0:1], v[53:54]
	global_store_dwordx2 v[2:3], v[0:1], off offset:1024
	s_or_b32 exec_lo, exec_lo, s12
	s_and_saveexec_b32 s11, s9
	s_cbranch_execz .LBB225_87
.LBB225_120:
	s_mov_b32 s12, 0x652b82fe
	s_mov_b32 s13, 0x3ff71547
	;; [unrolled: 1-line block ×3, first 2 shown]
	v_mul_f64 v[0:1], v[49:50], s[12:13]
	s_mov_b32 s12, 0xfefa39ef
	s_mov_b32 s13, 0xbfe62e42
	;; [unrolled: 1-line block ×3, first 2 shown]
	v_cmp_nlt_f64_e64 s9, 0x40900000, v[49:50]
	v_cmp_ngt_f64_e64 s10, 0xc090cc00, v[49:50]
	v_rndne_f64_e32 v[0:1], v[0:1]
	v_fma_f64 v[2:3], v[0:1], s[12:13], v[49:50]
	s_mov_b32 s12, 0x3b39803f
	s_mov_b32 s13, 0xbc7abc9e
	v_cvt_i32_f64_e32 v4, v[0:1]
	v_fma_f64 v[2:3], v[0:1], s[12:13], v[2:3]
	s_mov_b32 s12, 0xfca7ab0c
	s_mov_b32 s13, 0x3e928af3
	v_fma_f64 v[7:8], v[2:3], s[14:15], s[12:13]
	s_mov_b32 s12, 0x623fde64
	s_mov_b32 s13, 0x3ec71dee
	;; [unrolled: 3-line block ×9, first 2 shown]
	v_fma_f64 v[7:8], v[2:3], v[7:8], s[12:13]
	v_fma_f64 v[7:8], v[2:3], v[7:8], 1.0
	v_fma_f64 v[0:1], v[2:3], v[7:8], 1.0
	v_ldexp_f64 v[0:1], v[0:1], v4
	v_cndmask_b32_e64 v1, 0x7ff00000, v1, s9
	s_and_b32 s9, s10, s9
	v_cndmask_b32_e64 v0, 0, v0, s9
	v_add_co_u32 v2, s9, 0x1000, v9
	v_cndmask_b32_e64 v1, 0, v1, s10
	v_add_co_ci_u32_e64 v3, null, 0, v10, s9
	v_fma_f64 v[0:1], -v[11:12], v[0:1], v[63:64]
	global_store_dwordx2 v[2:3], v[0:1], off offset:1280
	s_or_b32 exec_lo, exec_lo, s11
	s_and_saveexec_b32 s10, s8
	s_cbranch_execz .LBB225_88
.LBB225_121:
	s_mov_b32 s8, 0x652b82fe
	s_mov_b32 s9, 0x3ff71547
	;; [unrolled: 1-line block ×3, first 2 shown]
	v_mul_f64 v[0:1], v[59:60], s[8:9]
	s_mov_b32 s8, 0xfefa39ef
	s_mov_b32 s9, 0xbfe62e42
	;; [unrolled: 1-line block ×3, first 2 shown]
	v_rndne_f64_e32 v[0:1], v[0:1]
	v_fma_f64 v[2:3], v[0:1], s[8:9], v[59:60]
	s_mov_b32 s8, 0x3b39803f
	s_mov_b32 s9, 0xbc7abc9e
	v_cvt_i32_f64_e32 v4, v[0:1]
	v_fma_f64 v[2:3], v[0:1], s[8:9], v[2:3]
	s_mov_b32 s8, 0xfca7ab0c
	s_mov_b32 s9, 0x3e928af3
	v_fma_f64 v[7:8], v[2:3], s[12:13], s[8:9]
	s_mov_b32 s8, 0x623fde64
	s_mov_b32 s9, 0x3ec71dee
	;; [unrolled: 3-line block ×9, first 2 shown]
	v_fma_f64 v[7:8], v[2:3], v[7:8], s[8:9]
	v_cmp_nlt_f64_e64 s8, 0x40900000, v[59:60]
	v_cmp_ngt_f64_e64 s9, 0xc090cc00, v[59:60]
	v_fma_f64 v[7:8], v[2:3], v[7:8], 1.0
	v_fma_f64 v[0:1], v[2:3], v[7:8], 1.0
	v_ldexp_f64 v[0:1], v[0:1], v4
	v_cndmask_b32_e64 v1, 0x7ff00000, v1, s8
	s_and_b32 s8, s9, s8
	v_cndmask_b32_e64 v0, 0, v0, s8
	v_add_co_u32 v2, s8, 0x1000, v9
	v_cndmask_b32_e64 v1, 0, v1, s9
	v_add_co_ci_u32_e64 v3, null, 0, v10, s8
	v_fma_f64 v[0:1], -v[11:12], v[0:1], v[45:46]
	global_store_dwordx2 v[2:3], v[0:1], off offset:1536
	s_or_b32 exec_lo, exec_lo, s10
	s_and_saveexec_b32 s9, s7
	s_cbranch_execz .LBB225_89
.LBB225_122:
	s_mov_b32 s10, 0x652b82fe
	s_mov_b32 s11, 0x3ff71547
	;; [unrolled: 1-line block ×3, first 2 shown]
	v_mul_f64 v[0:1], v[41:42], s[10:11]
	s_mov_b32 s10, 0xfefa39ef
	s_mov_b32 s11, 0xbfe62e42
	;; [unrolled: 1-line block ×3, first 2 shown]
	v_cmp_nlt_f64_e64 s7, 0x40900000, v[41:42]
	v_cmp_ngt_f64_e64 s8, 0xc090cc00, v[41:42]
	v_rndne_f64_e32 v[0:1], v[0:1]
	v_fma_f64 v[2:3], v[0:1], s[10:11], v[41:42]
	s_mov_b32 s10, 0x3b39803f
	s_mov_b32 s11, 0xbc7abc9e
	v_cvt_i32_f64_e32 v4, v[0:1]
	v_fma_f64 v[2:3], v[0:1], s[10:11], v[2:3]
	s_mov_b32 s10, 0xfca7ab0c
	s_mov_b32 s11, 0x3e928af3
	v_fma_f64 v[7:8], v[2:3], s[12:13], s[10:11]
	s_mov_b32 s10, 0x623fde64
	s_mov_b32 s11, 0x3ec71dee
	;; [unrolled: 3-line block ×9, first 2 shown]
	v_fma_f64 v[7:8], v[2:3], v[7:8], s[10:11]
	v_fma_f64 v[7:8], v[2:3], v[7:8], 1.0
	v_fma_f64 v[0:1], v[2:3], v[7:8], 1.0
	v_ldexp_f64 v[0:1], v[0:1], v4
	v_cndmask_b32_e64 v1, 0x7ff00000, v1, s7
	s_and_b32 s7, s8, s7
	v_cndmask_b32_e64 v0, 0, v0, s7
	v_add_co_u32 v2, s7, 0x1000, v9
	v_cndmask_b32_e64 v1, 0, v1, s8
	v_add_co_ci_u32_e64 v3, null, 0, v10, s7
	v_fma_f64 v[0:1], -v[11:12], v[0:1], v[55:56]
	global_store_dwordx2 v[2:3], v[0:1], off offset:1792
	s_or_b32 exec_lo, exec_lo, s9
	s_and_saveexec_b32 s8, s6
	s_cbranch_execz .LBB225_90
.LBB225_123:
	s_mov_b32 s6, 0x652b82fe
	s_mov_b32 s7, 0x3ff71547
	;; [unrolled: 1-line block ×3, first 2 shown]
	v_mul_f64 v[0:1], v[51:52], s[6:7]
	s_mov_b32 s6, 0xfefa39ef
	s_mov_b32 s7, 0xbfe62e42
	;; [unrolled: 1-line block ×3, first 2 shown]
	v_rndne_f64_e32 v[0:1], v[0:1]
	v_fma_f64 v[2:3], v[0:1], s[6:7], v[51:52]
	s_mov_b32 s6, 0x3b39803f
	s_mov_b32 s7, 0xbc7abc9e
	v_cvt_i32_f64_e32 v4, v[0:1]
	v_fma_f64 v[2:3], v[0:1], s[6:7], v[2:3]
	s_mov_b32 s6, 0xfca7ab0c
	s_mov_b32 s7, 0x3e928af3
	v_fma_f64 v[7:8], v[2:3], s[10:11], s[6:7]
	s_mov_b32 s6, 0x623fde64
	s_mov_b32 s7, 0x3ec71dee
	;; [unrolled: 3-line block ×9, first 2 shown]
	v_fma_f64 v[7:8], v[2:3], v[7:8], s[6:7]
	v_cmp_nlt_f64_e64 s6, 0x40900000, v[51:52]
	v_cmp_ngt_f64_e64 s7, 0xc090cc00, v[51:52]
	v_fma_f64 v[7:8], v[2:3], v[7:8], 1.0
	v_fma_f64 v[0:1], v[2:3], v[7:8], 1.0
	v_ldexp_f64 v[0:1], v[0:1], v4
	v_cndmask_b32_e64 v1, 0x7ff00000, v1, s6
	s_and_b32 s6, s7, s6
	v_cndmask_b32_e64 v0, 0, v0, s6
	v_add_co_u32 v2, s6, 0x1800, v9
	v_cndmask_b32_e64 v1, 0, v1, s7
	v_add_co_ci_u32_e64 v3, null, 0, v10, s6
	v_fma_f64 v[0:1], -v[11:12], v[0:1], v[37:38]
	global_store_dwordx2 v[2:3], v[0:1], off
	s_or_b32 exec_lo, exec_lo, s8
	s_and_saveexec_b32 s7, s5
	s_cbranch_execz .LBB225_91
.LBB225_124:
	s_mov_b32 s8, 0x652b82fe
	s_mov_b32 s9, 0x3ff71547
	;; [unrolled: 1-line block ×3, first 2 shown]
	v_mul_f64 v[0:1], v[33:34], s[8:9]
	s_mov_b32 s8, 0xfefa39ef
	s_mov_b32 s9, 0xbfe62e42
	;; [unrolled: 1-line block ×3, first 2 shown]
	v_cmp_nlt_f64_e64 s5, 0x40900000, v[33:34]
	v_cmp_ngt_f64_e64 s6, 0xc090cc00, v[33:34]
	v_rndne_f64_e32 v[0:1], v[0:1]
	v_fma_f64 v[2:3], v[0:1], s[8:9], v[33:34]
	s_mov_b32 s8, 0x3b39803f
	s_mov_b32 s9, 0xbc7abc9e
	v_cvt_i32_f64_e32 v4, v[0:1]
	v_fma_f64 v[2:3], v[0:1], s[8:9], v[2:3]
	s_mov_b32 s8, 0xfca7ab0c
	s_mov_b32 s9, 0x3e928af3
	v_fma_f64 v[7:8], v[2:3], s[10:11], s[8:9]
	s_mov_b32 s8, 0x623fde64
	s_mov_b32 s9, 0x3ec71dee
	;; [unrolled: 3-line block ×9, first 2 shown]
	v_fma_f64 v[7:8], v[2:3], v[7:8], s[8:9]
	v_fma_f64 v[7:8], v[2:3], v[7:8], 1.0
	v_fma_f64 v[0:1], v[2:3], v[7:8], 1.0
	v_ldexp_f64 v[0:1], v[0:1], v4
	v_cndmask_b32_e64 v1, 0x7ff00000, v1, s5
	s_and_b32 s5, s6, s5
	v_cndmask_b32_e64 v0, 0, v0, s5
	v_add_co_u32 v2, s5, 0x1800, v9
	v_cndmask_b32_e64 v1, 0, v1, s6
	v_add_co_ci_u32_e64 v3, null, 0, v10, s5
	v_fma_f64 v[0:1], -v[11:12], v[0:1], v[47:48]
	global_store_dwordx2 v[2:3], v[0:1], off offset:256
	s_or_b32 exec_lo, exec_lo, s7
	s_and_saveexec_b32 s6, s4
	s_cbranch_execz .LBB225_92
.LBB225_125:
	s_mov_b32 s4, 0x652b82fe
	s_mov_b32 s5, 0x3ff71547
	;; [unrolled: 1-line block ×3, first 2 shown]
	v_mul_f64 v[0:1], v[29:30], s[4:5]
	s_mov_b32 s4, 0xfefa39ef
	s_mov_b32 s5, 0xbfe62e42
	;; [unrolled: 1-line block ×3, first 2 shown]
	v_rndne_f64_e32 v[0:1], v[0:1]
	v_fma_f64 v[2:3], v[0:1], s[4:5], v[29:30]
	s_mov_b32 s4, 0x3b39803f
	s_mov_b32 s5, 0xbc7abc9e
	v_cvt_i32_f64_e32 v4, v[0:1]
	v_fma_f64 v[2:3], v[0:1], s[4:5], v[2:3]
	s_mov_b32 s4, 0xfca7ab0c
	s_mov_b32 s5, 0x3e928af3
	v_fma_f64 v[7:8], v[2:3], s[8:9], s[4:5]
	s_mov_b32 s4, 0x623fde64
	s_mov_b32 s5, 0x3ec71dee
	;; [unrolled: 3-line block ×9, first 2 shown]
	v_fma_f64 v[7:8], v[2:3], v[7:8], s[4:5]
	v_cmp_nlt_f64_e64 s4, 0x40900000, v[29:30]
	v_cmp_ngt_f64_e64 s5, 0xc090cc00, v[29:30]
	v_fma_f64 v[7:8], v[2:3], v[7:8], 1.0
	v_fma_f64 v[0:1], v[2:3], v[7:8], 1.0
	v_ldexp_f64 v[0:1], v[0:1], v4
	v_cndmask_b32_e64 v1, 0x7ff00000, v1, s4
	s_and_b32 s4, s5, s4
	v_cndmask_b32_e64 v0, 0, v0, s4
	v_add_co_u32 v2, s4, 0x1800, v9
	v_cndmask_b32_e64 v1, 0, v1, s5
	v_add_co_ci_u32_e64 v3, null, 0, v10, s4
	v_fma_f64 v[0:1], -v[11:12], v[0:1], v[43:44]
	global_store_dwordx2 v[2:3], v[0:1], off offset:512
	s_or_b32 exec_lo, exec_lo, s6
	s_and_saveexec_b32 s5, s3
	s_cbranch_execz .LBB225_93
.LBB225_126:
	s_mov_b32 s6, 0x652b82fe
	s_mov_b32 s7, 0x3ff71547
	;; [unrolled: 1-line block ×3, first 2 shown]
	v_mul_f64 v[0:1], v[25:26], s[6:7]
	s_mov_b32 s6, 0xfefa39ef
	s_mov_b32 s7, 0xbfe62e42
	;; [unrolled: 1-line block ×3, first 2 shown]
	v_cmp_nlt_f64_e64 s3, 0x40900000, v[25:26]
	v_cmp_ngt_f64_e64 s4, 0xc090cc00, v[25:26]
	v_rndne_f64_e32 v[0:1], v[0:1]
	v_fma_f64 v[2:3], v[0:1], s[6:7], v[25:26]
	s_mov_b32 s6, 0x3b39803f
	s_mov_b32 s7, 0xbc7abc9e
	v_cvt_i32_f64_e32 v4, v[0:1]
	v_fma_f64 v[2:3], v[0:1], s[6:7], v[2:3]
	s_mov_b32 s6, 0xfca7ab0c
	s_mov_b32 s7, 0x3e928af3
	v_fma_f64 v[7:8], v[2:3], s[8:9], s[6:7]
	s_mov_b32 s6, 0x623fde64
	s_mov_b32 s7, 0x3ec71dee
	;; [unrolled: 3-line block ×9, first 2 shown]
	v_fma_f64 v[7:8], v[2:3], v[7:8], s[6:7]
	v_fma_f64 v[7:8], v[2:3], v[7:8], 1.0
	v_fma_f64 v[0:1], v[2:3], v[7:8], 1.0
	v_ldexp_f64 v[0:1], v[0:1], v4
	v_cndmask_b32_e64 v1, 0x7ff00000, v1, s3
	s_and_b32 s3, s4, s3
	v_cndmask_b32_e64 v0, 0, v0, s3
	v_add_co_u32 v2, s3, 0x1800, v9
	v_cndmask_b32_e64 v1, 0, v1, s4
	v_add_co_ci_u32_e64 v3, null, 0, v10, s3
	v_fma_f64 v[0:1], -v[11:12], v[0:1], v[39:40]
	global_store_dwordx2 v[2:3], v[0:1], off offset:768
	s_or_b32 exec_lo, exec_lo, s5
	s_and_saveexec_b32 s4, s2
	s_cbranch_execz .LBB225_94
.LBB225_127:
	s_mov_b32 s2, 0x652b82fe
	s_mov_b32 s3, 0x3ff71547
	s_mov_b32 s6, 0x6a5dcb37
	v_mul_f64 v[0:1], v[21:22], s[2:3]
	s_mov_b32 s2, 0xfefa39ef
	s_mov_b32 s3, 0xbfe62e42
	;; [unrolled: 1-line block ×3, first 2 shown]
	v_rndne_f64_e32 v[0:1], v[0:1]
	v_fma_f64 v[2:3], v[0:1], s[2:3], v[21:22]
	s_mov_b32 s2, 0x3b39803f
	s_mov_b32 s3, 0xbc7abc9e
	v_cvt_i32_f64_e32 v4, v[0:1]
	v_fma_f64 v[2:3], v[0:1], s[2:3], v[2:3]
	s_mov_b32 s2, 0xfca7ab0c
	s_mov_b32 s3, 0x3e928af3
	v_fma_f64 v[7:8], v[2:3], s[6:7], s[2:3]
	s_mov_b32 s2, 0x623fde64
	s_mov_b32 s3, 0x3ec71dee
	;; [unrolled: 3-line block ×9, first 2 shown]
	v_fma_f64 v[7:8], v[2:3], v[7:8], s[2:3]
	v_cmp_nlt_f64_e64 s2, 0x40900000, v[21:22]
	v_cmp_ngt_f64_e64 s3, 0xc090cc00, v[21:22]
	v_fma_f64 v[7:8], v[2:3], v[7:8], 1.0
	v_fma_f64 v[0:1], v[2:3], v[7:8], 1.0
	v_ldexp_f64 v[0:1], v[0:1], v4
	v_cndmask_b32_e64 v1, 0x7ff00000, v1, s2
	s_and_b32 s2, s3, s2
	v_cndmask_b32_e64 v0, 0, v0, s2
	v_add_co_u32 v2, s2, 0x1800, v9
	v_cndmask_b32_e64 v1, 0, v1, s3
	v_add_co_ci_u32_e64 v3, null, 0, v10, s2
	v_fma_f64 v[0:1], -v[11:12], v[0:1], v[35:36]
	global_store_dwordx2 v[2:3], v[0:1], off offset:1024
	s_or_b32 exec_lo, exec_lo, s4
	s_and_saveexec_b32 s3, s1
	s_cbranch_execz .LBB225_95
.LBB225_128:
	s_mov_b32 s4, 0x652b82fe
	s_mov_b32 s5, 0x3ff71547
	;; [unrolled: 1-line block ×3, first 2 shown]
	v_mul_f64 v[0:1], v[17:18], s[4:5]
	s_mov_b32 s4, 0xfefa39ef
	s_mov_b32 s5, 0xbfe62e42
	;; [unrolled: 1-line block ×3, first 2 shown]
	v_cmp_nlt_f64_e64 s1, 0x40900000, v[17:18]
	v_cmp_ngt_f64_e64 s2, 0xc090cc00, v[17:18]
	v_rndne_f64_e32 v[0:1], v[0:1]
	v_fma_f64 v[2:3], v[0:1], s[4:5], v[17:18]
	s_mov_b32 s4, 0x3b39803f
	s_mov_b32 s5, 0xbc7abc9e
	v_cvt_i32_f64_e32 v4, v[0:1]
	v_fma_f64 v[2:3], v[0:1], s[4:5], v[2:3]
	s_mov_b32 s4, 0xfca7ab0c
	s_mov_b32 s5, 0x3e928af3
	v_fma_f64 v[7:8], v[2:3], s[6:7], s[4:5]
	s_mov_b32 s4, 0x623fde64
	s_mov_b32 s5, 0x3ec71dee
	;; [unrolled: 3-line block ×9, first 2 shown]
	v_fma_f64 v[7:8], v[2:3], v[7:8], s[4:5]
	v_fma_f64 v[7:8], v[2:3], v[7:8], 1.0
	v_fma_f64 v[0:1], v[2:3], v[7:8], 1.0
	v_ldexp_f64 v[0:1], v[0:1], v4
	v_cndmask_b32_e64 v1, 0x7ff00000, v1, s1
	s_and_b32 s1, s2, s1
	v_cndmask_b32_e64 v0, 0, v0, s1
	v_add_co_u32 v2, s1, 0x1800, v9
	v_cndmask_b32_e64 v1, 0, v1, s2
	v_add_co_ci_u32_e64 v3, null, 0, v10, s1
	v_fma_f64 v[0:1], -v[11:12], v[0:1], v[31:32]
	global_store_dwordx2 v[2:3], v[0:1], off offset:1280
	s_or_b32 exec_lo, exec_lo, s3
	s_and_saveexec_b32 s2, s0
	s_cbranch_execz .LBB225_96
.LBB225_129:
	s_mov_b32 s0, 0x652b82fe
	s_mov_b32 s1, 0x3ff71547
	;; [unrolled: 1-line block ×3, first 2 shown]
	v_mul_f64 v[0:1], v[13:14], s[0:1]
	s_mov_b32 s0, 0xfefa39ef
	s_mov_b32 s1, 0xbfe62e42
	;; [unrolled: 1-line block ×3, first 2 shown]
	v_rndne_f64_e32 v[0:1], v[0:1]
	v_fma_f64 v[2:3], v[0:1], s[0:1], v[13:14]
	s_mov_b32 s0, 0x3b39803f
	s_mov_b32 s1, 0xbc7abc9e
	v_cvt_i32_f64_e32 v4, v[0:1]
	v_fma_f64 v[2:3], v[0:1], s[0:1], v[2:3]
	s_mov_b32 s0, 0xfca7ab0c
	s_mov_b32 s1, 0x3e928af3
	v_fma_f64 v[7:8], v[2:3], s[4:5], s[0:1]
	s_mov_b32 s0, 0x623fde64
	s_mov_b32 s1, 0x3ec71dee
	;; [unrolled: 3-line block ×9, first 2 shown]
	v_fma_f64 v[7:8], v[2:3], v[7:8], s[0:1]
	v_cmp_nlt_f64_e64 s0, 0x40900000, v[13:14]
	v_cmp_ngt_f64_e64 s1, 0xc090cc00, v[13:14]
	v_fma_f64 v[7:8], v[2:3], v[7:8], 1.0
	v_fma_f64 v[0:1], v[2:3], v[7:8], 1.0
	v_ldexp_f64 v[0:1], v[0:1], v4
	v_cndmask_b32_e64 v1, 0x7ff00000, v1, s0
	s_and_b32 s0, s1, s0
	v_cndmask_b32_e64 v0, 0, v0, s0
	v_add_co_u32 v2, s0, 0x1800, v9
	v_cndmask_b32_e64 v1, 0, v1, s1
	v_add_co_ci_u32_e64 v3, null, 0, v10, s0
	v_fma_f64 v[0:1], -v[11:12], v[0:1], v[27:28]
	global_store_dwordx2 v[2:3], v[0:1], off offset:1536
	s_or_b32 exec_lo, exec_lo, s2
	s_and_b32 exec_lo, exec_lo, vcc_lo
	s_cbranch_execnz .LBB225_97
	s_branch .LBB225_98
	.section	.rodata,"a",@progbits
	.p2align	6, 0x0
	.amdhsa_kernel _ZN12_GLOBAL__N_121softmax_warp_backwardIdddLi10ELb1ELb0ELi32EEEvPT0_PKT_S5_iiiPKb
		.amdhsa_group_segment_fixed_size 0
		.amdhsa_private_segment_fixed_size 52
		.amdhsa_kernarg_size 304
		.amdhsa_user_sgpr_count 6
		.amdhsa_user_sgpr_private_segment_buffer 1
		.amdhsa_user_sgpr_dispatch_ptr 0
		.amdhsa_user_sgpr_queue_ptr 0
		.amdhsa_user_sgpr_kernarg_segment_ptr 1
		.amdhsa_user_sgpr_dispatch_id 0
		.amdhsa_user_sgpr_flat_scratch_init 0
		.amdhsa_user_sgpr_private_segment_size 0
		.amdhsa_wavefront_size32 1
		.amdhsa_uses_dynamic_stack 0
		.amdhsa_system_sgpr_private_segment_wavefront_offset 1
		.amdhsa_system_sgpr_workgroup_id_x 1
		.amdhsa_system_sgpr_workgroup_id_y 0
		.amdhsa_system_sgpr_workgroup_id_z 0
		.amdhsa_system_sgpr_workgroup_info 0
		.amdhsa_system_vgpr_workitem_id 1
		.amdhsa_next_free_vgpr 128
		.amdhsa_next_free_sgpr 48
		.amdhsa_reserve_vcc 1
		.amdhsa_reserve_flat_scratch 0
		.amdhsa_float_round_mode_32 0
		.amdhsa_float_round_mode_16_64 0
		.amdhsa_float_denorm_mode_32 3
		.amdhsa_float_denorm_mode_16_64 3
		.amdhsa_dx10_clamp 1
		.amdhsa_ieee_mode 1
		.amdhsa_fp16_overflow 0
		.amdhsa_workgroup_processor_mode 1
		.amdhsa_memory_ordered 1
		.amdhsa_forward_progress 1
		.amdhsa_shared_vgpr_count 0
		.amdhsa_exception_fp_ieee_invalid_op 0
		.amdhsa_exception_fp_denorm_src 0
		.amdhsa_exception_fp_ieee_div_zero 0
		.amdhsa_exception_fp_ieee_overflow 0
		.amdhsa_exception_fp_ieee_underflow 0
		.amdhsa_exception_fp_ieee_inexact 0
		.amdhsa_exception_int_div_zero 0
	.end_amdhsa_kernel
	.section	.text._ZN12_GLOBAL__N_121softmax_warp_backwardIdddLi10ELb1ELb0ELi32EEEvPT0_PKT_S5_iiiPKb,"axG",@progbits,_ZN12_GLOBAL__N_121softmax_warp_backwardIdddLi10ELb1ELb0ELi32EEEvPT0_PKT_S5_iiiPKb,comdat
.Lfunc_end225:
	.size	_ZN12_GLOBAL__N_121softmax_warp_backwardIdddLi10ELb1ELb0ELi32EEEvPT0_PKT_S5_iiiPKb, .Lfunc_end225-_ZN12_GLOBAL__N_121softmax_warp_backwardIdddLi10ELb1ELb0ELi32EEEvPT0_PKT_S5_iiiPKb
                                        ; -- End function
	.set _ZN12_GLOBAL__N_121softmax_warp_backwardIdddLi10ELb1ELb0ELi32EEEvPT0_PKT_S5_iiiPKb.num_vgpr, 128
	.set _ZN12_GLOBAL__N_121softmax_warp_backwardIdddLi10ELb1ELb0ELi32EEEvPT0_PKT_S5_iiiPKb.num_agpr, 0
	.set _ZN12_GLOBAL__N_121softmax_warp_backwardIdddLi10ELb1ELb0ELi32EEEvPT0_PKT_S5_iiiPKb.numbered_sgpr, 48
	.set _ZN12_GLOBAL__N_121softmax_warp_backwardIdddLi10ELb1ELb0ELi32EEEvPT0_PKT_S5_iiiPKb.num_named_barrier, 0
	.set _ZN12_GLOBAL__N_121softmax_warp_backwardIdddLi10ELb1ELb0ELi32EEEvPT0_PKT_S5_iiiPKb.private_seg_size, 52
	.set _ZN12_GLOBAL__N_121softmax_warp_backwardIdddLi10ELb1ELb0ELi32EEEvPT0_PKT_S5_iiiPKb.uses_vcc, 1
	.set _ZN12_GLOBAL__N_121softmax_warp_backwardIdddLi10ELb1ELb0ELi32EEEvPT0_PKT_S5_iiiPKb.uses_flat_scratch, 0
	.set _ZN12_GLOBAL__N_121softmax_warp_backwardIdddLi10ELb1ELb0ELi32EEEvPT0_PKT_S5_iiiPKb.has_dyn_sized_stack, 0
	.set _ZN12_GLOBAL__N_121softmax_warp_backwardIdddLi10ELb1ELb0ELi32EEEvPT0_PKT_S5_iiiPKb.has_recursion, 0
	.set _ZN12_GLOBAL__N_121softmax_warp_backwardIdddLi10ELb1ELb0ELi32EEEvPT0_PKT_S5_iiiPKb.has_indirect_call, 0
	.section	.AMDGPU.csdata,"",@progbits
; Kernel info:
; codeLenInByte = 19132
; TotalNumSgprs: 50
; NumVgprs: 128
; ScratchSize: 52
; MemoryBound: 0
; FloatMode: 240
; IeeeMode: 1
; LDSByteSize: 0 bytes/workgroup (compile time only)
; SGPRBlocks: 0
; VGPRBlocks: 15
; NumSGPRsForWavesPerEU: 50
; NumVGPRsForWavesPerEU: 128
; Occupancy: 8
; WaveLimiterHint : 0
; COMPUTE_PGM_RSRC2:SCRATCH_EN: 1
; COMPUTE_PGM_RSRC2:USER_SGPR: 6
; COMPUTE_PGM_RSRC2:TRAP_HANDLER: 0
; COMPUTE_PGM_RSRC2:TGID_X_EN: 1
; COMPUTE_PGM_RSRC2:TGID_Y_EN: 0
; COMPUTE_PGM_RSRC2:TGID_Z_EN: 0
; COMPUTE_PGM_RSRC2:TIDIG_COMP_CNT: 1
	.section	.text._ZN2at6native12_GLOBAL__N_124cunn_SoftMaxBackwardSmemILi2EdddNS1_26LogSoftMaxBackwardEpilogueEEEvPT0_PKT2_S8_l,"axG",@progbits,_ZN2at6native12_GLOBAL__N_124cunn_SoftMaxBackwardSmemILi2EdddNS1_26LogSoftMaxBackwardEpilogueEEEvPT0_PKT2_S8_l,comdat
	.globl	_ZN2at6native12_GLOBAL__N_124cunn_SoftMaxBackwardSmemILi2EdddNS1_26LogSoftMaxBackwardEpilogueEEEvPT0_PKT2_S8_l ; -- Begin function _ZN2at6native12_GLOBAL__N_124cunn_SoftMaxBackwardSmemILi2EdddNS1_26LogSoftMaxBackwardEpilogueEEEvPT0_PKT2_S8_l
	.p2align	8
	.type	_ZN2at6native12_GLOBAL__N_124cunn_SoftMaxBackwardSmemILi2EdddNS1_26LogSoftMaxBackwardEpilogueEEEvPT0_PKT2_S8_l,@function
_ZN2at6native12_GLOBAL__N_124cunn_SoftMaxBackwardSmemILi2EdddNS1_26LogSoftMaxBackwardEpilogueEEEvPT0_PKT2_S8_l: ; @_ZN2at6native12_GLOBAL__N_124cunn_SoftMaxBackwardSmemILi2EdddNS1_26LogSoftMaxBackwardEpilogueEEEvPT0_PKT2_S8_l
; %bb.0:
	s_load_dwordx8 s[8:15], s[4:5], 0x0
	v_mov_b32_e32 v2, 0
	v_lshlrev_b32_e32 v1, 1, v0
	v_lshl_add_u32 v7, v0, 4, 0
	s_waitcnt lgkmcnt(0)
	v_cmp_gt_i64_e32 vcc_lo, s[14:15], v[1:2]
	v_mov_b32_e32 v1, 0
	v_mov_b32_e32 v2, 0
	s_mul_i32 s0, s15, s6
	s_mul_hi_u32 s1, s14, s6
	s_mul_i32 s2, s14, s6
	s_add_i32 s3, s1, s0
	s_and_saveexec_b32 s1, vcc_lo
	s_cbranch_execz .LBB226_4
; %bb.1:
	s_load_dword s0, s[4:5], 0x2c
	s_lshl_b64 s[6:7], s[2:3], 3
	v_mov_b32_e32 v1, 0
	s_add_u32 s6, s12, s6
	s_addc_u32 s7, s13, s7
	v_lshl_add_u32 v8, v0, 4, 0
	v_mov_b32_e32 v2, 0
	v_mov_b32_e32 v5, v0
	s_mov_b32 s13, 0
	s_waitcnt lgkmcnt(0)
	s_and_b32 s12, s0, 0xffff
	v_add_lshl_u32 v3, v0, s12, 1
	s_lshl_b32 s16, s12, 1
	s_lshl_b32 s17, s12, 4
	.p2align	6
.LBB226_2:                              ; =>This Inner Loop Header: Depth=1
	v_ashrrev_i32_e32 v6, 31, v5
	v_ashrrev_i32_e32 v4, 31, v3
	v_lshlrev_b64 v[9:10], 4, v[5:6]
	v_add_nc_u32_e32 v5, s12, v5
	v_add_co_u32 v9, s0, s6, v9
	v_add_co_ci_u32_e64 v10, null, s7, v10, s0
	v_cmp_le_i64_e64 s0, s[14:15], v[3:4]
	v_add_nc_u32_e32 v3, s16, v3
	global_load_dwordx4 v[9:12], v[9:10], off
	s_or_b32 s13, s0, s13
	s_waitcnt vmcnt(0)
	v_add_f64 v[1:2], v[1:2], v[9:10]
	ds_write_b128 v8, v[9:12]
	v_add_nc_u32_e32 v8, s17, v8
	v_add_f64 v[1:2], v[1:2], v[11:12]
	s_andn2_b32 exec_lo, exec_lo, s13
	s_cbranch_execnz .LBB226_2
; %bb.3:
	s_or_b32 exec_lo, exec_lo, s13
.LBB226_4:
	s_or_b32 exec_lo, exec_lo, s1
	v_mbcnt_lo_u32_b32 v10, -1, 0
	v_and_b32_e32 v11, 31, v0
	s_lshl_b32 s1, s14, 3
	s_mov_b32 s6, exec_lo
	s_add_i32 s1, s1, 0
	v_lshl_or_b32 v5, v10, 2, 64
	v_cmp_gt_u32_e64 s0, 24, v10
	s_waitcnt lgkmcnt(0)
	s_barrier
	buffer_gl0_inv
	ds_bpermute_b32 v3, v5, v1
	ds_bpermute_b32 v4, v5, v2
	s_waitcnt lgkmcnt(0)
	v_add_f64 v[1:2], v[1:2], v[3:4]
	v_cndmask_b32_e64 v3, 0, 8, s0
	v_cmp_gt_u32_e64 s0, 28, v10
	v_add_lshl_u32 v6, v3, v10, 2
	ds_bpermute_b32 v3, v6, v1
	ds_bpermute_b32 v4, v6, v2
	s_waitcnt lgkmcnt(0)
	v_add_f64 v[1:2], v[1:2], v[3:4]
	v_cndmask_b32_e64 v3, 0, 4, s0
	v_cmp_gt_u32_e64 s0, 30, v10
	v_add_lshl_u32 v8, v3, v10, 2
	ds_bpermute_b32 v3, v8, v1
	ds_bpermute_b32 v4, v8, v2
	s_waitcnt lgkmcnt(0)
	v_add_f64 v[1:2], v[1:2], v[3:4]
	v_cndmask_b32_e64 v3, 0, 2, s0
	v_cmp_ne_u32_e64 s0, 31, v10
	v_add_lshl_u32 v9, v3, v10, 2
	ds_bpermute_b32 v3, v9, v1
	ds_bpermute_b32 v4, v9, v2
	s_waitcnt lgkmcnt(0)
	v_add_f64 v[1:2], v[1:2], v[3:4]
	v_add_co_ci_u32_e64 v3, null, 0, v10, s0
	v_lshlrev_b32_e32 v10, 2, v3
	ds_bpermute_b32 v3, v10, v1
	ds_bpermute_b32 v4, v10, v2
	v_cmpx_eq_u32_e32 0, v11
	s_cbranch_execz .LBB226_6
; %bb.5:
	s_waitcnt lgkmcnt(0)
	v_add_f64 v[1:2], v[1:2], v[3:4]
	v_lshrrev_b32_e32 v3, 2, v0
	v_add_nc_u32_e32 v3, s1, v3
	ds_write_b64 v3, v[1:2]
.LBB226_6:
	s_or_b32 exec_lo, exec_lo, s6
	s_waitcnt lgkmcnt(0)
	s_barrier
	buffer_gl0_inv
	s_load_dword s4, s[4:5], 0x2c
	v_mov_b32_e32 v1, 0
	v_mov_b32_e32 v2, 0
	s_mov_b32 s5, exec_lo
	s_waitcnt lgkmcnt(0)
	s_bfe_u32 s0, s4, 0xb0005
	v_cmpx_gt_u32_e64 s0, v0
; %bb.7:
	v_lshl_add_u32 v1, v11, 3, s1
	ds_read_b64 v[1:2], v1
; %bb.8:
	s_or_b32 exec_lo, exec_lo, s5
	s_mov_b32 s5, exec_lo
	v_cmpx_gt_u32_e32 32, v0
	s_cbranch_execz .LBB226_10
; %bb.9:
	s_waitcnt lgkmcnt(0)
	ds_bpermute_b32 v3, v5, v1
	ds_bpermute_b32 v4, v5, v2
	s_waitcnt lgkmcnt(0)
	v_add_f64 v[1:2], v[1:2], v[3:4]
	ds_bpermute_b32 v3, v6, v1
	ds_bpermute_b32 v4, v6, v2
	s_waitcnt lgkmcnt(0)
	v_add_f64 v[1:2], v[1:2], v[3:4]
	;; [unrolled: 4-line block ×5, first 2 shown]
.LBB226_10:
	s_or_b32 exec_lo, exec_lo, s5
	s_mov_b32 s5, exec_lo
	v_cmpx_eq_u32_e32 0, v0
	s_cbranch_execz .LBB226_12
; %bb.11:
	v_mov_b32_e32 v3, s1
	s_waitcnt lgkmcnt(0)
	ds_write_b64 v3, v[1:2]
.LBB226_12:
	s_or_b32 exec_lo, exec_lo, s5
	s_waitcnt lgkmcnt(0)
	s_barrier
	buffer_gl0_inv
	s_and_saveexec_b32 s0, vcc_lo
	s_cbranch_execz .LBB226_15
; %bb.13:
	v_mov_b32_e32 v1, s1
	s_lshl_b64 s[0:1], s[2:3], 3
	s_and_b32 s3, 0xffff, s4
	s_add_u32 s33, s8, s0
	s_addc_u32 s34, s9, s1
	ds_read_b64 v[2:3], v1
	v_add_lshl_u32 v4, v0, s3, 1
	s_add_u32 s35, s10, s0
	s_addc_u32 s36, s11, s1
	s_mov_b32 s4, 0x652b82fe
	s_mov_b32 s6, 0xfefa39ef
	;; [unrolled: 1-line block ×13, first 2 shown]
	s_lshl_b32 s37, s3, 1
	s_mov_b32 s38, 0
	s_lshl_b32 s39, s3, 4
	s_mov_b32 s5, 0x3ff71547
	s_mov_b32 s7, 0xbfe62e42
	;; [unrolled: 1-line block ×13, first 2 shown]
.LBB226_14:                             ; =>This Inner Loop Header: Depth=1
	v_ashrrev_i32_e32 v1, 31, v0
	v_lshlrev_b64 v[12:13], 4, v[0:1]
	v_add_nc_u32_e32 v0, s3, v0
	v_add_co_u32 v5, vcc_lo, s35, v12
	v_add_co_ci_u32_e64 v6, null, s36, v13, vcc_lo
	global_load_dwordx4 v[8:11], v[5:6], off
	s_waitcnt vmcnt(0)
	v_mul_f64 v[5:6], v[8:9], s[4:5]
	v_mul_f64 v[14:15], v[10:11], s[4:5]
	v_cmp_nlt_f64_e32 vcc_lo, 0x40900000, v[10:11]
	v_cmp_nlt_f64_e64 s0, 0x40900000, v[8:9]
	v_cmp_ngt_f64_e64 s1, 0xc090cc00, v[8:9]
	v_cmp_ngt_f64_e64 s2, 0xc090cc00, v[10:11]
	v_rndne_f64_e32 v[5:6], v[5:6]
	v_rndne_f64_e32 v[14:15], v[14:15]
	v_fma_f64 v[16:17], v[5:6], s[6:7], v[8:9]
	v_fma_f64 v[18:19], v[14:15], s[6:7], v[10:11]
	v_cvt_i32_f64_e32 v1, v[5:6]
	v_cvt_i32_f64_e32 v24, v[14:15]
	ds_read_b128 v[8:11], v7
	v_add_nc_u32_e32 v7, s39, v7
	v_fma_f64 v[16:17], v[5:6], s[8:9], v[16:17]
	v_fma_f64 v[18:19], v[14:15], s[8:9], v[18:19]
	;; [unrolled: 1-line block ×20, first 2 shown]
	v_fma_f64 v[20:21], v[16:17], v[20:21], 1.0
	v_fma_f64 v[22:23], v[18:19], v[22:23], 1.0
	;; [unrolled: 1-line block ×4, first 2 shown]
	v_ldexp_f64 v[5:6], v[5:6], v1
	v_ldexp_f64 v[14:15], v[14:15], v24
	v_cndmask_b32_e64 v1, 0x7ff00000, v6, s0
	v_cndmask_b32_e32 v15, 0x7ff00000, v15, vcc_lo
	s_and_b32 s0, s1, s0
	s_and_b32 vcc_lo, s2, vcc_lo
	v_cndmask_b32_e64 v5, 0, v5, s0
	v_cndmask_b32_e64 v6, 0, v1, s1
	v_cndmask_b32_e64 v15, 0, v15, s2
	v_cndmask_b32_e32 v14, 0, v14, vcc_lo
	s_waitcnt lgkmcnt(0)
	v_fma_f64 v[8:9], -v[2:3], v[5:6], v[8:9]
	v_ashrrev_i32_e32 v5, 31, v4
	v_fma_f64 v[10:11], -v[2:3], v[14:15], v[10:11]
	v_cmp_le_i64_e32 vcc_lo, s[14:15], v[4:5]
	v_add_co_u32 v5, s0, s33, v12
	v_add_co_ci_u32_e64 v6, null, s34, v13, s0
	v_add_nc_u32_e32 v4, s37, v4
	s_or_b32 s38, vcc_lo, s38
	global_store_dwordx4 v[5:6], v[8:11], off
	s_andn2_b32 exec_lo, exec_lo, s38
	s_cbranch_execnz .LBB226_14
.LBB226_15:
	s_endpgm
	.section	.rodata,"a",@progbits
	.p2align	6, 0x0
	.amdhsa_kernel _ZN2at6native12_GLOBAL__N_124cunn_SoftMaxBackwardSmemILi2EdddNS1_26LogSoftMaxBackwardEpilogueEEEvPT0_PKT2_S8_l
		.amdhsa_group_segment_fixed_size 0
		.amdhsa_private_segment_fixed_size 0
		.amdhsa_kernarg_size 288
		.amdhsa_user_sgpr_count 6
		.amdhsa_user_sgpr_private_segment_buffer 1
		.amdhsa_user_sgpr_dispatch_ptr 0
		.amdhsa_user_sgpr_queue_ptr 0
		.amdhsa_user_sgpr_kernarg_segment_ptr 1
		.amdhsa_user_sgpr_dispatch_id 0
		.amdhsa_user_sgpr_flat_scratch_init 0
		.amdhsa_user_sgpr_private_segment_size 0
		.amdhsa_wavefront_size32 1
		.amdhsa_uses_dynamic_stack 0
		.amdhsa_system_sgpr_private_segment_wavefront_offset 0
		.amdhsa_system_sgpr_workgroup_id_x 1
		.amdhsa_system_sgpr_workgroup_id_y 0
		.amdhsa_system_sgpr_workgroup_id_z 0
		.amdhsa_system_sgpr_workgroup_info 0
		.amdhsa_system_vgpr_workitem_id 0
		.amdhsa_next_free_vgpr 25
		.amdhsa_next_free_sgpr 40
		.amdhsa_reserve_vcc 1
		.amdhsa_reserve_flat_scratch 0
		.amdhsa_float_round_mode_32 0
		.amdhsa_float_round_mode_16_64 0
		.amdhsa_float_denorm_mode_32 3
		.amdhsa_float_denorm_mode_16_64 3
		.amdhsa_dx10_clamp 1
		.amdhsa_ieee_mode 1
		.amdhsa_fp16_overflow 0
		.amdhsa_workgroup_processor_mode 1
		.amdhsa_memory_ordered 1
		.amdhsa_forward_progress 1
		.amdhsa_shared_vgpr_count 0
		.amdhsa_exception_fp_ieee_invalid_op 0
		.amdhsa_exception_fp_denorm_src 0
		.amdhsa_exception_fp_ieee_div_zero 0
		.amdhsa_exception_fp_ieee_overflow 0
		.amdhsa_exception_fp_ieee_underflow 0
		.amdhsa_exception_fp_ieee_inexact 0
		.amdhsa_exception_int_div_zero 0
	.end_amdhsa_kernel
	.section	.text._ZN2at6native12_GLOBAL__N_124cunn_SoftMaxBackwardSmemILi2EdddNS1_26LogSoftMaxBackwardEpilogueEEEvPT0_PKT2_S8_l,"axG",@progbits,_ZN2at6native12_GLOBAL__N_124cunn_SoftMaxBackwardSmemILi2EdddNS1_26LogSoftMaxBackwardEpilogueEEEvPT0_PKT2_S8_l,comdat
.Lfunc_end226:
	.size	_ZN2at6native12_GLOBAL__N_124cunn_SoftMaxBackwardSmemILi2EdddNS1_26LogSoftMaxBackwardEpilogueEEEvPT0_PKT2_S8_l, .Lfunc_end226-_ZN2at6native12_GLOBAL__N_124cunn_SoftMaxBackwardSmemILi2EdddNS1_26LogSoftMaxBackwardEpilogueEEEvPT0_PKT2_S8_l
                                        ; -- End function
	.set _ZN2at6native12_GLOBAL__N_124cunn_SoftMaxBackwardSmemILi2EdddNS1_26LogSoftMaxBackwardEpilogueEEEvPT0_PKT2_S8_l.num_vgpr, 25
	.set _ZN2at6native12_GLOBAL__N_124cunn_SoftMaxBackwardSmemILi2EdddNS1_26LogSoftMaxBackwardEpilogueEEEvPT0_PKT2_S8_l.num_agpr, 0
	.set _ZN2at6native12_GLOBAL__N_124cunn_SoftMaxBackwardSmemILi2EdddNS1_26LogSoftMaxBackwardEpilogueEEEvPT0_PKT2_S8_l.numbered_sgpr, 40
	.set _ZN2at6native12_GLOBAL__N_124cunn_SoftMaxBackwardSmemILi2EdddNS1_26LogSoftMaxBackwardEpilogueEEEvPT0_PKT2_S8_l.num_named_barrier, 0
	.set _ZN2at6native12_GLOBAL__N_124cunn_SoftMaxBackwardSmemILi2EdddNS1_26LogSoftMaxBackwardEpilogueEEEvPT0_PKT2_S8_l.private_seg_size, 0
	.set _ZN2at6native12_GLOBAL__N_124cunn_SoftMaxBackwardSmemILi2EdddNS1_26LogSoftMaxBackwardEpilogueEEEvPT0_PKT2_S8_l.uses_vcc, 1
	.set _ZN2at6native12_GLOBAL__N_124cunn_SoftMaxBackwardSmemILi2EdddNS1_26LogSoftMaxBackwardEpilogueEEEvPT0_PKT2_S8_l.uses_flat_scratch, 0
	.set _ZN2at6native12_GLOBAL__N_124cunn_SoftMaxBackwardSmemILi2EdddNS1_26LogSoftMaxBackwardEpilogueEEEvPT0_PKT2_S8_l.has_dyn_sized_stack, 0
	.set _ZN2at6native12_GLOBAL__N_124cunn_SoftMaxBackwardSmemILi2EdddNS1_26LogSoftMaxBackwardEpilogueEEEvPT0_PKT2_S8_l.has_recursion, 0
	.set _ZN2at6native12_GLOBAL__N_124cunn_SoftMaxBackwardSmemILi2EdddNS1_26LogSoftMaxBackwardEpilogueEEEvPT0_PKT2_S8_l.has_indirect_call, 0
	.section	.AMDGPU.csdata,"",@progbits
; Kernel info:
; codeLenInByte = 1648
; TotalNumSgprs: 42
; NumVgprs: 25
; ScratchSize: 0
; MemoryBound: 0
; FloatMode: 240
; IeeeMode: 1
; LDSByteSize: 0 bytes/workgroup (compile time only)
; SGPRBlocks: 0
; VGPRBlocks: 3
; NumSGPRsForWavesPerEU: 42
; NumVGPRsForWavesPerEU: 25
; Occupancy: 16
; WaveLimiterHint : 0
; COMPUTE_PGM_RSRC2:SCRATCH_EN: 0
; COMPUTE_PGM_RSRC2:USER_SGPR: 6
; COMPUTE_PGM_RSRC2:TRAP_HANDLER: 0
; COMPUTE_PGM_RSRC2:TGID_X_EN: 1
; COMPUTE_PGM_RSRC2:TGID_Y_EN: 0
; COMPUTE_PGM_RSRC2:TGID_Z_EN: 0
; COMPUTE_PGM_RSRC2:TIDIG_COMP_CNT: 0
	.section	.text._ZN2at6native12_GLOBAL__N_120cunn_SoftMaxBackwardILi2EdddNS1_26LogSoftMaxBackwardEpilogueEEEvPT0_PKT2_S8_l,"axG",@progbits,_ZN2at6native12_GLOBAL__N_120cunn_SoftMaxBackwardILi2EdddNS1_26LogSoftMaxBackwardEpilogueEEEvPT0_PKT2_S8_l,comdat
	.globl	_ZN2at6native12_GLOBAL__N_120cunn_SoftMaxBackwardILi2EdddNS1_26LogSoftMaxBackwardEpilogueEEEvPT0_PKT2_S8_l ; -- Begin function _ZN2at6native12_GLOBAL__N_120cunn_SoftMaxBackwardILi2EdddNS1_26LogSoftMaxBackwardEpilogueEEEvPT0_PKT2_S8_l
	.p2align	8
	.type	_ZN2at6native12_GLOBAL__N_120cunn_SoftMaxBackwardILi2EdddNS1_26LogSoftMaxBackwardEpilogueEEEvPT0_PKT2_S8_l,@function
_ZN2at6native12_GLOBAL__N_120cunn_SoftMaxBackwardILi2EdddNS1_26LogSoftMaxBackwardEpilogueEEEvPT0_PKT2_S8_l: ; @_ZN2at6native12_GLOBAL__N_120cunn_SoftMaxBackwardILi2EdddNS1_26LogSoftMaxBackwardEpilogueEEEvPT0_PKT2_S8_l
; %bb.0:
	s_load_dwordx8 s[8:15], s[4:5], 0x0
	s_waitcnt lgkmcnt(0)
	s_mul_i32 s1, s15, s6
	s_mul_hi_u32 s2, s14, s6
	s_mul_i32 s0, s14, s6
	s_add_i32 s1, s2, s1
	v_cmp_lt_i64_e64 s33, 0x7ffffffe, s[14:15]
	s_lshl_b64 s[26:27], s[0:1], 3
	s_mov_b64 s[18:19], s[14:15]
	s_add_u32 s16, s12, s26
	s_addc_u32 s17, s13, s27
	s_bitcmp1_b32 s16, 3
	s_cselect_b32 s7, -1, 0
	s_and_b32 vcc_lo, exec_lo, s33
	s_cbranch_vccz .LBB227_5
; %bb.1:
	v_mov_b32_e32 v1, 0
	s_add_u32 s0, s4, 32
	s_addc_u32 s1, s5, 0
	s_and_b32 vcc_lo, exec_lo, s7
	s_cbranch_vccz .LBB227_6
; %bb.2:
	v_mov_b32_e32 v2, 0
	v_mov_b32_e32 v3, 0
	s_mov_b32 s22, 0
	s_mov_b32 s0, exec_lo
	v_cmpx_ne_u32_e32 0, v0
	s_cbranch_execz .LBB227_4
; %bb.3:
	v_lshlrev_b32_e32 v2, 3, v0
	global_load_dwordx2 v[2:3], v2, s[16:17] offset:-8
	s_waitcnt vmcnt(0)
	v_add_f64 v[2:3], v[2:3], 0
.LBB227_4:
	s_or_b32 exec_lo, exec_lo, s0
	s_load_dword s2, s[4:5], 0x2c
	s_add_u32 s0, s4, 32
	s_addc_u32 s1, s5, 0
	s_waitcnt lgkmcnt(0)
	s_and_b32 s20, s2, 0xffff
	s_sub_u32 s2, s14, s20
	s_subb_u32 s3, s15, 0
	s_add_u32 s2, s2, 1
	s_addc_u32 s3, s3, 0
	s_lshl_b32 s20, s20, 3
	s_add_u32 s20, s16, s20
	s_addc_u32 s21, s17, 0
	s_add_u32 s20, s20, -8
	s_addc_u32 s21, s21, -1
	s_and_b32 vcc_lo, exec_lo, s22
	s_cbranch_vccnz .LBB227_7
	s_branch .LBB227_8
.LBB227_5:
                                        ; implicit-def: $vgpr2_vgpr3
	s_bfe_u32 s2, s16, 0x10003
	s_mov_b32 s3, 0
	s_cbranch_execnz .LBB227_18
	s_branch .LBB227_33
.LBB227_6:
                                        ; implicit-def: $sgpr20_sgpr21
                                        ; implicit-def: $sgpr2_sgpr3
                                        ; implicit-def: $vgpr2_vgpr3
	s_cbranch_execz .LBB227_8
.LBB227_7:
	v_mov_b32_e32 v2, 0
	v_mov_b32_e32 v3, 0
	s_mov_b64 s[2:3], s[18:19]
	s_mov_b64 s[20:21], s[16:17]
.LBB227_8:
	s_load_dword s22, s[0:1], 0x0
	v_mov_b32_e32 v4, 0
	s_waitcnt lgkmcnt(0)
	s_cmp_lt_u32 s6, s22
	s_cselect_b32 s22, 12, 18
	s_add_u32 s0, s0, s22
	s_addc_u32 s1, s1, 0
	global_load_ushort v4, v4, s[0:1]
	s_mov_b32 s0, 0
	s_waitcnt vmcnt(0)
	v_readfirstlane_b32 s1, v4
	v_and_b32_e32 v8, 0xffff, v4
	s_and_b32 s22, 0xffff, s1
	s_mov_b32 s1, s3
	s_lshl_b32 s24, s22, 1
	s_cmp_lg_u64 s[0:1], 0
	s_cbranch_scc0 .LBB227_41
; %bb.9:
	v_cvt_f32_u32_e32 v4, s24
	s_sub_u32 s23, 0, s24
	s_subb_u32 s25, 0, 0
	v_fmamk_f32 v4, 0, 0x4f800000, v4
	v_rcp_f32_e32 v4, v4
	v_mul_f32_e32 v4, 0x5f7ffffc, v4
	v_mul_f32_e32 v5, 0x2f800000, v4
	v_trunc_f32_e32 v5, v5
	v_fmamk_f32 v4, v5, 0xcf800000, v4
	v_cvt_u32_f32_e32 v5, v5
	v_cvt_u32_f32_e32 v4, v4
	v_readfirstlane_b32 s1, v5
	v_readfirstlane_b32 s22, v4
	s_mul_i32 s28, s23, s1
	s_mul_hi_u32 s30, s23, s22
	s_mul_i32 s29, s25, s22
	s_add_i32 s28, s30, s28
	s_mul_i32 s31, s23, s22
	s_add_i32 s28, s28, s29
	s_mul_hi_u32 s30, s22, s31
	s_mul_i32 s35, s22, s28
	s_mul_hi_u32 s34, s1, s31
	s_mul_i32 s29, s1, s31
	s_mul_hi_u32 s31, s22, s28
	s_add_u32 s30, s30, s35
	s_addc_u32 s31, 0, s31
	s_mul_hi_u32 s36, s1, s28
	s_add_u32 s29, s30, s29
	s_mul_i32 s28, s1, s28
	s_addc_u32 s29, s31, s34
	s_addc_u32 s30, s36, 0
	s_add_u32 s28, s29, s28
	s_addc_u32 s29, 0, s30
	s_add_u32 s22, s22, s28
	s_cselect_b32 s28, -1, 0
	s_mul_hi_u32 s30, s23, s22
	s_cmp_lg_u32 s28, 0
	s_mul_i32 s28, s23, s22
	s_addc_u32 s1, s1, s29
	s_mul_i32 s25, s25, s22
	s_mul_i32 s23, s23, s1
	s_mul_hi_u32 s29, s22, s28
	s_add_i32 s23, s30, s23
	s_mul_hi_u32 s30, s1, s28
	s_add_i32 s23, s23, s25
	s_mul_i32 s25, s1, s28
	s_mul_i32 s34, s22, s23
	s_mul_hi_u32 s31, s22, s23
	s_add_u32 s29, s29, s34
	s_addc_u32 s31, 0, s31
	s_mul_hi_u32 s28, s1, s23
	s_add_u32 s25, s29, s25
	s_mul_i32 s23, s1, s23
	s_addc_u32 s25, s31, s30
	s_addc_u32 s28, s28, 0
	s_add_u32 s23, s25, s23
	s_addc_u32 s25, 0, s28
	s_add_u32 s22, s22, s23
	s_cselect_b32 s23, -1, 0
	s_mul_hi_u32 s28, s2, s22
	s_cmp_lg_u32 s23, 0
	s_mul_hi_u32 s23, s3, s22
	s_addc_u32 s1, s1, s25
	s_mul_i32 s22, s3, s22
	s_mul_i32 s29, s2, s1
	s_mul_hi_u32 s25, s2, s1
	s_add_u32 s28, s28, s29
	s_addc_u32 s25, 0, s25
	s_mul_hi_u32 s30, s3, s1
	s_add_u32 s22, s28, s22
	s_mul_i32 s1, s3, s1
	s_addc_u32 s22, s25, s23
	s_addc_u32 s23, s30, 0
	s_add_u32 s1, s22, s1
	s_addc_u32 s22, 0, s23
	s_mul_hi_u32 s23, s24, s1
	s_mul_i32 s22, s24, s22
	s_mul_i32 s1, s24, s1
	s_add_i32 s23, s23, s22
	s_sub_u32 s1, s2, s1
	s_cselect_b32 s22, -1, 0
	s_cmp_lg_u32 s22, 0
	s_subb_u32 s22, s3, s23
	s_sub_u32 s23, s1, s24
	s_cselect_b32 s25, -1, 0
	s_cmp_lg_u32 s25, 0
	s_subb_u32 s25, s22, 0
	;; [unrolled: 4-line block ×3, first 2 shown]
	s_cmp_ge_u32 s23, s24
	s_cselect_b32 s30, -1, 0
	s_cmp_eq_u32 s25, 0
	s_cselect_b32 s30, s30, -1
	s_cmp_lg_u32 s30, 0
	s_cselect_b32 s25, s29, s25
	s_cselect_b32 s28, s28, s23
	s_cmp_ge_u32 s1, s24
	s_cselect_b32 s23, -1, 0
	s_cmp_eq_u32 s22, 0
	s_cselect_b32 s23, s23, -1
	s_cmp_lg_u32 s23, 0
	s_cselect_b32 s23, s25, s22
	s_cselect_b32 s22, s28, s1
	s_andn2_b32 vcc_lo, exec_lo, s0
	s_cbranch_vccnz .LBB227_11
.LBB227_10:
	v_cvt_f32_u32_e32 v4, s24
	s_sub_i32 s1, 0, s24
	s_mov_b32 s23, 0
	v_rcp_iflag_f32_e32 v4, v4
	v_mul_f32_e32 v4, 0x4f7ffffe, v4
	v_cvt_u32_f32_e32 v4, v4
	v_readfirstlane_b32 s0, v4
	s_mul_i32 s1, s1, s0
	s_mul_hi_u32 s1, s0, s1
	s_add_i32 s0, s0, s1
	s_mul_hi_u32 s0, s2, s0
	s_mul_i32 s0, s0, s24
	s_sub_i32 s0, s2, s0
	s_sub_i32 s1, s0, s24
	s_cmp_ge_u32 s0, s24
	s_cselect_b32 s0, s1, s0
	s_sub_i32 s1, s0, s24
	s_cmp_ge_u32 s0, s24
	s_cselect_b32 s22, s1, s0
.LBB227_11:
	v_lshlrev_b32_e32 v4, 4, v0
	v_mov_b32_e32 v7, v1
	v_lshlrev_b32_e32 v9, 4, v8
	v_mov_b32_e32 v6, v0
	s_sub_u32 s22, s2, s22
	v_add_co_u32 v4, s0, s20, v4
	v_add_co_ci_u32_e64 v5, null, s21, 0, s0
	s_subb_u32 s23, s3, s23
	v_add_co_u32 v4, vcc_lo, v4, 8
	v_add_co_ci_u32_e64 v5, null, 0, v5, vcc_lo
	s_mov_b32 s1, 0
	.p2align	6
.LBB227_12:                             ; =>This Inner Loop Header: Depth=1
	global_load_dwordx4 v[10:13], v[4:5], off offset:-8
	v_add_co_u32 v6, vcc_lo, v6, v8
	v_add_co_ci_u32_e64 v7, null, 0, v7, vcc_lo
	v_add_co_u32 v4, s0, v4, v9
	v_add_co_ci_u32_e64 v5, null, 0, v5, s0
	s_waitcnt vmcnt(0)
	v_add_f64 v[1:2], v[2:3], v[10:11]
	v_lshlrev_b64 v[10:11], 1, v[6:7]
	v_cmp_le_i64_e32 vcc_lo, s[22:23], v[10:11]
	s_or_b32 s1, vcc_lo, s1
	v_add_f64 v[2:3], v[1:2], v[12:13]
	s_andn2_b32 exec_lo, exec_lo, s1
	s_cbranch_execnz .LBB227_12
; %bb.13:
	s_or_b32 exec_lo, exec_lo, s1
	v_add_co_u32 v4, s0, s22, v0
	v_add_co_ci_u32_e64 v5, null, s23, 0, s0
	s_mov_b32 s0, exec_lo
	v_cmpx_gt_u64_e64 s[2:3], v[4:5]
	s_cbranch_execz .LBB227_17
; %bb.14:
	s_mov_b32 s1, 0
	.p2align	6
.LBB227_15:                             ; =>This Inner Loop Header: Depth=1
	v_lshlrev_b64 v[6:7], 3, v[4:5]
	v_add_co_u32 v6, vcc_lo, s20, v6
	v_add_co_ci_u32_e64 v7, null, s21, v7, vcc_lo
	v_add_co_u32 v4, vcc_lo, v4, v8
	v_add_co_ci_u32_e64 v5, null, 0, v5, vcc_lo
	global_load_dwordx2 v[6:7], v[6:7], off
	v_cmp_le_i64_e32 vcc_lo, s[2:3], v[4:5]
	s_or_b32 s1, vcc_lo, s1
	s_waitcnt vmcnt(0)
	v_add_f64 v[2:3], v[2:3], v[6:7]
	s_andn2_b32 exec_lo, exec_lo, s1
	s_cbranch_execnz .LBB227_15
; %bb.16:
	s_or_b32 exec_lo, exec_lo, s1
.LBB227_17:
	s_or_b32 exec_lo, exec_lo, s0
	s_bfe_u32 s2, s16, 0x10003
	s_mov_b32 s3, 0
	s_branch .LBB227_33
.LBB227_18:
	s_add_u32 s20, s4, 32
	s_addc_u32 s21, s5, 0
	s_and_b32 vcc_lo, exec_lo, s7
	s_cbranch_vccz .LBB227_22
; %bb.19:
	v_cmp_ne_u32_e32 vcc_lo, 0, v0
	v_cmp_ge_i32_e64 s0, s14, v0
	v_mov_b32_e32 v2, 0
	v_mov_b32_e32 v3, 0
	s_mov_b32 s22, 0
	s_and_b32 s1, vcc_lo, s0
	s_and_saveexec_b32 s0, s1
	s_cbranch_execz .LBB227_21
; %bb.20:
	v_lshlrev_b32_e32 v1, 3, v0
	global_load_dwordx2 v[1:2], v1, s[16:17] offset:-8
	s_waitcnt vmcnt(0)
	v_add_f64 v[2:3], v[1:2], 0
.LBB227_21:
	s_or_b32 exec_lo, exec_lo, s0
	s_load_dword s0, s[4:5], 0x2c
	s_add_i32 s1, s14, 1
	s_add_u32 s20, s4, 32
	s_addc_u32 s21, s5, 0
	s_waitcnt lgkmcnt(0)
	s_and_b32 s0, s0, 0xffff
	v_sub_nc_u32_e64 v1, s1, s0 clamp
	s_lshl_b32 s0, s0, 3
	s_add_u32 s0, s16, s0
	s_addc_u32 s1, s17, 0
	s_add_u32 s0, s0, -8
	v_readfirstlane_b32 s7, v1
	s_addc_u32 s1, s1, -1
	s_and_b32 vcc_lo, exec_lo, s22
	s_cbranch_vccnz .LBB227_23
	s_branch .LBB227_24
.LBB227_22:
                                        ; implicit-def: $sgpr0_sgpr1
                                        ; implicit-def: $sgpr7
                                        ; implicit-def: $vgpr2_vgpr3
	s_cbranch_execz .LBB227_24
.LBB227_23:
	v_mov_b32_e32 v2, 0
	v_mov_b32_e32 v3, 0
	s_mov_b32 s7, s14
	s_mov_b64 s[0:1], s[16:17]
.LBB227_24:
	s_load_dword s22, s[20:21], 0x0
	v_mov_b32_e32 v1, 0
	s_waitcnt lgkmcnt(0)
	s_cmp_lt_u32 s6, s22
	s_cselect_b32 s22, 12, 18
	s_add_u32 s20, s20, s22
	s_addc_u32 s21, s21, 0
	global_load_ushort v1, v1, s[20:21]
	s_waitcnt vmcnt(0)
	v_readfirstlane_b32 s20, v1
	s_lshl_b32 s20, s20, 1
	v_cvt_f32_u32_e32 v4, s20
	s_sub_i32 s22, 0, s20
	v_rcp_iflag_f32_e32 v4, v4
	v_mul_f32_e32 v4, 0x4f7ffffe, v4
	v_cvt_u32_f32_e32 v4, v4
	v_readfirstlane_b32 s21, v4
	v_lshlrev_b32_e32 v4, 1, v0
	s_mul_i32 s22, s22, s21
	s_mul_hi_u32 s22, s21, s22
	s_add_i32 s21, s21, s22
	s_mul_hi_u32 s21, s7, s21
	s_mul_i32 s21, s21, s20
	s_sub_i32 s21, s7, s21
	s_sub_i32 s22, s21, s20
	s_cmp_ge_u32 s21, s20
	s_cselect_b32 s21, s22, s21
	s_sub_i32 s22, s21, s20
	s_cmp_ge_u32 s21, s20
	s_cselect_b32 s20, s22, s21
	s_mov_b32 s22, 0
	s_sub_i32 s20, s7, s20
	s_mov_b32 s21, exec_lo
	v_cmpx_gt_i32_e64 s20, v4
	s_cbranch_execz .LBB227_28
; %bb.25:
	v_mov_b32_e32 v4, v0
	.p2align	6
.LBB227_26:                             ; =>This Inner Loop Header: Depth=1
	v_ashrrev_i32_e32 v5, 31, v4
	v_lshlrev_b64 v[5:6], 4, v[4:5]
	v_add_nc_u32_e32 v4, v4, v1
	v_add_co_u32 v5, vcc_lo, s0, v5
	v_add_co_ci_u32_e64 v6, null, s1, v6, vcc_lo
	global_load_dwordx4 v[5:8], v[5:6], off
	s_waitcnt vmcnt(0)
	v_add_f64 v[2:3], v[2:3], v[5:6]
	v_lshlrev_b32_e32 v5, 1, v4
	v_cmp_le_i32_e32 vcc_lo, s20, v5
	s_or_b32 s22, vcc_lo, s22
	v_add_f64 v[2:3], v[2:3], v[7:8]
	s_andn2_b32 exec_lo, exec_lo, s22
	s_cbranch_execnz .LBB227_26
; %bb.27:
	s_or_b32 exec_lo, exec_lo, s22
.LBB227_28:
	s_or_b32 exec_lo, exec_lo, s21
	v_add_nc_u32_e32 v4, s20, v0
	s_mov_b32 s20, exec_lo
	v_cmpx_gt_i32_e64 s7, v4
	s_cbranch_execz .LBB227_32
; %bb.29:
	s_mov_b32 s21, 0
.LBB227_30:                             ; =>This Inner Loop Header: Depth=1
	v_ashrrev_i32_e32 v5, 31, v4
	v_lshlrev_b64 v[5:6], 3, v[4:5]
	v_add_nc_u32_e32 v4, v4, v1
	v_add_co_u32 v5, vcc_lo, s0, v5
	v_add_co_ci_u32_e64 v6, null, s1, v6, vcc_lo
	v_cmp_le_i32_e32 vcc_lo, s7, v4
	global_load_dwordx2 v[5:6], v[5:6], off
	s_or_b32 s21, vcc_lo, s21
	s_waitcnt vmcnt(0)
	v_add_f64 v[2:3], v[2:3], v[5:6]
	s_andn2_b32 exec_lo, exec_lo, s21
	s_cbranch_execnz .LBB227_30
; %bb.31:
	s_or_b32 exec_lo, exec_lo, s21
.LBB227_32:
	s_or_b32 exec_lo, exec_lo, s20
.LBB227_33:
	v_lshl_add_u32 v1, v0, 3, 0
	s_barrier
	buffer_gl0_inv
	s_add_u32 s24, s4, 32
	ds_write_b64 v1, v[2:3]
	s_waitcnt lgkmcnt(0)
	s_barrier
	buffer_gl0_inv
	s_load_dword s7, s[4:5], 0x2c
	s_addc_u32 s25, s5, 0
	s_waitcnt lgkmcnt(0)
	s_bfe_u32 s0, s7, 0xb0005
	s_and_b32 s1, s0, 0xffff
	s_min_u32 s0, s1, 32
	v_cmp_gt_u32_e32 vcc_lo, s0, v0
	s_and_saveexec_b32 s0, vcc_lo
	s_cbranch_execz .LBB227_35
; %bb.34:
	v_mad_u32_u24 v12, 0xf8, v0, v1
	ds_read2_b64 v[2:5], v12 offset1:1
	ds_read2_b64 v[6:9], v12 offset0:2 offset1:3
	s_waitcnt lgkmcnt(1)
	v_add_f64 v[2:3], v[2:3], 0
	v_add_f64 v[2:3], v[2:3], v[4:5]
	s_waitcnt lgkmcnt(0)
	v_add_f64 v[2:3], v[2:3], v[6:7]
	v_add_f64 v[10:11], v[2:3], v[8:9]
	ds_read2_b64 v[2:5], v12 offset0:4 offset1:5
	ds_read2_b64 v[6:9], v12 offset0:6 offset1:7
	s_waitcnt lgkmcnt(1)
	v_add_f64 v[2:3], v[10:11], v[2:3]
	v_add_f64 v[2:3], v[2:3], v[4:5]
	s_waitcnt lgkmcnt(0)
	v_add_f64 v[2:3], v[2:3], v[6:7]
	v_add_f64 v[10:11], v[2:3], v[8:9]
	ds_read2_b64 v[2:5], v12 offset0:8 offset1:9
	ds_read2_b64 v[6:9], v12 offset0:10 offset1:11
	s_waitcnt lgkmcnt(1)
	v_add_f64 v[2:3], v[10:11], v[2:3]
	v_add_f64 v[2:3], v[2:3], v[4:5]
	s_waitcnt lgkmcnt(0)
	v_add_f64 v[2:3], v[2:3], v[6:7]
	v_add_f64 v[10:11], v[2:3], v[8:9]
	ds_read2_b64 v[2:5], v12 offset0:12 offset1:13
	ds_read2_b64 v[6:9], v12 offset0:14 offset1:15
	s_waitcnt lgkmcnt(1)
	v_add_f64 v[2:3], v[10:11], v[2:3]
	v_add_f64 v[2:3], v[2:3], v[4:5]
	s_waitcnt lgkmcnt(0)
	v_add_f64 v[2:3], v[2:3], v[6:7]
	v_add_f64 v[10:11], v[2:3], v[8:9]
	ds_read2_b64 v[2:5], v12 offset0:16 offset1:17
	ds_read2_b64 v[6:9], v12 offset0:18 offset1:19
	s_waitcnt lgkmcnt(1)
	v_add_f64 v[2:3], v[10:11], v[2:3]
	v_add_f64 v[2:3], v[2:3], v[4:5]
	s_waitcnt lgkmcnt(0)
	v_add_f64 v[2:3], v[2:3], v[6:7]
	v_add_f64 v[10:11], v[2:3], v[8:9]
	ds_read2_b64 v[2:5], v12 offset0:20 offset1:21
	ds_read2_b64 v[6:9], v12 offset0:22 offset1:23
	s_waitcnt lgkmcnt(1)
	v_add_f64 v[2:3], v[10:11], v[2:3]
	v_add_f64 v[2:3], v[2:3], v[4:5]
	s_waitcnt lgkmcnt(0)
	v_add_f64 v[2:3], v[2:3], v[6:7]
	v_add_f64 v[10:11], v[2:3], v[8:9]
	ds_read2_b64 v[2:5], v12 offset0:24 offset1:25
	ds_read2_b64 v[6:9], v12 offset0:26 offset1:27
	s_waitcnt lgkmcnt(1)
	v_add_f64 v[2:3], v[10:11], v[2:3]
	v_add_f64 v[2:3], v[2:3], v[4:5]
	s_waitcnt lgkmcnt(0)
	v_add_f64 v[2:3], v[2:3], v[6:7]
	v_add_f64 v[10:11], v[2:3], v[8:9]
	ds_read2_b64 v[2:5], v12 offset0:28 offset1:29
	ds_read2_b64 v[6:9], v12 offset0:30 offset1:31
	s_waitcnt lgkmcnt(1)
	v_add_f64 v[2:3], v[10:11], v[2:3]
	v_add_f64 v[2:3], v[2:3], v[4:5]
	s_waitcnt lgkmcnt(0)
	v_add_f64 v[2:3], v[2:3], v[6:7]
	v_add_f64 v[2:3], v[2:3], v[8:9]
	ds_write_b64 v1, v[2:3]
.LBB227_35:
	s_or_b32 exec_lo, exec_lo, s0
	v_cmp_ne_u32_e64 s0, 0, v0
	s_and_b32 s7, 0xffff, s7
	s_mov_b32 s4, exec_lo
	s_waitcnt lgkmcnt(0)
	s_barrier
	buffer_gl0_inv
	v_cmpx_eq_u32_e32 0, v0
	s_cbranch_execz .LBB227_46
; %bb.36:
	v_mov_b32_e32 v1, 0
	v_mov_b32_e32 v2, 0
	s_cmp_lt_u32 s7, 32
	s_cbranch_scc1 .LBB227_45
; %bb.37:
	s_add_i32 s5, s1, -1
	v_mov_b32_e32 v1, 0
	v_mov_b32_e32 v2, 0
	s_and_b32 s5, s5, 0xffff
	s_cmp_lt_u32 s5, 7
	s_cbranch_scc1 .LBB227_42
; %bb.38:
	s_and_b32 s5, s1, 0x7f8
	s_mov_b32 s20, 0
	s_mov_b32 s21, 0
	.p2align	6
.LBB227_39:                             ; =>This Inner Loop Header: Depth=1
	v_mov_b32_e32 v11, s21
	s_add_i32 s20, s20, 8
	s_add_i32 s21, s21, 64
	s_cmp_eq_u32 s5, s20
	ds_read2_b64 v[3:6], v11 offset1:1
	ds_read2_b64 v[7:10], v11 offset0:2 offset1:3
	s_waitcnt lgkmcnt(1)
	v_add_f64 v[1:2], v[1:2], v[3:4]
	v_add_f64 v[1:2], v[1:2], v[5:6]
	s_waitcnt lgkmcnt(0)
	v_add_f64 v[1:2], v[1:2], v[7:8]
	v_add_f64 v[9:10], v[1:2], v[9:10]
	ds_read2_b64 v[1:4], v11 offset0:4 offset1:5
	ds_read2_b64 v[5:8], v11 offset0:6 offset1:7
	s_waitcnt lgkmcnt(1)
	v_add_f64 v[1:2], v[9:10], v[1:2]
	v_add_f64 v[1:2], v[1:2], v[3:4]
	s_waitcnt lgkmcnt(0)
	v_add_f64 v[1:2], v[1:2], v[5:6]
	v_add_f64 v[1:2], v[1:2], v[7:8]
	s_cbranch_scc0 .LBB227_39
; %bb.40:
	s_and_b32 s1, s1, 7
	s_cmp_eq_u32 s1, 0
	s_cbranch_scc0 .LBB227_43
	s_branch .LBB227_45
.LBB227_41:
                                        ; implicit-def: $sgpr22_sgpr23
	s_branch .LBB227_10
.LBB227_42:
	s_mov_b32 s5, 0
	s_and_b32 s1, s1, 7
	s_cmp_eq_u32 s1, 0
	s_cbranch_scc1 .LBB227_45
.LBB227_43:
	s_lshl_b32 s5, s5, 3
	s_add_i32 s5, s5, 0
.LBB227_44:                             ; =>This Inner Loop Header: Depth=1
	v_mov_b32_e32 v3, s5
	s_add_i32 s1, s1, -1
	s_add_i32 s5, s5, 8
	s_cmp_lg_u32 s1, 0
	ds_read_b64 v[3:4], v3
	s_waitcnt lgkmcnt(0)
	v_add_f64 v[1:2], v[1:2], v[3:4]
	s_cbranch_scc1 .LBB227_44
.LBB227_45:
	v_mov_b32_e32 v3, 0
	ds_write_b64 v3, v[1:2]
.LBB227_46:
	s_or_b32 exec_lo, exec_lo, s4
	v_mov_b32_e32 v1, 0
	s_waitcnt lgkmcnt(0)
	s_barrier
	buffer_gl0_inv
	s_add_u32 s20, s8, s26
	ds_read_b64 v[2:3], v1
	s_addc_u32 s21, s9, s27
	s_add_u32 s22, s10, s26
	s_addc_u32 s23, s11, s27
	s_lshr_b64 s[4:5], s[20:21], 3
	s_mov_b32 s29, 0
	s_and_b32 s28, s4, 1
	s_bfe_u32 s4, s22, 0x10003
	s_mov_b32 s5, s29
	s_cmp_eq_u64 s[28:29], s[4:5]
	s_cselect_b32 s1, -1, 0
	s_cmp_eq_u64 s[28:29], s[2:3]
	s_cselect_b32 s2, -1, 0
	s_and_b32 s1, s1, s2
	s_andn2_b32 vcc_lo, exec_lo, s1
	s_mov_b32 s1, -1
	s_cbranch_vccz .LBB227_65
; %bb.47:
	s_and_b32 vcc_lo, exec_lo, s33
	s_cbranch_vccz .LBB227_56
; %bb.48:
	s_lshl_b32 s5, s7, 1
	s_mov_b32 s69, 0
	v_cvt_f32_u32_e32 v1, s5
	s_sub_i32 s2, 0, s5
	s_mov_b32 s68, exec_lo
	v_rcp_iflag_f32_e32 v1, v1
	v_mul_f32_e32 v1, 0x4f7ffffe, v1
	v_cvt_u32_f32_e32 v1, v1
	v_readfirstlane_b32 s1, v1
	v_mov_b32_e32 v1, 0
	s_mul_i32 s2, s2, s1
	v_mov_b32_e32 v5, v1
	s_mul_hi_u32 s2, s1, s2
	v_mov_b32_e32 v4, v0
	s_add_i32 s1, s1, s2
	s_mul_hi_u32 s1, s14, s1
	s_mul_i32 s1, s1, s5
	s_sub_i32 s1, s14, s1
	s_sub_i32 s2, s1, s5
	s_cmp_ge_u32 s1, s5
	s_cselect_b32 s1, s2, s1
	s_sub_i32 s2, s1, s5
	s_cmp_ge_u32 s1, s5
	s_cselect_b32 s1, s2, s1
	s_bfe_i64 s[30:31], s[14:15], 0x200000
	s_sub_u32 s34, s30, s1
	s_subb_u32 s35, s31, 0
	v_cmpx_gt_i64_e64 s[34:35], v[0:1]
	s_cbranch_execz .LBB227_52
; %bb.49:
	s_lshl_b32 s1, s7, 3
	s_lshl_b32 s70, s7, 4
	s_add_u32 s1, s26, s1
	s_addc_u32 s2, s27, 0
	s_add_u32 s71, s10, s1
	v_lshlrev_b64 v[6:7], 3, v[0:1]
	s_addc_u32 s72, s11, s2
	v_mov_b32_e32 v5, v1
	s_add_u32 s73, s12, s1
	v_mov_b32_e32 v4, v0
	s_addc_u32 s74, s13, s2
	s_add_u32 s75, s8, s1
	s_mov_b32 s36, 0x652b82fe
	s_mov_b32 s38, 0xfefa39ef
	;; [unrolled: 1-line block ×13, first 2 shown]
	s_addc_u32 s76, s9, s2
	s_mov_b32 s37, 0x3ff71547
	s_mov_b32 s39, 0xbfe62e42
	;; [unrolled: 1-line block ×13, first 2 shown]
	s_mov_b64 s[62:63], s[20:21]
	s_mov_b64 s[64:65], s[16:17]
	;; [unrolled: 1-line block ×3, first 2 shown]
.LBB227_50:                             ; =>This Inner Loop Header: Depth=1
	v_add_co_u32 v8, vcc_lo, s66, v6
	v_add_co_ci_u32_e64 v9, null, s67, v7, vcc_lo
	v_add_co_u32 v10, vcc_lo, s71, v6
	v_add_co_ci_u32_e64 v11, null, s72, v7, vcc_lo
	global_load_dwordx2 v[8:9], v[8:9], off
	global_load_dwordx2 v[10:11], v[10:11], off
	v_add_co_u32 v20, vcc_lo, s64, v6
	v_add_co_ci_u32_e64 v21, null, s65, v7, vcc_lo
	v_add_co_u32 v22, vcc_lo, s73, v6
	v_add_co_ci_u32_e64 v23, null, s74, v7, vcc_lo
	global_load_dwordx2 v[20:21], v[20:21], off
	global_load_dwordx2 v[22:23], v[22:23], off
	s_waitcnt vmcnt(3)
	v_mul_f64 v[12:13], v[8:9], s[36:37]
	s_waitcnt vmcnt(2)
	v_mul_f64 v[14:15], v[10:11], s[36:37]
	v_cmp_nlt_f64_e64 s1, 0x40900000, v[8:9]
	v_cmp_nlt_f64_e32 vcc_lo, 0x40900000, v[10:11]
	v_cmp_ngt_f64_e64 s2, 0xc090cc00, v[8:9]
	v_cmp_ngt_f64_e64 s3, 0xc090cc00, v[10:11]
	v_rndne_f64_e32 v[12:13], v[12:13]
	v_rndne_f64_e32 v[14:15], v[14:15]
	v_fma_f64 v[16:17], v[12:13], s[38:39], v[8:9]
	v_fma_f64 v[18:19], v[14:15], s[38:39], v[10:11]
	v_cvt_i32_f64_e32 v1, v[12:13]
	v_cvt_i32_f64_e32 v28, v[14:15]
	v_add_co_u32 v8, s4, s62, v6
	v_fma_f64 v[16:17], v[12:13], s[40:41], v[16:17]
	v_fma_f64 v[18:19], v[14:15], s[40:41], v[18:19]
	;; [unrolled: 1-line block ×20, first 2 shown]
	v_fma_f64 v[24:25], v[16:17], v[24:25], 1.0
	v_fma_f64 v[26:27], v[18:19], v[26:27], 1.0
	;; [unrolled: 1-line block ×4, first 2 shown]
	v_ldexp_f64 v[12:13], v[12:13], v1
	v_ldexp_f64 v[14:15], v[14:15], v28
	v_cndmask_b32_e64 v1, 0x7ff00000, v13, s1
	v_cndmask_b32_e32 v9, 0x7ff00000, v15, vcc_lo
	s_and_b32 s1, s2, s1
	s_and_b32 vcc_lo, s3, vcc_lo
	v_cndmask_b32_e64 v10, 0, v12, s1
	v_cndmask_b32_e64 v11, 0, v1, s2
	;; [unrolled: 1-line block ×3, first 2 shown]
	v_cndmask_b32_e32 v12, 0, v14, vcc_lo
	v_add_co_u32 v4, vcc_lo, v4, s5
	s_waitcnt vmcnt(1) lgkmcnt(0)
	v_fma_f64 v[10:11], -v[2:3], v[10:11], v[20:21]
	s_add_u32 s66, s66, s70
	s_waitcnt vmcnt(0)
	v_fma_f64 v[12:13], -v[2:3], v[12:13], v[22:23]
	v_add_co_ci_u32_e64 v5, null, 0, v5, vcc_lo
	s_addc_u32 s67, s67, 0
	s_add_u32 s71, s71, s70
	s_addc_u32 s72, s72, 0
	v_add_co_u32 v14, vcc_lo, s75, v6
	s_add_u32 s64, s64, s70
	s_addc_u32 s65, s65, 0
	v_add_co_ci_u32_e64 v15, null, s76, v7, vcc_lo
	v_cmp_le_i64_e32 vcc_lo, s[34:35], v[4:5]
	s_add_u32 s73, s73, s70
	s_addc_u32 s74, s74, 0
	s_add_u32 s62, s62, s70
	v_add_co_ci_u32_e64 v9, null, s63, v7, s4
	s_addc_u32 s63, s63, 0
	s_add_u32 s75, s75, s70
	s_addc_u32 s76, s76, 0
	s_or_b32 s69, vcc_lo, s69
	global_store_dwordx2 v[8:9], v[10:11], off
	global_store_dwordx2 v[14:15], v[12:13], off
	s_andn2_b32 exec_lo, exec_lo, s69
	s_cbranch_execnz .LBB227_50
; %bb.51:
	s_or_b32 exec_lo, exec_lo, s69
.LBB227_52:
	s_or_b32 exec_lo, exec_lo, s68
	s_mov_b32 s54, exec_lo
	v_cmpx_gt_i64_e64 s[30:31], v[4:5]
	s_cbranch_execz .LBB227_55
; %bb.53:
	v_lshlrev_b64 v[6:7], 3, v[4:5]
	s_mov_b32 s2, 0x652b82fe
	s_mov_b32 s4, 0xfefa39ef
	;; [unrolled: 1-line block ×5, first 2 shown]
	v_add_co_u32 v1, vcc_lo, s26, v6
	v_add_co_ci_u32_e64 v6, null, s27, v7, vcc_lo
	s_mov_b32 s26, 0x3b39803f
	s_mov_b32 s40, 0x7c89e6b0
	;; [unrolled: 1-line block ×9, first 2 shown]
	s_lshl_b32 s56, s7, 3
	s_mov_b32 s3, 0x3ff71547
	s_mov_b32 s5, 0xbfe62e42
	;; [unrolled: 1-line block ×13, first 2 shown]
.LBB227_54:                             ; =>This Inner Loop Header: Depth=1
	v_add_co_u32 v7, vcc_lo, s10, v1
	v_add_co_ci_u32_e64 v8, null, s11, v6, vcc_lo
	v_add_co_u32 v13, vcc_lo, s12, v1
	v_add_co_ci_u32_e64 v14, null, s13, v6, vcc_lo
	global_load_dwordx2 v[7:8], v[7:8], off
	global_load_dwordx2 v[13:14], v[13:14], off
	s_waitcnt vmcnt(1)
	v_mul_f64 v[9:10], v[7:8], s[2:3]
	v_cmp_nlt_f64_e32 vcc_lo, 0x40900000, v[7:8]
	v_cmp_ngt_f64_e64 s1, 0xc090cc00, v[7:8]
	v_rndne_f64_e32 v[9:10], v[9:10]
	v_fma_f64 v[11:12], v[9:10], s[4:5], v[7:8]
	v_cvt_i32_f64_e32 v17, v[9:10]
	v_fma_f64 v[11:12], v[9:10], s[26:27], v[11:12]
	v_fma_f64 v[15:16], v[11:12], s[36:37], s[34:35]
	;; [unrolled: 1-line block ×10, first 2 shown]
	v_fma_f64 v[15:16], v[11:12], v[15:16], 1.0
	v_fma_f64 v[9:10], v[11:12], v[15:16], 1.0
	v_ldexp_f64 v[9:10], v[9:10], v17
	v_cndmask_b32_e32 v10, 0x7ff00000, v10, vcc_lo
	s_and_b32 vcc_lo, s1, vcc_lo
	v_cndmask_b32_e32 v7, 0, v9, vcc_lo
	v_add_co_u32 v4, vcc_lo, v4, s7
	v_cndmask_b32_e64 v8, 0, v10, s1
	v_add_co_ci_u32_e64 v5, null, 0, v5, vcc_lo
	v_add_co_u32 v9, vcc_lo, s8, v1
	s_waitcnt vmcnt(0) lgkmcnt(0)
	v_fma_f64 v[7:8], -v[2:3], v[7:8], v[13:14]
	v_add_co_ci_u32_e64 v10, null, s9, v6, vcc_lo
	v_cmp_le_i64_e32 vcc_lo, s[30:31], v[4:5]
	v_add_co_u32 v1, s1, v1, s56
	v_add_co_ci_u32_e64 v6, null, 0, v6, s1
	s_or_b32 s55, vcc_lo, s55
	global_store_dwordx2 v[9:10], v[7:8], off
	s_andn2_b32 exec_lo, exec_lo, s55
	s_cbranch_execnz .LBB227_54
.LBB227_55:
	s_or_b32 exec_lo, exec_lo, s54
	s_mov_b32 s1, 0
.LBB227_56:
	s_and_b32 vcc_lo, exec_lo, s1
	s_cbranch_vccz .LBB227_91
; %bb.57:
	s_lshl_b32 s1, s7, 1
	v_mov_b32_e32 v4, v0
	v_cvt_f32_u32_e32 v1, s1
	s_sub_i32 s3, 0, s1
	s_mov_b32 s50, 0
	s_mov_b32 s48, exec_lo
	v_rcp_iflag_f32_e32 v1, v1
	v_mul_f32_e32 v1, 0x4f7ffffe, v1
	v_cvt_u32_f32_e32 v1, v1
	v_readfirstlane_b32 s2, v1
	s_mul_i32 s3, s3, s2
	s_mul_hi_u32 s3, s2, s3
	s_add_i32 s2, s2, s3
	s_mul_hi_u32 s2, s14, s2
	s_mul_i32 s2, s2, s1
	s_sub_i32 s2, s14, s2
	s_sub_i32 s3, s2, s1
	s_cmp_ge_u32 s2, s1
	s_cselect_b32 s2, s3, s2
	s_sub_i32 s3, s2, s1
	s_cmp_ge_u32 s2, s1
	s_cselect_b32 s1, s3, s2
	s_sub_i32 s49, s14, s1
	v_cmpx_gt_i32_e64 s49, v0
	s_cbranch_execz .LBB227_61
; %bb.58:
	v_mov_b32_e32 v5, 0
	v_mov_b32_e32 v4, v0
	s_mov_b32 s4, 0x652b82fe
	s_mov_b32 s8, 0xfefa39ef
	;; [unrolled: 1-line block ×26, first 2 shown]
.LBB227_59:                             ; =>This Inner Loop Header: Depth=1
	v_lshlrev_b64 v[6:7], 3, v[4:5]
	v_add_nc_u32_e32 v4, s7, v4
	v_lshlrev_b64 v[8:9], 3, v[4:5]
	v_add_co_u32 v10, vcc_lo, s22, v6
	v_add_co_ci_u32_e64 v11, null, s23, v7, vcc_lo
	v_add_nc_u32_e32 v4, s7, v4
	v_add_co_u32 v12, vcc_lo, s22, v8
	v_add_co_ci_u32_e64 v13, null, s23, v9, vcc_lo
	v_add_co_u32 v22, vcc_lo, s16, v6
	s_clause 0x1
	global_load_dwordx2 v[10:11], v[10:11], off
	global_load_dwordx2 v[12:13], v[12:13], off
	v_add_co_ci_u32_e64 v23, null, s17, v7, vcc_lo
	v_add_co_u32 v24, vcc_lo, s16, v8
	v_add_co_ci_u32_e64 v25, null, s17, v9, vcc_lo
	s_clause 0x1
	global_load_dwordx2 v[22:23], v[22:23], off
	global_load_dwordx2 v[24:25], v[24:25], off
	s_waitcnt vmcnt(3)
	v_mul_f64 v[14:15], v[10:11], s[4:5]
	s_waitcnt vmcnt(2)
	v_mul_f64 v[16:17], v[12:13], s[4:5]
	v_cmp_nlt_f64_e64 s1, 0x40900000, v[12:13]
	v_cmp_nlt_f64_e32 vcc_lo, 0x40900000, v[10:11]
	v_cmp_ngt_f64_e64 s2, 0xc090cc00, v[10:11]
	v_cmp_ngt_f64_e64 s3, 0xc090cc00, v[12:13]
	v_rndne_f64_e32 v[14:15], v[14:15]
	v_rndne_f64_e32 v[16:17], v[16:17]
	v_fma_f64 v[18:19], v[14:15], s[8:9], v[10:11]
	v_fma_f64 v[20:21], v[16:17], s[8:9], v[12:13]
	v_cvt_i32_f64_e32 v30, v[16:17]
	v_cvt_i32_f64_e32 v1, v[14:15]
	v_fma_f64 v[18:19], v[14:15], s[10:11], v[18:19]
	v_fma_f64 v[20:21], v[16:17], s[10:11], v[20:21]
	;; [unrolled: 1-line block ×20, first 2 shown]
	v_fma_f64 v[26:27], v[18:19], v[26:27], 1.0
	v_fma_f64 v[28:29], v[20:21], v[28:29], 1.0
	;; [unrolled: 1-line block ×4, first 2 shown]
	v_ldexp_f64 v[14:15], v[14:15], v1
	v_ldexp_f64 v[16:17], v[16:17], v30
	v_cndmask_b32_e32 v1, 0x7ff00000, v15, vcc_lo
	v_cndmask_b32_e64 v10, 0x7ff00000, v17, s1
	s_and_b32 vcc_lo, s2, vcc_lo
	v_cndmask_b32_e64 v11, 0, v1, s2
	v_cndmask_b32_e64 v13, 0, v10, s3
	v_cndmask_b32_e32 v10, 0, v14, vcc_lo
	s_and_b32 vcc_lo, s3, s1
	v_add_co_u32 v8, s1, s20, v8
	v_cndmask_b32_e32 v12, 0, v16, vcc_lo
	s_waitcnt vmcnt(1) lgkmcnt(0)
	v_fma_f64 v[10:11], -v[2:3], v[10:11], v[22:23]
	v_add_co_u32 v6, vcc_lo, s20, v6
	v_add_co_ci_u32_e64 v7, null, s21, v7, vcc_lo
	s_waitcnt vmcnt(0)
	v_fma_f64 v[12:13], -v[2:3], v[12:13], v[24:25]
	v_cmp_le_i32_e32 vcc_lo, s49, v4
	v_add_co_ci_u32_e64 v9, null, s21, v9, s1
	global_store_dwordx2 v[6:7], v[10:11], off
	global_store_dwordx2 v[8:9], v[12:13], off
	s_or_b32 s50, vcc_lo, s50
	s_andn2_b32 exec_lo, exec_lo, s50
	s_cbranch_execnz .LBB227_59
; %bb.60:
	s_or_b32 exec_lo, exec_lo, s50
.LBB227_61:
	s_or_b32 exec_lo, exec_lo, s48
	s_mov_b32 s46, exec_lo
	v_cmpx_gt_i32_e64 s14, v4
	s_cbranch_execz .LBB227_64
; %bb.62:
	s_mov_b32 s2, 0x652b82fe
	s_mov_b32 s4, 0xfefa39ef
	;; [unrolled: 1-line block ×27, first 2 shown]
.LBB227_63:                             ; =>This Inner Loop Header: Depth=1
	v_ashrrev_i32_e32 v5, 31, v4
	v_lshlrev_b64 v[5:6], 3, v[4:5]
	v_add_nc_u32_e32 v4, s7, v4
	v_add_co_u32 v7, vcc_lo, s22, v5
	v_add_co_ci_u32_e64 v8, null, s23, v6, vcc_lo
	v_add_co_u32 v13, vcc_lo, s16, v5
	v_add_co_ci_u32_e64 v14, null, s17, v6, vcc_lo
	global_load_dwordx2 v[7:8], v[7:8], off
	global_load_dwordx2 v[13:14], v[13:14], off
	s_waitcnt vmcnt(1)
	v_mul_f64 v[9:10], v[7:8], s[2:3]
	v_cmp_nlt_f64_e32 vcc_lo, 0x40900000, v[7:8]
	v_cmp_ngt_f64_e64 s1, 0xc090cc00, v[7:8]
	v_rndne_f64_e32 v[9:10], v[9:10]
	v_fma_f64 v[11:12], v[9:10], s[4:5], v[7:8]
	v_cvt_i32_f64_e32 v1, v[9:10]
	v_fma_f64 v[11:12], v[9:10], s[8:9], v[11:12]
	v_fma_f64 v[15:16], v[11:12], s[12:13], s[10:11]
	;; [unrolled: 1-line block ×10, first 2 shown]
	v_fma_f64 v[15:16], v[11:12], v[15:16], 1.0
	v_fma_f64 v[9:10], v[11:12], v[15:16], 1.0
	v_ldexp_f64 v[9:10], v[9:10], v1
	v_cndmask_b32_e32 v1, 0x7ff00000, v10, vcc_lo
	s_and_b32 vcc_lo, s1, vcc_lo
	v_cndmask_b32_e32 v7, 0, v9, vcc_lo
	v_cmp_le_i32_e32 vcc_lo, s14, v4
	v_cndmask_b32_e64 v8, 0, v1, s1
	v_add_co_u32 v5, s1, s20, v5
	v_add_co_ci_u32_e64 v6, null, s21, v6, s1
	s_waitcnt vmcnt(0) lgkmcnt(0)
	v_fma_f64 v[7:8], -v[2:3], v[7:8], v[13:14]
	s_or_b32 s47, vcc_lo, s47
	global_store_dwordx2 v[5:6], v[7:8], off
	s_andn2_b32 exec_lo, exec_lo, s47
	s_cbranch_execnz .LBB227_63
.LBB227_64:
	s_or_b32 exec_lo, exec_lo, s46
	s_mov_b32 s1, 0
.LBB227_65:
	s_andn2_b32 vcc_lo, exec_lo, s1
	s_cbranch_vccnz .LBB227_92
.LBB227_66:
	s_cmp_lg_u64 s[28:29], 0
	s_mov_b32 s2, -1
	s_cselect_b32 s54, -1, 0
	s_and_b32 vcc_lo, exec_lo, s33
	v_cndmask_b32_e64 v1, 0, 1, s54
	v_cmp_ne_u32_e64 s1, 1, v1
	s_cbranch_vccz .LBB227_80
; %bb.67:
	v_mov_b32_e32 v1, 0
	s_and_b32 vcc_lo, exec_lo, s1
	s_mov_b64 s[4:5], s[20:21]
	s_mov_b64 s[8:9], s[22:23]
	;; [unrolled: 1-line block ×3, first 2 shown]
	s_cbranch_vccnz .LBB227_71
; %bb.68:
	s_and_saveexec_b32 s2, s0
	s_cbranch_execz .LBB227_70
; %bb.69:
	v_lshlrev_b64 v[4:5], 3, v[0:1]
	s_mov_b32 s4, 0x652b82fe
	s_mov_b32 s5, 0x3ff71547
	;; [unrolled: 1-line block ×4, first 2 shown]
	v_add_co_u32 v6, vcc_lo, s22, v4
	v_add_co_ci_u32_e64 v7, null, s23, v5, vcc_lo
	v_add_co_u32 v12, vcc_lo, s16, v4
	v_add_co_ci_u32_e64 v13, null, s17, v5, vcc_lo
	global_load_dwordx2 v[6:7], v[6:7], off offset:-8
	global_load_dwordx2 v[12:13], v[12:13], off offset:-8
	s_waitcnt vmcnt(1)
	v_mul_f64 v[8:9], v[6:7], s[4:5]
	s_mov_b32 s4, 0xfefa39ef
	s_mov_b32 s5, 0xbfe62e42
	v_cmp_nlt_f64_e32 vcc_lo, 0x40900000, v[6:7]
	v_cmp_ngt_f64_e64 s1, 0xc090cc00, v[6:7]
	v_rndne_f64_e32 v[8:9], v[8:9]
	v_fma_f64 v[10:11], v[8:9], s[4:5], v[6:7]
	s_mov_b32 s4, 0x3b39803f
	s_mov_b32 s5, 0xbc7abc9e
	v_cvt_i32_f64_e32 v16, v[8:9]
	v_fma_f64 v[10:11], v[8:9], s[4:5], v[10:11]
	s_mov_b32 s4, 0xfca7ab0c
	s_mov_b32 s5, 0x3e928af3
	v_fma_f64 v[14:15], v[10:11], s[8:9], s[4:5]
	s_mov_b32 s4, 0x623fde64
	s_mov_b32 s5, 0x3ec71dee
	;; [unrolled: 3-line block ×9, first 2 shown]
	v_fma_f64 v[14:15], v[10:11], v[14:15], s[4:5]
	v_fma_f64 v[14:15], v[10:11], v[14:15], 1.0
	v_fma_f64 v[8:9], v[10:11], v[14:15], 1.0
	v_ldexp_f64 v[8:9], v[8:9], v16
	v_cndmask_b32_e32 v9, 0x7ff00000, v9, vcc_lo
	s_and_b32 vcc_lo, s1, vcc_lo
	v_cndmask_b32_e32 v6, 0, v8, vcc_lo
	v_add_co_u32 v4, vcc_lo, s20, v4
	v_cndmask_b32_e64 v7, 0, v9, s1
	v_add_co_ci_u32_e64 v5, null, s21, v5, vcc_lo
	s_waitcnt vmcnt(0) lgkmcnt(0)
	v_fma_f64 v[6:7], -v[2:3], v[6:7], v[12:13]
	global_store_dwordx2 v[4:5], v[6:7], off offset:-8
.LBB227_70:
	s_or_b32 exec_lo, exec_lo, s2
	s_sub_u32 s1, s14, s7
	s_subb_u32 s2, s15, 0
	s_add_u32 s18, s1, 1
	s_addc_u32 s19, s2, 0
	s_lshl_b32 s1, s7, 3
	s_add_u32 s2, s20, s1
	s_addc_u32 s3, s21, 0
	s_add_u32 s4, s2, -8
	s_addc_u32 s5, s3, -1
	s_add_u32 s2, s22, s1
	s_addc_u32 s3, s23, 0
	s_add_u32 s8, s2, -8
	s_addc_u32 s9, s3, -1
	;; [unrolled: 4-line block ×3, first 2 shown]
.LBB227_71:
	s_load_dword s1, s[24:25], 0x0
	v_mov_b32_e32 v4, 0
	s_waitcnt lgkmcnt(0)
	s_cmp_lt_u32 s6, s1
	s_cselect_b32 s1, 12, 18
	s_add_u32 s2, s24, s1
	s_addc_u32 s3, s25, 0
	global_load_ushort v4, v4, s[2:3]
	s_mov_b32 s2, 0
	s_mov_b32 s3, s19
	s_waitcnt vmcnt(0)
	v_readfirstlane_b32 s1, v4
	v_and_b32_e32 v8, 0xffff, v4
	s_and_b32 s1, 0xffff, s1
	s_lshl_b32 s1, s1, 1
	s_cmp_lg_u64 s[2:3], 0
	s_cbranch_scc0 .LBB227_93
; %bb.72:
	v_cvt_f32_u32_e32 v4, s1
	s_sub_u32 s13, 0, s1
	s_subb_u32 s15, 0, 0
	v_fmamk_f32 v4, 0, 0x4f800000, v4
	v_rcp_f32_e32 v4, v4
	v_mul_f32_e32 v4, 0x5f7ffffc, v4
	v_mul_f32_e32 v5, 0x2f800000, v4
	v_trunc_f32_e32 v5, v5
	v_fmamk_f32 v4, v5, 0xcf800000, v4
	v_cvt_u32_f32_e32 v5, v5
	v_cvt_u32_f32_e32 v4, v4
	v_readfirstlane_b32 s3, v5
	v_readfirstlane_b32 s12, v4
	s_mul_i32 s26, s13, s3
	s_mul_hi_u32 s28, s13, s12
	s_mul_i32 s27, s15, s12
	s_add_i32 s26, s28, s26
	s_mul_i32 s29, s13, s12
	s_add_i32 s26, s26, s27
	s_mul_hi_u32 s28, s12, s29
	s_mul_i32 s31, s12, s26
	s_mul_hi_u32 s30, s3, s29
	s_mul_i32 s27, s3, s29
	s_mul_hi_u32 s29, s12, s26
	s_add_u32 s28, s28, s31
	s_addc_u32 s29, 0, s29
	s_mul_hi_u32 s33, s3, s26
	s_add_u32 s27, s28, s27
	s_mul_i32 s26, s3, s26
	s_addc_u32 s27, s29, s30
	s_addc_u32 s28, s33, 0
	s_add_u32 s26, s27, s26
	s_addc_u32 s27, 0, s28
	s_add_u32 s12, s12, s26
	s_cselect_b32 s26, -1, 0
	s_mul_hi_u32 s28, s13, s12
	s_cmp_lg_u32 s26, 0
	s_mul_i32 s26, s13, s12
	s_addc_u32 s3, s3, s27
	s_mul_i32 s15, s15, s12
	s_mul_i32 s13, s13, s3
	s_mul_hi_u32 s27, s12, s26
	s_add_i32 s13, s28, s13
	s_mul_hi_u32 s28, s3, s26
	s_add_i32 s13, s13, s15
	s_mul_i32 s15, s3, s26
	s_mul_i32 s30, s12, s13
	s_mul_hi_u32 s29, s12, s13
	s_add_u32 s27, s27, s30
	s_addc_u32 s29, 0, s29
	s_mul_hi_u32 s26, s3, s13
	s_add_u32 s15, s27, s15
	s_mul_i32 s13, s3, s13
	s_addc_u32 s15, s29, s28
	s_addc_u32 s26, s26, 0
	s_add_u32 s13, s15, s13
	s_addc_u32 s15, 0, s26
	s_add_u32 s12, s12, s13
	s_cselect_b32 s13, -1, 0
	s_mul_hi_u32 s26, s18, s12
	s_cmp_lg_u32 s13, 0
	s_mul_hi_u32 s13, s19, s12
	s_addc_u32 s3, s3, s15
	s_mul_i32 s12, s19, s12
	s_mul_i32 s27, s18, s3
	s_mul_hi_u32 s15, s18, s3
	s_add_u32 s26, s26, s27
	s_addc_u32 s15, 0, s15
	s_mul_hi_u32 s28, s19, s3
	s_add_u32 s12, s26, s12
	s_mul_i32 s3, s19, s3
	s_addc_u32 s12, s15, s13
	s_addc_u32 s13, s28, 0
	s_add_u32 s3, s12, s3
	s_addc_u32 s12, 0, s13
	s_mul_hi_u32 s13, s1, s3
	s_mul_i32 s12, s1, s12
	s_mul_i32 s3, s1, s3
	s_add_i32 s13, s13, s12
	s_sub_u32 s3, s18, s3
	s_cselect_b32 s12, -1, 0
	s_cmp_lg_u32 s12, 0
	s_subb_u32 s12, s19, s13
	s_sub_u32 s13, s3, s1
	s_cselect_b32 s15, -1, 0
	s_cmp_lg_u32 s15, 0
	s_subb_u32 s15, s12, 0
	;; [unrolled: 4-line block ×3, first 2 shown]
	s_cmp_ge_u32 s13, s1
	s_cselect_b32 s28, -1, 0
	s_cmp_eq_u32 s15, 0
	s_cselect_b32 s28, s28, -1
	s_cmp_lg_u32 s28, 0
	s_cselect_b32 s15, s27, s15
	s_cselect_b32 s26, s26, s13
	s_cmp_ge_u32 s3, s1
	s_cselect_b32 s13, -1, 0
	s_cmp_eq_u32 s12, 0
	s_cselect_b32 s13, s13, -1
	s_cmp_lg_u32 s13, 0
	s_cselect_b32 s13, s15, s12
	s_cselect_b32 s12, s26, s3
	s_andn2_b32 vcc_lo, exec_lo, s2
	s_cbranch_vccnz .LBB227_74
.LBB227_73:
	v_cvt_f32_u32_e32 v4, s1
	s_sub_i32 s3, 0, s1
	s_mov_b32 s13, 0
	v_rcp_iflag_f32_e32 v4, v4
	v_mul_f32_e32 v4, 0x4f7ffffe, v4
	v_cvt_u32_f32_e32 v4, v4
	v_readfirstlane_b32 s2, v4
	s_mul_i32 s3, s3, s2
	s_mul_hi_u32 s3, s2, s3
	s_add_i32 s2, s2, s3
	s_mul_hi_u32 s2, s18, s2
	s_mul_i32 s2, s2, s1
	s_sub_i32 s2, s18, s2
	s_sub_i32 s3, s2, s1
	s_cmp_ge_u32 s2, s1
	s_cselect_b32 s2, s3, s2
	s_sub_i32 s3, s2, s1
	s_cmp_ge_u32 s2, s1
	s_cselect_b32 s12, s3, s2
.LBB227_74:
	v_lshlrev_b64 v[4:5], 4, v[0:1]
	v_mov_b32_e32 v7, v1
	v_lshlrev_b32_e32 v9, 4, v8
	v_mov_b32_e32 v6, v0
	s_sub_u32 s12, s18, s12
	s_mov_b32 s26, 0x652b82fe
	v_or_b32_e32 v4, 8, v4
	s_mov_b32 s28, 0xfefa39ef
	s_mov_b32 s30, 0x3b39803f
	;; [unrolled: 1-line block ×14, first 2 shown]
	s_subb_u32 s13, s19, s13
	s_mov_b32 s29, 0xbfe62e42
	s_mov_b32 s31, 0xbc7abc9e
	;; [unrolled: 1-line block ×12, first 2 shown]
.LBB227_75:                             ; =>This Inner Loop Header: Depth=1
	v_add_co_u32 v10, vcc_lo, s8, v4
	v_add_co_ci_u32_e64 v11, null, s9, v5, vcc_lo
	global_load_dwordx4 v[10:13], v[10:11], off offset:-8
	s_waitcnt vmcnt(0)
	v_mul_f64 v[14:15], v[10:11], s[26:27]
	v_mul_f64 v[16:17], v[12:13], s[26:27]
	v_cmp_nlt_f64_e64 s1, 0x40900000, v[10:11]
	v_cmp_ngt_f64_e64 s2, 0xc090cc00, v[10:11]
	v_cmp_ngt_f64_e64 s3, 0xc090cc00, v[12:13]
	v_rndne_f64_e32 v[18:19], v[14:15]
	v_rndne_f64_e32 v[20:21], v[16:17]
	v_add_co_u32 v14, vcc_lo, s10, v4
	v_add_co_ci_u32_e64 v15, null, s11, v5, vcc_lo
	v_cmp_nlt_f64_e32 vcc_lo, 0x40900000, v[12:13]
	global_load_dwordx4 v[14:17], v[14:15], off offset:-8
	v_fma_f64 v[22:23], v[18:19], s[28:29], v[10:11]
	v_fma_f64 v[24:25], v[20:21], s[28:29], v[12:13]
	v_cvt_i32_f64_e32 v1, v[18:19]
	v_cvt_i32_f64_e32 v30, v[20:21]
	v_fma_f64 v[22:23], v[18:19], s[30:31], v[22:23]
	v_fma_f64 v[24:25], v[20:21], s[30:31], v[24:25]
	;; [unrolled: 1-line block ×20, first 2 shown]
	v_fma_f64 v[26:27], v[22:23], v[26:27], 1.0
	v_fma_f64 v[28:29], v[24:25], v[28:29], 1.0
	;; [unrolled: 1-line block ×4, first 2 shown]
	v_ldexp_f64 v[18:19], v[18:19], v1
	v_ldexp_f64 v[20:21], v[20:21], v30
	v_cndmask_b32_e64 v1, 0x7ff00000, v19, s1
	v_cndmask_b32_e32 v10, 0x7ff00000, v21, vcc_lo
	s_and_b32 s1, s2, s1
	s_and_b32 vcc_lo, s3, vcc_lo
	v_cndmask_b32_e32 v12, 0, v20, vcc_lo
	v_cndmask_b32_e64 v11, 0, v1, s2
	v_cndmask_b32_e64 v13, 0, v10, s3
	;; [unrolled: 1-line block ×3, first 2 shown]
	v_add_co_u32 v6, vcc_lo, v6, v8
	v_add_co_ci_u32_e64 v7, null, 0, v7, vcc_lo
	s_waitcnt vmcnt(0)
	v_fma_f64 v[10:11], -v[2:3], v[10:11], v[14:15]
	v_fma_f64 v[12:13], -v[2:3], v[12:13], v[16:17]
	v_add_co_u32 v16, vcc_lo, s4, v4
	v_lshlrev_b64 v[14:15], 1, v[6:7]
	v_add_co_ci_u32_e64 v17, null, s5, v5, vcc_lo
	v_add_co_u32 v4, s1, v4, v9
	v_add_co_ci_u32_e64 v5, null, 0, v5, s1
	v_cmp_le_i64_e32 vcc_lo, s[12:13], v[14:15]
	s_or_b32 s15, vcc_lo, s15
	global_store_dwordx4 v[16:17], v[10:13], off offset:-8
	s_andn2_b32 exec_lo, exec_lo, s15
	s_cbranch_execnz .LBB227_75
; %bb.76:
	s_or_b32 exec_lo, exec_lo, s15
	v_add_co_u32 v4, s1, s12, v0
	v_add_co_ci_u32_e64 v5, null, s13, 0, s1
	s_mov_b32 s15, exec_lo
	v_cmpx_gt_u64_e64 s[18:19], v[4:5]
	s_cbranch_execz .LBB227_79
; %bb.77:
	s_mov_b32 s2, 0x652b82fe
	s_mov_b32 s12, 0xfefa39ef
	;; [unrolled: 1-line block ×27, first 2 shown]
.LBB227_78:                             ; =>This Inner Loop Header: Depth=1
	v_lshlrev_b64 v[6:7], 3, v[4:5]
	v_add_co_u32 v9, vcc_lo, s8, v6
	v_add_co_ci_u32_e64 v10, null, s9, v7, vcc_lo
	v_add_co_u32 v15, vcc_lo, s10, v6
	v_add_co_ci_u32_e64 v16, null, s11, v7, vcc_lo
	global_load_dwordx2 v[9:10], v[9:10], off
	global_load_dwordx2 v[15:16], v[15:16], off
	s_waitcnt vmcnt(1)
	v_mul_f64 v[11:12], v[9:10], s[2:3]
	v_cmp_nlt_f64_e32 vcc_lo, 0x40900000, v[9:10]
	v_cmp_ngt_f64_e64 s1, 0xc090cc00, v[9:10]
	v_rndne_f64_e32 v[11:12], v[11:12]
	v_fma_f64 v[13:14], v[11:12], s[12:13], v[9:10]
	v_cvt_i32_f64_e32 v1, v[11:12]
	v_fma_f64 v[13:14], v[11:12], s[26:27], v[13:14]
	v_fma_f64 v[17:18], v[13:14], s[30:31], s[28:29]
	;; [unrolled: 1-line block ×10, first 2 shown]
	v_fma_f64 v[17:18], v[13:14], v[17:18], 1.0
	v_fma_f64 v[11:12], v[13:14], v[17:18], 1.0
	v_ldexp_f64 v[11:12], v[11:12], v1
	v_cndmask_b32_e32 v1, 0x7ff00000, v12, vcc_lo
	s_and_b32 vcc_lo, s1, vcc_lo
	v_cndmask_b32_e32 v9, 0, v11, vcc_lo
	v_add_co_u32 v4, vcc_lo, v4, v8
	v_cndmask_b32_e64 v10, 0, v1, s1
	v_add_co_ci_u32_e64 v5, null, 0, v5, vcc_lo
	v_add_co_u32 v6, s1, s4, v6
	s_waitcnt vmcnt(0)
	v_fma_f64 v[9:10], -v[2:3], v[9:10], v[15:16]
	v_cmp_le_i64_e32 vcc_lo, s[18:19], v[4:5]
	v_add_co_ci_u32_e64 v7, null, s5, v7, s1
	s_or_b32 s33, vcc_lo, s33
	global_store_dwordx2 v[6:7], v[9:10], off
	s_andn2_b32 exec_lo, exec_lo, s33
	s_cbranch_execnz .LBB227_78
.LBB227_79:
	s_or_b32 exec_lo, exec_lo, s15
	s_mov_b32 s2, 0
.LBB227_80:
	s_and_b32 vcc_lo, exec_lo, s2
	s_cbranch_vccz .LBB227_92
; %bb.81:
	s_andn2_b32 vcc_lo, exec_lo, s54
	s_cbranch_vccnz .LBB227_85
; %bb.82:
	s_and_saveexec_b32 s1, s0
	s_cbranch_execz .LBB227_84
; %bb.83:
	v_mov_b32_e32 v1, 0
	s_mov_b32 s2, 0x652b82fe
	s_mov_b32 s3, 0x3ff71547
	;; [unrolled: 1-line block ×4, first 2 shown]
	v_lshlrev_b64 v[4:5], 3, v[0:1]
	v_add_co_u32 v6, vcc_lo, s22, v4
	v_add_co_ci_u32_e64 v7, null, s23, v5, vcc_lo
	v_add_co_u32 v12, vcc_lo, s16, v4
	v_add_co_ci_u32_e64 v13, null, s17, v5, vcc_lo
	global_load_dwordx2 v[6:7], v[6:7], off offset:-8
	global_load_dwordx2 v[12:13], v[12:13], off offset:-8
	s_waitcnt vmcnt(1)
	v_mul_f64 v[8:9], v[6:7], s[2:3]
	s_mov_b32 s2, 0xfefa39ef
	s_mov_b32 s3, 0xbfe62e42
	v_cmp_nlt_f64_e32 vcc_lo, 0x40900000, v[6:7]
	v_cmp_ngt_f64_e64 s0, 0xc090cc00, v[6:7]
	v_rndne_f64_e32 v[8:9], v[8:9]
	v_fma_f64 v[10:11], v[8:9], s[2:3], v[6:7]
	s_mov_b32 s2, 0x3b39803f
	s_mov_b32 s3, 0xbc7abc9e
	v_cvt_i32_f64_e32 v1, v[8:9]
	v_fma_f64 v[10:11], v[8:9], s[2:3], v[10:11]
	s_mov_b32 s2, 0xfca7ab0c
	s_mov_b32 s3, 0x3e928af3
	v_fma_f64 v[14:15], v[10:11], s[4:5], s[2:3]
	s_mov_b32 s2, 0x623fde64
	s_mov_b32 s3, 0x3ec71dee
	;; [unrolled: 3-line block ×9, first 2 shown]
	v_fma_f64 v[14:15], v[10:11], v[14:15], s[2:3]
	v_fma_f64 v[14:15], v[10:11], v[14:15], 1.0
	v_fma_f64 v[8:9], v[10:11], v[14:15], 1.0
	v_ldexp_f64 v[8:9], v[8:9], v1
	v_cndmask_b32_e32 v1, 0x7ff00000, v9, vcc_lo
	s_and_b32 vcc_lo, s0, vcc_lo
	v_cndmask_b32_e32 v6, 0, v8, vcc_lo
	v_add_co_u32 v4, vcc_lo, s20, v4
	v_cndmask_b32_e64 v7, 0, v1, s0
	v_add_co_ci_u32_e64 v5, null, s21, v5, vcc_lo
	s_waitcnt vmcnt(0) lgkmcnt(0)
	v_fma_f64 v[6:7], -v[2:3], v[6:7], v[12:13]
	global_store_dwordx2 v[4:5], v[6:7], off offset:-8
.LBB227_84:
	s_or_b32 exec_lo, exec_lo, s1
	s_add_i32 s0, s14, 1
	s_lshl_b32 s1, s7, 3
	v_sub_nc_u32_e64 v1, s0, s7 clamp
	s_add_u32 s0, s20, s1
	s_addc_u32 s2, s21, 0
	s_add_u32 s20, s0, -8
	s_addc_u32 s21, s2, -1
	s_add_u32 s0, s22, s1
	s_addc_u32 s2, s23, 0
	s_add_u32 s22, s0, -8
	s_addc_u32 s23, s2, -1
	v_readfirstlane_b32 s14, v1
	s_add_u32 s0, s16, s1
	s_addc_u32 s1, s17, 0
	s_add_u32 s16, s0, -8
	s_addc_u32 s17, s1, -1
.LBB227_85:
	s_load_dword s0, s[24:25], 0x0
	v_mov_b32_e32 v1, 0
	s_mov_b32 s33, 0
	s_mov_b32 s15, exec_lo
	s_waitcnt lgkmcnt(0)
	s_cmp_lt_u32 s6, s0
	s_cselect_b32 s0, 12, 18
	s_add_u32 s0, s24, s0
	s_addc_u32 s1, s25, 0
	global_load_ushort v6, v1, s[0:1]
	s_waitcnt vmcnt(0)
	v_readfirstlane_b32 s0, v6
	s_lshl_b32 s0, s0, 1
	v_cvt_f32_u32_e32 v1, s0
	s_sub_i32 s2, 0, s0
	v_rcp_iflag_f32_e32 v1, v1
	v_mul_f32_e32 v1, 0x4f7ffffe, v1
	v_cvt_u32_f32_e32 v1, v1
	v_readfirstlane_b32 s1, v1
	v_lshlrev_b32_e32 v1, 1, v0
	s_mul_i32 s2, s2, s1
	s_mul_hi_u32 s2, s1, s2
	s_add_i32 s1, s1, s2
	s_mul_hi_u32 s1, s14, s1
	s_mul_i32 s1, s1, s0
	s_sub_i32 s1, s14, s1
	s_sub_i32 s2, s1, s0
	s_cmp_ge_u32 s1, s0
	s_cselect_b32 s1, s2, s1
	s_sub_i32 s2, s1, s0
	s_cmp_ge_u32 s1, s0
	s_cselect_b32 s0, s2, s1
	s_sub_i32 s3, s14, s0
	v_cmpx_gt_i32_e64 s3, v1
	s_cbranch_execz .LBB227_88
; %bb.86:
	v_mov_b32_e32 v4, v0
	s_mov_b32 s4, 0x652b82fe
	s_mov_b32 s6, 0xfefa39ef
	s_mov_b32 s8, 0x3b39803f
	s_mov_b32 s10, 0xfca7ab0c
	s_mov_b32 s12, 0x6a5dcb37
	s_mov_b32 s18, 0x623fde64
	s_mov_b32 s24, 0x7c89e6b0
	s_mov_b32 s26, 0x14761f6e
	s_mov_b32 s28, 0x1852b7b0
	s_mov_b32 s30, 0x11122322
	s_mov_b32 s34, 0x555502a1
	s_mov_b32 s36, 0x55555511
	s_mov_b32 s38, 11
	s_mov_b32 s5, 0x3ff71547
	s_mov_b32 s7, 0xbfe62e42
	s_mov_b32 s9, 0xbc7abc9e
	s_mov_b32 s11, 0x3e928af3
	s_mov_b32 s13, 0x3e5ade15
	s_mov_b32 s19, 0x3ec71dee
	s_mov_b32 s25, 0x3efa0199
	s_mov_b32 s27, 0x3f2a01a0
	s_mov_b32 s29, 0x3f56c16c
	s_mov_b32 s31, 0x3f811111
	s_mov_b32 s35, 0x3fa55555
	s_mov_b32 s37, 0x3fc55555
	s_mov_b32 s39, 0x3fe00000
.LBB227_87:                             ; =>This Inner Loop Header: Depth=1
	v_ashrrev_i32_e32 v5, 31, v4
	v_lshlrev_b64 v[15:16], 4, v[4:5]
	v_add_nc_u32_e32 v4, v4, v6
	v_add_co_u32 v7, vcc_lo, s22, v15
	v_add_co_ci_u32_e64 v8, null, s23, v16, vcc_lo
	global_load_dwordx4 v[7:10], v[7:8], off
	s_waitcnt vmcnt(0)
	v_mul_f64 v[11:12], v[7:8], s[4:5]
	v_mul_f64 v[13:14], v[9:10], s[4:5]
	v_cmp_nlt_f64_e64 s1, 0x40900000, v[9:10]
	v_cmp_ngt_f64_e64 s0, 0xc090cc00, v[7:8]
	v_cmp_ngt_f64_e64 s2, 0xc090cc00, v[9:10]
	v_rndne_f64_e32 v[17:18], v[11:12]
	v_rndne_f64_e32 v[19:20], v[13:14]
	v_add_co_u32 v11, vcc_lo, s16, v15
	v_add_co_ci_u32_e64 v12, null, s17, v16, vcc_lo
	v_cmp_nlt_f64_e32 vcc_lo, 0x40900000, v[7:8]
	global_load_dwordx4 v[11:14], v[11:12], off
	v_fma_f64 v[21:22], v[17:18], s[6:7], v[7:8]
	v_fma_f64 v[23:24], v[19:20], s[6:7], v[9:10]
	v_cvt_i32_f64_e32 v1, v[17:18]
	v_cvt_i32_f64_e32 v5, v[19:20]
	v_fma_f64 v[21:22], v[17:18], s[8:9], v[21:22]
	v_fma_f64 v[23:24], v[19:20], s[8:9], v[23:24]
	;; [unrolled: 1-line block ×20, first 2 shown]
	v_fma_f64 v[25:26], v[21:22], v[25:26], 1.0
	v_fma_f64 v[27:28], v[23:24], v[27:28], 1.0
	;; [unrolled: 1-line block ×4, first 2 shown]
	v_ldexp_f64 v[17:18], v[17:18], v1
	v_ldexp_f64 v[19:20], v[19:20], v5
	v_cndmask_b32_e32 v1, 0x7ff00000, v18, vcc_lo
	v_cndmask_b32_e64 v5, 0x7ff00000, v20, s1
	s_and_b32 vcc_lo, s0, vcc_lo
	v_cndmask_b32_e32 v7, 0, v17, vcc_lo
	s_and_b32 vcc_lo, s2, s1
	v_cndmask_b32_e64 v8, 0, v1, s0
	v_cndmask_b32_e64 v10, 0, v5, s2
	v_cndmask_b32_e32 v9, 0, v19, vcc_lo
	v_lshlrev_b32_e32 v1, 1, v4
	s_waitcnt vmcnt(0)
	v_fma_f64 v[7:8], -v[2:3], v[7:8], v[11:12]
	v_add_co_u32 v11, s0, s20, v15
	v_fma_f64 v[9:10], -v[2:3], v[9:10], v[13:14]
	v_cmp_le_i32_e32 vcc_lo, s3, v1
	v_add_co_ci_u32_e64 v12, null, s21, v16, s0
	s_or_b32 s33, vcc_lo, s33
	global_store_dwordx4 v[11:12], v[7:10], off
	s_andn2_b32 exec_lo, exec_lo, s33
	s_cbranch_execnz .LBB227_87
.LBB227_88:
	s_or_b32 exec_lo, exec_lo, s15
	v_add_nc_u32_e32 v0, s3, v0
	s_mov_b32 s0, exec_lo
	v_cmpx_gt_i32_e64 s14, v0
	s_cbranch_execz .LBB227_92
; %bb.89:
	s_mov_b32 s2, 0x652b82fe
	s_mov_b32 s4, 0xfefa39ef
	;; [unrolled: 1-line block ×27, first 2 shown]
.LBB227_90:                             ; =>This Inner Loop Header: Depth=1
	v_ashrrev_i32_e32 v1, 31, v0
	v_lshlrev_b64 v[4:5], 3, v[0:1]
	v_add_nc_u32_e32 v0, v0, v6
	v_add_co_u32 v7, vcc_lo, s22, v4
	v_add_co_ci_u32_e64 v8, null, s23, v5, vcc_lo
	v_add_co_u32 v13, vcc_lo, s16, v4
	v_add_co_ci_u32_e64 v14, null, s17, v5, vcc_lo
	global_load_dwordx2 v[7:8], v[7:8], off
	global_load_dwordx2 v[13:14], v[13:14], off
	s_waitcnt vmcnt(1)
	v_mul_f64 v[9:10], v[7:8], s[2:3]
	v_cmp_nlt_f64_e32 vcc_lo, 0x40900000, v[7:8]
	v_cmp_ngt_f64_e64 s0, 0xc090cc00, v[7:8]
	v_rndne_f64_e32 v[9:10], v[9:10]
	v_fma_f64 v[11:12], v[9:10], s[4:5], v[7:8]
	v_cvt_i32_f64_e32 v1, v[9:10]
	v_fma_f64 v[11:12], v[9:10], s[6:7], v[11:12]
	v_fma_f64 v[15:16], v[11:12], s[10:11], s[8:9]
	;; [unrolled: 1-line block ×10, first 2 shown]
	v_fma_f64 v[15:16], v[11:12], v[15:16], 1.0
	v_fma_f64 v[9:10], v[11:12], v[15:16], 1.0
	v_ldexp_f64 v[9:10], v[9:10], v1
	v_cndmask_b32_e32 v1, 0x7ff00000, v10, vcc_lo
	s_and_b32 vcc_lo, s0, vcc_lo
	v_cndmask_b32_e32 v7, 0, v9, vcc_lo
	v_cmp_le_i32_e32 vcc_lo, s14, v0
	v_cndmask_b32_e64 v8, 0, v1, s0
	v_add_co_u32 v4, s0, s20, v4
	v_add_co_ci_u32_e64 v5, null, s21, v5, s0
	s_waitcnt vmcnt(0)
	v_fma_f64 v[7:8], -v[2:3], v[7:8], v[13:14]
	s_or_b32 s1, vcc_lo, s1
	global_store_dwordx2 v[4:5], v[7:8], off
	s_andn2_b32 exec_lo, exec_lo, s1
	s_cbranch_execnz .LBB227_90
	s_branch .LBB227_92
.LBB227_91:
	s_cbranch_execz .LBB227_66
.LBB227_92:
	s_endpgm
.LBB227_93:
                                        ; implicit-def: $sgpr12_sgpr13
	s_branch .LBB227_73
	.section	.rodata,"a",@progbits
	.p2align	6, 0x0
	.amdhsa_kernel _ZN2at6native12_GLOBAL__N_120cunn_SoftMaxBackwardILi2EdddNS1_26LogSoftMaxBackwardEpilogueEEEvPT0_PKT2_S8_l
		.amdhsa_group_segment_fixed_size 0
		.amdhsa_private_segment_fixed_size 0
		.amdhsa_kernarg_size 288
		.amdhsa_user_sgpr_count 6
		.amdhsa_user_sgpr_private_segment_buffer 1
		.amdhsa_user_sgpr_dispatch_ptr 0
		.amdhsa_user_sgpr_queue_ptr 0
		.amdhsa_user_sgpr_kernarg_segment_ptr 1
		.amdhsa_user_sgpr_dispatch_id 0
		.amdhsa_user_sgpr_flat_scratch_init 0
		.amdhsa_user_sgpr_private_segment_size 0
		.amdhsa_wavefront_size32 1
		.amdhsa_uses_dynamic_stack 0
		.amdhsa_system_sgpr_private_segment_wavefront_offset 0
		.amdhsa_system_sgpr_workgroup_id_x 1
		.amdhsa_system_sgpr_workgroup_id_y 0
		.amdhsa_system_sgpr_workgroup_id_z 0
		.amdhsa_system_sgpr_workgroup_info 0
		.amdhsa_system_vgpr_workitem_id 0
		.amdhsa_next_free_vgpr 31
		.amdhsa_next_free_sgpr 77
		.amdhsa_reserve_vcc 1
		.amdhsa_reserve_flat_scratch 0
		.amdhsa_float_round_mode_32 0
		.amdhsa_float_round_mode_16_64 0
		.amdhsa_float_denorm_mode_32 3
		.amdhsa_float_denorm_mode_16_64 3
		.amdhsa_dx10_clamp 1
		.amdhsa_ieee_mode 1
		.amdhsa_fp16_overflow 0
		.amdhsa_workgroup_processor_mode 1
		.amdhsa_memory_ordered 1
		.amdhsa_forward_progress 1
		.amdhsa_shared_vgpr_count 0
		.amdhsa_exception_fp_ieee_invalid_op 0
		.amdhsa_exception_fp_denorm_src 0
		.amdhsa_exception_fp_ieee_div_zero 0
		.amdhsa_exception_fp_ieee_overflow 0
		.amdhsa_exception_fp_ieee_underflow 0
		.amdhsa_exception_fp_ieee_inexact 0
		.amdhsa_exception_int_div_zero 0
	.end_amdhsa_kernel
	.section	.text._ZN2at6native12_GLOBAL__N_120cunn_SoftMaxBackwardILi2EdddNS1_26LogSoftMaxBackwardEpilogueEEEvPT0_PKT2_S8_l,"axG",@progbits,_ZN2at6native12_GLOBAL__N_120cunn_SoftMaxBackwardILi2EdddNS1_26LogSoftMaxBackwardEpilogueEEEvPT0_PKT2_S8_l,comdat
.Lfunc_end227:
	.size	_ZN2at6native12_GLOBAL__N_120cunn_SoftMaxBackwardILi2EdddNS1_26LogSoftMaxBackwardEpilogueEEEvPT0_PKT2_S8_l, .Lfunc_end227-_ZN2at6native12_GLOBAL__N_120cunn_SoftMaxBackwardILi2EdddNS1_26LogSoftMaxBackwardEpilogueEEEvPT0_PKT2_S8_l
                                        ; -- End function
	.set _ZN2at6native12_GLOBAL__N_120cunn_SoftMaxBackwardILi2EdddNS1_26LogSoftMaxBackwardEpilogueEEEvPT0_PKT2_S8_l.num_vgpr, 31
	.set _ZN2at6native12_GLOBAL__N_120cunn_SoftMaxBackwardILi2EdddNS1_26LogSoftMaxBackwardEpilogueEEEvPT0_PKT2_S8_l.num_agpr, 0
	.set _ZN2at6native12_GLOBAL__N_120cunn_SoftMaxBackwardILi2EdddNS1_26LogSoftMaxBackwardEpilogueEEEvPT0_PKT2_S8_l.numbered_sgpr, 77
	.set _ZN2at6native12_GLOBAL__N_120cunn_SoftMaxBackwardILi2EdddNS1_26LogSoftMaxBackwardEpilogueEEEvPT0_PKT2_S8_l.num_named_barrier, 0
	.set _ZN2at6native12_GLOBAL__N_120cunn_SoftMaxBackwardILi2EdddNS1_26LogSoftMaxBackwardEpilogueEEEvPT0_PKT2_S8_l.private_seg_size, 0
	.set _ZN2at6native12_GLOBAL__N_120cunn_SoftMaxBackwardILi2EdddNS1_26LogSoftMaxBackwardEpilogueEEEvPT0_PKT2_S8_l.uses_vcc, 1
	.set _ZN2at6native12_GLOBAL__N_120cunn_SoftMaxBackwardILi2EdddNS1_26LogSoftMaxBackwardEpilogueEEEvPT0_PKT2_S8_l.uses_flat_scratch, 0
	.set _ZN2at6native12_GLOBAL__N_120cunn_SoftMaxBackwardILi2EdddNS1_26LogSoftMaxBackwardEpilogueEEEvPT0_PKT2_S8_l.has_dyn_sized_stack, 0
	.set _ZN2at6native12_GLOBAL__N_120cunn_SoftMaxBackwardILi2EdddNS1_26LogSoftMaxBackwardEpilogueEEEvPT0_PKT2_S8_l.has_recursion, 0
	.set _ZN2at6native12_GLOBAL__N_120cunn_SoftMaxBackwardILi2EdddNS1_26LogSoftMaxBackwardEpilogueEEEvPT0_PKT2_S8_l.has_indirect_call, 0
	.section	.AMDGPU.csdata,"",@progbits
; Kernel info:
; codeLenInByte = 10284
; TotalNumSgprs: 79
; NumVgprs: 31
; ScratchSize: 0
; MemoryBound: 0
; FloatMode: 240
; IeeeMode: 1
; LDSByteSize: 0 bytes/workgroup (compile time only)
; SGPRBlocks: 0
; VGPRBlocks: 3
; NumSGPRsForWavesPerEU: 79
; NumVGPRsForWavesPerEU: 31
; Occupancy: 16
; WaveLimiterHint : 0
; COMPUTE_PGM_RSRC2:SCRATCH_EN: 0
; COMPUTE_PGM_RSRC2:USER_SGPR: 6
; COMPUTE_PGM_RSRC2:TRAP_HANDLER: 0
; COMPUTE_PGM_RSRC2:TGID_X_EN: 1
; COMPUTE_PGM_RSRC2:TGID_Y_EN: 0
; COMPUTE_PGM_RSRC2:TGID_Z_EN: 0
; COMPUTE_PGM_RSRC2:TIDIG_COMP_CNT: 0
	.section	.text._ZN12_GLOBAL__N_121softmax_warp_backwardIfffLi0ELb1ELb0ELi64EEEvPT0_PKT_S5_iiiPKb,"axG",@progbits,_ZN12_GLOBAL__N_121softmax_warp_backwardIfffLi0ELb1ELb0ELi64EEEvPT0_PKT_S5_iiiPKb,comdat
	.globl	_ZN12_GLOBAL__N_121softmax_warp_backwardIfffLi0ELb1ELb0ELi64EEEvPT0_PKT_S5_iiiPKb ; -- Begin function _ZN12_GLOBAL__N_121softmax_warp_backwardIfffLi0ELb1ELb0ELi64EEEvPT0_PKT_S5_iiiPKb
	.p2align	8
	.type	_ZN12_GLOBAL__N_121softmax_warp_backwardIfffLi0ELb1ELb0ELi64EEEvPT0_PKT_S5_iiiPKb,@function
_ZN12_GLOBAL__N_121softmax_warp_backwardIfffLi0ELb1ELb0ELi64EEEvPT0_PKT_S5_iiiPKb: ; @_ZN12_GLOBAL__N_121softmax_warp_backwardIfffLi0ELb1ELb0ELi64EEEvPT0_PKT_S5_iiiPKb
; %bb.0:
	s_clause 0x3
	s_load_dword s7, s[4:5], 0x3c
	s_load_dwordx4 s[0:3], s[4:5], 0x18
	s_load_dwordx4 s[8:11], s[4:5], 0x0
	s_load_dwordx2 s[4:5], s[4:5], 0x10
	v_mov_b32_e32 v7, 0
	v_mov_b32_e32 v8, 0
	s_waitcnt lgkmcnt(0)
	s_lshr_b32 s3, s7, 16
	s_and_b32 s3, s3, 0xffff
	s_cmp_gt_i32 s2, 0
	s_mul_i32 s6, s6, s3
	v_add_lshl_u32 v2, s6, v1, 1
	v_mul_lo_u32 v0, v2, s1
	v_sub_nc_u32_e32 v6, s0, v2
	s_cselect_b32 s1, -1, 0
	v_cmp_lt_i32_e32 vcc_lo, 0, v6
	v_ashrrev_i32_e32 v1, 31, v0
	s_and_b32 s3, s1, vcc_lo
	v_lshlrev_b64 v[0:1], 2, v[0:1]
	v_add_co_u32 v2, s0, s10, v0
	v_add_co_ci_u32_e64 v3, null, s11, v1, s0
	v_add_co_u32 v4, s0, s4, v0
	v_add_co_ci_u32_e64 v5, null, s5, v1, s0
	s_and_saveexec_b32 s0, s3
	s_cbranch_execz .LBB228_2
; %bb.1:
	global_load_dword v8, v[2:3], off
	global_load_dword v7, v[4:5], off
.LBB228_2:
	s_or_b32 exec_lo, exec_lo, s0
	v_cmp_gt_i32_e64 s0, 2, v6
	s_xor_b32 s3, s1, -1
	s_or_b32 s0, s3, s0
	s_and_saveexec_b32 s3, s0
	s_xor_b32 s0, exec_lo, s3
                                        ; implicit-def: $vgpr9
	s_cbranch_execnz .LBB228_6
; %bb.3:
	s_or_saveexec_b32 s4, s0
	v_mov_b32_e32 v10, 1.0
	s_xor_b32 exec_lo, exec_lo, s4
	s_cbranch_execnz .LBB228_7
.LBB228_4:
	s_or_b32 exec_lo, exec_lo, s4
	s_and_saveexec_b32 s0, vcc_lo
	s_cbranch_execnz .LBB228_8
.LBB228_5:
	s_endpgm
.LBB228_6:
	v_mov_b32_e32 v9, 0
                                        ; implicit-def: $vgpr4
                                        ; implicit-def: $vgpr2
	s_or_saveexec_b32 s4, s0
	v_mov_b32_e32 v10, 1.0
	s_xor_b32 exec_lo, exec_lo, s4
	s_cbranch_execz .LBB228_4
.LBB228_7:
	s_mov_b32 s3, 0
	s_lshl_b64 s[6:7], s[2:3], 2
	v_add_co_u32 v4, s0, v4, s6
	v_add_co_ci_u32_e64 v5, null, s7, v5, s0
	v_add_co_u32 v2, s0, v2, s6
	v_add_co_ci_u32_e64 v3, null, s7, v3, s0
	global_load_dword v4, v[4:5], off
	global_load_dword v9, v[2:3], off
	s_waitcnt vmcnt(1)
	v_mul_f32_e32 v2, 0x3fb8aa3b, v4
	v_cmp_ngt_f32_e64 s0, 0xc2ce8ed0, v4
	v_fma_f32 v3, 0x3fb8aa3b, v4, -v2
	v_rndne_f32_e32 v5, v2
	v_fmamk_f32 v3, v4, 0x32a5705f, v3
	v_sub_f32_e32 v2, v2, v5
	v_add_f32_e32 v2, v2, v3
	v_cvt_i32_f32_e32 v3, v5
	v_exp_f32_e32 v2, v2
	v_ldexp_f32 v2, v2, v3
	v_cndmask_b32_e64 v2, 0, v2, s0
	v_cmp_nlt_f32_e64 s0, 0x42b17218, v4
	v_cndmask_b32_e64 v10, 0x7f800000, v2, s0
	s_or_b32 exec_lo, exec_lo, s4
	s_and_saveexec_b32 s0, vcc_lo
	s_cbranch_execz .LBB228_5
.LBB228_8:
	v_add_co_u32 v0, vcc_lo, s8, v0
	v_add_co_ci_u32_e64 v1, null, s9, v1, vcc_lo
	s_andn2_b32 vcc_lo, exec_lo, s1
	s_cbranch_vccnz .LBB228_10
; %bb.9:
	s_waitcnt vmcnt(0)
	v_mul_f32_e32 v2, 0x3fb8aa3b, v7
	v_cmp_ngt_f32_e32 vcc_lo, 0xc2ce8ed0, v7
	v_rndne_f32_e32 v3, v2
	v_fma_f32 v4, 0x3fb8aa3b, v7, -v2
	v_sub_f32_e32 v2, v2, v3
	v_fmamk_f32 v4, v7, 0x32a5705f, v4
	v_cvt_i32_f32_e32 v3, v3
	v_add_f32_e32 v2, v2, v4
	v_exp_f32_e32 v2, v2
	v_ldexp_f32 v2, v2, v3
	v_add_f32_e32 v3, 0, v8
	v_cndmask_b32_e32 v2, 0, v2, vcc_lo
	v_cmp_nlt_f32_e32 vcc_lo, 0x42b17218, v7
	v_cndmask_b32_e32 v2, 0x7f800000, v2, vcc_lo
	v_fma_f32 v2, -v3, v2, v8
	global_store_dword v[0:1], v2, off
.LBB228_10:
	v_cmp_ne_u32_e32 vcc_lo, 1, v6
	s_and_b32 s0, vcc_lo, s1
	s_and_b32 exec_lo, exec_lo, s0
	s_cbranch_execz .LBB228_5
; %bb.11:
	s_mov_b32 s3, 0
	s_waitcnt vmcnt(0)
	v_add_f32_e32 v2, 0, v9
	s_lshl_b64 s[0:1], s[2:3], 2
	v_add_co_u32 v0, vcc_lo, v0, s0
	v_add_co_ci_u32_e64 v1, null, s1, v1, vcc_lo
	v_fma_f32 v2, -v2, v10, v9
	global_store_dword v[0:1], v2, off
	s_endpgm
	.section	.rodata,"a",@progbits
	.p2align	6, 0x0
	.amdhsa_kernel _ZN12_GLOBAL__N_121softmax_warp_backwardIfffLi0ELb1ELb0ELi64EEEvPT0_PKT_S5_iiiPKb
		.amdhsa_group_segment_fixed_size 0
		.amdhsa_private_segment_fixed_size 0
		.amdhsa_kernarg_size 304
		.amdhsa_user_sgpr_count 6
		.amdhsa_user_sgpr_private_segment_buffer 1
		.amdhsa_user_sgpr_dispatch_ptr 0
		.amdhsa_user_sgpr_queue_ptr 0
		.amdhsa_user_sgpr_kernarg_segment_ptr 1
		.amdhsa_user_sgpr_dispatch_id 0
		.amdhsa_user_sgpr_flat_scratch_init 0
		.amdhsa_user_sgpr_private_segment_size 0
		.amdhsa_wavefront_size32 1
		.amdhsa_uses_dynamic_stack 0
		.amdhsa_system_sgpr_private_segment_wavefront_offset 0
		.amdhsa_system_sgpr_workgroup_id_x 1
		.amdhsa_system_sgpr_workgroup_id_y 0
		.amdhsa_system_sgpr_workgroup_id_z 0
		.amdhsa_system_sgpr_workgroup_info 0
		.amdhsa_system_vgpr_workitem_id 1
		.amdhsa_next_free_vgpr 11
		.amdhsa_next_free_sgpr 12
		.amdhsa_reserve_vcc 1
		.amdhsa_reserve_flat_scratch 0
		.amdhsa_float_round_mode_32 0
		.amdhsa_float_round_mode_16_64 0
		.amdhsa_float_denorm_mode_32 3
		.amdhsa_float_denorm_mode_16_64 3
		.amdhsa_dx10_clamp 1
		.amdhsa_ieee_mode 1
		.amdhsa_fp16_overflow 0
		.amdhsa_workgroup_processor_mode 1
		.amdhsa_memory_ordered 1
		.amdhsa_forward_progress 1
		.amdhsa_shared_vgpr_count 0
		.amdhsa_exception_fp_ieee_invalid_op 0
		.amdhsa_exception_fp_denorm_src 0
		.amdhsa_exception_fp_ieee_div_zero 0
		.amdhsa_exception_fp_ieee_overflow 0
		.amdhsa_exception_fp_ieee_underflow 0
		.amdhsa_exception_fp_ieee_inexact 0
		.amdhsa_exception_int_div_zero 0
	.end_amdhsa_kernel
	.section	.text._ZN12_GLOBAL__N_121softmax_warp_backwardIfffLi0ELb1ELb0ELi64EEEvPT0_PKT_S5_iiiPKb,"axG",@progbits,_ZN12_GLOBAL__N_121softmax_warp_backwardIfffLi0ELb1ELb0ELi64EEEvPT0_PKT_S5_iiiPKb,comdat
.Lfunc_end228:
	.size	_ZN12_GLOBAL__N_121softmax_warp_backwardIfffLi0ELb1ELb0ELi64EEEvPT0_PKT_S5_iiiPKb, .Lfunc_end228-_ZN12_GLOBAL__N_121softmax_warp_backwardIfffLi0ELb1ELb0ELi64EEEvPT0_PKT_S5_iiiPKb
                                        ; -- End function
	.set _ZN12_GLOBAL__N_121softmax_warp_backwardIfffLi0ELb1ELb0ELi64EEEvPT0_PKT_S5_iiiPKb.num_vgpr, 11
	.set _ZN12_GLOBAL__N_121softmax_warp_backwardIfffLi0ELb1ELb0ELi64EEEvPT0_PKT_S5_iiiPKb.num_agpr, 0
	.set _ZN12_GLOBAL__N_121softmax_warp_backwardIfffLi0ELb1ELb0ELi64EEEvPT0_PKT_S5_iiiPKb.numbered_sgpr, 12
	.set _ZN12_GLOBAL__N_121softmax_warp_backwardIfffLi0ELb1ELb0ELi64EEEvPT0_PKT_S5_iiiPKb.num_named_barrier, 0
	.set _ZN12_GLOBAL__N_121softmax_warp_backwardIfffLi0ELb1ELb0ELi64EEEvPT0_PKT_S5_iiiPKb.private_seg_size, 0
	.set _ZN12_GLOBAL__N_121softmax_warp_backwardIfffLi0ELb1ELb0ELi64EEEvPT0_PKT_S5_iiiPKb.uses_vcc, 1
	.set _ZN12_GLOBAL__N_121softmax_warp_backwardIfffLi0ELb1ELb0ELi64EEEvPT0_PKT_S5_iiiPKb.uses_flat_scratch, 0
	.set _ZN12_GLOBAL__N_121softmax_warp_backwardIfffLi0ELb1ELb0ELi64EEEvPT0_PKT_S5_iiiPKb.has_dyn_sized_stack, 0
	.set _ZN12_GLOBAL__N_121softmax_warp_backwardIfffLi0ELb1ELb0ELi64EEEvPT0_PKT_S5_iiiPKb.has_recursion, 0
	.set _ZN12_GLOBAL__N_121softmax_warp_backwardIfffLi0ELb1ELb0ELi64EEEvPT0_PKT_S5_iiiPKb.has_indirect_call, 0
	.section	.AMDGPU.csdata,"",@progbits
; Kernel info:
; codeLenInByte = 624
; TotalNumSgprs: 14
; NumVgprs: 11
; ScratchSize: 0
; MemoryBound: 0
; FloatMode: 240
; IeeeMode: 1
; LDSByteSize: 0 bytes/workgroup (compile time only)
; SGPRBlocks: 0
; VGPRBlocks: 1
; NumSGPRsForWavesPerEU: 14
; NumVGPRsForWavesPerEU: 11
; Occupancy: 16
; WaveLimiterHint : 0
; COMPUTE_PGM_RSRC2:SCRATCH_EN: 0
; COMPUTE_PGM_RSRC2:USER_SGPR: 6
; COMPUTE_PGM_RSRC2:TRAP_HANDLER: 0
; COMPUTE_PGM_RSRC2:TGID_X_EN: 1
; COMPUTE_PGM_RSRC2:TGID_Y_EN: 0
; COMPUTE_PGM_RSRC2:TGID_Z_EN: 0
; COMPUTE_PGM_RSRC2:TIDIG_COMP_CNT: 1
	.section	.text._ZN12_GLOBAL__N_121softmax_warp_backwardIfffLi0ELb1ELb0ELi32EEEvPT0_PKT_S5_iiiPKb,"axG",@progbits,_ZN12_GLOBAL__N_121softmax_warp_backwardIfffLi0ELb1ELb0ELi32EEEvPT0_PKT_S5_iiiPKb,comdat
	.globl	_ZN12_GLOBAL__N_121softmax_warp_backwardIfffLi0ELb1ELb0ELi32EEEvPT0_PKT_S5_iiiPKb ; -- Begin function _ZN12_GLOBAL__N_121softmax_warp_backwardIfffLi0ELb1ELb0ELi32EEEvPT0_PKT_S5_iiiPKb
	.p2align	8
	.type	_ZN12_GLOBAL__N_121softmax_warp_backwardIfffLi0ELb1ELb0ELi32EEEvPT0_PKT_S5_iiiPKb,@function
_ZN12_GLOBAL__N_121softmax_warp_backwardIfffLi0ELb1ELb0ELi32EEEvPT0_PKT_S5_iiiPKb: ; @_ZN12_GLOBAL__N_121softmax_warp_backwardIfffLi0ELb1ELb0ELi32EEEvPT0_PKT_S5_iiiPKb
; %bb.0:
	s_clause 0x3
	s_load_dword s7, s[4:5], 0x3c
	s_load_dwordx4 s[0:3], s[4:5], 0x18
	s_load_dwordx4 s[8:11], s[4:5], 0x0
	s_load_dwordx2 s[4:5], s[4:5], 0x10
	v_mov_b32_e32 v7, 0
	v_mov_b32_e32 v8, 0
	s_waitcnt lgkmcnt(0)
	s_lshr_b32 s3, s7, 16
	s_and_b32 s3, s3, 0xffff
	s_cmp_gt_i32 s2, 0
	s_mul_i32 s6, s6, s3
	v_add_lshl_u32 v2, s6, v1, 1
	v_mul_lo_u32 v0, v2, s1
	v_sub_nc_u32_e32 v6, s0, v2
	s_cselect_b32 s1, -1, 0
	v_cmp_lt_i32_e32 vcc_lo, 0, v6
	v_ashrrev_i32_e32 v1, 31, v0
	s_and_b32 s3, s1, vcc_lo
	v_lshlrev_b64 v[0:1], 2, v[0:1]
	v_add_co_u32 v2, s0, s10, v0
	v_add_co_ci_u32_e64 v3, null, s11, v1, s0
	v_add_co_u32 v4, s0, s4, v0
	v_add_co_ci_u32_e64 v5, null, s5, v1, s0
	s_and_saveexec_b32 s0, s3
	s_cbranch_execz .LBB229_2
; %bb.1:
	global_load_dword v8, v[2:3], off
	global_load_dword v7, v[4:5], off
.LBB229_2:
	s_or_b32 exec_lo, exec_lo, s0
	v_cmp_gt_i32_e64 s0, 2, v6
	s_xor_b32 s3, s1, -1
	s_or_b32 s0, s3, s0
	s_and_saveexec_b32 s3, s0
	s_xor_b32 s0, exec_lo, s3
                                        ; implicit-def: $vgpr9
	s_cbranch_execnz .LBB229_6
; %bb.3:
	s_or_saveexec_b32 s4, s0
	v_mov_b32_e32 v10, 1.0
	s_xor_b32 exec_lo, exec_lo, s4
	s_cbranch_execnz .LBB229_7
.LBB229_4:
	s_or_b32 exec_lo, exec_lo, s4
	s_and_saveexec_b32 s0, vcc_lo
	s_cbranch_execnz .LBB229_8
.LBB229_5:
	s_endpgm
.LBB229_6:
	v_mov_b32_e32 v9, 0
                                        ; implicit-def: $vgpr4
                                        ; implicit-def: $vgpr2
	s_or_saveexec_b32 s4, s0
	v_mov_b32_e32 v10, 1.0
	s_xor_b32 exec_lo, exec_lo, s4
	s_cbranch_execz .LBB229_4
.LBB229_7:
	s_mov_b32 s3, 0
	s_lshl_b64 s[6:7], s[2:3], 2
	v_add_co_u32 v4, s0, v4, s6
	v_add_co_ci_u32_e64 v5, null, s7, v5, s0
	v_add_co_u32 v2, s0, v2, s6
	v_add_co_ci_u32_e64 v3, null, s7, v3, s0
	global_load_dword v4, v[4:5], off
	global_load_dword v9, v[2:3], off
	s_waitcnt vmcnt(1)
	v_mul_f32_e32 v2, 0x3fb8aa3b, v4
	v_cmp_ngt_f32_e64 s0, 0xc2ce8ed0, v4
	v_fma_f32 v3, 0x3fb8aa3b, v4, -v2
	v_rndne_f32_e32 v5, v2
	v_fmamk_f32 v3, v4, 0x32a5705f, v3
	v_sub_f32_e32 v2, v2, v5
	v_add_f32_e32 v2, v2, v3
	v_cvt_i32_f32_e32 v3, v5
	v_exp_f32_e32 v2, v2
	v_ldexp_f32 v2, v2, v3
	v_cndmask_b32_e64 v2, 0, v2, s0
	v_cmp_nlt_f32_e64 s0, 0x42b17218, v4
	v_cndmask_b32_e64 v10, 0x7f800000, v2, s0
	s_or_b32 exec_lo, exec_lo, s4
	s_and_saveexec_b32 s0, vcc_lo
	s_cbranch_execz .LBB229_5
.LBB229_8:
	v_add_co_u32 v0, vcc_lo, s8, v0
	v_add_co_ci_u32_e64 v1, null, s9, v1, vcc_lo
	s_andn2_b32 vcc_lo, exec_lo, s1
	s_cbranch_vccnz .LBB229_10
; %bb.9:
	s_waitcnt vmcnt(0)
	v_mul_f32_e32 v2, 0x3fb8aa3b, v7
	v_cmp_ngt_f32_e32 vcc_lo, 0xc2ce8ed0, v7
	v_rndne_f32_e32 v3, v2
	v_fma_f32 v4, 0x3fb8aa3b, v7, -v2
	v_sub_f32_e32 v2, v2, v3
	v_fmamk_f32 v4, v7, 0x32a5705f, v4
	v_cvt_i32_f32_e32 v3, v3
	v_add_f32_e32 v2, v2, v4
	v_exp_f32_e32 v2, v2
	v_ldexp_f32 v2, v2, v3
	v_add_f32_e32 v3, 0, v8
	v_cndmask_b32_e32 v2, 0, v2, vcc_lo
	v_cmp_nlt_f32_e32 vcc_lo, 0x42b17218, v7
	v_cndmask_b32_e32 v2, 0x7f800000, v2, vcc_lo
	v_fma_f32 v2, -v3, v2, v8
	global_store_dword v[0:1], v2, off
.LBB229_10:
	v_cmp_ne_u32_e32 vcc_lo, 1, v6
	s_and_b32 s0, vcc_lo, s1
	s_and_b32 exec_lo, exec_lo, s0
	s_cbranch_execz .LBB229_5
; %bb.11:
	s_mov_b32 s3, 0
	s_waitcnt vmcnt(0)
	v_add_f32_e32 v2, 0, v9
	s_lshl_b64 s[0:1], s[2:3], 2
	v_add_co_u32 v0, vcc_lo, v0, s0
	v_add_co_ci_u32_e64 v1, null, s1, v1, vcc_lo
	v_fma_f32 v2, -v2, v10, v9
	global_store_dword v[0:1], v2, off
	s_endpgm
	.section	.rodata,"a",@progbits
	.p2align	6, 0x0
	.amdhsa_kernel _ZN12_GLOBAL__N_121softmax_warp_backwardIfffLi0ELb1ELb0ELi32EEEvPT0_PKT_S5_iiiPKb
		.amdhsa_group_segment_fixed_size 0
		.amdhsa_private_segment_fixed_size 0
		.amdhsa_kernarg_size 304
		.amdhsa_user_sgpr_count 6
		.amdhsa_user_sgpr_private_segment_buffer 1
		.amdhsa_user_sgpr_dispatch_ptr 0
		.amdhsa_user_sgpr_queue_ptr 0
		.amdhsa_user_sgpr_kernarg_segment_ptr 1
		.amdhsa_user_sgpr_dispatch_id 0
		.amdhsa_user_sgpr_flat_scratch_init 0
		.amdhsa_user_sgpr_private_segment_size 0
		.amdhsa_wavefront_size32 1
		.amdhsa_uses_dynamic_stack 0
		.amdhsa_system_sgpr_private_segment_wavefront_offset 0
		.amdhsa_system_sgpr_workgroup_id_x 1
		.amdhsa_system_sgpr_workgroup_id_y 0
		.amdhsa_system_sgpr_workgroup_id_z 0
		.amdhsa_system_sgpr_workgroup_info 0
		.amdhsa_system_vgpr_workitem_id 1
		.amdhsa_next_free_vgpr 11
		.amdhsa_next_free_sgpr 12
		.amdhsa_reserve_vcc 1
		.amdhsa_reserve_flat_scratch 0
		.amdhsa_float_round_mode_32 0
		.amdhsa_float_round_mode_16_64 0
		.amdhsa_float_denorm_mode_32 3
		.amdhsa_float_denorm_mode_16_64 3
		.amdhsa_dx10_clamp 1
		.amdhsa_ieee_mode 1
		.amdhsa_fp16_overflow 0
		.amdhsa_workgroup_processor_mode 1
		.amdhsa_memory_ordered 1
		.amdhsa_forward_progress 1
		.amdhsa_shared_vgpr_count 0
		.amdhsa_exception_fp_ieee_invalid_op 0
		.amdhsa_exception_fp_denorm_src 0
		.amdhsa_exception_fp_ieee_div_zero 0
		.amdhsa_exception_fp_ieee_overflow 0
		.amdhsa_exception_fp_ieee_underflow 0
		.amdhsa_exception_fp_ieee_inexact 0
		.amdhsa_exception_int_div_zero 0
	.end_amdhsa_kernel
	.section	.text._ZN12_GLOBAL__N_121softmax_warp_backwardIfffLi0ELb1ELb0ELi32EEEvPT0_PKT_S5_iiiPKb,"axG",@progbits,_ZN12_GLOBAL__N_121softmax_warp_backwardIfffLi0ELb1ELb0ELi32EEEvPT0_PKT_S5_iiiPKb,comdat
.Lfunc_end229:
	.size	_ZN12_GLOBAL__N_121softmax_warp_backwardIfffLi0ELb1ELb0ELi32EEEvPT0_PKT_S5_iiiPKb, .Lfunc_end229-_ZN12_GLOBAL__N_121softmax_warp_backwardIfffLi0ELb1ELb0ELi32EEEvPT0_PKT_S5_iiiPKb
                                        ; -- End function
	.set _ZN12_GLOBAL__N_121softmax_warp_backwardIfffLi0ELb1ELb0ELi32EEEvPT0_PKT_S5_iiiPKb.num_vgpr, 11
	.set _ZN12_GLOBAL__N_121softmax_warp_backwardIfffLi0ELb1ELb0ELi32EEEvPT0_PKT_S5_iiiPKb.num_agpr, 0
	.set _ZN12_GLOBAL__N_121softmax_warp_backwardIfffLi0ELb1ELb0ELi32EEEvPT0_PKT_S5_iiiPKb.numbered_sgpr, 12
	.set _ZN12_GLOBAL__N_121softmax_warp_backwardIfffLi0ELb1ELb0ELi32EEEvPT0_PKT_S5_iiiPKb.num_named_barrier, 0
	.set _ZN12_GLOBAL__N_121softmax_warp_backwardIfffLi0ELb1ELb0ELi32EEEvPT0_PKT_S5_iiiPKb.private_seg_size, 0
	.set _ZN12_GLOBAL__N_121softmax_warp_backwardIfffLi0ELb1ELb0ELi32EEEvPT0_PKT_S5_iiiPKb.uses_vcc, 1
	.set _ZN12_GLOBAL__N_121softmax_warp_backwardIfffLi0ELb1ELb0ELi32EEEvPT0_PKT_S5_iiiPKb.uses_flat_scratch, 0
	.set _ZN12_GLOBAL__N_121softmax_warp_backwardIfffLi0ELb1ELb0ELi32EEEvPT0_PKT_S5_iiiPKb.has_dyn_sized_stack, 0
	.set _ZN12_GLOBAL__N_121softmax_warp_backwardIfffLi0ELb1ELb0ELi32EEEvPT0_PKT_S5_iiiPKb.has_recursion, 0
	.set _ZN12_GLOBAL__N_121softmax_warp_backwardIfffLi0ELb1ELb0ELi32EEEvPT0_PKT_S5_iiiPKb.has_indirect_call, 0
	.section	.AMDGPU.csdata,"",@progbits
; Kernel info:
; codeLenInByte = 624
; TotalNumSgprs: 14
; NumVgprs: 11
; ScratchSize: 0
; MemoryBound: 0
; FloatMode: 240
; IeeeMode: 1
; LDSByteSize: 0 bytes/workgroup (compile time only)
; SGPRBlocks: 0
; VGPRBlocks: 1
; NumSGPRsForWavesPerEU: 14
; NumVGPRsForWavesPerEU: 11
; Occupancy: 16
; WaveLimiterHint : 0
; COMPUTE_PGM_RSRC2:SCRATCH_EN: 0
; COMPUTE_PGM_RSRC2:USER_SGPR: 6
; COMPUTE_PGM_RSRC2:TRAP_HANDLER: 0
; COMPUTE_PGM_RSRC2:TGID_X_EN: 1
; COMPUTE_PGM_RSRC2:TGID_Y_EN: 0
; COMPUTE_PGM_RSRC2:TGID_Z_EN: 0
; COMPUTE_PGM_RSRC2:TIDIG_COMP_CNT: 1
	.section	.text._ZN12_GLOBAL__N_121softmax_warp_backwardIfffLi1ELb1ELb0ELi64EEEvPT0_PKT_S5_iiiPKb,"axG",@progbits,_ZN12_GLOBAL__N_121softmax_warp_backwardIfffLi1ELb1ELb0ELi64EEEvPT0_PKT_S5_iiiPKb,comdat
	.globl	_ZN12_GLOBAL__N_121softmax_warp_backwardIfffLi1ELb1ELb0ELi64EEEvPT0_PKT_S5_iiiPKb ; -- Begin function _ZN12_GLOBAL__N_121softmax_warp_backwardIfffLi1ELb1ELb0ELi64EEEvPT0_PKT_S5_iiiPKb
	.p2align	8
	.type	_ZN12_GLOBAL__N_121softmax_warp_backwardIfffLi1ELb1ELb0ELi64EEEvPT0_PKT_S5_iiiPKb,@function
_ZN12_GLOBAL__N_121softmax_warp_backwardIfffLi1ELb1ELb0ELi64EEEvPT0_PKT_S5_iiiPKb: ; @_ZN12_GLOBAL__N_121softmax_warp_backwardIfffLi1ELb1ELb0ELi64EEEvPT0_PKT_S5_iiiPKb
; %bb.0:
	s_clause 0x1
	s_load_dword s7, s[4:5], 0x3c
	s_load_dwordx4 s[0:3], s[4:5], 0x18
	v_and_b32_e32 v3, 1, v0
	s_clause 0x1
	s_load_dwordx4 s[8:11], s[4:5], 0x0
	s_load_dwordx2 s[4:5], s[4:5], 0x10
	v_mov_b32_e32 v7, 0
	v_mov_b32_e32 v8, 0
	s_waitcnt lgkmcnt(0)
	s_lshr_b32 s3, s7, 16
	v_cmp_gt_i32_e32 vcc_lo, s2, v3
	s_and_b32 s3, s3, 0xffff
	s_mul_i32 s6, s6, s3
	v_add_lshl_u32 v2, s6, v1, 1
	v_mul_lo_u32 v1, v2, s1
	v_sub_nc_u32_e32 v6, s0, v2
	v_cmp_lt_i32_e64 s0, 0, v6
	v_or_b32_e32 v0, v1, v3
	s_and_b32 s3, vcc_lo, s0
	v_ashrrev_i32_e32 v1, 31, v0
	v_lshlrev_b64 v[0:1], 2, v[0:1]
	v_add_co_u32 v2, s1, s10, v0
	v_add_co_ci_u32_e64 v3, null, s11, v1, s1
	v_add_co_u32 v4, s1, s4, v0
	v_add_co_ci_u32_e64 v5, null, s5, v1, s1
	s_and_saveexec_b32 s1, s3
	s_cbranch_execz .LBB230_2
; %bb.1:
	global_load_dword v8, v[2:3], off
	global_load_dword v7, v[4:5], off
.LBB230_2:
	s_or_b32 exec_lo, exec_lo, s1
	v_cmp_gt_i32_e64 s1, 2, v6
	s_xor_b32 s3, vcc_lo, -1
	s_or_b32 s1, s3, s1
	s_and_saveexec_b32 s3, s1
	s_xor_b32 s1, exec_lo, s3
                                        ; implicit-def: $vgpr9
; %bb.3:
	v_mov_b32_e32 v9, 0
                                        ; implicit-def: $vgpr4
                                        ; implicit-def: $vgpr2
; %bb.4:
	s_or_saveexec_b32 s4, s1
	v_mov_b32_e32 v10, 1.0
	s_xor_b32 exec_lo, exec_lo, s4
	s_cbranch_execz .LBB230_6
; %bb.5:
	s_mov_b32 s3, 0
	s_lshl_b64 s[6:7], s[2:3], 2
	v_add_co_u32 v4, s1, v4, s6
	v_add_co_ci_u32_e64 v5, null, s7, v5, s1
	v_add_co_u32 v2, s1, v2, s6
	v_add_co_ci_u32_e64 v3, null, s7, v3, s1
	global_load_dword v4, v[4:5], off
	global_load_dword v9, v[2:3], off
	s_waitcnt vmcnt(1)
	v_mul_f32_e32 v2, 0x3fb8aa3b, v4
	v_cmp_ngt_f32_e64 s1, 0xc2ce8ed0, v4
	v_fma_f32 v3, 0x3fb8aa3b, v4, -v2
	v_rndne_f32_e32 v5, v2
	v_fmamk_f32 v3, v4, 0x32a5705f, v3
	v_sub_f32_e32 v2, v2, v5
	v_add_f32_e32 v2, v2, v3
	v_cvt_i32_f32_e32 v3, v5
	v_exp_f32_e32 v2, v2
	v_ldexp_f32 v2, v2, v3
	v_cndmask_b32_e64 v2, 0, v2, s1
	v_cmp_nlt_f32_e64 s1, 0x42b17218, v4
	v_cndmask_b32_e64 v10, 0x7f800000, v2, s1
.LBB230_6:
	s_or_b32 exec_lo, exec_lo, s4
	v_mbcnt_lo_u32_b32 v2, -1, 0
	v_and_b32_e32 v3, 30, v2
	v_xor_b32_e32 v4, 1, v2
	v_add_nc_u32_e32 v3, 2, v3
	v_cmp_lt_i32_e64 s1, v4, v3
	v_cndmask_b32_e64 v2, v2, v4, s1
	s_waitcnt vmcnt(1)
	v_add_f32_e32 v4, 0, v8
	v_lshlrev_b32_e32 v3, 2, v2
	s_waitcnt vmcnt(0)
	v_add_f32_e32 v2, 0, v9
	ds_bpermute_b32 v5, v3, v4
	ds_bpermute_b32 v3, v3, v2
	s_and_saveexec_b32 s1, s0
	s_cbranch_execz .LBB230_11
; %bb.7:
	v_add_co_u32 v0, s0, s8, v0
	v_add_co_ci_u32_e64 v1, null, s9, v1, s0
	s_and_saveexec_b32 s1, vcc_lo
	s_cbranch_execz .LBB230_9
; %bb.8:
	v_mul_f32_e32 v11, 0x3fb8aa3b, v7
	v_cmp_ngt_f32_e64 s0, 0xc2ce8ed0, v7
	s_waitcnt lgkmcnt(1)
	v_add_f32_e32 v4, v4, v5
	v_rndne_f32_e32 v12, v11
	v_fma_f32 v13, 0x3fb8aa3b, v7, -v11
	v_sub_f32_e32 v11, v11, v12
	v_fmamk_f32 v13, v7, 0x32a5705f, v13
	v_cvt_i32_f32_e32 v12, v12
	v_add_f32_e32 v11, v11, v13
	v_exp_f32_e32 v11, v11
	v_ldexp_f32 v11, v11, v12
	v_cndmask_b32_e64 v11, 0, v11, s0
	v_cmp_nlt_f32_e64 s0, 0x42b17218, v7
	v_cndmask_b32_e64 v5, 0x7f800000, v11, s0
	v_fma_f32 v4, -v4, v5, v8
	global_store_dword v[0:1], v4, off
.LBB230_9:
	s_or_b32 exec_lo, exec_lo, s1
	v_cmp_ne_u32_e64 s0, 1, v6
	s_and_b32 s0, s0, vcc_lo
	s_and_b32 exec_lo, exec_lo, s0
	s_cbranch_execz .LBB230_11
; %bb.10:
	s_mov_b32 s3, 0
	s_waitcnt lgkmcnt(0)
	v_add_f32_e32 v2, v2, v3
	s_lshl_b64 s[0:1], s[2:3], 2
	v_add_co_u32 v0, vcc_lo, v0, s0
	v_add_co_ci_u32_e64 v1, null, s1, v1, vcc_lo
	v_fma_f32 v2, -v2, v10, v9
	global_store_dword v[0:1], v2, off
.LBB230_11:
	s_endpgm
	.section	.rodata,"a",@progbits
	.p2align	6, 0x0
	.amdhsa_kernel _ZN12_GLOBAL__N_121softmax_warp_backwardIfffLi1ELb1ELb0ELi64EEEvPT0_PKT_S5_iiiPKb
		.amdhsa_group_segment_fixed_size 0
		.amdhsa_private_segment_fixed_size 0
		.amdhsa_kernarg_size 304
		.amdhsa_user_sgpr_count 6
		.amdhsa_user_sgpr_private_segment_buffer 1
		.amdhsa_user_sgpr_dispatch_ptr 0
		.amdhsa_user_sgpr_queue_ptr 0
		.amdhsa_user_sgpr_kernarg_segment_ptr 1
		.amdhsa_user_sgpr_dispatch_id 0
		.amdhsa_user_sgpr_flat_scratch_init 0
		.amdhsa_user_sgpr_private_segment_size 0
		.amdhsa_wavefront_size32 1
		.amdhsa_uses_dynamic_stack 0
		.amdhsa_system_sgpr_private_segment_wavefront_offset 0
		.amdhsa_system_sgpr_workgroup_id_x 1
		.amdhsa_system_sgpr_workgroup_id_y 0
		.amdhsa_system_sgpr_workgroup_id_z 0
		.amdhsa_system_sgpr_workgroup_info 0
		.amdhsa_system_vgpr_workitem_id 1
		.amdhsa_next_free_vgpr 14
		.amdhsa_next_free_sgpr 12
		.amdhsa_reserve_vcc 1
		.amdhsa_reserve_flat_scratch 0
		.amdhsa_float_round_mode_32 0
		.amdhsa_float_round_mode_16_64 0
		.amdhsa_float_denorm_mode_32 3
		.amdhsa_float_denorm_mode_16_64 3
		.amdhsa_dx10_clamp 1
		.amdhsa_ieee_mode 1
		.amdhsa_fp16_overflow 0
		.amdhsa_workgroup_processor_mode 1
		.amdhsa_memory_ordered 1
		.amdhsa_forward_progress 1
		.amdhsa_shared_vgpr_count 0
		.amdhsa_exception_fp_ieee_invalid_op 0
		.amdhsa_exception_fp_denorm_src 0
		.amdhsa_exception_fp_ieee_div_zero 0
		.amdhsa_exception_fp_ieee_overflow 0
		.amdhsa_exception_fp_ieee_underflow 0
		.amdhsa_exception_fp_ieee_inexact 0
		.amdhsa_exception_int_div_zero 0
	.end_amdhsa_kernel
	.section	.text._ZN12_GLOBAL__N_121softmax_warp_backwardIfffLi1ELb1ELb0ELi64EEEvPT0_PKT_S5_iiiPKb,"axG",@progbits,_ZN12_GLOBAL__N_121softmax_warp_backwardIfffLi1ELb1ELb0ELi64EEEvPT0_PKT_S5_iiiPKb,comdat
.Lfunc_end230:
	.size	_ZN12_GLOBAL__N_121softmax_warp_backwardIfffLi1ELb1ELb0ELi64EEEvPT0_PKT_S5_iiiPKb, .Lfunc_end230-_ZN12_GLOBAL__N_121softmax_warp_backwardIfffLi1ELb1ELb0ELi64EEEvPT0_PKT_S5_iiiPKb
                                        ; -- End function
	.set _ZN12_GLOBAL__N_121softmax_warp_backwardIfffLi1ELb1ELb0ELi64EEEvPT0_PKT_S5_iiiPKb.num_vgpr, 14
	.set _ZN12_GLOBAL__N_121softmax_warp_backwardIfffLi1ELb1ELb0ELi64EEEvPT0_PKT_S5_iiiPKb.num_agpr, 0
	.set _ZN12_GLOBAL__N_121softmax_warp_backwardIfffLi1ELb1ELb0ELi64EEEvPT0_PKT_S5_iiiPKb.numbered_sgpr, 12
	.set _ZN12_GLOBAL__N_121softmax_warp_backwardIfffLi1ELb1ELb0ELi64EEEvPT0_PKT_S5_iiiPKb.num_named_barrier, 0
	.set _ZN12_GLOBAL__N_121softmax_warp_backwardIfffLi1ELb1ELb0ELi64EEEvPT0_PKT_S5_iiiPKb.private_seg_size, 0
	.set _ZN12_GLOBAL__N_121softmax_warp_backwardIfffLi1ELb1ELb0ELi64EEEvPT0_PKT_S5_iiiPKb.uses_vcc, 1
	.set _ZN12_GLOBAL__N_121softmax_warp_backwardIfffLi1ELb1ELb0ELi64EEEvPT0_PKT_S5_iiiPKb.uses_flat_scratch, 0
	.set _ZN12_GLOBAL__N_121softmax_warp_backwardIfffLi1ELb1ELb0ELi64EEEvPT0_PKT_S5_iiiPKb.has_dyn_sized_stack, 0
	.set _ZN12_GLOBAL__N_121softmax_warp_backwardIfffLi1ELb1ELb0ELi64EEEvPT0_PKT_S5_iiiPKb.has_recursion, 0
	.set _ZN12_GLOBAL__N_121softmax_warp_backwardIfffLi1ELb1ELb0ELi64EEEvPT0_PKT_S5_iiiPKb.has_indirect_call, 0
	.section	.AMDGPU.csdata,"",@progbits
; Kernel info:
; codeLenInByte = 696
; TotalNumSgprs: 14
; NumVgprs: 14
; ScratchSize: 0
; MemoryBound: 0
; FloatMode: 240
; IeeeMode: 1
; LDSByteSize: 0 bytes/workgroup (compile time only)
; SGPRBlocks: 0
; VGPRBlocks: 1
; NumSGPRsForWavesPerEU: 14
; NumVGPRsForWavesPerEU: 14
; Occupancy: 16
; WaveLimiterHint : 0
; COMPUTE_PGM_RSRC2:SCRATCH_EN: 0
; COMPUTE_PGM_RSRC2:USER_SGPR: 6
; COMPUTE_PGM_RSRC2:TRAP_HANDLER: 0
; COMPUTE_PGM_RSRC2:TGID_X_EN: 1
; COMPUTE_PGM_RSRC2:TGID_Y_EN: 0
; COMPUTE_PGM_RSRC2:TGID_Z_EN: 0
; COMPUTE_PGM_RSRC2:TIDIG_COMP_CNT: 1
	.section	.text._ZN12_GLOBAL__N_121softmax_warp_backwardIfffLi1ELb1ELb0ELi32EEEvPT0_PKT_S5_iiiPKb,"axG",@progbits,_ZN12_GLOBAL__N_121softmax_warp_backwardIfffLi1ELb1ELb0ELi32EEEvPT0_PKT_S5_iiiPKb,comdat
	.globl	_ZN12_GLOBAL__N_121softmax_warp_backwardIfffLi1ELb1ELb0ELi32EEEvPT0_PKT_S5_iiiPKb ; -- Begin function _ZN12_GLOBAL__N_121softmax_warp_backwardIfffLi1ELb1ELb0ELi32EEEvPT0_PKT_S5_iiiPKb
	.p2align	8
	.type	_ZN12_GLOBAL__N_121softmax_warp_backwardIfffLi1ELb1ELb0ELi32EEEvPT0_PKT_S5_iiiPKb,@function
_ZN12_GLOBAL__N_121softmax_warp_backwardIfffLi1ELb1ELb0ELi32EEEvPT0_PKT_S5_iiiPKb: ; @_ZN12_GLOBAL__N_121softmax_warp_backwardIfffLi1ELb1ELb0ELi32EEEvPT0_PKT_S5_iiiPKb
; %bb.0:
	s_clause 0x1
	s_load_dword s7, s[4:5], 0x3c
	s_load_dwordx4 s[0:3], s[4:5], 0x18
	v_and_b32_e32 v3, 1, v0
	s_clause 0x1
	s_load_dwordx4 s[8:11], s[4:5], 0x0
	s_load_dwordx2 s[4:5], s[4:5], 0x10
	v_mov_b32_e32 v7, 0
	v_mov_b32_e32 v8, 0
	s_waitcnt lgkmcnt(0)
	s_lshr_b32 s3, s7, 16
	v_cmp_gt_i32_e32 vcc_lo, s2, v3
	s_and_b32 s3, s3, 0xffff
	s_mul_i32 s6, s6, s3
	v_add_lshl_u32 v2, s6, v1, 1
	v_mul_lo_u32 v1, v2, s1
	v_sub_nc_u32_e32 v6, s0, v2
	v_cmp_lt_i32_e64 s0, 0, v6
	v_or_b32_e32 v0, v1, v3
	s_and_b32 s3, vcc_lo, s0
	v_ashrrev_i32_e32 v1, 31, v0
	v_lshlrev_b64 v[0:1], 2, v[0:1]
	v_add_co_u32 v2, s1, s10, v0
	v_add_co_ci_u32_e64 v3, null, s11, v1, s1
	v_add_co_u32 v4, s1, s4, v0
	v_add_co_ci_u32_e64 v5, null, s5, v1, s1
	s_and_saveexec_b32 s1, s3
	s_cbranch_execz .LBB231_2
; %bb.1:
	global_load_dword v8, v[2:3], off
	global_load_dword v7, v[4:5], off
.LBB231_2:
	s_or_b32 exec_lo, exec_lo, s1
	v_cmp_gt_i32_e64 s1, 2, v6
	s_xor_b32 s3, vcc_lo, -1
	s_or_b32 s1, s3, s1
	s_and_saveexec_b32 s3, s1
	s_xor_b32 s1, exec_lo, s3
                                        ; implicit-def: $vgpr9
; %bb.3:
	v_mov_b32_e32 v9, 0
                                        ; implicit-def: $vgpr4
                                        ; implicit-def: $vgpr2
; %bb.4:
	s_or_saveexec_b32 s4, s1
	v_mov_b32_e32 v10, 1.0
	s_xor_b32 exec_lo, exec_lo, s4
	s_cbranch_execz .LBB231_6
; %bb.5:
	s_mov_b32 s3, 0
	s_lshl_b64 s[6:7], s[2:3], 2
	v_add_co_u32 v4, s1, v4, s6
	v_add_co_ci_u32_e64 v5, null, s7, v5, s1
	v_add_co_u32 v2, s1, v2, s6
	v_add_co_ci_u32_e64 v3, null, s7, v3, s1
	global_load_dword v4, v[4:5], off
	global_load_dword v9, v[2:3], off
	s_waitcnt vmcnt(1)
	v_mul_f32_e32 v2, 0x3fb8aa3b, v4
	v_cmp_ngt_f32_e64 s1, 0xc2ce8ed0, v4
	v_fma_f32 v3, 0x3fb8aa3b, v4, -v2
	v_rndne_f32_e32 v5, v2
	v_fmamk_f32 v3, v4, 0x32a5705f, v3
	v_sub_f32_e32 v2, v2, v5
	v_add_f32_e32 v2, v2, v3
	v_cvt_i32_f32_e32 v3, v5
	v_exp_f32_e32 v2, v2
	v_ldexp_f32 v2, v2, v3
	v_cndmask_b32_e64 v2, 0, v2, s1
	v_cmp_nlt_f32_e64 s1, 0x42b17218, v4
	v_cndmask_b32_e64 v10, 0x7f800000, v2, s1
.LBB231_6:
	s_or_b32 exec_lo, exec_lo, s4
	v_mbcnt_lo_u32_b32 v2, -1, 0
	v_and_b32_e32 v3, 30, v2
	v_xor_b32_e32 v4, 1, v2
	v_add_nc_u32_e32 v3, 2, v3
	v_cmp_lt_i32_e64 s1, v4, v3
	v_cndmask_b32_e64 v2, v2, v4, s1
	s_waitcnt vmcnt(1)
	v_add_f32_e32 v4, 0, v8
	v_lshlrev_b32_e32 v3, 2, v2
	s_waitcnt vmcnt(0)
	v_add_f32_e32 v2, 0, v9
	ds_bpermute_b32 v5, v3, v4
	ds_bpermute_b32 v3, v3, v2
	s_and_saveexec_b32 s1, s0
	s_cbranch_execz .LBB231_11
; %bb.7:
	v_add_co_u32 v0, s0, s8, v0
	v_add_co_ci_u32_e64 v1, null, s9, v1, s0
	s_and_saveexec_b32 s1, vcc_lo
	s_cbranch_execz .LBB231_9
; %bb.8:
	v_mul_f32_e32 v11, 0x3fb8aa3b, v7
	v_cmp_ngt_f32_e64 s0, 0xc2ce8ed0, v7
	s_waitcnt lgkmcnt(1)
	v_add_f32_e32 v4, v4, v5
	v_rndne_f32_e32 v12, v11
	v_fma_f32 v13, 0x3fb8aa3b, v7, -v11
	v_sub_f32_e32 v11, v11, v12
	v_fmamk_f32 v13, v7, 0x32a5705f, v13
	v_cvt_i32_f32_e32 v12, v12
	v_add_f32_e32 v11, v11, v13
	v_exp_f32_e32 v11, v11
	v_ldexp_f32 v11, v11, v12
	v_cndmask_b32_e64 v11, 0, v11, s0
	v_cmp_nlt_f32_e64 s0, 0x42b17218, v7
	v_cndmask_b32_e64 v5, 0x7f800000, v11, s0
	v_fma_f32 v4, -v4, v5, v8
	global_store_dword v[0:1], v4, off
.LBB231_9:
	s_or_b32 exec_lo, exec_lo, s1
	v_cmp_ne_u32_e64 s0, 1, v6
	s_and_b32 s0, s0, vcc_lo
	s_and_b32 exec_lo, exec_lo, s0
	s_cbranch_execz .LBB231_11
; %bb.10:
	s_mov_b32 s3, 0
	s_waitcnt lgkmcnt(0)
	v_add_f32_e32 v2, v2, v3
	s_lshl_b64 s[0:1], s[2:3], 2
	v_add_co_u32 v0, vcc_lo, v0, s0
	v_add_co_ci_u32_e64 v1, null, s1, v1, vcc_lo
	v_fma_f32 v2, -v2, v10, v9
	global_store_dword v[0:1], v2, off
.LBB231_11:
	s_endpgm
	.section	.rodata,"a",@progbits
	.p2align	6, 0x0
	.amdhsa_kernel _ZN12_GLOBAL__N_121softmax_warp_backwardIfffLi1ELb1ELb0ELi32EEEvPT0_PKT_S5_iiiPKb
		.amdhsa_group_segment_fixed_size 0
		.amdhsa_private_segment_fixed_size 0
		.amdhsa_kernarg_size 304
		.amdhsa_user_sgpr_count 6
		.amdhsa_user_sgpr_private_segment_buffer 1
		.amdhsa_user_sgpr_dispatch_ptr 0
		.amdhsa_user_sgpr_queue_ptr 0
		.amdhsa_user_sgpr_kernarg_segment_ptr 1
		.amdhsa_user_sgpr_dispatch_id 0
		.amdhsa_user_sgpr_flat_scratch_init 0
		.amdhsa_user_sgpr_private_segment_size 0
		.amdhsa_wavefront_size32 1
		.amdhsa_uses_dynamic_stack 0
		.amdhsa_system_sgpr_private_segment_wavefront_offset 0
		.amdhsa_system_sgpr_workgroup_id_x 1
		.amdhsa_system_sgpr_workgroup_id_y 0
		.amdhsa_system_sgpr_workgroup_id_z 0
		.amdhsa_system_sgpr_workgroup_info 0
		.amdhsa_system_vgpr_workitem_id 1
		.amdhsa_next_free_vgpr 14
		.amdhsa_next_free_sgpr 12
		.amdhsa_reserve_vcc 1
		.amdhsa_reserve_flat_scratch 0
		.amdhsa_float_round_mode_32 0
		.amdhsa_float_round_mode_16_64 0
		.amdhsa_float_denorm_mode_32 3
		.amdhsa_float_denorm_mode_16_64 3
		.amdhsa_dx10_clamp 1
		.amdhsa_ieee_mode 1
		.amdhsa_fp16_overflow 0
		.amdhsa_workgroup_processor_mode 1
		.amdhsa_memory_ordered 1
		.amdhsa_forward_progress 1
		.amdhsa_shared_vgpr_count 0
		.amdhsa_exception_fp_ieee_invalid_op 0
		.amdhsa_exception_fp_denorm_src 0
		.amdhsa_exception_fp_ieee_div_zero 0
		.amdhsa_exception_fp_ieee_overflow 0
		.amdhsa_exception_fp_ieee_underflow 0
		.amdhsa_exception_fp_ieee_inexact 0
		.amdhsa_exception_int_div_zero 0
	.end_amdhsa_kernel
	.section	.text._ZN12_GLOBAL__N_121softmax_warp_backwardIfffLi1ELb1ELb0ELi32EEEvPT0_PKT_S5_iiiPKb,"axG",@progbits,_ZN12_GLOBAL__N_121softmax_warp_backwardIfffLi1ELb1ELb0ELi32EEEvPT0_PKT_S5_iiiPKb,comdat
.Lfunc_end231:
	.size	_ZN12_GLOBAL__N_121softmax_warp_backwardIfffLi1ELb1ELb0ELi32EEEvPT0_PKT_S5_iiiPKb, .Lfunc_end231-_ZN12_GLOBAL__N_121softmax_warp_backwardIfffLi1ELb1ELb0ELi32EEEvPT0_PKT_S5_iiiPKb
                                        ; -- End function
	.set _ZN12_GLOBAL__N_121softmax_warp_backwardIfffLi1ELb1ELb0ELi32EEEvPT0_PKT_S5_iiiPKb.num_vgpr, 14
	.set _ZN12_GLOBAL__N_121softmax_warp_backwardIfffLi1ELb1ELb0ELi32EEEvPT0_PKT_S5_iiiPKb.num_agpr, 0
	.set _ZN12_GLOBAL__N_121softmax_warp_backwardIfffLi1ELb1ELb0ELi32EEEvPT0_PKT_S5_iiiPKb.numbered_sgpr, 12
	.set _ZN12_GLOBAL__N_121softmax_warp_backwardIfffLi1ELb1ELb0ELi32EEEvPT0_PKT_S5_iiiPKb.num_named_barrier, 0
	.set _ZN12_GLOBAL__N_121softmax_warp_backwardIfffLi1ELb1ELb0ELi32EEEvPT0_PKT_S5_iiiPKb.private_seg_size, 0
	.set _ZN12_GLOBAL__N_121softmax_warp_backwardIfffLi1ELb1ELb0ELi32EEEvPT0_PKT_S5_iiiPKb.uses_vcc, 1
	.set _ZN12_GLOBAL__N_121softmax_warp_backwardIfffLi1ELb1ELb0ELi32EEEvPT0_PKT_S5_iiiPKb.uses_flat_scratch, 0
	.set _ZN12_GLOBAL__N_121softmax_warp_backwardIfffLi1ELb1ELb0ELi32EEEvPT0_PKT_S5_iiiPKb.has_dyn_sized_stack, 0
	.set _ZN12_GLOBAL__N_121softmax_warp_backwardIfffLi1ELb1ELb0ELi32EEEvPT0_PKT_S5_iiiPKb.has_recursion, 0
	.set _ZN12_GLOBAL__N_121softmax_warp_backwardIfffLi1ELb1ELb0ELi32EEEvPT0_PKT_S5_iiiPKb.has_indirect_call, 0
	.section	.AMDGPU.csdata,"",@progbits
; Kernel info:
; codeLenInByte = 696
; TotalNumSgprs: 14
; NumVgprs: 14
; ScratchSize: 0
; MemoryBound: 0
; FloatMode: 240
; IeeeMode: 1
; LDSByteSize: 0 bytes/workgroup (compile time only)
; SGPRBlocks: 0
; VGPRBlocks: 1
; NumSGPRsForWavesPerEU: 14
; NumVGPRsForWavesPerEU: 14
; Occupancy: 16
; WaveLimiterHint : 0
; COMPUTE_PGM_RSRC2:SCRATCH_EN: 0
; COMPUTE_PGM_RSRC2:USER_SGPR: 6
; COMPUTE_PGM_RSRC2:TRAP_HANDLER: 0
; COMPUTE_PGM_RSRC2:TGID_X_EN: 1
; COMPUTE_PGM_RSRC2:TGID_Y_EN: 0
; COMPUTE_PGM_RSRC2:TGID_Z_EN: 0
; COMPUTE_PGM_RSRC2:TIDIG_COMP_CNT: 1
	.section	.text._ZN12_GLOBAL__N_121softmax_warp_backwardIfffLi2ELb1ELb0ELi64EEEvPT0_PKT_S5_iiiPKb,"axG",@progbits,_ZN12_GLOBAL__N_121softmax_warp_backwardIfffLi2ELb1ELb0ELi64EEEvPT0_PKT_S5_iiiPKb,comdat
	.globl	_ZN12_GLOBAL__N_121softmax_warp_backwardIfffLi2ELb1ELb0ELi64EEEvPT0_PKT_S5_iiiPKb ; -- Begin function _ZN12_GLOBAL__N_121softmax_warp_backwardIfffLi2ELb1ELb0ELi64EEEvPT0_PKT_S5_iiiPKb
	.p2align	8
	.type	_ZN12_GLOBAL__N_121softmax_warp_backwardIfffLi2ELb1ELb0ELi64EEEvPT0_PKT_S5_iiiPKb,@function
_ZN12_GLOBAL__N_121softmax_warp_backwardIfffLi2ELb1ELb0ELi64EEEvPT0_PKT_S5_iiiPKb: ; @_ZN12_GLOBAL__N_121softmax_warp_backwardIfffLi2ELb1ELb0ELi64EEEvPT0_PKT_S5_iiiPKb
; %bb.0:
	s_clause 0x1
	s_load_dword s7, s[4:5], 0x3c
	s_load_dwordx4 s[0:3], s[4:5], 0x18
	v_and_b32_e32 v2, 3, v0
	s_clause 0x1
	s_load_dwordx4 s[8:11], s[4:5], 0x0
	s_load_dwordx2 s[4:5], s[4:5], 0x10
	v_mov_b32_e32 v7, 0
	v_mov_b32_e32 v8, 0
	s_waitcnt lgkmcnt(0)
	s_lshr_b32 s3, s7, 16
	v_cmp_gt_i32_e32 vcc_lo, s2, v2
	s_and_b32 s3, s3, 0xffff
	s_mul_i32 s6, s6, s3
	v_add_lshl_u32 v3, s6, v1, 1
	v_mad_u64_u32 v[0:1], null, v3, s1, v[2:3]
	v_sub_nc_u32_e32 v6, s0, v3
	v_cmp_lt_i32_e64 s0, 0, v6
	v_ashrrev_i32_e32 v1, 31, v0
	s_and_b32 s3, vcc_lo, s0
	v_lshlrev_b64 v[0:1], 2, v[0:1]
	v_add_co_u32 v2, s1, s10, v0
	v_add_co_ci_u32_e64 v3, null, s11, v1, s1
	v_add_co_u32 v4, s1, s4, v0
	v_add_co_ci_u32_e64 v5, null, s5, v1, s1
	s_and_saveexec_b32 s1, s3
	s_cbranch_execz .LBB232_2
; %bb.1:
	global_load_dword v8, v[2:3], off
	global_load_dword v7, v[4:5], off
.LBB232_2:
	s_or_b32 exec_lo, exec_lo, s1
	v_cmp_gt_i32_e64 s1, 2, v6
	s_xor_b32 s3, vcc_lo, -1
	s_or_b32 s1, s3, s1
	s_and_saveexec_b32 s3, s1
	s_xor_b32 s1, exec_lo, s3
                                        ; implicit-def: $vgpr9
; %bb.3:
	v_mov_b32_e32 v9, 0
                                        ; implicit-def: $vgpr4
                                        ; implicit-def: $vgpr2
; %bb.4:
	s_or_saveexec_b32 s4, s1
	v_mov_b32_e32 v10, 1.0
	s_xor_b32 exec_lo, exec_lo, s4
	s_cbranch_execz .LBB232_6
; %bb.5:
	s_mov_b32 s3, 0
	s_lshl_b64 s[6:7], s[2:3], 2
	v_add_co_u32 v4, s1, v4, s6
	v_add_co_ci_u32_e64 v5, null, s7, v5, s1
	v_add_co_u32 v2, s1, v2, s6
	v_add_co_ci_u32_e64 v3, null, s7, v3, s1
	global_load_dword v4, v[4:5], off
	global_load_dword v9, v[2:3], off
	s_waitcnt vmcnt(1)
	v_mul_f32_e32 v2, 0x3fb8aa3b, v4
	v_cmp_ngt_f32_e64 s1, 0xc2ce8ed0, v4
	v_fma_f32 v3, 0x3fb8aa3b, v4, -v2
	v_rndne_f32_e32 v5, v2
	v_fmamk_f32 v3, v4, 0x32a5705f, v3
	v_sub_f32_e32 v2, v2, v5
	v_add_f32_e32 v2, v2, v3
	v_cvt_i32_f32_e32 v3, v5
	v_exp_f32_e32 v2, v2
	v_ldexp_f32 v2, v2, v3
	v_cndmask_b32_e64 v2, 0, v2, s1
	v_cmp_nlt_f32_e64 s1, 0x42b17218, v4
	v_cndmask_b32_e64 v10, 0x7f800000, v2, s1
.LBB232_6:
	s_or_b32 exec_lo, exec_lo, s4
	v_mbcnt_lo_u32_b32 v2, -1, 0
	s_waitcnt vmcnt(1)
	v_add_f32_e32 v5, 0, v8
	s_waitcnt vmcnt(0)
	v_add_f32_e32 v11, 0, v9
	v_and_b32_e32 v3, 28, v2
	v_xor_b32_e32 v4, 2, v2
	v_add_nc_u32_e32 v3, 4, v3
	v_cmp_lt_i32_e64 s1, v4, v3
	v_cndmask_b32_e64 v4, v2, v4, s1
	v_lshlrev_b32_e32 v4, 2, v4
	ds_bpermute_b32 v12, v4, v5
	ds_bpermute_b32 v13, v4, v11
	v_xor_b32_e32 v4, 1, v2
	v_cmp_lt_i32_e64 s1, v4, v3
	v_cndmask_b32_e64 v2, v2, v4, s1
	v_lshlrev_b32_e32 v3, 2, v2
	s_waitcnt lgkmcnt(1)
	v_add_f32_e32 v4, v5, v12
	s_waitcnt lgkmcnt(0)
	v_add_f32_e32 v2, v11, v13
	ds_bpermute_b32 v5, v3, v4
	ds_bpermute_b32 v3, v3, v2
	s_and_saveexec_b32 s1, s0
	s_cbranch_execz .LBB232_11
; %bb.7:
	v_add_co_u32 v0, s0, s8, v0
	v_add_co_ci_u32_e64 v1, null, s9, v1, s0
	s_and_saveexec_b32 s1, vcc_lo
	s_cbranch_execz .LBB232_9
; %bb.8:
	v_mul_f32_e32 v11, 0x3fb8aa3b, v7
	v_cmp_ngt_f32_e64 s0, 0xc2ce8ed0, v7
	s_waitcnt lgkmcnt(1)
	v_add_f32_e32 v4, v4, v5
	v_rndne_f32_e32 v12, v11
	v_fma_f32 v13, 0x3fb8aa3b, v7, -v11
	v_sub_f32_e32 v11, v11, v12
	v_fmamk_f32 v13, v7, 0x32a5705f, v13
	v_cvt_i32_f32_e32 v12, v12
	v_add_f32_e32 v11, v11, v13
	v_exp_f32_e32 v11, v11
	v_ldexp_f32 v11, v11, v12
	v_cndmask_b32_e64 v11, 0, v11, s0
	v_cmp_nlt_f32_e64 s0, 0x42b17218, v7
	v_cndmask_b32_e64 v5, 0x7f800000, v11, s0
	v_fma_f32 v4, -v4, v5, v8
	global_store_dword v[0:1], v4, off
.LBB232_9:
	s_or_b32 exec_lo, exec_lo, s1
	v_cmp_ne_u32_e64 s0, 1, v6
	s_and_b32 s0, s0, vcc_lo
	s_and_b32 exec_lo, exec_lo, s0
	s_cbranch_execz .LBB232_11
; %bb.10:
	s_mov_b32 s3, 0
	s_waitcnt lgkmcnt(0)
	v_add_f32_e32 v2, v2, v3
	s_lshl_b64 s[0:1], s[2:3], 2
	v_add_co_u32 v0, vcc_lo, v0, s0
	v_add_co_ci_u32_e64 v1, null, s1, v1, vcc_lo
	v_fma_f32 v2, -v2, v10, v9
	global_store_dword v[0:1], v2, off
.LBB232_11:
	s_endpgm
	.section	.rodata,"a",@progbits
	.p2align	6, 0x0
	.amdhsa_kernel _ZN12_GLOBAL__N_121softmax_warp_backwardIfffLi2ELb1ELb0ELi64EEEvPT0_PKT_S5_iiiPKb
		.amdhsa_group_segment_fixed_size 0
		.amdhsa_private_segment_fixed_size 0
		.amdhsa_kernarg_size 304
		.amdhsa_user_sgpr_count 6
		.amdhsa_user_sgpr_private_segment_buffer 1
		.amdhsa_user_sgpr_dispatch_ptr 0
		.amdhsa_user_sgpr_queue_ptr 0
		.amdhsa_user_sgpr_kernarg_segment_ptr 1
		.amdhsa_user_sgpr_dispatch_id 0
		.amdhsa_user_sgpr_flat_scratch_init 0
		.amdhsa_user_sgpr_private_segment_size 0
		.amdhsa_wavefront_size32 1
		.amdhsa_uses_dynamic_stack 0
		.amdhsa_system_sgpr_private_segment_wavefront_offset 0
		.amdhsa_system_sgpr_workgroup_id_x 1
		.amdhsa_system_sgpr_workgroup_id_y 0
		.amdhsa_system_sgpr_workgroup_id_z 0
		.amdhsa_system_sgpr_workgroup_info 0
		.amdhsa_system_vgpr_workitem_id 1
		.amdhsa_next_free_vgpr 14
		.amdhsa_next_free_sgpr 12
		.amdhsa_reserve_vcc 1
		.amdhsa_reserve_flat_scratch 0
		.amdhsa_float_round_mode_32 0
		.amdhsa_float_round_mode_16_64 0
		.amdhsa_float_denorm_mode_32 3
		.amdhsa_float_denorm_mode_16_64 3
		.amdhsa_dx10_clamp 1
		.amdhsa_ieee_mode 1
		.amdhsa_fp16_overflow 0
		.amdhsa_workgroup_processor_mode 1
		.amdhsa_memory_ordered 1
		.amdhsa_forward_progress 1
		.amdhsa_shared_vgpr_count 0
		.amdhsa_exception_fp_ieee_invalid_op 0
		.amdhsa_exception_fp_denorm_src 0
		.amdhsa_exception_fp_ieee_div_zero 0
		.amdhsa_exception_fp_ieee_overflow 0
		.amdhsa_exception_fp_ieee_underflow 0
		.amdhsa_exception_fp_ieee_inexact 0
		.amdhsa_exception_int_div_zero 0
	.end_amdhsa_kernel
	.section	.text._ZN12_GLOBAL__N_121softmax_warp_backwardIfffLi2ELb1ELb0ELi64EEEvPT0_PKT_S5_iiiPKb,"axG",@progbits,_ZN12_GLOBAL__N_121softmax_warp_backwardIfffLi2ELb1ELb0ELi64EEEvPT0_PKT_S5_iiiPKb,comdat
.Lfunc_end232:
	.size	_ZN12_GLOBAL__N_121softmax_warp_backwardIfffLi2ELb1ELb0ELi64EEEvPT0_PKT_S5_iiiPKb, .Lfunc_end232-_ZN12_GLOBAL__N_121softmax_warp_backwardIfffLi2ELb1ELb0ELi64EEEvPT0_PKT_S5_iiiPKb
                                        ; -- End function
	.set _ZN12_GLOBAL__N_121softmax_warp_backwardIfffLi2ELb1ELb0ELi64EEEvPT0_PKT_S5_iiiPKb.num_vgpr, 14
	.set _ZN12_GLOBAL__N_121softmax_warp_backwardIfffLi2ELb1ELb0ELi64EEEvPT0_PKT_S5_iiiPKb.num_agpr, 0
	.set _ZN12_GLOBAL__N_121softmax_warp_backwardIfffLi2ELb1ELb0ELi64EEEvPT0_PKT_S5_iiiPKb.numbered_sgpr, 12
	.set _ZN12_GLOBAL__N_121softmax_warp_backwardIfffLi2ELb1ELb0ELi64EEEvPT0_PKT_S5_iiiPKb.num_named_barrier, 0
	.set _ZN12_GLOBAL__N_121softmax_warp_backwardIfffLi2ELb1ELb0ELi64EEEvPT0_PKT_S5_iiiPKb.private_seg_size, 0
	.set _ZN12_GLOBAL__N_121softmax_warp_backwardIfffLi2ELb1ELb0ELi64EEEvPT0_PKT_S5_iiiPKb.uses_vcc, 1
	.set _ZN12_GLOBAL__N_121softmax_warp_backwardIfffLi2ELb1ELb0ELi64EEEvPT0_PKT_S5_iiiPKb.uses_flat_scratch, 0
	.set _ZN12_GLOBAL__N_121softmax_warp_backwardIfffLi2ELb1ELb0ELi64EEEvPT0_PKT_S5_iiiPKb.has_dyn_sized_stack, 0
	.set _ZN12_GLOBAL__N_121softmax_warp_backwardIfffLi2ELb1ELb0ELi64EEEvPT0_PKT_S5_iiiPKb.has_recursion, 0
	.set _ZN12_GLOBAL__N_121softmax_warp_backwardIfffLi2ELb1ELb0ELi64EEEvPT0_PKT_S5_iiiPKb.has_indirect_call, 0
	.section	.AMDGPU.csdata,"",@progbits
; Kernel info:
; codeLenInByte = 748
; TotalNumSgprs: 14
; NumVgprs: 14
; ScratchSize: 0
; MemoryBound: 0
; FloatMode: 240
; IeeeMode: 1
; LDSByteSize: 0 bytes/workgroup (compile time only)
; SGPRBlocks: 0
; VGPRBlocks: 1
; NumSGPRsForWavesPerEU: 14
; NumVGPRsForWavesPerEU: 14
; Occupancy: 16
; WaveLimiterHint : 0
; COMPUTE_PGM_RSRC2:SCRATCH_EN: 0
; COMPUTE_PGM_RSRC2:USER_SGPR: 6
; COMPUTE_PGM_RSRC2:TRAP_HANDLER: 0
; COMPUTE_PGM_RSRC2:TGID_X_EN: 1
; COMPUTE_PGM_RSRC2:TGID_Y_EN: 0
; COMPUTE_PGM_RSRC2:TGID_Z_EN: 0
; COMPUTE_PGM_RSRC2:TIDIG_COMP_CNT: 1
	.section	.text._ZN12_GLOBAL__N_121softmax_warp_backwardIfffLi2ELb1ELb0ELi32EEEvPT0_PKT_S5_iiiPKb,"axG",@progbits,_ZN12_GLOBAL__N_121softmax_warp_backwardIfffLi2ELb1ELb0ELi32EEEvPT0_PKT_S5_iiiPKb,comdat
	.globl	_ZN12_GLOBAL__N_121softmax_warp_backwardIfffLi2ELb1ELb0ELi32EEEvPT0_PKT_S5_iiiPKb ; -- Begin function _ZN12_GLOBAL__N_121softmax_warp_backwardIfffLi2ELb1ELb0ELi32EEEvPT0_PKT_S5_iiiPKb
	.p2align	8
	.type	_ZN12_GLOBAL__N_121softmax_warp_backwardIfffLi2ELb1ELb0ELi32EEEvPT0_PKT_S5_iiiPKb,@function
_ZN12_GLOBAL__N_121softmax_warp_backwardIfffLi2ELb1ELb0ELi32EEEvPT0_PKT_S5_iiiPKb: ; @_ZN12_GLOBAL__N_121softmax_warp_backwardIfffLi2ELb1ELb0ELi32EEEvPT0_PKT_S5_iiiPKb
; %bb.0:
	s_clause 0x1
	s_load_dword s7, s[4:5], 0x3c
	s_load_dwordx4 s[0:3], s[4:5], 0x18
	v_and_b32_e32 v2, 3, v0
	s_clause 0x1
	s_load_dwordx4 s[8:11], s[4:5], 0x0
	s_load_dwordx2 s[4:5], s[4:5], 0x10
	v_mov_b32_e32 v7, 0
	v_mov_b32_e32 v8, 0
	s_waitcnt lgkmcnt(0)
	s_lshr_b32 s3, s7, 16
	v_cmp_gt_i32_e32 vcc_lo, s2, v2
	s_and_b32 s3, s3, 0xffff
	s_mul_i32 s6, s6, s3
	v_add_lshl_u32 v3, s6, v1, 1
	v_mad_u64_u32 v[0:1], null, v3, s1, v[2:3]
	v_sub_nc_u32_e32 v6, s0, v3
	v_cmp_lt_i32_e64 s0, 0, v6
	v_ashrrev_i32_e32 v1, 31, v0
	s_and_b32 s3, vcc_lo, s0
	v_lshlrev_b64 v[0:1], 2, v[0:1]
	v_add_co_u32 v2, s1, s10, v0
	v_add_co_ci_u32_e64 v3, null, s11, v1, s1
	v_add_co_u32 v4, s1, s4, v0
	v_add_co_ci_u32_e64 v5, null, s5, v1, s1
	s_and_saveexec_b32 s1, s3
	s_cbranch_execz .LBB233_2
; %bb.1:
	global_load_dword v8, v[2:3], off
	global_load_dword v7, v[4:5], off
.LBB233_2:
	s_or_b32 exec_lo, exec_lo, s1
	v_cmp_gt_i32_e64 s1, 2, v6
	s_xor_b32 s3, vcc_lo, -1
	s_or_b32 s1, s3, s1
	s_and_saveexec_b32 s3, s1
	s_xor_b32 s1, exec_lo, s3
                                        ; implicit-def: $vgpr9
; %bb.3:
	v_mov_b32_e32 v9, 0
                                        ; implicit-def: $vgpr4
                                        ; implicit-def: $vgpr2
; %bb.4:
	s_or_saveexec_b32 s4, s1
	v_mov_b32_e32 v10, 1.0
	s_xor_b32 exec_lo, exec_lo, s4
	s_cbranch_execz .LBB233_6
; %bb.5:
	s_mov_b32 s3, 0
	s_lshl_b64 s[6:7], s[2:3], 2
	v_add_co_u32 v4, s1, v4, s6
	v_add_co_ci_u32_e64 v5, null, s7, v5, s1
	v_add_co_u32 v2, s1, v2, s6
	v_add_co_ci_u32_e64 v3, null, s7, v3, s1
	global_load_dword v4, v[4:5], off
	global_load_dword v9, v[2:3], off
	s_waitcnt vmcnt(1)
	v_mul_f32_e32 v2, 0x3fb8aa3b, v4
	v_cmp_ngt_f32_e64 s1, 0xc2ce8ed0, v4
	v_fma_f32 v3, 0x3fb8aa3b, v4, -v2
	v_rndne_f32_e32 v5, v2
	v_fmamk_f32 v3, v4, 0x32a5705f, v3
	v_sub_f32_e32 v2, v2, v5
	v_add_f32_e32 v2, v2, v3
	v_cvt_i32_f32_e32 v3, v5
	v_exp_f32_e32 v2, v2
	v_ldexp_f32 v2, v2, v3
	v_cndmask_b32_e64 v2, 0, v2, s1
	v_cmp_nlt_f32_e64 s1, 0x42b17218, v4
	v_cndmask_b32_e64 v10, 0x7f800000, v2, s1
.LBB233_6:
	s_or_b32 exec_lo, exec_lo, s4
	v_mbcnt_lo_u32_b32 v2, -1, 0
	s_waitcnt vmcnt(1)
	v_add_f32_e32 v5, 0, v8
	s_waitcnt vmcnt(0)
	v_add_f32_e32 v11, 0, v9
	v_and_b32_e32 v3, 28, v2
	v_xor_b32_e32 v4, 2, v2
	v_add_nc_u32_e32 v3, 4, v3
	v_cmp_lt_i32_e64 s1, v4, v3
	v_cndmask_b32_e64 v4, v2, v4, s1
	v_lshlrev_b32_e32 v4, 2, v4
	ds_bpermute_b32 v12, v4, v5
	ds_bpermute_b32 v13, v4, v11
	v_xor_b32_e32 v4, 1, v2
	v_cmp_lt_i32_e64 s1, v4, v3
	v_cndmask_b32_e64 v2, v2, v4, s1
	v_lshlrev_b32_e32 v3, 2, v2
	s_waitcnt lgkmcnt(1)
	v_add_f32_e32 v4, v5, v12
	s_waitcnt lgkmcnt(0)
	v_add_f32_e32 v2, v11, v13
	ds_bpermute_b32 v5, v3, v4
	ds_bpermute_b32 v3, v3, v2
	s_and_saveexec_b32 s1, s0
	s_cbranch_execz .LBB233_11
; %bb.7:
	v_add_co_u32 v0, s0, s8, v0
	v_add_co_ci_u32_e64 v1, null, s9, v1, s0
	s_and_saveexec_b32 s1, vcc_lo
	s_cbranch_execz .LBB233_9
; %bb.8:
	v_mul_f32_e32 v11, 0x3fb8aa3b, v7
	v_cmp_ngt_f32_e64 s0, 0xc2ce8ed0, v7
	s_waitcnt lgkmcnt(1)
	v_add_f32_e32 v4, v4, v5
	v_rndne_f32_e32 v12, v11
	v_fma_f32 v13, 0x3fb8aa3b, v7, -v11
	v_sub_f32_e32 v11, v11, v12
	v_fmamk_f32 v13, v7, 0x32a5705f, v13
	v_cvt_i32_f32_e32 v12, v12
	v_add_f32_e32 v11, v11, v13
	v_exp_f32_e32 v11, v11
	v_ldexp_f32 v11, v11, v12
	v_cndmask_b32_e64 v11, 0, v11, s0
	v_cmp_nlt_f32_e64 s0, 0x42b17218, v7
	v_cndmask_b32_e64 v5, 0x7f800000, v11, s0
	v_fma_f32 v4, -v4, v5, v8
	global_store_dword v[0:1], v4, off
.LBB233_9:
	s_or_b32 exec_lo, exec_lo, s1
	v_cmp_ne_u32_e64 s0, 1, v6
	s_and_b32 s0, s0, vcc_lo
	s_and_b32 exec_lo, exec_lo, s0
	s_cbranch_execz .LBB233_11
; %bb.10:
	s_mov_b32 s3, 0
	s_waitcnt lgkmcnt(0)
	v_add_f32_e32 v2, v2, v3
	s_lshl_b64 s[0:1], s[2:3], 2
	v_add_co_u32 v0, vcc_lo, v0, s0
	v_add_co_ci_u32_e64 v1, null, s1, v1, vcc_lo
	v_fma_f32 v2, -v2, v10, v9
	global_store_dword v[0:1], v2, off
.LBB233_11:
	s_endpgm
	.section	.rodata,"a",@progbits
	.p2align	6, 0x0
	.amdhsa_kernel _ZN12_GLOBAL__N_121softmax_warp_backwardIfffLi2ELb1ELb0ELi32EEEvPT0_PKT_S5_iiiPKb
		.amdhsa_group_segment_fixed_size 0
		.amdhsa_private_segment_fixed_size 0
		.amdhsa_kernarg_size 304
		.amdhsa_user_sgpr_count 6
		.amdhsa_user_sgpr_private_segment_buffer 1
		.amdhsa_user_sgpr_dispatch_ptr 0
		.amdhsa_user_sgpr_queue_ptr 0
		.amdhsa_user_sgpr_kernarg_segment_ptr 1
		.amdhsa_user_sgpr_dispatch_id 0
		.amdhsa_user_sgpr_flat_scratch_init 0
		.amdhsa_user_sgpr_private_segment_size 0
		.amdhsa_wavefront_size32 1
		.amdhsa_uses_dynamic_stack 0
		.amdhsa_system_sgpr_private_segment_wavefront_offset 0
		.amdhsa_system_sgpr_workgroup_id_x 1
		.amdhsa_system_sgpr_workgroup_id_y 0
		.amdhsa_system_sgpr_workgroup_id_z 0
		.amdhsa_system_sgpr_workgroup_info 0
		.amdhsa_system_vgpr_workitem_id 1
		.amdhsa_next_free_vgpr 14
		.amdhsa_next_free_sgpr 12
		.amdhsa_reserve_vcc 1
		.amdhsa_reserve_flat_scratch 0
		.amdhsa_float_round_mode_32 0
		.amdhsa_float_round_mode_16_64 0
		.amdhsa_float_denorm_mode_32 3
		.amdhsa_float_denorm_mode_16_64 3
		.amdhsa_dx10_clamp 1
		.amdhsa_ieee_mode 1
		.amdhsa_fp16_overflow 0
		.amdhsa_workgroup_processor_mode 1
		.amdhsa_memory_ordered 1
		.amdhsa_forward_progress 1
		.amdhsa_shared_vgpr_count 0
		.amdhsa_exception_fp_ieee_invalid_op 0
		.amdhsa_exception_fp_denorm_src 0
		.amdhsa_exception_fp_ieee_div_zero 0
		.amdhsa_exception_fp_ieee_overflow 0
		.amdhsa_exception_fp_ieee_underflow 0
		.amdhsa_exception_fp_ieee_inexact 0
		.amdhsa_exception_int_div_zero 0
	.end_amdhsa_kernel
	.section	.text._ZN12_GLOBAL__N_121softmax_warp_backwardIfffLi2ELb1ELb0ELi32EEEvPT0_PKT_S5_iiiPKb,"axG",@progbits,_ZN12_GLOBAL__N_121softmax_warp_backwardIfffLi2ELb1ELb0ELi32EEEvPT0_PKT_S5_iiiPKb,comdat
.Lfunc_end233:
	.size	_ZN12_GLOBAL__N_121softmax_warp_backwardIfffLi2ELb1ELb0ELi32EEEvPT0_PKT_S5_iiiPKb, .Lfunc_end233-_ZN12_GLOBAL__N_121softmax_warp_backwardIfffLi2ELb1ELb0ELi32EEEvPT0_PKT_S5_iiiPKb
                                        ; -- End function
	.set _ZN12_GLOBAL__N_121softmax_warp_backwardIfffLi2ELb1ELb0ELi32EEEvPT0_PKT_S5_iiiPKb.num_vgpr, 14
	.set _ZN12_GLOBAL__N_121softmax_warp_backwardIfffLi2ELb1ELb0ELi32EEEvPT0_PKT_S5_iiiPKb.num_agpr, 0
	.set _ZN12_GLOBAL__N_121softmax_warp_backwardIfffLi2ELb1ELb0ELi32EEEvPT0_PKT_S5_iiiPKb.numbered_sgpr, 12
	.set _ZN12_GLOBAL__N_121softmax_warp_backwardIfffLi2ELb1ELb0ELi32EEEvPT0_PKT_S5_iiiPKb.num_named_barrier, 0
	.set _ZN12_GLOBAL__N_121softmax_warp_backwardIfffLi2ELb1ELb0ELi32EEEvPT0_PKT_S5_iiiPKb.private_seg_size, 0
	.set _ZN12_GLOBAL__N_121softmax_warp_backwardIfffLi2ELb1ELb0ELi32EEEvPT0_PKT_S5_iiiPKb.uses_vcc, 1
	.set _ZN12_GLOBAL__N_121softmax_warp_backwardIfffLi2ELb1ELb0ELi32EEEvPT0_PKT_S5_iiiPKb.uses_flat_scratch, 0
	.set _ZN12_GLOBAL__N_121softmax_warp_backwardIfffLi2ELb1ELb0ELi32EEEvPT0_PKT_S5_iiiPKb.has_dyn_sized_stack, 0
	.set _ZN12_GLOBAL__N_121softmax_warp_backwardIfffLi2ELb1ELb0ELi32EEEvPT0_PKT_S5_iiiPKb.has_recursion, 0
	.set _ZN12_GLOBAL__N_121softmax_warp_backwardIfffLi2ELb1ELb0ELi32EEEvPT0_PKT_S5_iiiPKb.has_indirect_call, 0
	.section	.AMDGPU.csdata,"",@progbits
; Kernel info:
; codeLenInByte = 748
; TotalNumSgprs: 14
; NumVgprs: 14
; ScratchSize: 0
; MemoryBound: 0
; FloatMode: 240
; IeeeMode: 1
; LDSByteSize: 0 bytes/workgroup (compile time only)
; SGPRBlocks: 0
; VGPRBlocks: 1
; NumSGPRsForWavesPerEU: 14
; NumVGPRsForWavesPerEU: 14
; Occupancy: 16
; WaveLimiterHint : 0
; COMPUTE_PGM_RSRC2:SCRATCH_EN: 0
; COMPUTE_PGM_RSRC2:USER_SGPR: 6
; COMPUTE_PGM_RSRC2:TRAP_HANDLER: 0
; COMPUTE_PGM_RSRC2:TGID_X_EN: 1
; COMPUTE_PGM_RSRC2:TGID_Y_EN: 0
; COMPUTE_PGM_RSRC2:TGID_Z_EN: 0
; COMPUTE_PGM_RSRC2:TIDIG_COMP_CNT: 1
	.section	.text._ZN12_GLOBAL__N_121softmax_warp_backwardIfffLi3ELb1ELb0ELi64EEEvPT0_PKT_S5_iiiPKb,"axG",@progbits,_ZN12_GLOBAL__N_121softmax_warp_backwardIfffLi3ELb1ELb0ELi64EEEvPT0_PKT_S5_iiiPKb,comdat
	.globl	_ZN12_GLOBAL__N_121softmax_warp_backwardIfffLi3ELb1ELb0ELi64EEEvPT0_PKT_S5_iiiPKb ; -- Begin function _ZN12_GLOBAL__N_121softmax_warp_backwardIfffLi3ELb1ELb0ELi64EEEvPT0_PKT_S5_iiiPKb
	.p2align	8
	.type	_ZN12_GLOBAL__N_121softmax_warp_backwardIfffLi3ELb1ELb0ELi64EEEvPT0_PKT_S5_iiiPKb,@function
_ZN12_GLOBAL__N_121softmax_warp_backwardIfffLi3ELb1ELb0ELi64EEEvPT0_PKT_S5_iiiPKb: ; @_ZN12_GLOBAL__N_121softmax_warp_backwardIfffLi3ELb1ELb0ELi64EEEvPT0_PKT_S5_iiiPKb
; %bb.0:
	s_clause 0x1
	s_load_dword s7, s[4:5], 0x3c
	s_load_dwordx4 s[0:3], s[4:5], 0x18
	v_and_b32_e32 v2, 7, v0
	s_clause 0x1
	s_load_dwordx4 s[8:11], s[4:5], 0x0
	s_load_dwordx2 s[4:5], s[4:5], 0x10
	v_mov_b32_e32 v7, 0
	v_mov_b32_e32 v8, 0
	s_waitcnt lgkmcnt(0)
	s_lshr_b32 s3, s7, 16
	v_cmp_gt_i32_e32 vcc_lo, s2, v2
	s_and_b32 s3, s3, 0xffff
	s_mul_i32 s6, s6, s3
	v_add_lshl_u32 v3, s6, v1, 1
	v_mad_u64_u32 v[0:1], null, v3, s1, v[2:3]
	v_sub_nc_u32_e32 v6, s0, v3
	v_cmp_lt_i32_e64 s0, 0, v6
	v_ashrrev_i32_e32 v1, 31, v0
	s_and_b32 s3, vcc_lo, s0
	v_lshlrev_b64 v[0:1], 2, v[0:1]
	v_add_co_u32 v2, s1, s10, v0
	v_add_co_ci_u32_e64 v3, null, s11, v1, s1
	v_add_co_u32 v4, s1, s4, v0
	v_add_co_ci_u32_e64 v5, null, s5, v1, s1
	s_and_saveexec_b32 s1, s3
	s_cbranch_execz .LBB234_2
; %bb.1:
	global_load_dword v8, v[2:3], off
	global_load_dword v7, v[4:5], off
.LBB234_2:
	s_or_b32 exec_lo, exec_lo, s1
	v_cmp_gt_i32_e64 s1, 2, v6
	s_xor_b32 s3, vcc_lo, -1
	s_or_b32 s1, s3, s1
	s_and_saveexec_b32 s3, s1
	s_xor_b32 s1, exec_lo, s3
                                        ; implicit-def: $vgpr9
; %bb.3:
	v_mov_b32_e32 v9, 0
                                        ; implicit-def: $vgpr4
                                        ; implicit-def: $vgpr2
; %bb.4:
	s_or_saveexec_b32 s4, s1
	v_mov_b32_e32 v10, 1.0
	s_xor_b32 exec_lo, exec_lo, s4
	s_cbranch_execz .LBB234_6
; %bb.5:
	s_mov_b32 s3, 0
	s_lshl_b64 s[6:7], s[2:3], 2
	v_add_co_u32 v4, s1, v4, s6
	v_add_co_ci_u32_e64 v5, null, s7, v5, s1
	v_add_co_u32 v2, s1, v2, s6
	v_add_co_ci_u32_e64 v3, null, s7, v3, s1
	global_load_dword v4, v[4:5], off
	global_load_dword v9, v[2:3], off
	s_waitcnt vmcnt(1)
	v_mul_f32_e32 v2, 0x3fb8aa3b, v4
	v_cmp_ngt_f32_e64 s1, 0xc2ce8ed0, v4
	v_fma_f32 v3, 0x3fb8aa3b, v4, -v2
	v_rndne_f32_e32 v5, v2
	v_fmamk_f32 v3, v4, 0x32a5705f, v3
	v_sub_f32_e32 v2, v2, v5
	v_add_f32_e32 v2, v2, v3
	v_cvt_i32_f32_e32 v3, v5
	v_exp_f32_e32 v2, v2
	v_ldexp_f32 v2, v2, v3
	v_cndmask_b32_e64 v2, 0, v2, s1
	v_cmp_nlt_f32_e64 s1, 0x42b17218, v4
	v_cndmask_b32_e64 v10, 0x7f800000, v2, s1
.LBB234_6:
	s_or_b32 exec_lo, exec_lo, s4
	v_mbcnt_lo_u32_b32 v2, -1, 0
	s_waitcnt vmcnt(1)
	v_add_f32_e32 v5, 0, v8
	s_waitcnt vmcnt(0)
	v_add_f32_e32 v11, 0, v9
	v_and_b32_e32 v3, 24, v2
	v_xor_b32_e32 v4, 4, v2
	v_xor_b32_e32 v13, 2, v2
	v_add_nc_u32_e32 v3, 8, v3
	v_cmp_lt_i32_e64 s1, v4, v3
	v_cndmask_b32_e64 v4, v2, v4, s1
	v_cmp_lt_i32_e64 s1, v13, v3
	v_lshlrev_b32_e32 v4, 2, v4
	v_cndmask_b32_e64 v13, v2, v13, s1
	ds_bpermute_b32 v12, v4, v5
	ds_bpermute_b32 v4, v4, v11
	v_lshlrev_b32_e32 v13, 2, v13
	s_waitcnt lgkmcnt(1)
	v_add_f32_e32 v5, v5, v12
	s_waitcnt lgkmcnt(0)
	v_add_f32_e32 v11, v11, v4
	ds_bpermute_b32 v4, v13, v5
	ds_bpermute_b32 v12, v13, v11
	v_xor_b32_e32 v13, 1, v2
	v_cmp_lt_i32_e64 s1, v13, v3
	v_cndmask_b32_e64 v2, v2, v13, s1
	v_lshlrev_b32_e32 v3, 2, v2
	s_waitcnt lgkmcnt(1)
	v_add_f32_e32 v4, v5, v4
	s_waitcnt lgkmcnt(0)
	v_add_f32_e32 v2, v11, v12
	ds_bpermute_b32 v5, v3, v4
	ds_bpermute_b32 v3, v3, v2
	s_and_saveexec_b32 s1, s0
	s_cbranch_execz .LBB234_11
; %bb.7:
	v_add_co_u32 v0, s0, s8, v0
	v_add_co_ci_u32_e64 v1, null, s9, v1, s0
	s_and_saveexec_b32 s1, vcc_lo
	s_cbranch_execz .LBB234_9
; %bb.8:
	v_mul_f32_e32 v11, 0x3fb8aa3b, v7
	v_cmp_ngt_f32_e64 s0, 0xc2ce8ed0, v7
	s_waitcnt lgkmcnt(1)
	v_add_f32_e32 v4, v4, v5
	v_rndne_f32_e32 v12, v11
	v_fma_f32 v13, 0x3fb8aa3b, v7, -v11
	v_sub_f32_e32 v11, v11, v12
	v_fmamk_f32 v13, v7, 0x32a5705f, v13
	v_cvt_i32_f32_e32 v12, v12
	v_add_f32_e32 v11, v11, v13
	v_exp_f32_e32 v11, v11
	v_ldexp_f32 v11, v11, v12
	v_cndmask_b32_e64 v11, 0, v11, s0
	v_cmp_nlt_f32_e64 s0, 0x42b17218, v7
	v_cndmask_b32_e64 v5, 0x7f800000, v11, s0
	v_fma_f32 v4, -v4, v5, v8
	global_store_dword v[0:1], v4, off
.LBB234_9:
	s_or_b32 exec_lo, exec_lo, s1
	v_cmp_ne_u32_e64 s0, 1, v6
	s_and_b32 s0, s0, vcc_lo
	s_and_b32 exec_lo, exec_lo, s0
	s_cbranch_execz .LBB234_11
; %bb.10:
	s_mov_b32 s3, 0
	s_waitcnt lgkmcnt(0)
	v_add_f32_e32 v2, v2, v3
	s_lshl_b64 s[0:1], s[2:3], 2
	v_add_co_u32 v0, vcc_lo, v0, s0
	v_add_co_ci_u32_e64 v1, null, s1, v1, vcc_lo
	v_fma_f32 v2, -v2, v10, v9
	global_store_dword v[0:1], v2, off
.LBB234_11:
	s_endpgm
	.section	.rodata,"a",@progbits
	.p2align	6, 0x0
	.amdhsa_kernel _ZN12_GLOBAL__N_121softmax_warp_backwardIfffLi3ELb1ELb0ELi64EEEvPT0_PKT_S5_iiiPKb
		.amdhsa_group_segment_fixed_size 0
		.amdhsa_private_segment_fixed_size 0
		.amdhsa_kernarg_size 304
		.amdhsa_user_sgpr_count 6
		.amdhsa_user_sgpr_private_segment_buffer 1
		.amdhsa_user_sgpr_dispatch_ptr 0
		.amdhsa_user_sgpr_queue_ptr 0
		.amdhsa_user_sgpr_kernarg_segment_ptr 1
		.amdhsa_user_sgpr_dispatch_id 0
		.amdhsa_user_sgpr_flat_scratch_init 0
		.amdhsa_user_sgpr_private_segment_size 0
		.amdhsa_wavefront_size32 1
		.amdhsa_uses_dynamic_stack 0
		.amdhsa_system_sgpr_private_segment_wavefront_offset 0
		.amdhsa_system_sgpr_workgroup_id_x 1
		.amdhsa_system_sgpr_workgroup_id_y 0
		.amdhsa_system_sgpr_workgroup_id_z 0
		.amdhsa_system_sgpr_workgroup_info 0
		.amdhsa_system_vgpr_workitem_id 1
		.amdhsa_next_free_vgpr 14
		.amdhsa_next_free_sgpr 12
		.amdhsa_reserve_vcc 1
		.amdhsa_reserve_flat_scratch 0
		.amdhsa_float_round_mode_32 0
		.amdhsa_float_round_mode_16_64 0
		.amdhsa_float_denorm_mode_32 3
		.amdhsa_float_denorm_mode_16_64 3
		.amdhsa_dx10_clamp 1
		.amdhsa_ieee_mode 1
		.amdhsa_fp16_overflow 0
		.amdhsa_workgroup_processor_mode 1
		.amdhsa_memory_ordered 1
		.amdhsa_forward_progress 1
		.amdhsa_shared_vgpr_count 0
		.amdhsa_exception_fp_ieee_invalid_op 0
		.amdhsa_exception_fp_denorm_src 0
		.amdhsa_exception_fp_ieee_div_zero 0
		.amdhsa_exception_fp_ieee_overflow 0
		.amdhsa_exception_fp_ieee_underflow 0
		.amdhsa_exception_fp_ieee_inexact 0
		.amdhsa_exception_int_div_zero 0
	.end_amdhsa_kernel
	.section	.text._ZN12_GLOBAL__N_121softmax_warp_backwardIfffLi3ELb1ELb0ELi64EEEvPT0_PKT_S5_iiiPKb,"axG",@progbits,_ZN12_GLOBAL__N_121softmax_warp_backwardIfffLi3ELb1ELb0ELi64EEEvPT0_PKT_S5_iiiPKb,comdat
.Lfunc_end234:
	.size	_ZN12_GLOBAL__N_121softmax_warp_backwardIfffLi3ELb1ELb0ELi64EEEvPT0_PKT_S5_iiiPKb, .Lfunc_end234-_ZN12_GLOBAL__N_121softmax_warp_backwardIfffLi3ELb1ELb0ELi64EEEvPT0_PKT_S5_iiiPKb
                                        ; -- End function
	.set _ZN12_GLOBAL__N_121softmax_warp_backwardIfffLi3ELb1ELb0ELi64EEEvPT0_PKT_S5_iiiPKb.num_vgpr, 14
	.set _ZN12_GLOBAL__N_121softmax_warp_backwardIfffLi3ELb1ELb0ELi64EEEvPT0_PKT_S5_iiiPKb.num_agpr, 0
	.set _ZN12_GLOBAL__N_121softmax_warp_backwardIfffLi3ELb1ELb0ELi64EEEvPT0_PKT_S5_iiiPKb.numbered_sgpr, 12
	.set _ZN12_GLOBAL__N_121softmax_warp_backwardIfffLi3ELb1ELb0ELi64EEEvPT0_PKT_S5_iiiPKb.num_named_barrier, 0
	.set _ZN12_GLOBAL__N_121softmax_warp_backwardIfffLi3ELb1ELb0ELi64EEEvPT0_PKT_S5_iiiPKb.private_seg_size, 0
	.set _ZN12_GLOBAL__N_121softmax_warp_backwardIfffLi3ELb1ELb0ELi64EEEvPT0_PKT_S5_iiiPKb.uses_vcc, 1
	.set _ZN12_GLOBAL__N_121softmax_warp_backwardIfffLi3ELb1ELb0ELi64EEEvPT0_PKT_S5_iiiPKb.uses_flat_scratch, 0
	.set _ZN12_GLOBAL__N_121softmax_warp_backwardIfffLi3ELb1ELb0ELi64EEEvPT0_PKT_S5_iiiPKb.has_dyn_sized_stack, 0
	.set _ZN12_GLOBAL__N_121softmax_warp_backwardIfffLi3ELb1ELb0ELi64EEEvPT0_PKT_S5_iiiPKb.has_recursion, 0
	.set _ZN12_GLOBAL__N_121softmax_warp_backwardIfffLi3ELb1ELb0ELi64EEEvPT0_PKT_S5_iiiPKb.has_indirect_call, 0
	.section	.AMDGPU.csdata,"",@progbits
; Kernel info:
; codeLenInByte = 804
; TotalNumSgprs: 14
; NumVgprs: 14
; ScratchSize: 0
; MemoryBound: 0
; FloatMode: 240
; IeeeMode: 1
; LDSByteSize: 0 bytes/workgroup (compile time only)
; SGPRBlocks: 0
; VGPRBlocks: 1
; NumSGPRsForWavesPerEU: 14
; NumVGPRsForWavesPerEU: 14
; Occupancy: 16
; WaveLimiterHint : 0
; COMPUTE_PGM_RSRC2:SCRATCH_EN: 0
; COMPUTE_PGM_RSRC2:USER_SGPR: 6
; COMPUTE_PGM_RSRC2:TRAP_HANDLER: 0
; COMPUTE_PGM_RSRC2:TGID_X_EN: 1
; COMPUTE_PGM_RSRC2:TGID_Y_EN: 0
; COMPUTE_PGM_RSRC2:TGID_Z_EN: 0
; COMPUTE_PGM_RSRC2:TIDIG_COMP_CNT: 1
	.section	.text._ZN12_GLOBAL__N_121softmax_warp_backwardIfffLi3ELb1ELb0ELi32EEEvPT0_PKT_S5_iiiPKb,"axG",@progbits,_ZN12_GLOBAL__N_121softmax_warp_backwardIfffLi3ELb1ELb0ELi32EEEvPT0_PKT_S5_iiiPKb,comdat
	.globl	_ZN12_GLOBAL__N_121softmax_warp_backwardIfffLi3ELb1ELb0ELi32EEEvPT0_PKT_S5_iiiPKb ; -- Begin function _ZN12_GLOBAL__N_121softmax_warp_backwardIfffLi3ELb1ELb0ELi32EEEvPT0_PKT_S5_iiiPKb
	.p2align	8
	.type	_ZN12_GLOBAL__N_121softmax_warp_backwardIfffLi3ELb1ELb0ELi32EEEvPT0_PKT_S5_iiiPKb,@function
_ZN12_GLOBAL__N_121softmax_warp_backwardIfffLi3ELb1ELb0ELi32EEEvPT0_PKT_S5_iiiPKb: ; @_ZN12_GLOBAL__N_121softmax_warp_backwardIfffLi3ELb1ELb0ELi32EEEvPT0_PKT_S5_iiiPKb
; %bb.0:
	s_clause 0x1
	s_load_dword s7, s[4:5], 0x3c
	s_load_dwordx4 s[0:3], s[4:5], 0x18
	v_and_b32_e32 v2, 7, v0
	s_clause 0x1
	s_load_dwordx4 s[8:11], s[4:5], 0x0
	s_load_dwordx2 s[4:5], s[4:5], 0x10
	v_mov_b32_e32 v7, 0
	v_mov_b32_e32 v8, 0
	s_waitcnt lgkmcnt(0)
	s_lshr_b32 s3, s7, 16
	v_cmp_gt_i32_e32 vcc_lo, s2, v2
	s_and_b32 s3, s3, 0xffff
	s_mul_i32 s6, s6, s3
	v_add_lshl_u32 v3, s6, v1, 1
	v_mad_u64_u32 v[0:1], null, v3, s1, v[2:3]
	v_sub_nc_u32_e32 v6, s0, v3
	v_cmp_lt_i32_e64 s0, 0, v6
	v_ashrrev_i32_e32 v1, 31, v0
	s_and_b32 s3, vcc_lo, s0
	v_lshlrev_b64 v[0:1], 2, v[0:1]
	v_add_co_u32 v2, s1, s10, v0
	v_add_co_ci_u32_e64 v3, null, s11, v1, s1
	v_add_co_u32 v4, s1, s4, v0
	v_add_co_ci_u32_e64 v5, null, s5, v1, s1
	s_and_saveexec_b32 s1, s3
	s_cbranch_execz .LBB235_2
; %bb.1:
	global_load_dword v8, v[2:3], off
	global_load_dword v7, v[4:5], off
.LBB235_2:
	s_or_b32 exec_lo, exec_lo, s1
	v_cmp_gt_i32_e64 s1, 2, v6
	s_xor_b32 s3, vcc_lo, -1
	s_or_b32 s1, s3, s1
	s_and_saveexec_b32 s3, s1
	s_xor_b32 s1, exec_lo, s3
                                        ; implicit-def: $vgpr9
; %bb.3:
	v_mov_b32_e32 v9, 0
                                        ; implicit-def: $vgpr4
                                        ; implicit-def: $vgpr2
; %bb.4:
	s_or_saveexec_b32 s4, s1
	v_mov_b32_e32 v10, 1.0
	s_xor_b32 exec_lo, exec_lo, s4
	s_cbranch_execz .LBB235_6
; %bb.5:
	s_mov_b32 s3, 0
	s_lshl_b64 s[6:7], s[2:3], 2
	v_add_co_u32 v4, s1, v4, s6
	v_add_co_ci_u32_e64 v5, null, s7, v5, s1
	v_add_co_u32 v2, s1, v2, s6
	v_add_co_ci_u32_e64 v3, null, s7, v3, s1
	global_load_dword v4, v[4:5], off
	global_load_dword v9, v[2:3], off
	s_waitcnt vmcnt(1)
	v_mul_f32_e32 v2, 0x3fb8aa3b, v4
	v_cmp_ngt_f32_e64 s1, 0xc2ce8ed0, v4
	v_fma_f32 v3, 0x3fb8aa3b, v4, -v2
	v_rndne_f32_e32 v5, v2
	v_fmamk_f32 v3, v4, 0x32a5705f, v3
	v_sub_f32_e32 v2, v2, v5
	v_add_f32_e32 v2, v2, v3
	v_cvt_i32_f32_e32 v3, v5
	v_exp_f32_e32 v2, v2
	v_ldexp_f32 v2, v2, v3
	v_cndmask_b32_e64 v2, 0, v2, s1
	v_cmp_nlt_f32_e64 s1, 0x42b17218, v4
	v_cndmask_b32_e64 v10, 0x7f800000, v2, s1
.LBB235_6:
	s_or_b32 exec_lo, exec_lo, s4
	v_mbcnt_lo_u32_b32 v2, -1, 0
	s_waitcnt vmcnt(1)
	v_add_f32_e32 v5, 0, v8
	s_waitcnt vmcnt(0)
	v_add_f32_e32 v11, 0, v9
	v_and_b32_e32 v3, 24, v2
	v_xor_b32_e32 v4, 4, v2
	v_xor_b32_e32 v13, 2, v2
	v_add_nc_u32_e32 v3, 8, v3
	v_cmp_lt_i32_e64 s1, v4, v3
	v_cndmask_b32_e64 v4, v2, v4, s1
	v_cmp_lt_i32_e64 s1, v13, v3
	v_lshlrev_b32_e32 v4, 2, v4
	v_cndmask_b32_e64 v13, v2, v13, s1
	ds_bpermute_b32 v12, v4, v5
	ds_bpermute_b32 v4, v4, v11
	v_lshlrev_b32_e32 v13, 2, v13
	s_waitcnt lgkmcnt(1)
	v_add_f32_e32 v5, v5, v12
	s_waitcnt lgkmcnt(0)
	v_add_f32_e32 v11, v11, v4
	ds_bpermute_b32 v4, v13, v5
	ds_bpermute_b32 v12, v13, v11
	v_xor_b32_e32 v13, 1, v2
	v_cmp_lt_i32_e64 s1, v13, v3
	v_cndmask_b32_e64 v2, v2, v13, s1
	v_lshlrev_b32_e32 v3, 2, v2
	s_waitcnt lgkmcnt(1)
	v_add_f32_e32 v4, v5, v4
	s_waitcnt lgkmcnt(0)
	v_add_f32_e32 v2, v11, v12
	ds_bpermute_b32 v5, v3, v4
	ds_bpermute_b32 v3, v3, v2
	s_and_saveexec_b32 s1, s0
	s_cbranch_execz .LBB235_11
; %bb.7:
	v_add_co_u32 v0, s0, s8, v0
	v_add_co_ci_u32_e64 v1, null, s9, v1, s0
	s_and_saveexec_b32 s1, vcc_lo
	s_cbranch_execz .LBB235_9
; %bb.8:
	v_mul_f32_e32 v11, 0x3fb8aa3b, v7
	v_cmp_ngt_f32_e64 s0, 0xc2ce8ed0, v7
	s_waitcnt lgkmcnt(1)
	v_add_f32_e32 v4, v4, v5
	v_rndne_f32_e32 v12, v11
	v_fma_f32 v13, 0x3fb8aa3b, v7, -v11
	v_sub_f32_e32 v11, v11, v12
	v_fmamk_f32 v13, v7, 0x32a5705f, v13
	v_cvt_i32_f32_e32 v12, v12
	v_add_f32_e32 v11, v11, v13
	v_exp_f32_e32 v11, v11
	v_ldexp_f32 v11, v11, v12
	v_cndmask_b32_e64 v11, 0, v11, s0
	v_cmp_nlt_f32_e64 s0, 0x42b17218, v7
	v_cndmask_b32_e64 v5, 0x7f800000, v11, s0
	v_fma_f32 v4, -v4, v5, v8
	global_store_dword v[0:1], v4, off
.LBB235_9:
	s_or_b32 exec_lo, exec_lo, s1
	v_cmp_ne_u32_e64 s0, 1, v6
	s_and_b32 s0, s0, vcc_lo
	s_and_b32 exec_lo, exec_lo, s0
	s_cbranch_execz .LBB235_11
; %bb.10:
	s_mov_b32 s3, 0
	s_waitcnt lgkmcnt(0)
	v_add_f32_e32 v2, v2, v3
	s_lshl_b64 s[0:1], s[2:3], 2
	v_add_co_u32 v0, vcc_lo, v0, s0
	v_add_co_ci_u32_e64 v1, null, s1, v1, vcc_lo
	v_fma_f32 v2, -v2, v10, v9
	global_store_dword v[0:1], v2, off
.LBB235_11:
	s_endpgm
	.section	.rodata,"a",@progbits
	.p2align	6, 0x0
	.amdhsa_kernel _ZN12_GLOBAL__N_121softmax_warp_backwardIfffLi3ELb1ELb0ELi32EEEvPT0_PKT_S5_iiiPKb
		.amdhsa_group_segment_fixed_size 0
		.amdhsa_private_segment_fixed_size 0
		.amdhsa_kernarg_size 304
		.amdhsa_user_sgpr_count 6
		.amdhsa_user_sgpr_private_segment_buffer 1
		.amdhsa_user_sgpr_dispatch_ptr 0
		.amdhsa_user_sgpr_queue_ptr 0
		.amdhsa_user_sgpr_kernarg_segment_ptr 1
		.amdhsa_user_sgpr_dispatch_id 0
		.amdhsa_user_sgpr_flat_scratch_init 0
		.amdhsa_user_sgpr_private_segment_size 0
		.amdhsa_wavefront_size32 1
		.amdhsa_uses_dynamic_stack 0
		.amdhsa_system_sgpr_private_segment_wavefront_offset 0
		.amdhsa_system_sgpr_workgroup_id_x 1
		.amdhsa_system_sgpr_workgroup_id_y 0
		.amdhsa_system_sgpr_workgroup_id_z 0
		.amdhsa_system_sgpr_workgroup_info 0
		.amdhsa_system_vgpr_workitem_id 1
		.amdhsa_next_free_vgpr 14
		.amdhsa_next_free_sgpr 12
		.amdhsa_reserve_vcc 1
		.amdhsa_reserve_flat_scratch 0
		.amdhsa_float_round_mode_32 0
		.amdhsa_float_round_mode_16_64 0
		.amdhsa_float_denorm_mode_32 3
		.amdhsa_float_denorm_mode_16_64 3
		.amdhsa_dx10_clamp 1
		.amdhsa_ieee_mode 1
		.amdhsa_fp16_overflow 0
		.amdhsa_workgroup_processor_mode 1
		.amdhsa_memory_ordered 1
		.amdhsa_forward_progress 1
		.amdhsa_shared_vgpr_count 0
		.amdhsa_exception_fp_ieee_invalid_op 0
		.amdhsa_exception_fp_denorm_src 0
		.amdhsa_exception_fp_ieee_div_zero 0
		.amdhsa_exception_fp_ieee_overflow 0
		.amdhsa_exception_fp_ieee_underflow 0
		.amdhsa_exception_fp_ieee_inexact 0
		.amdhsa_exception_int_div_zero 0
	.end_amdhsa_kernel
	.section	.text._ZN12_GLOBAL__N_121softmax_warp_backwardIfffLi3ELb1ELb0ELi32EEEvPT0_PKT_S5_iiiPKb,"axG",@progbits,_ZN12_GLOBAL__N_121softmax_warp_backwardIfffLi3ELb1ELb0ELi32EEEvPT0_PKT_S5_iiiPKb,comdat
.Lfunc_end235:
	.size	_ZN12_GLOBAL__N_121softmax_warp_backwardIfffLi3ELb1ELb0ELi32EEEvPT0_PKT_S5_iiiPKb, .Lfunc_end235-_ZN12_GLOBAL__N_121softmax_warp_backwardIfffLi3ELb1ELb0ELi32EEEvPT0_PKT_S5_iiiPKb
                                        ; -- End function
	.set _ZN12_GLOBAL__N_121softmax_warp_backwardIfffLi3ELb1ELb0ELi32EEEvPT0_PKT_S5_iiiPKb.num_vgpr, 14
	.set _ZN12_GLOBAL__N_121softmax_warp_backwardIfffLi3ELb1ELb0ELi32EEEvPT0_PKT_S5_iiiPKb.num_agpr, 0
	.set _ZN12_GLOBAL__N_121softmax_warp_backwardIfffLi3ELb1ELb0ELi32EEEvPT0_PKT_S5_iiiPKb.numbered_sgpr, 12
	.set _ZN12_GLOBAL__N_121softmax_warp_backwardIfffLi3ELb1ELb0ELi32EEEvPT0_PKT_S5_iiiPKb.num_named_barrier, 0
	.set _ZN12_GLOBAL__N_121softmax_warp_backwardIfffLi3ELb1ELb0ELi32EEEvPT0_PKT_S5_iiiPKb.private_seg_size, 0
	.set _ZN12_GLOBAL__N_121softmax_warp_backwardIfffLi3ELb1ELb0ELi32EEEvPT0_PKT_S5_iiiPKb.uses_vcc, 1
	.set _ZN12_GLOBAL__N_121softmax_warp_backwardIfffLi3ELb1ELb0ELi32EEEvPT0_PKT_S5_iiiPKb.uses_flat_scratch, 0
	.set _ZN12_GLOBAL__N_121softmax_warp_backwardIfffLi3ELb1ELb0ELi32EEEvPT0_PKT_S5_iiiPKb.has_dyn_sized_stack, 0
	.set _ZN12_GLOBAL__N_121softmax_warp_backwardIfffLi3ELb1ELb0ELi32EEEvPT0_PKT_S5_iiiPKb.has_recursion, 0
	.set _ZN12_GLOBAL__N_121softmax_warp_backwardIfffLi3ELb1ELb0ELi32EEEvPT0_PKT_S5_iiiPKb.has_indirect_call, 0
	.section	.AMDGPU.csdata,"",@progbits
; Kernel info:
; codeLenInByte = 804
; TotalNumSgprs: 14
; NumVgprs: 14
; ScratchSize: 0
; MemoryBound: 0
; FloatMode: 240
; IeeeMode: 1
; LDSByteSize: 0 bytes/workgroup (compile time only)
; SGPRBlocks: 0
; VGPRBlocks: 1
; NumSGPRsForWavesPerEU: 14
; NumVGPRsForWavesPerEU: 14
; Occupancy: 16
; WaveLimiterHint : 0
; COMPUTE_PGM_RSRC2:SCRATCH_EN: 0
; COMPUTE_PGM_RSRC2:USER_SGPR: 6
; COMPUTE_PGM_RSRC2:TRAP_HANDLER: 0
; COMPUTE_PGM_RSRC2:TGID_X_EN: 1
; COMPUTE_PGM_RSRC2:TGID_Y_EN: 0
; COMPUTE_PGM_RSRC2:TGID_Z_EN: 0
; COMPUTE_PGM_RSRC2:TIDIG_COMP_CNT: 1
	.section	.text._ZN12_GLOBAL__N_121softmax_warp_backwardIfffLi4ELb1ELb0ELi64EEEvPT0_PKT_S5_iiiPKb,"axG",@progbits,_ZN12_GLOBAL__N_121softmax_warp_backwardIfffLi4ELb1ELb0ELi64EEEvPT0_PKT_S5_iiiPKb,comdat
	.globl	_ZN12_GLOBAL__N_121softmax_warp_backwardIfffLi4ELb1ELb0ELi64EEEvPT0_PKT_S5_iiiPKb ; -- Begin function _ZN12_GLOBAL__N_121softmax_warp_backwardIfffLi4ELb1ELb0ELi64EEEvPT0_PKT_S5_iiiPKb
	.p2align	8
	.type	_ZN12_GLOBAL__N_121softmax_warp_backwardIfffLi4ELb1ELb0ELi64EEEvPT0_PKT_S5_iiiPKb,@function
_ZN12_GLOBAL__N_121softmax_warp_backwardIfffLi4ELb1ELb0ELi64EEEvPT0_PKT_S5_iiiPKb: ; @_ZN12_GLOBAL__N_121softmax_warp_backwardIfffLi4ELb1ELb0ELi64EEEvPT0_PKT_S5_iiiPKb
; %bb.0:
	s_clause 0x1
	s_load_dword s7, s[4:5], 0x3c
	s_load_dwordx4 s[0:3], s[4:5], 0x18
	v_and_b32_e32 v2, 15, v0
	s_clause 0x1
	s_load_dwordx4 s[8:11], s[4:5], 0x0
	s_load_dwordx2 s[4:5], s[4:5], 0x10
	v_mov_b32_e32 v7, 0
	v_mov_b32_e32 v8, 0
	s_waitcnt lgkmcnt(0)
	s_lshr_b32 s3, s7, 16
	v_cmp_gt_i32_e32 vcc_lo, s2, v2
	s_and_b32 s3, s3, 0xffff
	s_mul_i32 s6, s6, s3
	v_add_lshl_u32 v3, s6, v1, 1
	v_mad_u64_u32 v[0:1], null, v3, s1, v[2:3]
	v_sub_nc_u32_e32 v6, s0, v3
	v_cmp_lt_i32_e64 s0, 0, v6
	v_ashrrev_i32_e32 v1, 31, v0
	s_and_b32 s3, vcc_lo, s0
	v_lshlrev_b64 v[0:1], 2, v[0:1]
	v_add_co_u32 v2, s1, s10, v0
	v_add_co_ci_u32_e64 v3, null, s11, v1, s1
	v_add_co_u32 v4, s1, s4, v0
	v_add_co_ci_u32_e64 v5, null, s5, v1, s1
	s_and_saveexec_b32 s1, s3
	s_cbranch_execz .LBB236_2
; %bb.1:
	global_load_dword v8, v[2:3], off
	global_load_dword v7, v[4:5], off
.LBB236_2:
	s_or_b32 exec_lo, exec_lo, s1
	v_cmp_gt_i32_e64 s1, 2, v6
	s_xor_b32 s3, vcc_lo, -1
	s_or_b32 s1, s3, s1
	s_and_saveexec_b32 s3, s1
	s_xor_b32 s1, exec_lo, s3
                                        ; implicit-def: $vgpr9
; %bb.3:
	v_mov_b32_e32 v9, 0
                                        ; implicit-def: $vgpr4
                                        ; implicit-def: $vgpr2
; %bb.4:
	s_or_saveexec_b32 s4, s1
	v_mov_b32_e32 v10, 1.0
	s_xor_b32 exec_lo, exec_lo, s4
	s_cbranch_execz .LBB236_6
; %bb.5:
	s_mov_b32 s3, 0
	s_lshl_b64 s[6:7], s[2:3], 2
	v_add_co_u32 v4, s1, v4, s6
	v_add_co_ci_u32_e64 v5, null, s7, v5, s1
	v_add_co_u32 v2, s1, v2, s6
	v_add_co_ci_u32_e64 v3, null, s7, v3, s1
	global_load_dword v4, v[4:5], off
	global_load_dword v9, v[2:3], off
	s_waitcnt vmcnt(1)
	v_mul_f32_e32 v2, 0x3fb8aa3b, v4
	v_cmp_ngt_f32_e64 s1, 0xc2ce8ed0, v4
	v_fma_f32 v3, 0x3fb8aa3b, v4, -v2
	v_rndne_f32_e32 v5, v2
	v_fmamk_f32 v3, v4, 0x32a5705f, v3
	v_sub_f32_e32 v2, v2, v5
	v_add_f32_e32 v2, v2, v3
	v_cvt_i32_f32_e32 v3, v5
	v_exp_f32_e32 v2, v2
	v_ldexp_f32 v2, v2, v3
	v_cndmask_b32_e64 v2, 0, v2, s1
	v_cmp_nlt_f32_e64 s1, 0x42b17218, v4
	v_cndmask_b32_e64 v10, 0x7f800000, v2, s1
.LBB236_6:
	s_or_b32 exec_lo, exec_lo, s4
	v_mbcnt_lo_u32_b32 v2, -1, 0
	s_waitcnt vmcnt(1)
	v_add_f32_e32 v5, 0, v8
	s_waitcnt vmcnt(0)
	v_add_f32_e32 v11, 0, v9
	v_and_b32_e32 v3, 16, v2
	v_xor_b32_e32 v4, 8, v2
	v_xor_b32_e32 v13, 4, v2
	v_add_nc_u32_e32 v3, 16, v3
	v_cmp_lt_i32_e64 s1, v4, v3
	v_cndmask_b32_e64 v4, v2, v4, s1
	v_cmp_lt_i32_e64 s1, v13, v3
	v_lshlrev_b32_e32 v4, 2, v4
	v_cndmask_b32_e64 v13, v2, v13, s1
	ds_bpermute_b32 v12, v4, v5
	ds_bpermute_b32 v4, v4, v11
	v_lshlrev_b32_e32 v13, 2, v13
	s_waitcnt lgkmcnt(1)
	v_add_f32_e32 v5, v5, v12
	s_waitcnt lgkmcnt(0)
	v_add_f32_e32 v4, v11, v4
	ds_bpermute_b32 v11, v13, v5
	ds_bpermute_b32 v12, v13, v4
	v_xor_b32_e32 v13, 2, v2
	v_cmp_lt_i32_e64 s1, v13, v3
	v_cndmask_b32_e64 v13, v2, v13, s1
	v_lshlrev_b32_e32 v13, 2, v13
	s_waitcnt lgkmcnt(1)
	v_add_f32_e32 v5, v5, v11
	s_waitcnt lgkmcnt(0)
	v_add_f32_e32 v11, v4, v12
	ds_bpermute_b32 v4, v13, v5
	ds_bpermute_b32 v12, v13, v11
	v_xor_b32_e32 v13, 1, v2
	v_cmp_lt_i32_e64 s1, v13, v3
	v_cndmask_b32_e64 v2, v2, v13, s1
	v_lshlrev_b32_e32 v3, 2, v2
	s_waitcnt lgkmcnt(1)
	v_add_f32_e32 v4, v5, v4
	s_waitcnt lgkmcnt(0)
	v_add_f32_e32 v2, v11, v12
	ds_bpermute_b32 v5, v3, v4
	ds_bpermute_b32 v3, v3, v2
	s_and_saveexec_b32 s1, s0
	s_cbranch_execz .LBB236_11
; %bb.7:
	v_add_co_u32 v0, s0, s8, v0
	v_add_co_ci_u32_e64 v1, null, s9, v1, s0
	s_and_saveexec_b32 s1, vcc_lo
	s_cbranch_execz .LBB236_9
; %bb.8:
	v_mul_f32_e32 v11, 0x3fb8aa3b, v7
	v_cmp_ngt_f32_e64 s0, 0xc2ce8ed0, v7
	s_waitcnt lgkmcnt(1)
	v_add_f32_e32 v4, v4, v5
	v_rndne_f32_e32 v12, v11
	v_fma_f32 v13, 0x3fb8aa3b, v7, -v11
	v_sub_f32_e32 v11, v11, v12
	v_fmamk_f32 v13, v7, 0x32a5705f, v13
	v_cvt_i32_f32_e32 v12, v12
	v_add_f32_e32 v11, v11, v13
	v_exp_f32_e32 v11, v11
	v_ldexp_f32 v11, v11, v12
	v_cndmask_b32_e64 v11, 0, v11, s0
	v_cmp_nlt_f32_e64 s0, 0x42b17218, v7
	v_cndmask_b32_e64 v5, 0x7f800000, v11, s0
	v_fma_f32 v4, -v4, v5, v8
	global_store_dword v[0:1], v4, off
.LBB236_9:
	s_or_b32 exec_lo, exec_lo, s1
	v_cmp_ne_u32_e64 s0, 1, v6
	s_and_b32 s0, s0, vcc_lo
	s_and_b32 exec_lo, exec_lo, s0
	s_cbranch_execz .LBB236_11
; %bb.10:
	s_mov_b32 s3, 0
	s_waitcnt lgkmcnt(0)
	v_add_f32_e32 v2, v2, v3
	s_lshl_b64 s[0:1], s[2:3], 2
	v_add_co_u32 v0, vcc_lo, v0, s0
	v_add_co_ci_u32_e64 v1, null, s1, v1, vcc_lo
	v_fma_f32 v2, -v2, v10, v9
	global_store_dword v[0:1], v2, off
.LBB236_11:
	s_endpgm
	.section	.rodata,"a",@progbits
	.p2align	6, 0x0
	.amdhsa_kernel _ZN12_GLOBAL__N_121softmax_warp_backwardIfffLi4ELb1ELb0ELi64EEEvPT0_PKT_S5_iiiPKb
		.amdhsa_group_segment_fixed_size 0
		.amdhsa_private_segment_fixed_size 0
		.amdhsa_kernarg_size 304
		.amdhsa_user_sgpr_count 6
		.amdhsa_user_sgpr_private_segment_buffer 1
		.amdhsa_user_sgpr_dispatch_ptr 0
		.amdhsa_user_sgpr_queue_ptr 0
		.amdhsa_user_sgpr_kernarg_segment_ptr 1
		.amdhsa_user_sgpr_dispatch_id 0
		.amdhsa_user_sgpr_flat_scratch_init 0
		.amdhsa_user_sgpr_private_segment_size 0
		.amdhsa_wavefront_size32 1
		.amdhsa_uses_dynamic_stack 0
		.amdhsa_system_sgpr_private_segment_wavefront_offset 0
		.amdhsa_system_sgpr_workgroup_id_x 1
		.amdhsa_system_sgpr_workgroup_id_y 0
		.amdhsa_system_sgpr_workgroup_id_z 0
		.amdhsa_system_sgpr_workgroup_info 0
		.amdhsa_system_vgpr_workitem_id 1
		.amdhsa_next_free_vgpr 14
		.amdhsa_next_free_sgpr 12
		.amdhsa_reserve_vcc 1
		.amdhsa_reserve_flat_scratch 0
		.amdhsa_float_round_mode_32 0
		.amdhsa_float_round_mode_16_64 0
		.amdhsa_float_denorm_mode_32 3
		.amdhsa_float_denorm_mode_16_64 3
		.amdhsa_dx10_clamp 1
		.amdhsa_ieee_mode 1
		.amdhsa_fp16_overflow 0
		.amdhsa_workgroup_processor_mode 1
		.amdhsa_memory_ordered 1
		.amdhsa_forward_progress 1
		.amdhsa_shared_vgpr_count 0
		.amdhsa_exception_fp_ieee_invalid_op 0
		.amdhsa_exception_fp_denorm_src 0
		.amdhsa_exception_fp_ieee_div_zero 0
		.amdhsa_exception_fp_ieee_overflow 0
		.amdhsa_exception_fp_ieee_underflow 0
		.amdhsa_exception_fp_ieee_inexact 0
		.amdhsa_exception_int_div_zero 0
	.end_amdhsa_kernel
	.section	.text._ZN12_GLOBAL__N_121softmax_warp_backwardIfffLi4ELb1ELb0ELi64EEEvPT0_PKT_S5_iiiPKb,"axG",@progbits,_ZN12_GLOBAL__N_121softmax_warp_backwardIfffLi4ELb1ELb0ELi64EEEvPT0_PKT_S5_iiiPKb,comdat
.Lfunc_end236:
	.size	_ZN12_GLOBAL__N_121softmax_warp_backwardIfffLi4ELb1ELb0ELi64EEEvPT0_PKT_S5_iiiPKb, .Lfunc_end236-_ZN12_GLOBAL__N_121softmax_warp_backwardIfffLi4ELb1ELb0ELi64EEEvPT0_PKT_S5_iiiPKb
                                        ; -- End function
	.set _ZN12_GLOBAL__N_121softmax_warp_backwardIfffLi4ELb1ELb0ELi64EEEvPT0_PKT_S5_iiiPKb.num_vgpr, 14
	.set _ZN12_GLOBAL__N_121softmax_warp_backwardIfffLi4ELb1ELb0ELi64EEEvPT0_PKT_S5_iiiPKb.num_agpr, 0
	.set _ZN12_GLOBAL__N_121softmax_warp_backwardIfffLi4ELb1ELb0ELi64EEEvPT0_PKT_S5_iiiPKb.numbered_sgpr, 12
	.set _ZN12_GLOBAL__N_121softmax_warp_backwardIfffLi4ELb1ELb0ELi64EEEvPT0_PKT_S5_iiiPKb.num_named_barrier, 0
	.set _ZN12_GLOBAL__N_121softmax_warp_backwardIfffLi4ELb1ELb0ELi64EEEvPT0_PKT_S5_iiiPKb.private_seg_size, 0
	.set _ZN12_GLOBAL__N_121softmax_warp_backwardIfffLi4ELb1ELb0ELi64EEEvPT0_PKT_S5_iiiPKb.uses_vcc, 1
	.set _ZN12_GLOBAL__N_121softmax_warp_backwardIfffLi4ELb1ELb0ELi64EEEvPT0_PKT_S5_iiiPKb.uses_flat_scratch, 0
	.set _ZN12_GLOBAL__N_121softmax_warp_backwardIfffLi4ELb1ELb0ELi64EEEvPT0_PKT_S5_iiiPKb.has_dyn_sized_stack, 0
	.set _ZN12_GLOBAL__N_121softmax_warp_backwardIfffLi4ELb1ELb0ELi64EEEvPT0_PKT_S5_iiiPKb.has_recursion, 0
	.set _ZN12_GLOBAL__N_121softmax_warp_backwardIfffLi4ELb1ELb0ELi64EEEvPT0_PKT_S5_iiiPKb.has_indirect_call, 0
	.section	.AMDGPU.csdata,"",@progbits
; Kernel info:
; codeLenInByte = 860
; TotalNumSgprs: 14
; NumVgprs: 14
; ScratchSize: 0
; MemoryBound: 0
; FloatMode: 240
; IeeeMode: 1
; LDSByteSize: 0 bytes/workgroup (compile time only)
; SGPRBlocks: 0
; VGPRBlocks: 1
; NumSGPRsForWavesPerEU: 14
; NumVGPRsForWavesPerEU: 14
; Occupancy: 16
; WaveLimiterHint : 0
; COMPUTE_PGM_RSRC2:SCRATCH_EN: 0
; COMPUTE_PGM_RSRC2:USER_SGPR: 6
; COMPUTE_PGM_RSRC2:TRAP_HANDLER: 0
; COMPUTE_PGM_RSRC2:TGID_X_EN: 1
; COMPUTE_PGM_RSRC2:TGID_Y_EN: 0
; COMPUTE_PGM_RSRC2:TGID_Z_EN: 0
; COMPUTE_PGM_RSRC2:TIDIG_COMP_CNT: 1
	.section	.text._ZN12_GLOBAL__N_121softmax_warp_backwardIfffLi4ELb1ELb0ELi32EEEvPT0_PKT_S5_iiiPKb,"axG",@progbits,_ZN12_GLOBAL__N_121softmax_warp_backwardIfffLi4ELb1ELb0ELi32EEEvPT0_PKT_S5_iiiPKb,comdat
	.globl	_ZN12_GLOBAL__N_121softmax_warp_backwardIfffLi4ELb1ELb0ELi32EEEvPT0_PKT_S5_iiiPKb ; -- Begin function _ZN12_GLOBAL__N_121softmax_warp_backwardIfffLi4ELb1ELb0ELi32EEEvPT0_PKT_S5_iiiPKb
	.p2align	8
	.type	_ZN12_GLOBAL__N_121softmax_warp_backwardIfffLi4ELb1ELb0ELi32EEEvPT0_PKT_S5_iiiPKb,@function
_ZN12_GLOBAL__N_121softmax_warp_backwardIfffLi4ELb1ELb0ELi32EEEvPT0_PKT_S5_iiiPKb: ; @_ZN12_GLOBAL__N_121softmax_warp_backwardIfffLi4ELb1ELb0ELi32EEEvPT0_PKT_S5_iiiPKb
; %bb.0:
	s_clause 0x1
	s_load_dword s7, s[4:5], 0x3c
	s_load_dwordx4 s[0:3], s[4:5], 0x18
	v_and_b32_e32 v2, 15, v0
	s_clause 0x1
	s_load_dwordx4 s[8:11], s[4:5], 0x0
	s_load_dwordx2 s[4:5], s[4:5], 0x10
	v_mov_b32_e32 v7, 0
	v_mov_b32_e32 v8, 0
	s_waitcnt lgkmcnt(0)
	s_lshr_b32 s3, s7, 16
	v_cmp_gt_i32_e32 vcc_lo, s2, v2
	s_and_b32 s3, s3, 0xffff
	s_mul_i32 s6, s6, s3
	v_add_lshl_u32 v3, s6, v1, 1
	v_mad_u64_u32 v[0:1], null, v3, s1, v[2:3]
	v_sub_nc_u32_e32 v6, s0, v3
	v_cmp_lt_i32_e64 s0, 0, v6
	v_ashrrev_i32_e32 v1, 31, v0
	s_and_b32 s3, vcc_lo, s0
	v_lshlrev_b64 v[0:1], 2, v[0:1]
	v_add_co_u32 v2, s1, s10, v0
	v_add_co_ci_u32_e64 v3, null, s11, v1, s1
	v_add_co_u32 v4, s1, s4, v0
	v_add_co_ci_u32_e64 v5, null, s5, v1, s1
	s_and_saveexec_b32 s1, s3
	s_cbranch_execz .LBB237_2
; %bb.1:
	global_load_dword v8, v[2:3], off
	global_load_dword v7, v[4:5], off
.LBB237_2:
	s_or_b32 exec_lo, exec_lo, s1
	v_cmp_gt_i32_e64 s1, 2, v6
	s_xor_b32 s3, vcc_lo, -1
	s_or_b32 s1, s3, s1
	s_and_saveexec_b32 s3, s1
	s_xor_b32 s1, exec_lo, s3
                                        ; implicit-def: $vgpr9
; %bb.3:
	v_mov_b32_e32 v9, 0
                                        ; implicit-def: $vgpr4
                                        ; implicit-def: $vgpr2
; %bb.4:
	s_or_saveexec_b32 s4, s1
	v_mov_b32_e32 v10, 1.0
	s_xor_b32 exec_lo, exec_lo, s4
	s_cbranch_execz .LBB237_6
; %bb.5:
	s_mov_b32 s3, 0
	s_lshl_b64 s[6:7], s[2:3], 2
	v_add_co_u32 v4, s1, v4, s6
	v_add_co_ci_u32_e64 v5, null, s7, v5, s1
	v_add_co_u32 v2, s1, v2, s6
	v_add_co_ci_u32_e64 v3, null, s7, v3, s1
	global_load_dword v4, v[4:5], off
	global_load_dword v9, v[2:3], off
	s_waitcnt vmcnt(1)
	v_mul_f32_e32 v2, 0x3fb8aa3b, v4
	v_cmp_ngt_f32_e64 s1, 0xc2ce8ed0, v4
	v_fma_f32 v3, 0x3fb8aa3b, v4, -v2
	v_rndne_f32_e32 v5, v2
	v_fmamk_f32 v3, v4, 0x32a5705f, v3
	v_sub_f32_e32 v2, v2, v5
	v_add_f32_e32 v2, v2, v3
	v_cvt_i32_f32_e32 v3, v5
	v_exp_f32_e32 v2, v2
	v_ldexp_f32 v2, v2, v3
	v_cndmask_b32_e64 v2, 0, v2, s1
	v_cmp_nlt_f32_e64 s1, 0x42b17218, v4
	v_cndmask_b32_e64 v10, 0x7f800000, v2, s1
.LBB237_6:
	s_or_b32 exec_lo, exec_lo, s4
	v_mbcnt_lo_u32_b32 v2, -1, 0
	s_waitcnt vmcnt(1)
	v_add_f32_e32 v5, 0, v8
	s_waitcnt vmcnt(0)
	v_add_f32_e32 v11, 0, v9
	v_and_b32_e32 v3, 16, v2
	v_xor_b32_e32 v4, 8, v2
	v_xor_b32_e32 v13, 4, v2
	v_add_nc_u32_e32 v3, 16, v3
	v_cmp_lt_i32_e64 s1, v4, v3
	v_cndmask_b32_e64 v4, v2, v4, s1
	v_cmp_lt_i32_e64 s1, v13, v3
	v_lshlrev_b32_e32 v4, 2, v4
	v_cndmask_b32_e64 v13, v2, v13, s1
	ds_bpermute_b32 v12, v4, v5
	ds_bpermute_b32 v4, v4, v11
	v_lshlrev_b32_e32 v13, 2, v13
	s_waitcnt lgkmcnt(1)
	v_add_f32_e32 v5, v5, v12
	s_waitcnt lgkmcnt(0)
	v_add_f32_e32 v4, v11, v4
	ds_bpermute_b32 v11, v13, v5
	ds_bpermute_b32 v12, v13, v4
	v_xor_b32_e32 v13, 2, v2
	v_cmp_lt_i32_e64 s1, v13, v3
	v_cndmask_b32_e64 v13, v2, v13, s1
	v_lshlrev_b32_e32 v13, 2, v13
	s_waitcnt lgkmcnt(1)
	v_add_f32_e32 v5, v5, v11
	s_waitcnt lgkmcnt(0)
	v_add_f32_e32 v11, v4, v12
	ds_bpermute_b32 v4, v13, v5
	ds_bpermute_b32 v12, v13, v11
	v_xor_b32_e32 v13, 1, v2
	v_cmp_lt_i32_e64 s1, v13, v3
	v_cndmask_b32_e64 v2, v2, v13, s1
	v_lshlrev_b32_e32 v3, 2, v2
	s_waitcnt lgkmcnt(1)
	v_add_f32_e32 v4, v5, v4
	s_waitcnt lgkmcnt(0)
	v_add_f32_e32 v2, v11, v12
	ds_bpermute_b32 v5, v3, v4
	ds_bpermute_b32 v3, v3, v2
	s_and_saveexec_b32 s1, s0
	s_cbranch_execz .LBB237_11
; %bb.7:
	v_add_co_u32 v0, s0, s8, v0
	v_add_co_ci_u32_e64 v1, null, s9, v1, s0
	s_and_saveexec_b32 s1, vcc_lo
	s_cbranch_execz .LBB237_9
; %bb.8:
	v_mul_f32_e32 v11, 0x3fb8aa3b, v7
	v_cmp_ngt_f32_e64 s0, 0xc2ce8ed0, v7
	s_waitcnt lgkmcnt(1)
	v_add_f32_e32 v4, v4, v5
	v_rndne_f32_e32 v12, v11
	v_fma_f32 v13, 0x3fb8aa3b, v7, -v11
	v_sub_f32_e32 v11, v11, v12
	v_fmamk_f32 v13, v7, 0x32a5705f, v13
	v_cvt_i32_f32_e32 v12, v12
	v_add_f32_e32 v11, v11, v13
	v_exp_f32_e32 v11, v11
	v_ldexp_f32 v11, v11, v12
	v_cndmask_b32_e64 v11, 0, v11, s0
	v_cmp_nlt_f32_e64 s0, 0x42b17218, v7
	v_cndmask_b32_e64 v5, 0x7f800000, v11, s0
	v_fma_f32 v4, -v4, v5, v8
	global_store_dword v[0:1], v4, off
.LBB237_9:
	s_or_b32 exec_lo, exec_lo, s1
	v_cmp_ne_u32_e64 s0, 1, v6
	s_and_b32 s0, s0, vcc_lo
	s_and_b32 exec_lo, exec_lo, s0
	s_cbranch_execz .LBB237_11
; %bb.10:
	s_mov_b32 s3, 0
	s_waitcnt lgkmcnt(0)
	v_add_f32_e32 v2, v2, v3
	s_lshl_b64 s[0:1], s[2:3], 2
	v_add_co_u32 v0, vcc_lo, v0, s0
	v_add_co_ci_u32_e64 v1, null, s1, v1, vcc_lo
	v_fma_f32 v2, -v2, v10, v9
	global_store_dword v[0:1], v2, off
.LBB237_11:
	s_endpgm
	.section	.rodata,"a",@progbits
	.p2align	6, 0x0
	.amdhsa_kernel _ZN12_GLOBAL__N_121softmax_warp_backwardIfffLi4ELb1ELb0ELi32EEEvPT0_PKT_S5_iiiPKb
		.amdhsa_group_segment_fixed_size 0
		.amdhsa_private_segment_fixed_size 0
		.amdhsa_kernarg_size 304
		.amdhsa_user_sgpr_count 6
		.amdhsa_user_sgpr_private_segment_buffer 1
		.amdhsa_user_sgpr_dispatch_ptr 0
		.amdhsa_user_sgpr_queue_ptr 0
		.amdhsa_user_sgpr_kernarg_segment_ptr 1
		.amdhsa_user_sgpr_dispatch_id 0
		.amdhsa_user_sgpr_flat_scratch_init 0
		.amdhsa_user_sgpr_private_segment_size 0
		.amdhsa_wavefront_size32 1
		.amdhsa_uses_dynamic_stack 0
		.amdhsa_system_sgpr_private_segment_wavefront_offset 0
		.amdhsa_system_sgpr_workgroup_id_x 1
		.amdhsa_system_sgpr_workgroup_id_y 0
		.amdhsa_system_sgpr_workgroup_id_z 0
		.amdhsa_system_sgpr_workgroup_info 0
		.amdhsa_system_vgpr_workitem_id 1
		.amdhsa_next_free_vgpr 14
		.amdhsa_next_free_sgpr 12
		.amdhsa_reserve_vcc 1
		.amdhsa_reserve_flat_scratch 0
		.amdhsa_float_round_mode_32 0
		.amdhsa_float_round_mode_16_64 0
		.amdhsa_float_denorm_mode_32 3
		.amdhsa_float_denorm_mode_16_64 3
		.amdhsa_dx10_clamp 1
		.amdhsa_ieee_mode 1
		.amdhsa_fp16_overflow 0
		.amdhsa_workgroup_processor_mode 1
		.amdhsa_memory_ordered 1
		.amdhsa_forward_progress 1
		.amdhsa_shared_vgpr_count 0
		.amdhsa_exception_fp_ieee_invalid_op 0
		.amdhsa_exception_fp_denorm_src 0
		.amdhsa_exception_fp_ieee_div_zero 0
		.amdhsa_exception_fp_ieee_overflow 0
		.amdhsa_exception_fp_ieee_underflow 0
		.amdhsa_exception_fp_ieee_inexact 0
		.amdhsa_exception_int_div_zero 0
	.end_amdhsa_kernel
	.section	.text._ZN12_GLOBAL__N_121softmax_warp_backwardIfffLi4ELb1ELb0ELi32EEEvPT0_PKT_S5_iiiPKb,"axG",@progbits,_ZN12_GLOBAL__N_121softmax_warp_backwardIfffLi4ELb1ELb0ELi32EEEvPT0_PKT_S5_iiiPKb,comdat
.Lfunc_end237:
	.size	_ZN12_GLOBAL__N_121softmax_warp_backwardIfffLi4ELb1ELb0ELi32EEEvPT0_PKT_S5_iiiPKb, .Lfunc_end237-_ZN12_GLOBAL__N_121softmax_warp_backwardIfffLi4ELb1ELb0ELi32EEEvPT0_PKT_S5_iiiPKb
                                        ; -- End function
	.set _ZN12_GLOBAL__N_121softmax_warp_backwardIfffLi4ELb1ELb0ELi32EEEvPT0_PKT_S5_iiiPKb.num_vgpr, 14
	.set _ZN12_GLOBAL__N_121softmax_warp_backwardIfffLi4ELb1ELb0ELi32EEEvPT0_PKT_S5_iiiPKb.num_agpr, 0
	.set _ZN12_GLOBAL__N_121softmax_warp_backwardIfffLi4ELb1ELb0ELi32EEEvPT0_PKT_S5_iiiPKb.numbered_sgpr, 12
	.set _ZN12_GLOBAL__N_121softmax_warp_backwardIfffLi4ELb1ELb0ELi32EEEvPT0_PKT_S5_iiiPKb.num_named_barrier, 0
	.set _ZN12_GLOBAL__N_121softmax_warp_backwardIfffLi4ELb1ELb0ELi32EEEvPT0_PKT_S5_iiiPKb.private_seg_size, 0
	.set _ZN12_GLOBAL__N_121softmax_warp_backwardIfffLi4ELb1ELb0ELi32EEEvPT0_PKT_S5_iiiPKb.uses_vcc, 1
	.set _ZN12_GLOBAL__N_121softmax_warp_backwardIfffLi4ELb1ELb0ELi32EEEvPT0_PKT_S5_iiiPKb.uses_flat_scratch, 0
	.set _ZN12_GLOBAL__N_121softmax_warp_backwardIfffLi4ELb1ELb0ELi32EEEvPT0_PKT_S5_iiiPKb.has_dyn_sized_stack, 0
	.set _ZN12_GLOBAL__N_121softmax_warp_backwardIfffLi4ELb1ELb0ELi32EEEvPT0_PKT_S5_iiiPKb.has_recursion, 0
	.set _ZN12_GLOBAL__N_121softmax_warp_backwardIfffLi4ELb1ELb0ELi32EEEvPT0_PKT_S5_iiiPKb.has_indirect_call, 0
	.section	.AMDGPU.csdata,"",@progbits
; Kernel info:
; codeLenInByte = 860
; TotalNumSgprs: 14
; NumVgprs: 14
; ScratchSize: 0
; MemoryBound: 0
; FloatMode: 240
; IeeeMode: 1
; LDSByteSize: 0 bytes/workgroup (compile time only)
; SGPRBlocks: 0
; VGPRBlocks: 1
; NumSGPRsForWavesPerEU: 14
; NumVGPRsForWavesPerEU: 14
; Occupancy: 16
; WaveLimiterHint : 0
; COMPUTE_PGM_RSRC2:SCRATCH_EN: 0
; COMPUTE_PGM_RSRC2:USER_SGPR: 6
; COMPUTE_PGM_RSRC2:TRAP_HANDLER: 0
; COMPUTE_PGM_RSRC2:TGID_X_EN: 1
; COMPUTE_PGM_RSRC2:TGID_Y_EN: 0
; COMPUTE_PGM_RSRC2:TGID_Z_EN: 0
; COMPUTE_PGM_RSRC2:TIDIG_COMP_CNT: 1
	.section	.text._ZN12_GLOBAL__N_121softmax_warp_backwardIfffLi5ELb1ELb0ELi64EEEvPT0_PKT_S5_iiiPKb,"axG",@progbits,_ZN12_GLOBAL__N_121softmax_warp_backwardIfffLi5ELb1ELb0ELi64EEEvPT0_PKT_S5_iiiPKb,comdat
	.globl	_ZN12_GLOBAL__N_121softmax_warp_backwardIfffLi5ELb1ELb0ELi64EEEvPT0_PKT_S5_iiiPKb ; -- Begin function _ZN12_GLOBAL__N_121softmax_warp_backwardIfffLi5ELb1ELb0ELi64EEEvPT0_PKT_S5_iiiPKb
	.p2align	8
	.type	_ZN12_GLOBAL__N_121softmax_warp_backwardIfffLi5ELb1ELb0ELi64EEEvPT0_PKT_S5_iiiPKb,@function
_ZN12_GLOBAL__N_121softmax_warp_backwardIfffLi5ELb1ELb0ELi64EEEvPT0_PKT_S5_iiiPKb: ; @_ZN12_GLOBAL__N_121softmax_warp_backwardIfffLi5ELb1ELb0ELi64EEEvPT0_PKT_S5_iiiPKb
; %bb.0:
	s_clause 0x1
	s_load_dword s7, s[4:5], 0x3c
	s_load_dwordx4 s[0:3], s[4:5], 0x18
	v_and_b32_e32 v2, 31, v0
	s_clause 0x1
	s_load_dwordx4 s[8:11], s[4:5], 0x0
	s_load_dwordx2 s[4:5], s[4:5], 0x10
	v_mov_b32_e32 v7, 0
	v_mov_b32_e32 v8, 0
	s_waitcnt lgkmcnt(0)
	s_lshr_b32 s3, s7, 16
	v_cmp_gt_i32_e32 vcc_lo, s2, v2
	s_and_b32 s3, s3, 0xffff
	s_mul_i32 s6, s6, s3
	v_add_lshl_u32 v3, s6, v1, 1
	v_mad_u64_u32 v[0:1], null, v3, s1, v[2:3]
	v_sub_nc_u32_e32 v6, s0, v3
	v_cmp_lt_i32_e64 s0, 0, v6
	v_ashrrev_i32_e32 v1, 31, v0
	s_and_b32 s3, vcc_lo, s0
	v_lshlrev_b64 v[0:1], 2, v[0:1]
	v_add_co_u32 v2, s1, s10, v0
	v_add_co_ci_u32_e64 v3, null, s11, v1, s1
	v_add_co_u32 v4, s1, s4, v0
	v_add_co_ci_u32_e64 v5, null, s5, v1, s1
	s_and_saveexec_b32 s1, s3
	s_cbranch_execz .LBB238_2
; %bb.1:
	global_load_dword v8, v[2:3], off
	global_load_dword v7, v[4:5], off
.LBB238_2:
	s_or_b32 exec_lo, exec_lo, s1
	v_cmp_gt_i32_e64 s1, 2, v6
	s_xor_b32 s3, vcc_lo, -1
	s_or_b32 s1, s3, s1
	s_and_saveexec_b32 s3, s1
	s_xor_b32 s1, exec_lo, s3
                                        ; implicit-def: $vgpr9
; %bb.3:
	v_mov_b32_e32 v9, 0
                                        ; implicit-def: $vgpr4
                                        ; implicit-def: $vgpr2
; %bb.4:
	s_or_saveexec_b32 s4, s1
	v_mov_b32_e32 v10, 1.0
	s_xor_b32 exec_lo, exec_lo, s4
	s_cbranch_execz .LBB238_6
; %bb.5:
	s_mov_b32 s3, 0
	s_lshl_b64 s[6:7], s[2:3], 2
	v_add_co_u32 v4, s1, v4, s6
	v_add_co_ci_u32_e64 v5, null, s7, v5, s1
	v_add_co_u32 v2, s1, v2, s6
	v_add_co_ci_u32_e64 v3, null, s7, v3, s1
	global_load_dword v4, v[4:5], off
	global_load_dword v9, v[2:3], off
	s_waitcnt vmcnt(1)
	v_mul_f32_e32 v2, 0x3fb8aa3b, v4
	v_cmp_ngt_f32_e64 s1, 0xc2ce8ed0, v4
	v_fma_f32 v3, 0x3fb8aa3b, v4, -v2
	v_rndne_f32_e32 v5, v2
	v_fmamk_f32 v3, v4, 0x32a5705f, v3
	v_sub_f32_e32 v2, v2, v5
	v_add_f32_e32 v2, v2, v3
	v_cvt_i32_f32_e32 v3, v5
	v_exp_f32_e32 v2, v2
	v_ldexp_f32 v2, v2, v3
	v_cndmask_b32_e64 v2, 0, v2, s1
	v_cmp_nlt_f32_e64 s1, 0x42b17218, v4
	v_cndmask_b32_e64 v10, 0x7f800000, v2, s1
.LBB238_6:
	s_or_b32 exec_lo, exec_lo, s4
	v_mbcnt_lo_u32_b32 v2, -1, 0
	s_waitcnt vmcnt(1)
	v_add_f32_e32 v4, 0, v8
	s_waitcnt vmcnt(0)
	v_add_f32_e32 v5, 0, v9
	v_xor_b32_e32 v3, 16, v2
	v_xor_b32_e32 v12, 8, v2
	v_cmp_gt_i32_e64 s1, 32, v3
	v_cndmask_b32_e64 v3, v2, v3, s1
	v_cmp_gt_i32_e64 s1, 32, v12
	v_lshlrev_b32_e32 v3, 2, v3
	v_cndmask_b32_e64 v12, v2, v12, s1
	ds_bpermute_b32 v11, v3, v4
	ds_bpermute_b32 v3, v3, v5
	v_lshlrev_b32_e32 v12, 2, v12
	s_waitcnt lgkmcnt(1)
	v_add_f32_e32 v4, v4, v11
	s_waitcnt lgkmcnt(0)
	v_add_f32_e32 v3, v5, v3
	ds_bpermute_b32 v5, v12, v4
	ds_bpermute_b32 v11, v12, v3
	v_xor_b32_e32 v12, 4, v2
	v_cmp_gt_i32_e64 s1, 32, v12
	v_cndmask_b32_e64 v12, v2, v12, s1
	v_lshlrev_b32_e32 v12, 2, v12
	s_waitcnt lgkmcnt(1)
	v_add_f32_e32 v4, v4, v5
	s_waitcnt lgkmcnt(0)
	v_add_f32_e32 v3, v3, v11
	ds_bpermute_b32 v5, v12, v4
	ds_bpermute_b32 v11, v12, v3
	v_xor_b32_e32 v12, 2, v2
	v_cmp_gt_i32_e64 s1, 32, v12
	v_cndmask_b32_e64 v12, v2, v12, s1
	;; [unrolled: 10-line block ×3, first 2 shown]
	v_lshlrev_b32_e32 v12, 2, v2
	s_waitcnt lgkmcnt(1)
	v_add_f32_e32 v4, v4, v5
	s_waitcnt lgkmcnt(0)
	v_add_f32_e32 v2, v3, v11
	ds_bpermute_b32 v5, v12, v4
	ds_bpermute_b32 v3, v12, v2
	s_and_saveexec_b32 s1, s0
	s_cbranch_execz .LBB238_11
; %bb.7:
	v_add_co_u32 v0, s0, s8, v0
	v_add_co_ci_u32_e64 v1, null, s9, v1, s0
	s_and_saveexec_b32 s1, vcc_lo
	s_cbranch_execz .LBB238_9
; %bb.8:
	v_mul_f32_e32 v11, 0x3fb8aa3b, v7
	v_cmp_ngt_f32_e64 s0, 0xc2ce8ed0, v7
	s_waitcnt lgkmcnt(1)
	v_add_f32_e32 v4, v4, v5
	v_rndne_f32_e32 v12, v11
	v_fma_f32 v13, 0x3fb8aa3b, v7, -v11
	v_sub_f32_e32 v11, v11, v12
	v_fmamk_f32 v13, v7, 0x32a5705f, v13
	v_cvt_i32_f32_e32 v12, v12
	v_add_f32_e32 v11, v11, v13
	v_exp_f32_e32 v11, v11
	v_ldexp_f32 v11, v11, v12
	v_cndmask_b32_e64 v11, 0, v11, s0
	v_cmp_nlt_f32_e64 s0, 0x42b17218, v7
	v_cndmask_b32_e64 v5, 0x7f800000, v11, s0
	v_fma_f32 v4, -v4, v5, v8
	global_store_dword v[0:1], v4, off
.LBB238_9:
	s_or_b32 exec_lo, exec_lo, s1
	v_cmp_ne_u32_e64 s0, 1, v6
	s_and_b32 s0, s0, vcc_lo
	s_and_b32 exec_lo, exec_lo, s0
	s_cbranch_execz .LBB238_11
; %bb.10:
	s_mov_b32 s3, 0
	s_waitcnt lgkmcnt(0)
	v_add_f32_e32 v2, v2, v3
	s_lshl_b64 s[0:1], s[2:3], 2
	v_add_co_u32 v0, vcc_lo, v0, s0
	v_add_co_ci_u32_e64 v1, null, s1, v1, vcc_lo
	v_fma_f32 v2, -v2, v10, v9
	global_store_dword v[0:1], v2, off
.LBB238_11:
	s_endpgm
	.section	.rodata,"a",@progbits
	.p2align	6, 0x0
	.amdhsa_kernel _ZN12_GLOBAL__N_121softmax_warp_backwardIfffLi5ELb1ELb0ELi64EEEvPT0_PKT_S5_iiiPKb
		.amdhsa_group_segment_fixed_size 0
		.amdhsa_private_segment_fixed_size 0
		.amdhsa_kernarg_size 304
		.amdhsa_user_sgpr_count 6
		.amdhsa_user_sgpr_private_segment_buffer 1
		.amdhsa_user_sgpr_dispatch_ptr 0
		.amdhsa_user_sgpr_queue_ptr 0
		.amdhsa_user_sgpr_kernarg_segment_ptr 1
		.amdhsa_user_sgpr_dispatch_id 0
		.amdhsa_user_sgpr_flat_scratch_init 0
		.amdhsa_user_sgpr_private_segment_size 0
		.amdhsa_wavefront_size32 1
		.amdhsa_uses_dynamic_stack 0
		.amdhsa_system_sgpr_private_segment_wavefront_offset 0
		.amdhsa_system_sgpr_workgroup_id_x 1
		.amdhsa_system_sgpr_workgroup_id_y 0
		.amdhsa_system_sgpr_workgroup_id_z 0
		.amdhsa_system_sgpr_workgroup_info 0
		.amdhsa_system_vgpr_workitem_id 1
		.amdhsa_next_free_vgpr 14
		.amdhsa_next_free_sgpr 12
		.amdhsa_reserve_vcc 1
		.amdhsa_reserve_flat_scratch 0
		.amdhsa_float_round_mode_32 0
		.amdhsa_float_round_mode_16_64 0
		.amdhsa_float_denorm_mode_32 3
		.amdhsa_float_denorm_mode_16_64 3
		.amdhsa_dx10_clamp 1
		.amdhsa_ieee_mode 1
		.amdhsa_fp16_overflow 0
		.amdhsa_workgroup_processor_mode 1
		.amdhsa_memory_ordered 1
		.amdhsa_forward_progress 1
		.amdhsa_shared_vgpr_count 0
		.amdhsa_exception_fp_ieee_invalid_op 0
		.amdhsa_exception_fp_denorm_src 0
		.amdhsa_exception_fp_ieee_div_zero 0
		.amdhsa_exception_fp_ieee_overflow 0
		.amdhsa_exception_fp_ieee_underflow 0
		.amdhsa_exception_fp_ieee_inexact 0
		.amdhsa_exception_int_div_zero 0
	.end_amdhsa_kernel
	.section	.text._ZN12_GLOBAL__N_121softmax_warp_backwardIfffLi5ELb1ELb0ELi64EEEvPT0_PKT_S5_iiiPKb,"axG",@progbits,_ZN12_GLOBAL__N_121softmax_warp_backwardIfffLi5ELb1ELb0ELi64EEEvPT0_PKT_S5_iiiPKb,comdat
.Lfunc_end238:
	.size	_ZN12_GLOBAL__N_121softmax_warp_backwardIfffLi5ELb1ELb0ELi64EEEvPT0_PKT_S5_iiiPKb, .Lfunc_end238-_ZN12_GLOBAL__N_121softmax_warp_backwardIfffLi5ELb1ELb0ELi64EEEvPT0_PKT_S5_iiiPKb
                                        ; -- End function
	.set _ZN12_GLOBAL__N_121softmax_warp_backwardIfffLi5ELb1ELb0ELi64EEEvPT0_PKT_S5_iiiPKb.num_vgpr, 14
	.set _ZN12_GLOBAL__N_121softmax_warp_backwardIfffLi5ELb1ELb0ELi64EEEvPT0_PKT_S5_iiiPKb.num_agpr, 0
	.set _ZN12_GLOBAL__N_121softmax_warp_backwardIfffLi5ELb1ELb0ELi64EEEvPT0_PKT_S5_iiiPKb.numbered_sgpr, 12
	.set _ZN12_GLOBAL__N_121softmax_warp_backwardIfffLi5ELb1ELb0ELi64EEEvPT0_PKT_S5_iiiPKb.num_named_barrier, 0
	.set _ZN12_GLOBAL__N_121softmax_warp_backwardIfffLi5ELb1ELb0ELi64EEEvPT0_PKT_S5_iiiPKb.private_seg_size, 0
	.set _ZN12_GLOBAL__N_121softmax_warp_backwardIfffLi5ELb1ELb0ELi64EEEvPT0_PKT_S5_iiiPKb.uses_vcc, 1
	.set _ZN12_GLOBAL__N_121softmax_warp_backwardIfffLi5ELb1ELb0ELi64EEEvPT0_PKT_S5_iiiPKb.uses_flat_scratch, 0
	.set _ZN12_GLOBAL__N_121softmax_warp_backwardIfffLi5ELb1ELb0ELi64EEEvPT0_PKT_S5_iiiPKb.has_dyn_sized_stack, 0
	.set _ZN12_GLOBAL__N_121softmax_warp_backwardIfffLi5ELb1ELb0ELi64EEEvPT0_PKT_S5_iiiPKb.has_recursion, 0
	.set _ZN12_GLOBAL__N_121softmax_warp_backwardIfffLi5ELb1ELb0ELi64EEEvPT0_PKT_S5_iiiPKb.has_indirect_call, 0
	.section	.AMDGPU.csdata,"",@progbits
; Kernel info:
; codeLenInByte = 908
; TotalNumSgprs: 14
; NumVgprs: 14
; ScratchSize: 0
; MemoryBound: 0
; FloatMode: 240
; IeeeMode: 1
; LDSByteSize: 0 bytes/workgroup (compile time only)
; SGPRBlocks: 0
; VGPRBlocks: 1
; NumSGPRsForWavesPerEU: 14
; NumVGPRsForWavesPerEU: 14
; Occupancy: 16
; WaveLimiterHint : 0
; COMPUTE_PGM_RSRC2:SCRATCH_EN: 0
; COMPUTE_PGM_RSRC2:USER_SGPR: 6
; COMPUTE_PGM_RSRC2:TRAP_HANDLER: 0
; COMPUTE_PGM_RSRC2:TGID_X_EN: 1
; COMPUTE_PGM_RSRC2:TGID_Y_EN: 0
; COMPUTE_PGM_RSRC2:TGID_Z_EN: 0
; COMPUTE_PGM_RSRC2:TIDIG_COMP_CNT: 1
	.section	.text._ZN12_GLOBAL__N_121softmax_warp_backwardIfffLi5ELb1ELb0ELi32EEEvPT0_PKT_S5_iiiPKb,"axG",@progbits,_ZN12_GLOBAL__N_121softmax_warp_backwardIfffLi5ELb1ELb0ELi32EEEvPT0_PKT_S5_iiiPKb,comdat
	.globl	_ZN12_GLOBAL__N_121softmax_warp_backwardIfffLi5ELb1ELb0ELi32EEEvPT0_PKT_S5_iiiPKb ; -- Begin function _ZN12_GLOBAL__N_121softmax_warp_backwardIfffLi5ELb1ELb0ELi32EEEvPT0_PKT_S5_iiiPKb
	.p2align	8
	.type	_ZN12_GLOBAL__N_121softmax_warp_backwardIfffLi5ELb1ELb0ELi32EEEvPT0_PKT_S5_iiiPKb,@function
_ZN12_GLOBAL__N_121softmax_warp_backwardIfffLi5ELb1ELb0ELi32EEEvPT0_PKT_S5_iiiPKb: ; @_ZN12_GLOBAL__N_121softmax_warp_backwardIfffLi5ELb1ELb0ELi32EEEvPT0_PKT_S5_iiiPKb
; %bb.0:
	s_clause 0x1
	s_load_dword s7, s[4:5], 0x3c
	s_load_dwordx4 s[0:3], s[4:5], 0x18
	v_and_b32_e32 v2, 31, v0
	s_clause 0x1
	s_load_dwordx4 s[8:11], s[4:5], 0x0
	s_load_dwordx2 s[4:5], s[4:5], 0x10
	v_mov_b32_e32 v7, 0
	v_mov_b32_e32 v8, 0
	s_waitcnt lgkmcnt(0)
	s_lshr_b32 s3, s7, 16
	v_cmp_gt_i32_e32 vcc_lo, s2, v2
	s_and_b32 s3, s3, 0xffff
	s_mul_i32 s6, s6, s3
	v_add_lshl_u32 v3, s6, v1, 1
	v_mad_u64_u32 v[0:1], null, v3, s1, v[2:3]
	v_sub_nc_u32_e32 v6, s0, v3
	v_cmp_lt_i32_e64 s0, 0, v6
	v_ashrrev_i32_e32 v1, 31, v0
	s_and_b32 s3, vcc_lo, s0
	v_lshlrev_b64 v[0:1], 2, v[0:1]
	v_add_co_u32 v2, s1, s10, v0
	v_add_co_ci_u32_e64 v3, null, s11, v1, s1
	v_add_co_u32 v4, s1, s4, v0
	v_add_co_ci_u32_e64 v5, null, s5, v1, s1
	s_and_saveexec_b32 s1, s3
	s_cbranch_execz .LBB239_2
; %bb.1:
	global_load_dword v8, v[2:3], off
	global_load_dword v7, v[4:5], off
.LBB239_2:
	s_or_b32 exec_lo, exec_lo, s1
	v_cmp_gt_i32_e64 s1, 2, v6
	s_xor_b32 s3, vcc_lo, -1
	s_or_b32 s1, s3, s1
	s_and_saveexec_b32 s3, s1
	s_xor_b32 s1, exec_lo, s3
                                        ; implicit-def: $vgpr9
; %bb.3:
	v_mov_b32_e32 v9, 0
                                        ; implicit-def: $vgpr4
                                        ; implicit-def: $vgpr2
; %bb.4:
	s_or_saveexec_b32 s4, s1
	v_mov_b32_e32 v10, 1.0
	s_xor_b32 exec_lo, exec_lo, s4
	s_cbranch_execz .LBB239_6
; %bb.5:
	s_mov_b32 s3, 0
	s_lshl_b64 s[6:7], s[2:3], 2
	v_add_co_u32 v4, s1, v4, s6
	v_add_co_ci_u32_e64 v5, null, s7, v5, s1
	v_add_co_u32 v2, s1, v2, s6
	v_add_co_ci_u32_e64 v3, null, s7, v3, s1
	global_load_dword v4, v[4:5], off
	global_load_dword v9, v[2:3], off
	s_waitcnt vmcnt(1)
	v_mul_f32_e32 v2, 0x3fb8aa3b, v4
	v_cmp_ngt_f32_e64 s1, 0xc2ce8ed0, v4
	v_fma_f32 v3, 0x3fb8aa3b, v4, -v2
	v_rndne_f32_e32 v5, v2
	v_fmamk_f32 v3, v4, 0x32a5705f, v3
	v_sub_f32_e32 v2, v2, v5
	v_add_f32_e32 v2, v2, v3
	v_cvt_i32_f32_e32 v3, v5
	v_exp_f32_e32 v2, v2
	v_ldexp_f32 v2, v2, v3
	v_cndmask_b32_e64 v2, 0, v2, s1
	v_cmp_nlt_f32_e64 s1, 0x42b17218, v4
	v_cndmask_b32_e64 v10, 0x7f800000, v2, s1
.LBB239_6:
	s_or_b32 exec_lo, exec_lo, s4
	v_mbcnt_lo_u32_b32 v2, -1, 0
	s_waitcnt vmcnt(1)
	v_add_f32_e32 v4, 0, v8
	s_waitcnt vmcnt(0)
	v_add_f32_e32 v5, 0, v9
	v_xor_b32_e32 v3, 16, v2
	v_xor_b32_e32 v12, 8, v2
	v_cmp_gt_i32_e64 s1, 32, v3
	v_cndmask_b32_e64 v3, v2, v3, s1
	v_cmp_gt_i32_e64 s1, 32, v12
	v_lshlrev_b32_e32 v3, 2, v3
	v_cndmask_b32_e64 v12, v2, v12, s1
	ds_bpermute_b32 v11, v3, v4
	ds_bpermute_b32 v3, v3, v5
	v_lshlrev_b32_e32 v12, 2, v12
	s_waitcnt lgkmcnt(1)
	v_add_f32_e32 v4, v4, v11
	s_waitcnt lgkmcnt(0)
	v_add_f32_e32 v3, v5, v3
	ds_bpermute_b32 v5, v12, v4
	ds_bpermute_b32 v11, v12, v3
	v_xor_b32_e32 v12, 4, v2
	v_cmp_gt_i32_e64 s1, 32, v12
	v_cndmask_b32_e64 v12, v2, v12, s1
	v_lshlrev_b32_e32 v12, 2, v12
	s_waitcnt lgkmcnt(1)
	v_add_f32_e32 v4, v4, v5
	s_waitcnt lgkmcnt(0)
	v_add_f32_e32 v3, v3, v11
	ds_bpermute_b32 v5, v12, v4
	ds_bpermute_b32 v11, v12, v3
	v_xor_b32_e32 v12, 2, v2
	v_cmp_gt_i32_e64 s1, 32, v12
	v_cndmask_b32_e64 v12, v2, v12, s1
	;; [unrolled: 10-line block ×3, first 2 shown]
	v_lshlrev_b32_e32 v12, 2, v2
	s_waitcnt lgkmcnt(1)
	v_add_f32_e32 v4, v4, v5
	s_waitcnt lgkmcnt(0)
	v_add_f32_e32 v2, v3, v11
	ds_bpermute_b32 v5, v12, v4
	ds_bpermute_b32 v3, v12, v2
	s_and_saveexec_b32 s1, s0
	s_cbranch_execz .LBB239_11
; %bb.7:
	v_add_co_u32 v0, s0, s8, v0
	v_add_co_ci_u32_e64 v1, null, s9, v1, s0
	s_and_saveexec_b32 s1, vcc_lo
	s_cbranch_execz .LBB239_9
; %bb.8:
	v_mul_f32_e32 v11, 0x3fb8aa3b, v7
	v_cmp_ngt_f32_e64 s0, 0xc2ce8ed0, v7
	s_waitcnt lgkmcnt(1)
	v_add_f32_e32 v4, v4, v5
	v_rndne_f32_e32 v12, v11
	v_fma_f32 v13, 0x3fb8aa3b, v7, -v11
	v_sub_f32_e32 v11, v11, v12
	v_fmamk_f32 v13, v7, 0x32a5705f, v13
	v_cvt_i32_f32_e32 v12, v12
	v_add_f32_e32 v11, v11, v13
	v_exp_f32_e32 v11, v11
	v_ldexp_f32 v11, v11, v12
	v_cndmask_b32_e64 v11, 0, v11, s0
	v_cmp_nlt_f32_e64 s0, 0x42b17218, v7
	v_cndmask_b32_e64 v5, 0x7f800000, v11, s0
	v_fma_f32 v4, -v4, v5, v8
	global_store_dword v[0:1], v4, off
.LBB239_9:
	s_or_b32 exec_lo, exec_lo, s1
	v_cmp_ne_u32_e64 s0, 1, v6
	s_and_b32 s0, s0, vcc_lo
	s_and_b32 exec_lo, exec_lo, s0
	s_cbranch_execz .LBB239_11
; %bb.10:
	s_mov_b32 s3, 0
	s_waitcnt lgkmcnt(0)
	v_add_f32_e32 v2, v2, v3
	s_lshl_b64 s[0:1], s[2:3], 2
	v_add_co_u32 v0, vcc_lo, v0, s0
	v_add_co_ci_u32_e64 v1, null, s1, v1, vcc_lo
	v_fma_f32 v2, -v2, v10, v9
	global_store_dword v[0:1], v2, off
.LBB239_11:
	s_endpgm
	.section	.rodata,"a",@progbits
	.p2align	6, 0x0
	.amdhsa_kernel _ZN12_GLOBAL__N_121softmax_warp_backwardIfffLi5ELb1ELb0ELi32EEEvPT0_PKT_S5_iiiPKb
		.amdhsa_group_segment_fixed_size 0
		.amdhsa_private_segment_fixed_size 0
		.amdhsa_kernarg_size 304
		.amdhsa_user_sgpr_count 6
		.amdhsa_user_sgpr_private_segment_buffer 1
		.amdhsa_user_sgpr_dispatch_ptr 0
		.amdhsa_user_sgpr_queue_ptr 0
		.amdhsa_user_sgpr_kernarg_segment_ptr 1
		.amdhsa_user_sgpr_dispatch_id 0
		.amdhsa_user_sgpr_flat_scratch_init 0
		.amdhsa_user_sgpr_private_segment_size 0
		.amdhsa_wavefront_size32 1
		.amdhsa_uses_dynamic_stack 0
		.amdhsa_system_sgpr_private_segment_wavefront_offset 0
		.amdhsa_system_sgpr_workgroup_id_x 1
		.amdhsa_system_sgpr_workgroup_id_y 0
		.amdhsa_system_sgpr_workgroup_id_z 0
		.amdhsa_system_sgpr_workgroup_info 0
		.amdhsa_system_vgpr_workitem_id 1
		.amdhsa_next_free_vgpr 14
		.amdhsa_next_free_sgpr 12
		.amdhsa_reserve_vcc 1
		.amdhsa_reserve_flat_scratch 0
		.amdhsa_float_round_mode_32 0
		.amdhsa_float_round_mode_16_64 0
		.amdhsa_float_denorm_mode_32 3
		.amdhsa_float_denorm_mode_16_64 3
		.amdhsa_dx10_clamp 1
		.amdhsa_ieee_mode 1
		.amdhsa_fp16_overflow 0
		.amdhsa_workgroup_processor_mode 1
		.amdhsa_memory_ordered 1
		.amdhsa_forward_progress 1
		.amdhsa_shared_vgpr_count 0
		.amdhsa_exception_fp_ieee_invalid_op 0
		.amdhsa_exception_fp_denorm_src 0
		.amdhsa_exception_fp_ieee_div_zero 0
		.amdhsa_exception_fp_ieee_overflow 0
		.amdhsa_exception_fp_ieee_underflow 0
		.amdhsa_exception_fp_ieee_inexact 0
		.amdhsa_exception_int_div_zero 0
	.end_amdhsa_kernel
	.section	.text._ZN12_GLOBAL__N_121softmax_warp_backwardIfffLi5ELb1ELb0ELi32EEEvPT0_PKT_S5_iiiPKb,"axG",@progbits,_ZN12_GLOBAL__N_121softmax_warp_backwardIfffLi5ELb1ELb0ELi32EEEvPT0_PKT_S5_iiiPKb,comdat
.Lfunc_end239:
	.size	_ZN12_GLOBAL__N_121softmax_warp_backwardIfffLi5ELb1ELb0ELi32EEEvPT0_PKT_S5_iiiPKb, .Lfunc_end239-_ZN12_GLOBAL__N_121softmax_warp_backwardIfffLi5ELb1ELb0ELi32EEEvPT0_PKT_S5_iiiPKb
                                        ; -- End function
	.set _ZN12_GLOBAL__N_121softmax_warp_backwardIfffLi5ELb1ELb0ELi32EEEvPT0_PKT_S5_iiiPKb.num_vgpr, 14
	.set _ZN12_GLOBAL__N_121softmax_warp_backwardIfffLi5ELb1ELb0ELi32EEEvPT0_PKT_S5_iiiPKb.num_agpr, 0
	.set _ZN12_GLOBAL__N_121softmax_warp_backwardIfffLi5ELb1ELb0ELi32EEEvPT0_PKT_S5_iiiPKb.numbered_sgpr, 12
	.set _ZN12_GLOBAL__N_121softmax_warp_backwardIfffLi5ELb1ELb0ELi32EEEvPT0_PKT_S5_iiiPKb.num_named_barrier, 0
	.set _ZN12_GLOBAL__N_121softmax_warp_backwardIfffLi5ELb1ELb0ELi32EEEvPT0_PKT_S5_iiiPKb.private_seg_size, 0
	.set _ZN12_GLOBAL__N_121softmax_warp_backwardIfffLi5ELb1ELb0ELi32EEEvPT0_PKT_S5_iiiPKb.uses_vcc, 1
	.set _ZN12_GLOBAL__N_121softmax_warp_backwardIfffLi5ELb1ELb0ELi32EEEvPT0_PKT_S5_iiiPKb.uses_flat_scratch, 0
	.set _ZN12_GLOBAL__N_121softmax_warp_backwardIfffLi5ELb1ELb0ELi32EEEvPT0_PKT_S5_iiiPKb.has_dyn_sized_stack, 0
	.set _ZN12_GLOBAL__N_121softmax_warp_backwardIfffLi5ELb1ELb0ELi32EEEvPT0_PKT_S5_iiiPKb.has_recursion, 0
	.set _ZN12_GLOBAL__N_121softmax_warp_backwardIfffLi5ELb1ELb0ELi32EEEvPT0_PKT_S5_iiiPKb.has_indirect_call, 0
	.section	.AMDGPU.csdata,"",@progbits
; Kernel info:
; codeLenInByte = 908
; TotalNumSgprs: 14
; NumVgprs: 14
; ScratchSize: 0
; MemoryBound: 0
; FloatMode: 240
; IeeeMode: 1
; LDSByteSize: 0 bytes/workgroup (compile time only)
; SGPRBlocks: 0
; VGPRBlocks: 1
; NumSGPRsForWavesPerEU: 14
; NumVGPRsForWavesPerEU: 14
; Occupancy: 16
; WaveLimiterHint : 0
; COMPUTE_PGM_RSRC2:SCRATCH_EN: 0
; COMPUTE_PGM_RSRC2:USER_SGPR: 6
; COMPUTE_PGM_RSRC2:TRAP_HANDLER: 0
; COMPUTE_PGM_RSRC2:TGID_X_EN: 1
; COMPUTE_PGM_RSRC2:TGID_Y_EN: 0
; COMPUTE_PGM_RSRC2:TGID_Z_EN: 0
; COMPUTE_PGM_RSRC2:TIDIG_COMP_CNT: 1
	.section	.text._ZN12_GLOBAL__N_121softmax_warp_backwardIfffLi6ELb1ELb0ELi64EEEvPT0_PKT_S5_iiiPKb,"axG",@progbits,_ZN12_GLOBAL__N_121softmax_warp_backwardIfffLi6ELb1ELb0ELi64EEEvPT0_PKT_S5_iiiPKb,comdat
	.globl	_ZN12_GLOBAL__N_121softmax_warp_backwardIfffLi6ELb1ELb0ELi64EEEvPT0_PKT_S5_iiiPKb ; -- Begin function _ZN12_GLOBAL__N_121softmax_warp_backwardIfffLi6ELb1ELb0ELi64EEEvPT0_PKT_S5_iiiPKb
	.p2align	8
	.type	_ZN12_GLOBAL__N_121softmax_warp_backwardIfffLi6ELb1ELb0ELi64EEEvPT0_PKT_S5_iiiPKb,@function
_ZN12_GLOBAL__N_121softmax_warp_backwardIfffLi6ELb1ELb0ELi64EEEvPT0_PKT_S5_iiiPKb: ; @_ZN12_GLOBAL__N_121softmax_warp_backwardIfffLi6ELb1ELb0ELi64EEEvPT0_PKT_S5_iiiPKb
; %bb.0:
	s_clause 0x1
	s_load_dword s7, s[4:5], 0x3c
	s_load_dwordx4 s[0:3], s[4:5], 0x18
	v_and_b32_e32 v2, 63, v0
	s_clause 0x1
	s_load_dwordx4 s[8:11], s[4:5], 0x0
	s_load_dwordx2 s[4:5], s[4:5], 0x10
	v_mov_b32_e32 v7, 0
	v_mov_b32_e32 v8, 0
	s_waitcnt lgkmcnt(0)
	s_lshr_b32 s3, s7, 16
	v_cmp_gt_i32_e32 vcc_lo, s2, v2
	s_and_b32 s3, s3, 0xffff
	s_mul_i32 s6, s6, s3
	v_add_lshl_u32 v3, s6, v1, 1
	v_mad_u64_u32 v[0:1], null, v3, s1, v[2:3]
	v_sub_nc_u32_e32 v6, s0, v3
	v_cmp_lt_i32_e64 s0, 0, v6
	v_ashrrev_i32_e32 v1, 31, v0
	s_and_b32 s3, vcc_lo, s0
	v_lshlrev_b64 v[0:1], 2, v[0:1]
	v_add_co_u32 v2, s1, s10, v0
	v_add_co_ci_u32_e64 v3, null, s11, v1, s1
	v_add_co_u32 v4, s1, s4, v0
	v_add_co_ci_u32_e64 v5, null, s5, v1, s1
	s_and_saveexec_b32 s1, s3
	s_cbranch_execz .LBB240_2
; %bb.1:
	global_load_dword v8, v[2:3], off
	global_load_dword v7, v[4:5], off
.LBB240_2:
	s_or_b32 exec_lo, exec_lo, s1
	v_cmp_gt_i32_e64 s1, 2, v6
	s_xor_b32 s3, vcc_lo, -1
	s_or_b32 s1, s3, s1
	s_and_saveexec_b32 s3, s1
	s_xor_b32 s1, exec_lo, s3
                                        ; implicit-def: $vgpr9
; %bb.3:
	v_mov_b32_e32 v9, 0
                                        ; implicit-def: $vgpr4
                                        ; implicit-def: $vgpr2
; %bb.4:
	s_or_saveexec_b32 s4, s1
	v_mov_b32_e32 v10, 1.0
	s_xor_b32 exec_lo, exec_lo, s4
	s_cbranch_execz .LBB240_6
; %bb.5:
	s_mov_b32 s3, 0
	s_lshl_b64 s[6:7], s[2:3], 2
	v_add_co_u32 v4, s1, v4, s6
	v_add_co_ci_u32_e64 v5, null, s7, v5, s1
	v_add_co_u32 v2, s1, v2, s6
	v_add_co_ci_u32_e64 v3, null, s7, v3, s1
	global_load_dword v4, v[4:5], off
	global_load_dword v9, v[2:3], off
	s_waitcnt vmcnt(1)
	v_mul_f32_e32 v2, 0x3fb8aa3b, v4
	v_cmp_ngt_f32_e64 s1, 0xc2ce8ed0, v4
	v_fma_f32 v3, 0x3fb8aa3b, v4, -v2
	v_rndne_f32_e32 v5, v2
	v_fmamk_f32 v3, v4, 0x32a5705f, v3
	v_sub_f32_e32 v2, v2, v5
	v_add_f32_e32 v2, v2, v3
	v_cvt_i32_f32_e32 v3, v5
	v_exp_f32_e32 v2, v2
	v_ldexp_f32 v2, v2, v3
	v_cndmask_b32_e64 v2, 0, v2, s1
	v_cmp_nlt_f32_e64 s1, 0x42b17218, v4
	v_cndmask_b32_e64 v10, 0x7f800000, v2, s1
.LBB240_6:
	s_or_b32 exec_lo, exec_lo, s4
	v_mbcnt_lo_u32_b32 v2, -1, 0
	s_waitcnt vmcnt(1)
	v_add_f32_e32 v4, 0, v8
	s_waitcnt vmcnt(0)
	v_add_f32_e32 v5, 0, v9
	v_or_b32_e32 v3, 32, v2
	v_xor_b32_e32 v12, 16, v2
	v_cmp_gt_i32_e64 s1, 64, v3
	v_cndmask_b32_e64 v3, v2, v3, s1
	v_cmp_gt_i32_e64 s1, 64, v12
	v_lshlrev_b32_e32 v3, 2, v3
	v_cndmask_b32_e64 v12, v2, v12, s1
	ds_bpermute_b32 v11, v3, v4
	ds_bpermute_b32 v3, v3, v5
	v_lshlrev_b32_e32 v12, 2, v12
	s_waitcnt lgkmcnt(1)
	v_add_f32_e32 v4, v4, v11
	s_waitcnt lgkmcnt(0)
	v_add_f32_e32 v3, v5, v3
	ds_bpermute_b32 v5, v12, v4
	ds_bpermute_b32 v11, v12, v3
	v_xor_b32_e32 v12, 8, v2
	v_cmp_gt_i32_e64 s1, 64, v12
	v_cndmask_b32_e64 v12, v2, v12, s1
	v_lshlrev_b32_e32 v12, 2, v12
	s_waitcnt lgkmcnt(1)
	v_add_f32_e32 v4, v4, v5
	s_waitcnt lgkmcnt(0)
	v_add_f32_e32 v3, v3, v11
	ds_bpermute_b32 v5, v12, v4
	ds_bpermute_b32 v11, v12, v3
	v_xor_b32_e32 v12, 4, v2
	v_cmp_gt_i32_e64 s1, 64, v12
	v_cndmask_b32_e64 v12, v2, v12, s1
	;; [unrolled: 10-line block ×4, first 2 shown]
	v_lshlrev_b32_e32 v12, 2, v2
	s_waitcnt lgkmcnt(1)
	v_add_f32_e32 v4, v4, v5
	s_waitcnt lgkmcnt(0)
	v_add_f32_e32 v2, v3, v11
	ds_bpermute_b32 v5, v12, v4
	ds_bpermute_b32 v3, v12, v2
	s_and_saveexec_b32 s1, s0
	s_cbranch_execz .LBB240_11
; %bb.7:
	v_add_co_u32 v0, s0, s8, v0
	v_add_co_ci_u32_e64 v1, null, s9, v1, s0
	s_and_saveexec_b32 s1, vcc_lo
	s_cbranch_execz .LBB240_9
; %bb.8:
	v_mul_f32_e32 v11, 0x3fb8aa3b, v7
	v_cmp_ngt_f32_e64 s0, 0xc2ce8ed0, v7
	s_waitcnt lgkmcnt(1)
	v_add_f32_e32 v4, v4, v5
	v_rndne_f32_e32 v12, v11
	v_fma_f32 v13, 0x3fb8aa3b, v7, -v11
	v_sub_f32_e32 v11, v11, v12
	v_fmamk_f32 v13, v7, 0x32a5705f, v13
	v_cvt_i32_f32_e32 v12, v12
	v_add_f32_e32 v11, v11, v13
	v_exp_f32_e32 v11, v11
	v_ldexp_f32 v11, v11, v12
	v_cndmask_b32_e64 v11, 0, v11, s0
	v_cmp_nlt_f32_e64 s0, 0x42b17218, v7
	v_cndmask_b32_e64 v5, 0x7f800000, v11, s0
	v_fma_f32 v4, -v4, v5, v8
	global_store_dword v[0:1], v4, off
.LBB240_9:
	s_or_b32 exec_lo, exec_lo, s1
	v_cmp_ne_u32_e64 s0, 1, v6
	s_and_b32 s0, s0, vcc_lo
	s_and_b32 exec_lo, exec_lo, s0
	s_cbranch_execz .LBB240_11
; %bb.10:
	s_mov_b32 s3, 0
	s_waitcnt lgkmcnt(0)
	v_add_f32_e32 v2, v2, v3
	s_lshl_b64 s[0:1], s[2:3], 2
	v_add_co_u32 v0, vcc_lo, v0, s0
	v_add_co_ci_u32_e64 v1, null, s1, v1, vcc_lo
	v_fma_f32 v2, -v2, v10, v9
	global_store_dword v[0:1], v2, off
.LBB240_11:
	s_endpgm
	.section	.rodata,"a",@progbits
	.p2align	6, 0x0
	.amdhsa_kernel _ZN12_GLOBAL__N_121softmax_warp_backwardIfffLi6ELb1ELb0ELi64EEEvPT0_PKT_S5_iiiPKb
		.amdhsa_group_segment_fixed_size 0
		.amdhsa_private_segment_fixed_size 0
		.amdhsa_kernarg_size 304
		.amdhsa_user_sgpr_count 6
		.amdhsa_user_sgpr_private_segment_buffer 1
		.amdhsa_user_sgpr_dispatch_ptr 0
		.amdhsa_user_sgpr_queue_ptr 0
		.amdhsa_user_sgpr_kernarg_segment_ptr 1
		.amdhsa_user_sgpr_dispatch_id 0
		.amdhsa_user_sgpr_flat_scratch_init 0
		.amdhsa_user_sgpr_private_segment_size 0
		.amdhsa_wavefront_size32 1
		.amdhsa_uses_dynamic_stack 0
		.amdhsa_system_sgpr_private_segment_wavefront_offset 0
		.amdhsa_system_sgpr_workgroup_id_x 1
		.amdhsa_system_sgpr_workgroup_id_y 0
		.amdhsa_system_sgpr_workgroup_id_z 0
		.amdhsa_system_sgpr_workgroup_info 0
		.amdhsa_system_vgpr_workitem_id 1
		.amdhsa_next_free_vgpr 14
		.amdhsa_next_free_sgpr 12
		.amdhsa_reserve_vcc 1
		.amdhsa_reserve_flat_scratch 0
		.amdhsa_float_round_mode_32 0
		.amdhsa_float_round_mode_16_64 0
		.amdhsa_float_denorm_mode_32 3
		.amdhsa_float_denorm_mode_16_64 3
		.amdhsa_dx10_clamp 1
		.amdhsa_ieee_mode 1
		.amdhsa_fp16_overflow 0
		.amdhsa_workgroup_processor_mode 1
		.amdhsa_memory_ordered 1
		.amdhsa_forward_progress 1
		.amdhsa_shared_vgpr_count 0
		.amdhsa_exception_fp_ieee_invalid_op 0
		.amdhsa_exception_fp_denorm_src 0
		.amdhsa_exception_fp_ieee_div_zero 0
		.amdhsa_exception_fp_ieee_overflow 0
		.amdhsa_exception_fp_ieee_underflow 0
		.amdhsa_exception_fp_ieee_inexact 0
		.amdhsa_exception_int_div_zero 0
	.end_amdhsa_kernel
	.section	.text._ZN12_GLOBAL__N_121softmax_warp_backwardIfffLi6ELb1ELb0ELi64EEEvPT0_PKT_S5_iiiPKb,"axG",@progbits,_ZN12_GLOBAL__N_121softmax_warp_backwardIfffLi6ELb1ELb0ELi64EEEvPT0_PKT_S5_iiiPKb,comdat
.Lfunc_end240:
	.size	_ZN12_GLOBAL__N_121softmax_warp_backwardIfffLi6ELb1ELb0ELi64EEEvPT0_PKT_S5_iiiPKb, .Lfunc_end240-_ZN12_GLOBAL__N_121softmax_warp_backwardIfffLi6ELb1ELb0ELi64EEEvPT0_PKT_S5_iiiPKb
                                        ; -- End function
	.set _ZN12_GLOBAL__N_121softmax_warp_backwardIfffLi6ELb1ELb0ELi64EEEvPT0_PKT_S5_iiiPKb.num_vgpr, 14
	.set _ZN12_GLOBAL__N_121softmax_warp_backwardIfffLi6ELb1ELb0ELi64EEEvPT0_PKT_S5_iiiPKb.num_agpr, 0
	.set _ZN12_GLOBAL__N_121softmax_warp_backwardIfffLi6ELb1ELb0ELi64EEEvPT0_PKT_S5_iiiPKb.numbered_sgpr, 12
	.set _ZN12_GLOBAL__N_121softmax_warp_backwardIfffLi6ELb1ELb0ELi64EEEvPT0_PKT_S5_iiiPKb.num_named_barrier, 0
	.set _ZN12_GLOBAL__N_121softmax_warp_backwardIfffLi6ELb1ELb0ELi64EEEvPT0_PKT_S5_iiiPKb.private_seg_size, 0
	.set _ZN12_GLOBAL__N_121softmax_warp_backwardIfffLi6ELb1ELb0ELi64EEEvPT0_PKT_S5_iiiPKb.uses_vcc, 1
	.set _ZN12_GLOBAL__N_121softmax_warp_backwardIfffLi6ELb1ELb0ELi64EEEvPT0_PKT_S5_iiiPKb.uses_flat_scratch, 0
	.set _ZN12_GLOBAL__N_121softmax_warp_backwardIfffLi6ELb1ELb0ELi64EEEvPT0_PKT_S5_iiiPKb.has_dyn_sized_stack, 0
	.set _ZN12_GLOBAL__N_121softmax_warp_backwardIfffLi6ELb1ELb0ELi64EEEvPT0_PKT_S5_iiiPKb.has_recursion, 0
	.set _ZN12_GLOBAL__N_121softmax_warp_backwardIfffLi6ELb1ELb0ELi64EEEvPT0_PKT_S5_iiiPKb.has_indirect_call, 0
	.section	.AMDGPU.csdata,"",@progbits
; Kernel info:
; codeLenInByte = 964
; TotalNumSgprs: 14
; NumVgprs: 14
; ScratchSize: 0
; MemoryBound: 0
; FloatMode: 240
; IeeeMode: 1
; LDSByteSize: 0 bytes/workgroup (compile time only)
; SGPRBlocks: 0
; VGPRBlocks: 1
; NumSGPRsForWavesPerEU: 14
; NumVGPRsForWavesPerEU: 14
; Occupancy: 16
; WaveLimiterHint : 0
; COMPUTE_PGM_RSRC2:SCRATCH_EN: 0
; COMPUTE_PGM_RSRC2:USER_SGPR: 6
; COMPUTE_PGM_RSRC2:TRAP_HANDLER: 0
; COMPUTE_PGM_RSRC2:TGID_X_EN: 1
; COMPUTE_PGM_RSRC2:TGID_Y_EN: 0
; COMPUTE_PGM_RSRC2:TGID_Z_EN: 0
; COMPUTE_PGM_RSRC2:TIDIG_COMP_CNT: 1
	.section	.text._ZN12_GLOBAL__N_121softmax_warp_backwardIfffLi6ELb1ELb0ELi32EEEvPT0_PKT_S5_iiiPKb,"axG",@progbits,_ZN12_GLOBAL__N_121softmax_warp_backwardIfffLi6ELb1ELb0ELi32EEEvPT0_PKT_S5_iiiPKb,comdat
	.globl	_ZN12_GLOBAL__N_121softmax_warp_backwardIfffLi6ELb1ELb0ELi32EEEvPT0_PKT_S5_iiiPKb ; -- Begin function _ZN12_GLOBAL__N_121softmax_warp_backwardIfffLi6ELb1ELb0ELi32EEEvPT0_PKT_S5_iiiPKb
	.p2align	8
	.type	_ZN12_GLOBAL__N_121softmax_warp_backwardIfffLi6ELb1ELb0ELi32EEEvPT0_PKT_S5_iiiPKb,@function
_ZN12_GLOBAL__N_121softmax_warp_backwardIfffLi6ELb1ELb0ELi32EEEvPT0_PKT_S5_iiiPKb: ; @_ZN12_GLOBAL__N_121softmax_warp_backwardIfffLi6ELb1ELb0ELi32EEEvPT0_PKT_S5_iiiPKb
; %bb.0:
	s_clause 0x1
	s_load_dword s0, s[4:5], 0x3c
	s_load_dwordx4 s[8:11], s[4:5], 0x18
	v_and_b32_e32 v6, 31, v0
	s_clause 0x1
	s_load_dwordx4 s[12:15], s[4:5], 0x0
	s_load_dwordx2 s[2:3], s[4:5], 0x10
	v_mov_b32_e32 v9, 1.0
	v_mov_b32_e32 v8, 0
	v_mov_b32_e32 v10, 0
	v_mov_b32_e32 v11, 1.0
	s_waitcnt lgkmcnt(0)
	s_lshr_b32 s0, s0, 16
	v_cmp_gt_i32_e32 vcc_lo, s10, v6
	s_and_b32 s0, s0, 0xffff
	s_mul_i32 s6, s6, s0
	v_add_lshl_u32 v2, s6, v1, 1
	v_mad_u64_u32 v[0:1], null, v2, s9, v[6:7]
	v_sub_nc_u32_e32 v7, s8, v2
	v_cmp_lt_i32_e64 s1, 0, v7
	v_ashrrev_i32_e32 v1, 31, v0
	v_lshlrev_b64 v[0:1], 2, v[0:1]
	v_add_co_u32 v2, s0, s14, v0
	v_add_co_ci_u32_e64 v3, null, s15, v1, s0
	v_add_co_u32 v4, s0, s2, v0
	v_add_co_ci_u32_e64 v5, null, s3, v1, s0
	s_and_b32 s0, s1, vcc_lo
	s_and_saveexec_b32 s2, s0
	s_cbranch_execz .LBB241_2
; %bb.1:
	global_load_dword v11, v[4:5], off
	global_load_dword v10, v[2:3], off
	s_waitcnt vmcnt(1)
	v_mul_f32_e32 v12, 0x3fb8aa3b, v11
	v_cmp_ngt_f32_e64 s0, 0xc2ce8ed0, v11
	v_rndne_f32_e32 v13, v12
	v_fma_f32 v14, 0x3fb8aa3b, v11, -v12
	v_sub_f32_e32 v12, v12, v13
	v_fmamk_f32 v14, v11, 0x32a5705f, v14
	v_cvt_i32_f32_e32 v13, v13
	v_add_f32_e32 v12, v12, v14
	v_exp_f32_e32 v12, v12
	v_ldexp_f32 v12, v12, v13
	v_cndmask_b32_e64 v12, 0, v12, s0
	v_cmp_nlt_f32_e64 s0, 0x42b17218, v11
	v_cndmask_b32_e64 v11, 0x7f800000, v12, s0
.LBB241_2:
	s_or_b32 exec_lo, exec_lo, s2
	v_or_b32_e32 v6, 32, v6
	v_cmp_gt_i32_e64 s0, s10, v6
	s_and_b32 s2, s1, s0
	s_and_saveexec_b32 s3, s2
	s_cbranch_execz .LBB241_4
; %bb.3:
	global_load_dword v6, v[4:5], off offset:128
	global_load_dword v8, v[2:3], off offset:128
	s_waitcnt vmcnt(1)
	v_mul_f32_e32 v9, 0x3fb8aa3b, v6
	v_cmp_ngt_f32_e64 s2, 0xc2ce8ed0, v6
	v_rndne_f32_e32 v12, v9
	v_fma_f32 v13, 0x3fb8aa3b, v6, -v9
	v_sub_f32_e32 v9, v9, v12
	v_fmamk_f32 v13, v6, 0x32a5705f, v13
	v_cvt_i32_f32_e32 v12, v12
	v_add_f32_e32 v9, v9, v13
	v_exp_f32_e32 v9, v9
	v_ldexp_f32 v9, v9, v12
	v_cndmask_b32_e64 v9, 0, v9, s2
	v_cmp_nlt_f32_e64 s2, 0x42b17218, v6
	v_cndmask_b32_e64 v9, 0x7f800000, v9, s2
.LBB241_4:
	s_or_b32 exec_lo, exec_lo, s3
	v_cmp_lt_i32_e64 s2, 1, v7
	v_mov_b32_e32 v12, 1.0
	v_mov_b32_e32 v6, 0
	v_mov_b32_e32 v13, 0
	v_mov_b32_e32 v14, 1.0
	s_and_b32 s3, s2, vcc_lo
	s_and_saveexec_b32 s4, s3
	s_cbranch_execz .LBB241_6
; %bb.5:
	s_mov_b32 s11, 0
	s_lshl_b64 s[6:7], s[10:11], 2
	v_add_co_u32 v13, s3, v4, s6
	v_add_co_ci_u32_e64 v14, null, s7, v5, s3
	global_load_dword v15, v[13:14], off
	v_add_co_u32 v13, s3, v2, s6
	v_add_co_ci_u32_e64 v14, null, s7, v3, s3
	global_load_dword v13, v[13:14], off
	s_waitcnt vmcnt(1)
	v_mul_f32_e32 v14, 0x3fb8aa3b, v15
	v_cmp_ngt_f32_e64 s3, 0xc2ce8ed0, v15
	v_fma_f32 v16, 0x3fb8aa3b, v15, -v14
	v_rndne_f32_e32 v17, v14
	v_fmamk_f32 v16, v15, 0x32a5705f, v16
	v_sub_f32_e32 v14, v14, v17
	v_add_f32_e32 v14, v14, v16
	v_cvt_i32_f32_e32 v16, v17
	v_exp_f32_e32 v14, v14
	v_ldexp_f32 v14, v14, v16
	v_cndmask_b32_e64 v14, 0, v14, s3
	v_cmp_nlt_f32_e64 s3, 0x42b17218, v15
	v_cndmask_b32_e64 v14, 0x7f800000, v14, s3
.LBB241_6:
	s_or_b32 exec_lo, exec_lo, s4
	s_and_b32 s2, s2, s0
	s_and_saveexec_b32 s3, s2
	s_cbranch_execz .LBB241_8
; %bb.7:
	s_mov_b32 s11, 0
	s_lshl_b64 s[4:5], s[10:11], 2
	v_add_co_u32 v4, s2, v4, s4
	v_add_co_ci_u32_e64 v5, null, s5, v5, s2
	v_add_co_u32 v2, s2, v2, s4
	v_add_co_ci_u32_e64 v3, null, s5, v3, s2
	global_load_dword v4, v[4:5], off offset:128
	global_load_dword v6, v[2:3], off offset:128
	s_waitcnt vmcnt(1)
	v_mul_f32_e32 v2, 0x3fb8aa3b, v4
	v_cmp_ngt_f32_e64 s2, 0xc2ce8ed0, v4
	v_fma_f32 v3, 0x3fb8aa3b, v4, -v2
	v_rndne_f32_e32 v5, v2
	v_fmamk_f32 v3, v4, 0x32a5705f, v3
	v_sub_f32_e32 v2, v2, v5
	v_add_f32_e32 v2, v2, v3
	v_cvt_i32_f32_e32 v3, v5
	v_exp_f32_e32 v2, v2
	v_ldexp_f32 v2, v2, v3
	v_cndmask_b32_e64 v2, 0, v2, s2
	v_cmp_nlt_f32_e64 s2, 0x42b17218, v4
	v_cndmask_b32_e64 v12, 0x7f800000, v2, s2
.LBB241_8:
	s_or_b32 exec_lo, exec_lo, s3
	v_mbcnt_lo_u32_b32 v2, -1, 0
	s_waitcnt vmcnt(0)
	v_add_f32_e32 v4, 0, v10
	v_add_f32_e32 v5, 0, v13
	v_xor_b32_e32 v3, 16, v2
	v_add_f32_e32 v4, v4, v8
	v_add_f32_e32 v5, v5, v6
	v_xor_b32_e32 v16, 8, v2
	v_cmp_gt_i32_e64 s2, 32, v3
	v_cndmask_b32_e64 v3, v2, v3, s2
	v_cmp_gt_i32_e64 s2, 32, v16
	v_lshlrev_b32_e32 v3, 2, v3
	v_cndmask_b32_e64 v16, v2, v16, s2
	ds_bpermute_b32 v15, v3, v4
	ds_bpermute_b32 v3, v3, v5
	v_lshlrev_b32_e32 v16, 2, v16
	s_waitcnt lgkmcnt(1)
	v_add_f32_e32 v4, v4, v15
	s_waitcnt lgkmcnt(0)
	v_add_f32_e32 v3, v5, v3
	ds_bpermute_b32 v5, v16, v4
	ds_bpermute_b32 v15, v16, v3
	v_xor_b32_e32 v16, 4, v2
	v_cmp_gt_i32_e64 s2, 32, v16
	v_cndmask_b32_e64 v16, v2, v16, s2
	v_lshlrev_b32_e32 v16, 2, v16
	s_waitcnt lgkmcnt(1)
	v_add_f32_e32 v4, v4, v5
	s_waitcnt lgkmcnt(0)
	v_add_f32_e32 v3, v3, v15
	ds_bpermute_b32 v5, v16, v4
	ds_bpermute_b32 v15, v16, v3
	v_xor_b32_e32 v16, 2, v2
	v_cmp_gt_i32_e64 s2, 32, v16
	v_cndmask_b32_e64 v16, v2, v16, s2
	v_lshlrev_b32_e32 v16, 2, v16
	s_waitcnt lgkmcnt(1)
	v_add_f32_e32 v4, v4, v5
	s_waitcnt lgkmcnt(0)
	v_add_f32_e32 v3, v3, v15
	ds_bpermute_b32 v5, v16, v4
	ds_bpermute_b32 v15, v16, v3
	v_xor_b32_e32 v16, 1, v2
	v_cmp_gt_i32_e64 s2, 32, v16
	v_cndmask_b32_e64 v2, v2, v16, s2
	v_lshlrev_b32_e32 v16, 2, v2
	s_waitcnt lgkmcnt(1)
	v_add_f32_e32 v4, v4, v5
	s_waitcnt lgkmcnt(0)
	v_add_f32_e32 v2, v3, v15
	ds_bpermute_b32 v5, v16, v4
	ds_bpermute_b32 v3, v16, v2
	s_and_saveexec_b32 s2, s1
	s_cbranch_execz .LBB241_12
; %bb.9:
	v_add_co_u32 v0, s1, s12, v0
	v_add_co_ci_u32_e64 v1, null, s13, v1, s1
	s_waitcnt lgkmcnt(1)
	v_add_f32_e32 v4, v4, v5
	s_and_saveexec_b32 s1, vcc_lo
	s_cbranch_execnz .LBB241_13
; %bb.10:
	s_or_b32 exec_lo, exec_lo, s1
	s_and_saveexec_b32 s1, s0
	s_cbranch_execnz .LBB241_14
.LBB241_11:
	s_or_b32 exec_lo, exec_lo, s1
	v_cmp_ne_u32_e64 s1, 1, v7
	s_and_b32 exec_lo, exec_lo, s1
	s_cbranch_execnz .LBB241_15
.LBB241_12:
	s_endpgm
.LBB241_13:
	v_fma_f32 v5, -v4, v11, v10
	global_store_dword v[0:1], v5, off
	s_or_b32 exec_lo, exec_lo, s1
	s_and_saveexec_b32 s1, s0
	s_cbranch_execz .LBB241_11
.LBB241_14:
	v_fma_f32 v4, -v4, v9, v8
	global_store_dword v[0:1], v4, off offset:128
	s_or_b32 exec_lo, exec_lo, s1
	v_cmp_ne_u32_e64 s1, 1, v7
	s_and_b32 exec_lo, exec_lo, s1
	s_cbranch_execz .LBB241_12
.LBB241_15:
	s_waitcnt lgkmcnt(0)
	v_add_f32_e32 v2, v2, v3
	s_and_saveexec_b32 s1, vcc_lo
	s_cbranch_execz .LBB241_17
; %bb.16:
	s_mov_b32 s11, 0
	v_fma_f32 v5, -v2, v14, v13
	s_lshl_b64 s[2:3], s[10:11], 2
	v_add_co_u32 v3, vcc_lo, v0, s2
	v_add_co_ci_u32_e64 v4, null, s3, v1, vcc_lo
	global_store_dword v[3:4], v5, off
.LBB241_17:
	s_or_b32 exec_lo, exec_lo, s1
	s_and_b32 exec_lo, exec_lo, s0
	s_cbranch_execz .LBB241_12
; %bb.18:
	s_mov_b32 s11, 0
	v_fma_f32 v2, -v2, v12, v6
	s_lshl_b64 s[0:1], s[10:11], 2
	v_add_co_u32 v0, vcc_lo, v0, s0
	v_add_co_ci_u32_e64 v1, null, s1, v1, vcc_lo
	global_store_dword v[0:1], v2, off offset:128
	s_endpgm
	.section	.rodata,"a",@progbits
	.p2align	6, 0x0
	.amdhsa_kernel _ZN12_GLOBAL__N_121softmax_warp_backwardIfffLi6ELb1ELb0ELi32EEEvPT0_PKT_S5_iiiPKb
		.amdhsa_group_segment_fixed_size 0
		.amdhsa_private_segment_fixed_size 0
		.amdhsa_kernarg_size 304
		.amdhsa_user_sgpr_count 6
		.amdhsa_user_sgpr_private_segment_buffer 1
		.amdhsa_user_sgpr_dispatch_ptr 0
		.amdhsa_user_sgpr_queue_ptr 0
		.amdhsa_user_sgpr_kernarg_segment_ptr 1
		.amdhsa_user_sgpr_dispatch_id 0
		.amdhsa_user_sgpr_flat_scratch_init 0
		.amdhsa_user_sgpr_private_segment_size 0
		.amdhsa_wavefront_size32 1
		.amdhsa_uses_dynamic_stack 0
		.amdhsa_system_sgpr_private_segment_wavefront_offset 0
		.amdhsa_system_sgpr_workgroup_id_x 1
		.amdhsa_system_sgpr_workgroup_id_y 0
		.amdhsa_system_sgpr_workgroup_id_z 0
		.amdhsa_system_sgpr_workgroup_info 0
		.amdhsa_system_vgpr_workitem_id 1
		.amdhsa_next_free_vgpr 18
		.amdhsa_next_free_sgpr 16
		.amdhsa_reserve_vcc 1
		.amdhsa_reserve_flat_scratch 0
		.amdhsa_float_round_mode_32 0
		.amdhsa_float_round_mode_16_64 0
		.amdhsa_float_denorm_mode_32 3
		.amdhsa_float_denorm_mode_16_64 3
		.amdhsa_dx10_clamp 1
		.amdhsa_ieee_mode 1
		.amdhsa_fp16_overflow 0
		.amdhsa_workgroup_processor_mode 1
		.amdhsa_memory_ordered 1
		.amdhsa_forward_progress 1
		.amdhsa_shared_vgpr_count 0
		.amdhsa_exception_fp_ieee_invalid_op 0
		.amdhsa_exception_fp_denorm_src 0
		.amdhsa_exception_fp_ieee_div_zero 0
		.amdhsa_exception_fp_ieee_overflow 0
		.amdhsa_exception_fp_ieee_underflow 0
		.amdhsa_exception_fp_ieee_inexact 0
		.amdhsa_exception_int_div_zero 0
	.end_amdhsa_kernel
	.section	.text._ZN12_GLOBAL__N_121softmax_warp_backwardIfffLi6ELb1ELb0ELi32EEEvPT0_PKT_S5_iiiPKb,"axG",@progbits,_ZN12_GLOBAL__N_121softmax_warp_backwardIfffLi6ELb1ELb0ELi32EEEvPT0_PKT_S5_iiiPKb,comdat
.Lfunc_end241:
	.size	_ZN12_GLOBAL__N_121softmax_warp_backwardIfffLi6ELb1ELb0ELi32EEEvPT0_PKT_S5_iiiPKb, .Lfunc_end241-_ZN12_GLOBAL__N_121softmax_warp_backwardIfffLi6ELb1ELb0ELi32EEEvPT0_PKT_S5_iiiPKb
                                        ; -- End function
	.set _ZN12_GLOBAL__N_121softmax_warp_backwardIfffLi6ELb1ELb0ELi32EEEvPT0_PKT_S5_iiiPKb.num_vgpr, 18
	.set _ZN12_GLOBAL__N_121softmax_warp_backwardIfffLi6ELb1ELb0ELi32EEEvPT0_PKT_S5_iiiPKb.num_agpr, 0
	.set _ZN12_GLOBAL__N_121softmax_warp_backwardIfffLi6ELb1ELb0ELi32EEEvPT0_PKT_S5_iiiPKb.numbered_sgpr, 16
	.set _ZN12_GLOBAL__N_121softmax_warp_backwardIfffLi6ELb1ELb0ELi32EEEvPT0_PKT_S5_iiiPKb.num_named_barrier, 0
	.set _ZN12_GLOBAL__N_121softmax_warp_backwardIfffLi6ELb1ELb0ELi32EEEvPT0_PKT_S5_iiiPKb.private_seg_size, 0
	.set _ZN12_GLOBAL__N_121softmax_warp_backwardIfffLi6ELb1ELb0ELi32EEEvPT0_PKT_S5_iiiPKb.uses_vcc, 1
	.set _ZN12_GLOBAL__N_121softmax_warp_backwardIfffLi6ELb1ELb0ELi32EEEvPT0_PKT_S5_iiiPKb.uses_flat_scratch, 0
	.set _ZN12_GLOBAL__N_121softmax_warp_backwardIfffLi6ELb1ELb0ELi32EEEvPT0_PKT_S5_iiiPKb.has_dyn_sized_stack, 0
	.set _ZN12_GLOBAL__N_121softmax_warp_backwardIfffLi6ELb1ELb0ELi32EEEvPT0_PKT_S5_iiiPKb.has_recursion, 0
	.set _ZN12_GLOBAL__N_121softmax_warp_backwardIfffLi6ELb1ELb0ELi32EEEvPT0_PKT_S5_iiiPKb.has_indirect_call, 0
	.section	.AMDGPU.csdata,"",@progbits
; Kernel info:
; codeLenInByte = 1360
; TotalNumSgprs: 18
; NumVgprs: 18
; ScratchSize: 0
; MemoryBound: 0
; FloatMode: 240
; IeeeMode: 1
; LDSByteSize: 0 bytes/workgroup (compile time only)
; SGPRBlocks: 0
; VGPRBlocks: 2
; NumSGPRsForWavesPerEU: 18
; NumVGPRsForWavesPerEU: 18
; Occupancy: 16
; WaveLimiterHint : 0
; COMPUTE_PGM_RSRC2:SCRATCH_EN: 0
; COMPUTE_PGM_RSRC2:USER_SGPR: 6
; COMPUTE_PGM_RSRC2:TRAP_HANDLER: 0
; COMPUTE_PGM_RSRC2:TGID_X_EN: 1
; COMPUTE_PGM_RSRC2:TGID_Y_EN: 0
; COMPUTE_PGM_RSRC2:TGID_Z_EN: 0
; COMPUTE_PGM_RSRC2:TIDIG_COMP_CNT: 1
	.section	.text._ZN12_GLOBAL__N_121softmax_warp_backwardIfffLi7ELb1ELb0ELi64EEEvPT0_PKT_S5_iiiPKb,"axG",@progbits,_ZN12_GLOBAL__N_121softmax_warp_backwardIfffLi7ELb1ELb0ELi64EEEvPT0_PKT_S5_iiiPKb,comdat
	.globl	_ZN12_GLOBAL__N_121softmax_warp_backwardIfffLi7ELb1ELb0ELi64EEEvPT0_PKT_S5_iiiPKb ; -- Begin function _ZN12_GLOBAL__N_121softmax_warp_backwardIfffLi7ELb1ELb0ELi64EEEvPT0_PKT_S5_iiiPKb
	.p2align	8
	.type	_ZN12_GLOBAL__N_121softmax_warp_backwardIfffLi7ELb1ELb0ELi64EEEvPT0_PKT_S5_iiiPKb,@function
_ZN12_GLOBAL__N_121softmax_warp_backwardIfffLi7ELb1ELb0ELi64EEEvPT0_PKT_S5_iiiPKb: ; @_ZN12_GLOBAL__N_121softmax_warp_backwardIfffLi7ELb1ELb0ELi64EEEvPT0_PKT_S5_iiiPKb
; %bb.0:
	s_clause 0x1
	s_load_dword s0, s[4:5], 0x3c
	s_load_dwordx4 s[8:11], s[4:5], 0x18
	v_and_b32_e32 v6, 63, v0
	s_clause 0x1
	s_load_dwordx4 s[12:15], s[4:5], 0x0
	s_load_dwordx2 s[2:3], s[4:5], 0x10
	v_mov_b32_e32 v9, 1.0
	v_mov_b32_e32 v8, 0
	v_mov_b32_e32 v10, 0
	v_mov_b32_e32 v11, 1.0
	s_waitcnt lgkmcnt(0)
	s_lshr_b32 s0, s0, 16
	v_cmp_gt_i32_e32 vcc_lo, s10, v6
	s_and_b32 s0, s0, 0xffff
	s_mul_i32 s6, s6, s0
	v_add_lshl_u32 v2, s6, v1, 1
	v_mad_u64_u32 v[0:1], null, v2, s9, v[6:7]
	v_sub_nc_u32_e32 v7, s8, v2
	v_cmp_lt_i32_e64 s1, 0, v7
	v_ashrrev_i32_e32 v1, 31, v0
	v_lshlrev_b64 v[0:1], 2, v[0:1]
	v_add_co_u32 v2, s0, s14, v0
	v_add_co_ci_u32_e64 v3, null, s15, v1, s0
	v_add_co_u32 v4, s0, s2, v0
	v_add_co_ci_u32_e64 v5, null, s3, v1, s0
	s_and_b32 s0, s1, vcc_lo
	s_and_saveexec_b32 s2, s0
	s_cbranch_execz .LBB242_2
; %bb.1:
	global_load_dword v11, v[4:5], off
	global_load_dword v10, v[2:3], off
	s_waitcnt vmcnt(1)
	v_mul_f32_e32 v12, 0x3fb8aa3b, v11
	v_cmp_ngt_f32_e64 s0, 0xc2ce8ed0, v11
	v_rndne_f32_e32 v13, v12
	v_fma_f32 v14, 0x3fb8aa3b, v11, -v12
	v_sub_f32_e32 v12, v12, v13
	v_fmamk_f32 v14, v11, 0x32a5705f, v14
	v_cvt_i32_f32_e32 v13, v13
	v_add_f32_e32 v12, v12, v14
	v_exp_f32_e32 v12, v12
	v_ldexp_f32 v12, v12, v13
	v_cndmask_b32_e64 v12, 0, v12, s0
	v_cmp_nlt_f32_e64 s0, 0x42b17218, v11
	v_cndmask_b32_e64 v11, 0x7f800000, v12, s0
.LBB242_2:
	s_or_b32 exec_lo, exec_lo, s2
	v_or_b32_e32 v6, 64, v6
	v_cmp_gt_i32_e64 s0, s10, v6
	s_and_b32 s2, s1, s0
	s_and_saveexec_b32 s3, s2
	s_cbranch_execz .LBB242_4
; %bb.3:
	global_load_dword v6, v[4:5], off offset:256
	global_load_dword v8, v[2:3], off offset:256
	s_waitcnt vmcnt(1)
	v_mul_f32_e32 v9, 0x3fb8aa3b, v6
	v_cmp_ngt_f32_e64 s2, 0xc2ce8ed0, v6
	v_rndne_f32_e32 v12, v9
	v_fma_f32 v13, 0x3fb8aa3b, v6, -v9
	v_sub_f32_e32 v9, v9, v12
	v_fmamk_f32 v13, v6, 0x32a5705f, v13
	v_cvt_i32_f32_e32 v12, v12
	v_add_f32_e32 v9, v9, v13
	v_exp_f32_e32 v9, v9
	v_ldexp_f32 v9, v9, v12
	v_cndmask_b32_e64 v9, 0, v9, s2
	v_cmp_nlt_f32_e64 s2, 0x42b17218, v6
	v_cndmask_b32_e64 v9, 0x7f800000, v9, s2
.LBB242_4:
	s_or_b32 exec_lo, exec_lo, s3
	v_cmp_lt_i32_e64 s2, 1, v7
	v_mov_b32_e32 v12, 1.0
	v_mov_b32_e32 v6, 0
	v_mov_b32_e32 v13, 0
	v_mov_b32_e32 v14, 1.0
	s_and_b32 s3, s2, vcc_lo
	s_and_saveexec_b32 s4, s3
	s_cbranch_execz .LBB242_6
; %bb.5:
	s_mov_b32 s11, 0
	s_lshl_b64 s[6:7], s[10:11], 2
	v_add_co_u32 v13, s3, v4, s6
	v_add_co_ci_u32_e64 v14, null, s7, v5, s3
	global_load_dword v15, v[13:14], off
	v_add_co_u32 v13, s3, v2, s6
	v_add_co_ci_u32_e64 v14, null, s7, v3, s3
	global_load_dword v13, v[13:14], off
	s_waitcnt vmcnt(1)
	v_mul_f32_e32 v14, 0x3fb8aa3b, v15
	v_cmp_ngt_f32_e64 s3, 0xc2ce8ed0, v15
	v_fma_f32 v16, 0x3fb8aa3b, v15, -v14
	v_rndne_f32_e32 v17, v14
	v_fmamk_f32 v16, v15, 0x32a5705f, v16
	v_sub_f32_e32 v14, v14, v17
	v_add_f32_e32 v14, v14, v16
	v_cvt_i32_f32_e32 v16, v17
	v_exp_f32_e32 v14, v14
	v_ldexp_f32 v14, v14, v16
	v_cndmask_b32_e64 v14, 0, v14, s3
	v_cmp_nlt_f32_e64 s3, 0x42b17218, v15
	v_cndmask_b32_e64 v14, 0x7f800000, v14, s3
.LBB242_6:
	s_or_b32 exec_lo, exec_lo, s4
	s_and_b32 s2, s2, s0
	s_and_saveexec_b32 s3, s2
	s_cbranch_execz .LBB242_8
; %bb.7:
	s_mov_b32 s11, 0
	s_lshl_b64 s[4:5], s[10:11], 2
	v_add_co_u32 v4, s2, v4, s4
	v_add_co_ci_u32_e64 v5, null, s5, v5, s2
	v_add_co_u32 v2, s2, v2, s4
	v_add_co_ci_u32_e64 v3, null, s5, v3, s2
	global_load_dword v4, v[4:5], off offset:256
	global_load_dword v6, v[2:3], off offset:256
	s_waitcnt vmcnt(1)
	v_mul_f32_e32 v2, 0x3fb8aa3b, v4
	v_cmp_ngt_f32_e64 s2, 0xc2ce8ed0, v4
	v_fma_f32 v3, 0x3fb8aa3b, v4, -v2
	v_rndne_f32_e32 v5, v2
	v_fmamk_f32 v3, v4, 0x32a5705f, v3
	v_sub_f32_e32 v2, v2, v5
	v_add_f32_e32 v2, v2, v3
	v_cvt_i32_f32_e32 v3, v5
	v_exp_f32_e32 v2, v2
	v_ldexp_f32 v2, v2, v3
	v_cndmask_b32_e64 v2, 0, v2, s2
	v_cmp_nlt_f32_e64 s2, 0x42b17218, v4
	v_cndmask_b32_e64 v12, 0x7f800000, v2, s2
.LBB242_8:
	s_or_b32 exec_lo, exec_lo, s3
	v_mbcnt_lo_u32_b32 v2, -1, 0
	s_waitcnt vmcnt(0)
	v_add_f32_e32 v4, 0, v10
	v_add_f32_e32 v5, 0, v13
	v_or_b32_e32 v3, 32, v2
	v_add_f32_e32 v4, v4, v8
	v_add_f32_e32 v5, v5, v6
	v_xor_b32_e32 v16, 16, v2
	v_cmp_gt_i32_e64 s2, 64, v3
	v_cndmask_b32_e64 v3, v2, v3, s2
	v_cmp_gt_i32_e64 s2, 64, v16
	v_lshlrev_b32_e32 v3, 2, v3
	v_cndmask_b32_e64 v16, v2, v16, s2
	ds_bpermute_b32 v15, v3, v4
	ds_bpermute_b32 v3, v3, v5
	v_lshlrev_b32_e32 v16, 2, v16
	s_waitcnt lgkmcnt(1)
	v_add_f32_e32 v4, v4, v15
	s_waitcnt lgkmcnt(0)
	v_add_f32_e32 v3, v5, v3
	ds_bpermute_b32 v5, v16, v4
	ds_bpermute_b32 v15, v16, v3
	v_xor_b32_e32 v16, 8, v2
	v_cmp_gt_i32_e64 s2, 64, v16
	v_cndmask_b32_e64 v16, v2, v16, s2
	v_lshlrev_b32_e32 v16, 2, v16
	s_waitcnt lgkmcnt(1)
	v_add_f32_e32 v4, v4, v5
	s_waitcnt lgkmcnt(0)
	v_add_f32_e32 v3, v3, v15
	ds_bpermute_b32 v5, v16, v4
	ds_bpermute_b32 v15, v16, v3
	v_xor_b32_e32 v16, 4, v2
	v_cmp_gt_i32_e64 s2, 64, v16
	v_cndmask_b32_e64 v16, v2, v16, s2
	;; [unrolled: 10-line block ×4, first 2 shown]
	v_lshlrev_b32_e32 v16, 2, v2
	s_waitcnt lgkmcnt(1)
	v_add_f32_e32 v4, v4, v5
	s_waitcnt lgkmcnt(0)
	v_add_f32_e32 v2, v3, v15
	ds_bpermute_b32 v5, v16, v4
	ds_bpermute_b32 v3, v16, v2
	s_and_saveexec_b32 s2, s1
	s_cbranch_execz .LBB242_12
; %bb.9:
	v_add_co_u32 v0, s1, s12, v0
	v_add_co_ci_u32_e64 v1, null, s13, v1, s1
	s_waitcnt lgkmcnt(1)
	v_add_f32_e32 v4, v4, v5
	s_and_saveexec_b32 s1, vcc_lo
	s_cbranch_execnz .LBB242_13
; %bb.10:
	s_or_b32 exec_lo, exec_lo, s1
	s_and_saveexec_b32 s1, s0
	s_cbranch_execnz .LBB242_14
.LBB242_11:
	s_or_b32 exec_lo, exec_lo, s1
	v_cmp_ne_u32_e64 s1, 1, v7
	s_and_b32 exec_lo, exec_lo, s1
	s_cbranch_execnz .LBB242_15
.LBB242_12:
	s_endpgm
.LBB242_13:
	v_fma_f32 v5, -v4, v11, v10
	global_store_dword v[0:1], v5, off
	s_or_b32 exec_lo, exec_lo, s1
	s_and_saveexec_b32 s1, s0
	s_cbranch_execz .LBB242_11
.LBB242_14:
	v_fma_f32 v4, -v4, v9, v8
	global_store_dword v[0:1], v4, off offset:256
	s_or_b32 exec_lo, exec_lo, s1
	v_cmp_ne_u32_e64 s1, 1, v7
	s_and_b32 exec_lo, exec_lo, s1
	s_cbranch_execz .LBB242_12
.LBB242_15:
	s_waitcnt lgkmcnt(0)
	v_add_f32_e32 v2, v2, v3
	s_and_saveexec_b32 s1, vcc_lo
	s_cbranch_execz .LBB242_17
; %bb.16:
	s_mov_b32 s11, 0
	v_fma_f32 v5, -v2, v14, v13
	s_lshl_b64 s[2:3], s[10:11], 2
	v_add_co_u32 v3, vcc_lo, v0, s2
	v_add_co_ci_u32_e64 v4, null, s3, v1, vcc_lo
	global_store_dword v[3:4], v5, off
.LBB242_17:
	s_or_b32 exec_lo, exec_lo, s1
	s_and_b32 exec_lo, exec_lo, s0
	s_cbranch_execz .LBB242_12
; %bb.18:
	s_mov_b32 s11, 0
	v_fma_f32 v2, -v2, v12, v6
	s_lshl_b64 s[0:1], s[10:11], 2
	v_add_co_u32 v0, vcc_lo, v0, s0
	v_add_co_ci_u32_e64 v1, null, s1, v1, vcc_lo
	global_store_dword v[0:1], v2, off offset:256
	s_endpgm
	.section	.rodata,"a",@progbits
	.p2align	6, 0x0
	.amdhsa_kernel _ZN12_GLOBAL__N_121softmax_warp_backwardIfffLi7ELb1ELb0ELi64EEEvPT0_PKT_S5_iiiPKb
		.amdhsa_group_segment_fixed_size 0
		.amdhsa_private_segment_fixed_size 0
		.amdhsa_kernarg_size 304
		.amdhsa_user_sgpr_count 6
		.amdhsa_user_sgpr_private_segment_buffer 1
		.amdhsa_user_sgpr_dispatch_ptr 0
		.amdhsa_user_sgpr_queue_ptr 0
		.amdhsa_user_sgpr_kernarg_segment_ptr 1
		.amdhsa_user_sgpr_dispatch_id 0
		.amdhsa_user_sgpr_flat_scratch_init 0
		.amdhsa_user_sgpr_private_segment_size 0
		.amdhsa_wavefront_size32 1
		.amdhsa_uses_dynamic_stack 0
		.amdhsa_system_sgpr_private_segment_wavefront_offset 0
		.amdhsa_system_sgpr_workgroup_id_x 1
		.amdhsa_system_sgpr_workgroup_id_y 0
		.amdhsa_system_sgpr_workgroup_id_z 0
		.amdhsa_system_sgpr_workgroup_info 0
		.amdhsa_system_vgpr_workitem_id 1
		.amdhsa_next_free_vgpr 18
		.amdhsa_next_free_sgpr 16
		.amdhsa_reserve_vcc 1
		.amdhsa_reserve_flat_scratch 0
		.amdhsa_float_round_mode_32 0
		.amdhsa_float_round_mode_16_64 0
		.amdhsa_float_denorm_mode_32 3
		.amdhsa_float_denorm_mode_16_64 3
		.amdhsa_dx10_clamp 1
		.amdhsa_ieee_mode 1
		.amdhsa_fp16_overflow 0
		.amdhsa_workgroup_processor_mode 1
		.amdhsa_memory_ordered 1
		.amdhsa_forward_progress 1
		.amdhsa_shared_vgpr_count 0
		.amdhsa_exception_fp_ieee_invalid_op 0
		.amdhsa_exception_fp_denorm_src 0
		.amdhsa_exception_fp_ieee_div_zero 0
		.amdhsa_exception_fp_ieee_overflow 0
		.amdhsa_exception_fp_ieee_underflow 0
		.amdhsa_exception_fp_ieee_inexact 0
		.amdhsa_exception_int_div_zero 0
	.end_amdhsa_kernel
	.section	.text._ZN12_GLOBAL__N_121softmax_warp_backwardIfffLi7ELb1ELb0ELi64EEEvPT0_PKT_S5_iiiPKb,"axG",@progbits,_ZN12_GLOBAL__N_121softmax_warp_backwardIfffLi7ELb1ELb0ELi64EEEvPT0_PKT_S5_iiiPKb,comdat
.Lfunc_end242:
	.size	_ZN12_GLOBAL__N_121softmax_warp_backwardIfffLi7ELb1ELb0ELi64EEEvPT0_PKT_S5_iiiPKb, .Lfunc_end242-_ZN12_GLOBAL__N_121softmax_warp_backwardIfffLi7ELb1ELb0ELi64EEEvPT0_PKT_S5_iiiPKb
                                        ; -- End function
	.set _ZN12_GLOBAL__N_121softmax_warp_backwardIfffLi7ELb1ELb0ELi64EEEvPT0_PKT_S5_iiiPKb.num_vgpr, 18
	.set _ZN12_GLOBAL__N_121softmax_warp_backwardIfffLi7ELb1ELb0ELi64EEEvPT0_PKT_S5_iiiPKb.num_agpr, 0
	.set _ZN12_GLOBAL__N_121softmax_warp_backwardIfffLi7ELb1ELb0ELi64EEEvPT0_PKT_S5_iiiPKb.numbered_sgpr, 16
	.set _ZN12_GLOBAL__N_121softmax_warp_backwardIfffLi7ELb1ELb0ELi64EEEvPT0_PKT_S5_iiiPKb.num_named_barrier, 0
	.set _ZN12_GLOBAL__N_121softmax_warp_backwardIfffLi7ELb1ELb0ELi64EEEvPT0_PKT_S5_iiiPKb.private_seg_size, 0
	.set _ZN12_GLOBAL__N_121softmax_warp_backwardIfffLi7ELb1ELb0ELi64EEEvPT0_PKT_S5_iiiPKb.uses_vcc, 1
	.set _ZN12_GLOBAL__N_121softmax_warp_backwardIfffLi7ELb1ELb0ELi64EEEvPT0_PKT_S5_iiiPKb.uses_flat_scratch, 0
	.set _ZN12_GLOBAL__N_121softmax_warp_backwardIfffLi7ELb1ELb0ELi64EEEvPT0_PKT_S5_iiiPKb.has_dyn_sized_stack, 0
	.set _ZN12_GLOBAL__N_121softmax_warp_backwardIfffLi7ELb1ELb0ELi64EEEvPT0_PKT_S5_iiiPKb.has_recursion, 0
	.set _ZN12_GLOBAL__N_121softmax_warp_backwardIfffLi7ELb1ELb0ELi64EEEvPT0_PKT_S5_iiiPKb.has_indirect_call, 0
	.section	.AMDGPU.csdata,"",@progbits
; Kernel info:
; codeLenInByte = 1416
; TotalNumSgprs: 18
; NumVgprs: 18
; ScratchSize: 0
; MemoryBound: 0
; FloatMode: 240
; IeeeMode: 1
; LDSByteSize: 0 bytes/workgroup (compile time only)
; SGPRBlocks: 0
; VGPRBlocks: 2
; NumSGPRsForWavesPerEU: 18
; NumVGPRsForWavesPerEU: 18
; Occupancy: 16
; WaveLimiterHint : 0
; COMPUTE_PGM_RSRC2:SCRATCH_EN: 0
; COMPUTE_PGM_RSRC2:USER_SGPR: 6
; COMPUTE_PGM_RSRC2:TRAP_HANDLER: 0
; COMPUTE_PGM_RSRC2:TGID_X_EN: 1
; COMPUTE_PGM_RSRC2:TGID_Y_EN: 0
; COMPUTE_PGM_RSRC2:TGID_Z_EN: 0
; COMPUTE_PGM_RSRC2:TIDIG_COMP_CNT: 1
	.section	.text._ZN12_GLOBAL__N_121softmax_warp_backwardIfffLi7ELb1ELb0ELi32EEEvPT0_PKT_S5_iiiPKb,"axG",@progbits,_ZN12_GLOBAL__N_121softmax_warp_backwardIfffLi7ELb1ELb0ELi32EEEvPT0_PKT_S5_iiiPKb,comdat
	.globl	_ZN12_GLOBAL__N_121softmax_warp_backwardIfffLi7ELb1ELb0ELi32EEEvPT0_PKT_S5_iiiPKb ; -- Begin function _ZN12_GLOBAL__N_121softmax_warp_backwardIfffLi7ELb1ELb0ELi32EEEvPT0_PKT_S5_iiiPKb
	.p2align	8
	.type	_ZN12_GLOBAL__N_121softmax_warp_backwardIfffLi7ELb1ELb0ELi32EEEvPT0_PKT_S5_iiiPKb,@function
_ZN12_GLOBAL__N_121softmax_warp_backwardIfffLi7ELb1ELb0ELi32EEEvPT0_PKT_S5_iiiPKb: ; @_ZN12_GLOBAL__N_121softmax_warp_backwardIfffLi7ELb1ELb0ELi32EEEvPT0_PKT_S5_iiiPKb
; %bb.0:
	s_clause 0x1
	s_load_dword s0, s[4:5], 0x3c
	s_load_dwordx4 s[8:11], s[4:5], 0x18
	v_and_b32_e32 v6, 31, v0
	s_clause 0x1
	s_load_dwordx4 s[12:15], s[4:5], 0x0
	s_load_dwordx2 s[4:5], s[4:5], 0x10
	v_mov_b32_e32 v9, 1.0
	v_mov_b32_e32 v8, 0
	v_mov_b32_e32 v10, 0
	v_mov_b32_e32 v11, 1.0
	s_waitcnt lgkmcnt(0)
	s_lshr_b32 s0, s0, 16
	v_cmp_gt_i32_e32 vcc_lo, s10, v6
	s_and_b32 s0, s0, 0xffff
	s_mul_i32 s6, s6, s0
	v_add_lshl_u32 v2, s6, v1, 1
	v_mad_u64_u32 v[0:1], null, v2, s9, v[6:7]
	v_sub_nc_u32_e32 v7, s8, v2
	v_cmp_lt_i32_e64 s3, 0, v7
	v_ashrrev_i32_e32 v1, 31, v0
	v_lshlrev_b64 v[0:1], 2, v[0:1]
	v_add_co_u32 v2, s0, s14, v0
	v_add_co_ci_u32_e64 v3, null, s15, v1, s0
	v_add_co_u32 v4, s0, s4, v0
	v_add_co_ci_u32_e64 v5, null, s5, v1, s0
	s_and_b32 s0, s3, vcc_lo
	s_and_saveexec_b32 s1, s0
	s_cbranch_execz .LBB243_2
; %bb.1:
	global_load_dword v11, v[4:5], off
	global_load_dword v10, v[2:3], off
	s_waitcnt vmcnt(1)
	v_mul_f32_e32 v12, 0x3fb8aa3b, v11
	v_cmp_ngt_f32_e64 s0, 0xc2ce8ed0, v11
	v_rndne_f32_e32 v13, v12
	v_fma_f32 v14, 0x3fb8aa3b, v11, -v12
	v_sub_f32_e32 v12, v12, v13
	v_fmamk_f32 v14, v11, 0x32a5705f, v14
	v_cvt_i32_f32_e32 v13, v13
	v_add_f32_e32 v12, v12, v14
	v_exp_f32_e32 v12, v12
	v_ldexp_f32 v12, v12, v13
	v_cndmask_b32_e64 v12, 0, v12, s0
	v_cmp_nlt_f32_e64 s0, 0x42b17218, v11
	v_cndmask_b32_e64 v11, 0x7f800000, v12, s0
.LBB243_2:
	s_or_b32 exec_lo, exec_lo, s1
	v_or_b32_e32 v12, 32, v6
	v_cmp_gt_i32_e64 s0, s10, v12
	s_and_b32 s1, s3, s0
	s_and_saveexec_b32 s2, s1
	s_cbranch_execz .LBB243_4
; %bb.3:
	global_load_dword v9, v[4:5], off offset:128
	global_load_dword v8, v[2:3], off offset:128
	s_waitcnt vmcnt(1)
	v_mul_f32_e32 v12, 0x3fb8aa3b, v9
	v_cmp_ngt_f32_e64 s1, 0xc2ce8ed0, v9
	v_rndne_f32_e32 v13, v12
	v_fma_f32 v14, 0x3fb8aa3b, v9, -v12
	v_sub_f32_e32 v12, v12, v13
	v_fmamk_f32 v14, v9, 0x32a5705f, v14
	v_cvt_i32_f32_e32 v13, v13
	v_add_f32_e32 v12, v12, v14
	v_exp_f32_e32 v12, v12
	v_ldexp_f32 v12, v12, v13
	v_cndmask_b32_e64 v12, 0, v12, s1
	v_cmp_nlt_f32_e64 s1, 0x42b17218, v9
	v_cndmask_b32_e64 v9, 0x7f800000, v12, s1
.LBB243_4:
	s_or_b32 exec_lo, exec_lo, s2
	v_or_b32_e32 v12, 64, v6
	v_mov_b32_e32 v14, 1.0
	v_mov_b32_e32 v13, 0
	v_mov_b32_e32 v15, 1.0
	v_cmp_gt_i32_e64 s1, s10, v12
	v_mov_b32_e32 v12, 0
	s_and_b32 s2, s3, s1
	s_and_saveexec_b32 s4, s2
	s_cbranch_execz .LBB243_6
; %bb.5:
	global_load_dword v15, v[4:5], off offset:256
	global_load_dword v13, v[2:3], off offset:256
	s_waitcnt vmcnt(1)
	v_mul_f32_e32 v16, 0x3fb8aa3b, v15
	v_cmp_ngt_f32_e64 s2, 0xc2ce8ed0, v15
	v_rndne_f32_e32 v17, v16
	v_fma_f32 v18, 0x3fb8aa3b, v15, -v16
	v_sub_f32_e32 v16, v16, v17
	v_fmamk_f32 v18, v15, 0x32a5705f, v18
	v_cvt_i32_f32_e32 v17, v17
	v_add_f32_e32 v16, v16, v18
	v_exp_f32_e32 v16, v16
	v_ldexp_f32 v16, v16, v17
	v_cndmask_b32_e64 v16, 0, v16, s2
	v_cmp_nlt_f32_e64 s2, 0x42b17218, v15
	v_cndmask_b32_e64 v15, 0x7f800000, v16, s2
.LBB243_6:
	s_or_b32 exec_lo, exec_lo, s4
	v_or_b32_e32 v6, 0x60, v6
	v_cmp_gt_i32_e64 s2, s10, v6
	s_and_b32 s4, s3, s2
	s_and_saveexec_b32 s5, s4
	s_cbranch_execz .LBB243_8
; %bb.7:
	global_load_dword v6, v[4:5], off offset:384
	global_load_dword v12, v[2:3], off offset:384
	s_waitcnt vmcnt(1)
	v_mul_f32_e32 v14, 0x3fb8aa3b, v6
	v_cmp_ngt_f32_e64 s4, 0xc2ce8ed0, v6
	v_rndne_f32_e32 v16, v14
	v_fma_f32 v17, 0x3fb8aa3b, v6, -v14
	v_sub_f32_e32 v14, v14, v16
	v_fmamk_f32 v17, v6, 0x32a5705f, v17
	v_cvt_i32_f32_e32 v16, v16
	v_add_f32_e32 v14, v14, v17
	v_exp_f32_e32 v14, v14
	v_ldexp_f32 v14, v14, v16
	v_cndmask_b32_e64 v14, 0, v14, s4
	v_cmp_nlt_f32_e64 s4, 0x42b17218, v6
	v_cndmask_b32_e64 v14, 0x7f800000, v14, s4
.LBB243_8:
	s_or_b32 exec_lo, exec_lo, s5
	v_cmp_lt_i32_e64 s4, 1, v7
	v_mov_b32_e32 v16, 1.0
	v_mov_b32_e32 v6, 0
	v_mov_b32_e32 v17, 0
	v_mov_b32_e32 v18, 1.0
	s_and_b32 s5, s4, vcc_lo
	s_and_saveexec_b32 s6, s5
	s_cbranch_execz .LBB243_10
; %bb.9:
	s_mov_b32 s11, 0
	s_lshl_b64 s[8:9], s[10:11], 2
	v_add_co_u32 v17, s5, v4, s8
	v_add_co_ci_u32_e64 v18, null, s9, v5, s5
	global_load_dword v19, v[17:18], off
	v_add_co_u32 v17, s5, v2, s8
	v_add_co_ci_u32_e64 v18, null, s9, v3, s5
	global_load_dword v17, v[17:18], off
	s_waitcnt vmcnt(1)
	v_mul_f32_e32 v18, 0x3fb8aa3b, v19
	v_cmp_ngt_f32_e64 s5, 0xc2ce8ed0, v19
	v_fma_f32 v20, 0x3fb8aa3b, v19, -v18
	v_rndne_f32_e32 v21, v18
	v_fmamk_f32 v20, v19, 0x32a5705f, v20
	v_sub_f32_e32 v18, v18, v21
	v_add_f32_e32 v18, v18, v20
	v_cvt_i32_f32_e32 v20, v21
	v_exp_f32_e32 v18, v18
	v_ldexp_f32 v18, v18, v20
	v_cndmask_b32_e64 v18, 0, v18, s5
	v_cmp_nlt_f32_e64 s5, 0x42b17218, v19
	v_cndmask_b32_e64 v18, 0x7f800000, v18, s5
.LBB243_10:
	s_or_b32 exec_lo, exec_lo, s6
	s_and_b32 s5, s4, s0
	s_and_saveexec_b32 s6, s5
	s_cbranch_execz .LBB243_12
; %bb.11:
	s_mov_b32 s11, 0
	s_lshl_b64 s[8:9], s[10:11], 2
	v_add_co_u32 v19, s5, v4, s8
	v_add_co_ci_u32_e64 v20, null, s9, v5, s5
	global_load_dword v16, v[19:20], off offset:128
	v_add_co_u32 v19, s5, v2, s8
	v_add_co_ci_u32_e64 v20, null, s9, v3, s5
	global_load_dword v6, v[19:20], off offset:128
	s_waitcnt vmcnt(1)
	v_mul_f32_e32 v19, 0x3fb8aa3b, v16
	v_cmp_ngt_f32_e64 s5, 0xc2ce8ed0, v16
	v_fma_f32 v20, 0x3fb8aa3b, v16, -v19
	v_rndne_f32_e32 v21, v19
	v_fmamk_f32 v20, v16, 0x32a5705f, v20
	v_sub_f32_e32 v19, v19, v21
	v_add_f32_e32 v19, v19, v20
	v_cvt_i32_f32_e32 v20, v21
	v_exp_f32_e32 v19, v19
	v_ldexp_f32 v19, v19, v20
	v_cndmask_b32_e64 v19, 0, v19, s5
	v_cmp_nlt_f32_e64 s5, 0x42b17218, v16
	v_cndmask_b32_e64 v16, 0x7f800000, v19, s5
.LBB243_12:
	s_or_b32 exec_lo, exec_lo, s6
	v_mov_b32_e32 v20, 1.0
	v_mov_b32_e32 v19, 0
	v_mov_b32_e32 v21, 0
	v_mov_b32_e32 v22, 1.0
	s_and_b32 s5, s4, s1
	s_and_saveexec_b32 s6, s5
	s_cbranch_execz .LBB243_14
; %bb.13:
	s_mov_b32 s11, 0
	s_lshl_b64 s[8:9], s[10:11], 2
	v_add_co_u32 v21, s5, v4, s8
	v_add_co_ci_u32_e64 v22, null, s9, v5, s5
	global_load_dword v23, v[21:22], off offset:256
	v_add_co_u32 v21, s5, v2, s8
	v_add_co_ci_u32_e64 v22, null, s9, v3, s5
	global_load_dword v21, v[21:22], off offset:256
	s_waitcnt vmcnt(1)
	v_mul_f32_e32 v22, 0x3fb8aa3b, v23
	v_cmp_ngt_f32_e64 s5, 0xc2ce8ed0, v23
	v_fma_f32 v24, 0x3fb8aa3b, v23, -v22
	v_rndne_f32_e32 v25, v22
	v_fmamk_f32 v24, v23, 0x32a5705f, v24
	v_sub_f32_e32 v22, v22, v25
	v_add_f32_e32 v22, v22, v24
	v_cvt_i32_f32_e32 v24, v25
	v_exp_f32_e32 v22, v22
	v_ldexp_f32 v22, v22, v24
	v_cndmask_b32_e64 v22, 0, v22, s5
	v_cmp_nlt_f32_e64 s5, 0x42b17218, v23
	v_cndmask_b32_e64 v22, 0x7f800000, v22, s5
.LBB243_14:
	s_or_b32 exec_lo, exec_lo, s6
	s_and_b32 s4, s4, s2
	s_and_saveexec_b32 s5, s4
	s_cbranch_execz .LBB243_16
; %bb.15:
	s_mov_b32 s11, 0
	s_lshl_b64 s[6:7], s[10:11], 2
	v_add_co_u32 v4, s4, v4, s6
	v_add_co_ci_u32_e64 v5, null, s7, v5, s4
	v_add_co_u32 v2, s4, v2, s6
	v_add_co_ci_u32_e64 v3, null, s7, v3, s4
	global_load_dword v4, v[4:5], off offset:384
	global_load_dword v19, v[2:3], off offset:384
	s_waitcnt vmcnt(1)
	v_mul_f32_e32 v2, 0x3fb8aa3b, v4
	v_cmp_ngt_f32_e64 s4, 0xc2ce8ed0, v4
	v_fma_f32 v3, 0x3fb8aa3b, v4, -v2
	v_rndne_f32_e32 v5, v2
	v_fmamk_f32 v3, v4, 0x32a5705f, v3
	v_sub_f32_e32 v2, v2, v5
	v_add_f32_e32 v2, v2, v3
	v_cvt_i32_f32_e32 v3, v5
	v_exp_f32_e32 v2, v2
	v_ldexp_f32 v2, v2, v3
	v_cndmask_b32_e64 v2, 0, v2, s4
	v_cmp_nlt_f32_e64 s4, 0x42b17218, v4
	v_cndmask_b32_e64 v20, 0x7f800000, v2, s4
.LBB243_16:
	s_or_b32 exec_lo, exec_lo, s5
	v_mbcnt_lo_u32_b32 v3, -1, 0
	s_waitcnt vmcnt(0)
	v_add_f32_e32 v2, 0, v10
	v_add_f32_e32 v4, 0, v17
	v_xor_b32_e32 v5, 16, v3
	v_add_f32_e32 v2, v2, v8
	v_add_f32_e32 v4, v4, v6
	v_xor_b32_e32 v24, 8, v3
	v_cmp_gt_i32_e64 s4, 32, v5
	v_add_f32_e32 v2, v2, v13
	v_add_f32_e32 v4, v4, v21
	v_cndmask_b32_e64 v5, v3, v5, s4
	v_add_f32_e32 v2, v2, v12
	v_add_f32_e32 v4, v4, v19
	v_cmp_gt_i32_e64 s4, 32, v24
	v_lshlrev_b32_e32 v5, 2, v5
	v_cndmask_b32_e64 v24, v3, v24, s4
	ds_bpermute_b32 v23, v5, v2
	ds_bpermute_b32 v5, v5, v4
	v_lshlrev_b32_e32 v24, 2, v24
	s_waitcnt lgkmcnt(1)
	v_add_f32_e32 v2, v2, v23
	s_waitcnt lgkmcnt(0)
	v_add_f32_e32 v4, v4, v5
	ds_bpermute_b32 v5, v24, v2
	ds_bpermute_b32 v23, v24, v4
	v_xor_b32_e32 v24, 4, v3
	v_cmp_gt_i32_e64 s4, 32, v24
	v_cndmask_b32_e64 v24, v3, v24, s4
	v_lshlrev_b32_e32 v24, 2, v24
	s_waitcnt lgkmcnt(1)
	v_add_f32_e32 v2, v2, v5
	s_waitcnt lgkmcnt(0)
	v_add_f32_e32 v4, v4, v23
	ds_bpermute_b32 v5, v24, v2
	ds_bpermute_b32 v23, v24, v4
	v_xor_b32_e32 v24, 2, v3
	v_cmp_gt_i32_e64 s4, 32, v24
	v_cndmask_b32_e64 v24, v3, v24, s4
	;; [unrolled: 10-line block ×3, first 2 shown]
	v_lshlrev_b32_e32 v3, 2, v3
	s_waitcnt lgkmcnt(1)
	v_add_f32_e32 v4, v2, v4
	s_waitcnt lgkmcnt(0)
	v_add_f32_e32 v2, v5, v23
	ds_bpermute_b32 v5, v3, v4
	ds_bpermute_b32 v3, v3, v2
	s_and_saveexec_b32 s4, s3
	s_cbranch_execz .LBB243_22
; %bb.17:
	v_add_co_u32 v0, s3, s12, v0
	v_add_co_ci_u32_e64 v1, null, s13, v1, s3
	s_waitcnt lgkmcnt(1)
	v_add_f32_e32 v4, v4, v5
	s_and_saveexec_b32 s3, vcc_lo
	s_cbranch_execnz .LBB243_23
; %bb.18:
	s_or_b32 exec_lo, exec_lo, s3
	s_and_saveexec_b32 s3, s0
	s_cbranch_execnz .LBB243_24
.LBB243_19:
	s_or_b32 exec_lo, exec_lo, s3
	s_and_saveexec_b32 s3, s1
	s_cbranch_execnz .LBB243_25
.LBB243_20:
	s_or_b32 exec_lo, exec_lo, s3
	s_and_saveexec_b32 s3, s2
	s_cbranch_execnz .LBB243_26
.LBB243_21:
	s_or_b32 exec_lo, exec_lo, s3
	v_cmp_ne_u32_e64 s3, 1, v7
	s_and_b32 exec_lo, exec_lo, s3
	s_cbranch_execnz .LBB243_27
.LBB243_22:
	s_endpgm
.LBB243_23:
	v_fma_f32 v5, -v4, v11, v10
	global_store_dword v[0:1], v5, off
	s_or_b32 exec_lo, exec_lo, s3
	s_and_saveexec_b32 s3, s0
	s_cbranch_execz .LBB243_19
.LBB243_24:
	v_fma_f32 v5, -v4, v9, v8
	global_store_dword v[0:1], v5, off offset:128
	s_or_b32 exec_lo, exec_lo, s3
	s_and_saveexec_b32 s3, s1
	s_cbranch_execz .LBB243_20
.LBB243_25:
	v_fma_f32 v5, -v4, v15, v13
	global_store_dword v[0:1], v5, off offset:256
	s_or_b32 exec_lo, exec_lo, s3
	s_and_saveexec_b32 s3, s2
	s_cbranch_execz .LBB243_21
.LBB243_26:
	v_fma_f32 v4, -v4, v14, v12
	global_store_dword v[0:1], v4, off offset:384
	s_or_b32 exec_lo, exec_lo, s3
	v_cmp_ne_u32_e64 s3, 1, v7
	s_and_b32 exec_lo, exec_lo, s3
	s_cbranch_execz .LBB243_22
.LBB243_27:
	s_waitcnt lgkmcnt(0)
	v_add_f32_e32 v2, v2, v3
	s_and_saveexec_b32 s3, vcc_lo
	s_cbranch_execnz .LBB243_31
; %bb.28:
	s_or_b32 exec_lo, exec_lo, s3
	s_and_saveexec_b32 s3, s0
	s_cbranch_execnz .LBB243_32
.LBB243_29:
	s_or_b32 exec_lo, exec_lo, s3
	s_and_saveexec_b32 s0, s1
	s_cbranch_execnz .LBB243_33
.LBB243_30:
	s_or_b32 exec_lo, exec_lo, s0
	s_and_b32 exec_lo, exec_lo, s2
	s_cbranch_execz .LBB243_22
	s_branch .LBB243_34
.LBB243_31:
	s_mov_b32 s11, 0
	v_fma_f32 v5, -v2, v18, v17
	s_lshl_b64 s[4:5], s[10:11], 2
	v_add_co_u32 v3, vcc_lo, v0, s4
	v_add_co_ci_u32_e64 v4, null, s5, v1, vcc_lo
	global_store_dword v[3:4], v5, off
	s_or_b32 exec_lo, exec_lo, s3
	s_and_saveexec_b32 s3, s0
	s_cbranch_execz .LBB243_29
.LBB243_32:
	s_mov_b32 s11, 0
	v_fma_f32 v5, -v2, v16, v6
	s_lshl_b64 s[4:5], s[10:11], 2
	v_add_co_u32 v3, vcc_lo, v0, s4
	v_add_co_ci_u32_e64 v4, null, s5, v1, vcc_lo
	global_store_dword v[3:4], v5, off offset:128
	s_or_b32 exec_lo, exec_lo, s3
	s_and_saveexec_b32 s0, s1
	s_cbranch_execz .LBB243_30
.LBB243_33:
	s_mov_b32 s11, 0
	v_fma_f32 v5, -v2, v22, v21
	s_lshl_b64 s[4:5], s[10:11], 2
	v_add_co_u32 v3, vcc_lo, v0, s4
	v_add_co_ci_u32_e64 v4, null, s5, v1, vcc_lo
	global_store_dword v[3:4], v5, off offset:256
	s_or_b32 exec_lo, exec_lo, s0
	s_and_b32 exec_lo, exec_lo, s2
	s_cbranch_execz .LBB243_22
.LBB243_34:
	s_mov_b32 s11, 0
	v_fma_f32 v2, -v2, v20, v19
	s_lshl_b64 s[0:1], s[10:11], 2
	v_add_co_u32 v0, vcc_lo, v0, s0
	v_add_co_ci_u32_e64 v1, null, s1, v1, vcc_lo
	global_store_dword v[0:1], v2, off offset:384
	s_endpgm
	.section	.rodata,"a",@progbits
	.p2align	6, 0x0
	.amdhsa_kernel _ZN12_GLOBAL__N_121softmax_warp_backwardIfffLi7ELb1ELb0ELi32EEEvPT0_PKT_S5_iiiPKb
		.amdhsa_group_segment_fixed_size 0
		.amdhsa_private_segment_fixed_size 0
		.amdhsa_kernarg_size 304
		.amdhsa_user_sgpr_count 6
		.amdhsa_user_sgpr_private_segment_buffer 1
		.amdhsa_user_sgpr_dispatch_ptr 0
		.amdhsa_user_sgpr_queue_ptr 0
		.amdhsa_user_sgpr_kernarg_segment_ptr 1
		.amdhsa_user_sgpr_dispatch_id 0
		.amdhsa_user_sgpr_flat_scratch_init 0
		.amdhsa_user_sgpr_private_segment_size 0
		.amdhsa_wavefront_size32 1
		.amdhsa_uses_dynamic_stack 0
		.amdhsa_system_sgpr_private_segment_wavefront_offset 0
		.amdhsa_system_sgpr_workgroup_id_x 1
		.amdhsa_system_sgpr_workgroup_id_y 0
		.amdhsa_system_sgpr_workgroup_id_z 0
		.amdhsa_system_sgpr_workgroup_info 0
		.amdhsa_system_vgpr_workitem_id 1
		.amdhsa_next_free_vgpr 26
		.amdhsa_next_free_sgpr 16
		.amdhsa_reserve_vcc 1
		.amdhsa_reserve_flat_scratch 0
		.amdhsa_float_round_mode_32 0
		.amdhsa_float_round_mode_16_64 0
		.amdhsa_float_denorm_mode_32 3
		.amdhsa_float_denorm_mode_16_64 3
		.amdhsa_dx10_clamp 1
		.amdhsa_ieee_mode 1
		.amdhsa_fp16_overflow 0
		.amdhsa_workgroup_processor_mode 1
		.amdhsa_memory_ordered 1
		.amdhsa_forward_progress 1
		.amdhsa_shared_vgpr_count 0
		.amdhsa_exception_fp_ieee_invalid_op 0
		.amdhsa_exception_fp_denorm_src 0
		.amdhsa_exception_fp_ieee_div_zero 0
		.amdhsa_exception_fp_ieee_overflow 0
		.amdhsa_exception_fp_ieee_underflow 0
		.amdhsa_exception_fp_ieee_inexact 0
		.amdhsa_exception_int_div_zero 0
	.end_amdhsa_kernel
	.section	.text._ZN12_GLOBAL__N_121softmax_warp_backwardIfffLi7ELb1ELb0ELi32EEEvPT0_PKT_S5_iiiPKb,"axG",@progbits,_ZN12_GLOBAL__N_121softmax_warp_backwardIfffLi7ELb1ELb0ELi32EEEvPT0_PKT_S5_iiiPKb,comdat
.Lfunc_end243:
	.size	_ZN12_GLOBAL__N_121softmax_warp_backwardIfffLi7ELb1ELb0ELi32EEEvPT0_PKT_S5_iiiPKb, .Lfunc_end243-_ZN12_GLOBAL__N_121softmax_warp_backwardIfffLi7ELb1ELb0ELi32EEEvPT0_PKT_S5_iiiPKb
                                        ; -- End function
	.set _ZN12_GLOBAL__N_121softmax_warp_backwardIfffLi7ELb1ELb0ELi32EEEvPT0_PKT_S5_iiiPKb.num_vgpr, 26
	.set _ZN12_GLOBAL__N_121softmax_warp_backwardIfffLi7ELb1ELb0ELi32EEEvPT0_PKT_S5_iiiPKb.num_agpr, 0
	.set _ZN12_GLOBAL__N_121softmax_warp_backwardIfffLi7ELb1ELb0ELi32EEEvPT0_PKT_S5_iiiPKb.numbered_sgpr, 16
	.set _ZN12_GLOBAL__N_121softmax_warp_backwardIfffLi7ELb1ELb0ELi32EEEvPT0_PKT_S5_iiiPKb.num_named_barrier, 0
	.set _ZN12_GLOBAL__N_121softmax_warp_backwardIfffLi7ELb1ELb0ELi32EEEvPT0_PKT_S5_iiiPKb.private_seg_size, 0
	.set _ZN12_GLOBAL__N_121softmax_warp_backwardIfffLi7ELb1ELb0ELi32EEEvPT0_PKT_S5_iiiPKb.uses_vcc, 1
	.set _ZN12_GLOBAL__N_121softmax_warp_backwardIfffLi7ELb1ELb0ELi32EEEvPT0_PKT_S5_iiiPKb.uses_flat_scratch, 0
	.set _ZN12_GLOBAL__N_121softmax_warp_backwardIfffLi7ELb1ELb0ELi32EEEvPT0_PKT_S5_iiiPKb.has_dyn_sized_stack, 0
	.set _ZN12_GLOBAL__N_121softmax_warp_backwardIfffLi7ELb1ELb0ELi32EEEvPT0_PKT_S5_iiiPKb.has_recursion, 0
	.set _ZN12_GLOBAL__N_121softmax_warp_backwardIfffLi7ELb1ELb0ELi32EEEvPT0_PKT_S5_iiiPKb.has_indirect_call, 0
	.section	.AMDGPU.csdata,"",@progbits
; Kernel info:
; codeLenInByte = 2284
; TotalNumSgprs: 18
; NumVgprs: 26
; ScratchSize: 0
; MemoryBound: 0
; FloatMode: 240
; IeeeMode: 1
; LDSByteSize: 0 bytes/workgroup (compile time only)
; SGPRBlocks: 0
; VGPRBlocks: 3
; NumSGPRsForWavesPerEU: 18
; NumVGPRsForWavesPerEU: 26
; Occupancy: 16
; WaveLimiterHint : 0
; COMPUTE_PGM_RSRC2:SCRATCH_EN: 0
; COMPUTE_PGM_RSRC2:USER_SGPR: 6
; COMPUTE_PGM_RSRC2:TRAP_HANDLER: 0
; COMPUTE_PGM_RSRC2:TGID_X_EN: 1
; COMPUTE_PGM_RSRC2:TGID_Y_EN: 0
; COMPUTE_PGM_RSRC2:TGID_Z_EN: 0
; COMPUTE_PGM_RSRC2:TIDIG_COMP_CNT: 1
	.section	.text._ZN12_GLOBAL__N_121softmax_warp_backwardIfffLi8ELb1ELb0ELi64EEEvPT0_PKT_S5_iiiPKb,"axG",@progbits,_ZN12_GLOBAL__N_121softmax_warp_backwardIfffLi8ELb1ELb0ELi64EEEvPT0_PKT_S5_iiiPKb,comdat
	.globl	_ZN12_GLOBAL__N_121softmax_warp_backwardIfffLi8ELb1ELb0ELi64EEEvPT0_PKT_S5_iiiPKb ; -- Begin function _ZN12_GLOBAL__N_121softmax_warp_backwardIfffLi8ELb1ELb0ELi64EEEvPT0_PKT_S5_iiiPKb
	.p2align	8
	.type	_ZN12_GLOBAL__N_121softmax_warp_backwardIfffLi8ELb1ELb0ELi64EEEvPT0_PKT_S5_iiiPKb,@function
_ZN12_GLOBAL__N_121softmax_warp_backwardIfffLi8ELb1ELb0ELi64EEEvPT0_PKT_S5_iiiPKb: ; @_ZN12_GLOBAL__N_121softmax_warp_backwardIfffLi8ELb1ELb0ELi64EEEvPT0_PKT_S5_iiiPKb
; %bb.0:
	s_clause 0x1
	s_load_dword s0, s[4:5], 0x3c
	s_load_dwordx4 s[12:15], s[4:5], 0x18
	v_and_b32_e32 v6, 63, v0
	s_clause 0x1
	s_load_dwordx4 s[8:11], s[4:5], 0x0
	s_load_dwordx2 s[4:5], s[4:5], 0x10
	v_mov_b32_e32 v8, 0
	s_waitcnt lgkmcnt(0)
	s_lshr_b32 s0, s0, 16
	v_cmp_gt_i32_e32 vcc_lo, s14, v6
	v_mad_u64_u32 v[1:2], null, s6, s0, v[1:2]
	v_mad_u64_u32 v[2:3], null, v1, s13, v[6:7]
	v_sub_nc_u32_e32 v9, s12, v1
	v_mov_b32_e32 v7, 0
	v_cmp_lt_i32_e64 s3, 0, v9
	v_ashrrev_i32_e32 v3, 31, v2
	s_and_b32 s1, s3, vcc_lo
	v_lshlrev_b64 v[0:1], 2, v[2:3]
	v_add_co_u32 v2, s0, s10, v0
	v_add_co_ci_u32_e64 v3, null, s11, v1, s0
	v_add_co_u32 v4, s0, s4, v0
	v_add_co_ci_u32_e64 v5, null, s5, v1, s0
	s_and_saveexec_b32 s0, s1
	s_cbranch_execz .LBB244_2
; %bb.1:
	global_load_dword v8, v[2:3], off
	global_load_dword v7, v[4:5], off
.LBB244_2:
	s_or_b32 exec_lo, exec_lo, s0
	v_or_b32_e32 v10, 64, v6
	v_cmp_gt_i32_e64 s0, s14, v10
	s_and_b32 s1, s3, s0
	s_xor_b32 s1, s1, -1
	s_and_saveexec_b32 s2, s1
	s_xor_b32 s1, exec_lo, s2
                                        ; implicit-def: $vgpr11
                                        ; implicit-def: $vgpr12
                                        ; implicit-def: $vgpr10
; %bb.3:
	s_mov_b32 s2, 0
                                        ; implicit-def: $vgpr11
                                        ; implicit-def: $vgpr10
	v_mov_b32_e32 v12, s2
; %bb.4:
	s_or_saveexec_b32 s2, s1
	v_mov_b32_e32 v13, 1.0
	s_xor_b32 exec_lo, exec_lo, s2
	s_cbranch_execz .LBB244_6
; %bb.5:
	global_load_dword v13, v[4:5], off offset:256
	global_load_dword v12, v[2:3], off offset:256
	s_waitcnt vmcnt(1)
	v_mul_f32_e32 v14, 0x3fb8aa3b, v13
	v_cmp_ngt_f32_e64 s1, 0xc2ce8ed0, v13
	v_rndne_f32_e32 v15, v14
	v_fma_f32 v16, 0x3fb8aa3b, v13, -v14
	v_sub_f32_e32 v14, v14, v15
	v_fmamk_f32 v16, v13, 0x32a5705f, v16
	v_cvt_i32_f32_e32 v15, v15
	v_add_f32_e32 v14, v14, v16
	v_exp_f32_e32 v14, v14
	v_ldexp_f32 v14, v14, v15
	v_cndmask_b32_e64 v14, 0, v14, s1
	v_cmp_nlt_f32_e64 s1, 0x42b17218, v13
	v_cndmask_b32_e64 v13, 0x7f800000, v14, s1
.LBB244_6:
	s_or_b32 exec_lo, exec_lo, s2
	v_or_b32_e32 v14, 0x80, v6
	v_cmp_gt_i32_e64 s1, s14, v14
	s_and_b32 s2, s3, s1
	s_xor_b32 s2, s2, -1
	s_and_saveexec_b32 s4, s2
	s_xor_b32 s2, exec_lo, s4
; %bb.7:
	s_mov_b32 s4, 0
	v_mov_b32_e32 v11, s4
; %bb.8:
	s_or_saveexec_b32 s4, s2
	v_mov_b32_e32 v14, 1.0
	s_xor_b32 exec_lo, exec_lo, s4
	s_cbranch_execz .LBB244_10
; %bb.9:
	global_load_dword v14, v[4:5], off offset:512
	global_load_dword v11, v[2:3], off offset:512
	s_waitcnt vmcnt(1)
	v_mul_f32_e32 v15, 0x3fb8aa3b, v14
	v_cmp_ngt_f32_e64 s2, 0xc2ce8ed0, v14
	v_rndne_f32_e32 v16, v15
	v_fma_f32 v17, 0x3fb8aa3b, v14, -v15
	v_sub_f32_e32 v15, v15, v16
	v_fmamk_f32 v17, v14, 0x32a5705f, v17
	v_cvt_i32_f32_e32 v16, v16
	v_add_f32_e32 v15, v15, v17
	v_exp_f32_e32 v15, v15
	v_ldexp_f32 v15, v15, v16
	v_cndmask_b32_e64 v15, 0, v15, s2
	v_cmp_nlt_f32_e64 s2, 0x42b17218, v14
	v_cndmask_b32_e64 v14, 0x7f800000, v15, s2
.LBB244_10:
	s_or_b32 exec_lo, exec_lo, s4
	v_or_b32_e32 v6, 0xc0, v6
	v_cmp_gt_i32_e64 s2, s14, v6
	s_and_b32 s3, s3, s2
	s_xor_b32 s3, s3, -1
	s_and_saveexec_b32 s4, s3
	s_xor_b32 s3, exec_lo, s4
; %bb.11:
	s_mov_b32 s4, 0
                                        ; implicit-def: $vgpr2_vgpr3
                                        ; implicit-def: $vgpr4_vgpr5
	v_mov_b32_e32 v10, s4
; %bb.12:
	s_or_saveexec_b32 s4, s3
	v_mov_b32_e32 v6, 1.0
	s_xor_b32 exec_lo, exec_lo, s4
	s_cbranch_execz .LBB244_14
; %bb.13:
	global_load_dword v4, v[4:5], off offset:768
	global_load_dword v10, v[2:3], off offset:768
	s_waitcnt vmcnt(1)
	v_mul_f32_e32 v2, 0x3fb8aa3b, v4
	v_cmp_ngt_f32_e64 s3, 0xc2ce8ed0, v4
	v_rndne_f32_e32 v3, v2
	v_fma_f32 v5, 0x3fb8aa3b, v4, -v2
	v_sub_f32_e32 v2, v2, v3
	v_fmamk_f32 v5, v4, 0x32a5705f, v5
	v_cvt_i32_f32_e32 v3, v3
	v_add_f32_e32 v2, v2, v5
	v_exp_f32_e32 v2, v2
	v_ldexp_f32 v2, v2, v3
	v_cndmask_b32_e64 v2, 0, v2, s3
	v_cmp_nlt_f32_e64 s3, 0x42b17218, v4
	v_cndmask_b32_e64 v6, 0x7f800000, v2, s3
.LBB244_14:
	s_or_b32 exec_lo, exec_lo, s4
	v_mbcnt_lo_u32_b32 v3, -1, 0
	s_waitcnt vmcnt(1)
	v_add_f32_e32 v2, 0, v8
	s_mov_b32 s4, exec_lo
	v_or_b32_e32 v4, 32, v3
	s_waitcnt vmcnt(0)
	v_add_f32_e32 v2, v2, v12
	v_xor_b32_e32 v5, 16, v3
	v_cmp_gt_i32_e64 s3, 64, v4
	v_add_f32_e32 v2, v2, v11
	v_cndmask_b32_e64 v4, v3, v4, s3
	v_add_f32_e32 v2, v2, v10
	v_cmp_gt_i32_e64 s3, 64, v5
	v_lshlrev_b32_e32 v4, 2, v4
	v_cndmask_b32_e64 v5, v3, v5, s3
	ds_bpermute_b32 v4, v4, v2
	v_lshlrev_b32_e32 v5, 2, v5
	s_waitcnt lgkmcnt(0)
	v_add_f32_e32 v2, v2, v4
	ds_bpermute_b32 v4, v5, v2
	v_xor_b32_e32 v5, 8, v3
	v_cmp_gt_i32_e64 s3, 64, v5
	v_cndmask_b32_e64 v5, v3, v5, s3
	v_lshlrev_b32_e32 v5, 2, v5
	s_waitcnt lgkmcnt(0)
	v_add_f32_e32 v2, v2, v4
	ds_bpermute_b32 v4, v5, v2
	v_xor_b32_e32 v5, 4, v3
	v_cmp_gt_i32_e64 s3, 64, v5
	v_cndmask_b32_e64 v5, v3, v5, s3
	;; [unrolled: 7-line block ×4, first 2 shown]
	v_lshlrev_b32_e32 v3, 2, v3
	s_waitcnt lgkmcnt(0)
	v_add_f32_e32 v2, v2, v4
	ds_bpermute_b32 v3, v3, v2
	v_cmpx_lt_i32_e32 0, v9
	s_cbranch_execz .LBB244_20
; %bb.15:
	v_add_co_u32 v0, s3, s8, v0
	v_add_co_ci_u32_e64 v1, null, s9, v1, s3
	s_waitcnt lgkmcnt(0)
	v_add_f32_e32 v2, v2, v3
	s_and_saveexec_b32 s3, vcc_lo
	s_cbranch_execnz .LBB244_21
; %bb.16:
	s_or_b32 exec_lo, exec_lo, s3
	s_and_saveexec_b32 s3, s0
	s_cbranch_execnz .LBB244_22
.LBB244_17:
	s_or_b32 exec_lo, exec_lo, s3
	s_and_saveexec_b32 s0, s1
	s_cbranch_execnz .LBB244_23
.LBB244_18:
	s_or_b32 exec_lo, exec_lo, s0
	s_and_b32 exec_lo, exec_lo, s2
	s_cbranch_execz .LBB244_20
.LBB244_19:
	v_fma_f32 v2, -v2, v6, v10
	global_store_dword v[0:1], v2, off offset:768
.LBB244_20:
	s_endpgm
.LBB244_21:
	v_mul_f32_e32 v3, 0x3fb8aa3b, v7
	v_cmp_ngt_f32_e32 vcc_lo, 0xc2ce8ed0, v7
	v_rndne_f32_e32 v4, v3
	v_fma_f32 v5, 0x3fb8aa3b, v7, -v3
	v_sub_f32_e32 v3, v3, v4
	v_fmamk_f32 v5, v7, 0x32a5705f, v5
	v_cvt_i32_f32_e32 v4, v4
	v_add_f32_e32 v3, v3, v5
	v_exp_f32_e32 v3, v3
	v_ldexp_f32 v3, v3, v4
	v_cndmask_b32_e32 v3, 0, v3, vcc_lo
	v_cmp_nlt_f32_e32 vcc_lo, 0x42b17218, v7
	v_cndmask_b32_e32 v3, 0x7f800000, v3, vcc_lo
	v_fma_f32 v3, -v2, v3, v8
	global_store_dword v[0:1], v3, off
	s_or_b32 exec_lo, exec_lo, s3
	s_and_saveexec_b32 s3, s0
	s_cbranch_execz .LBB244_17
.LBB244_22:
	v_fma_f32 v3, -v2, v13, v12
	global_store_dword v[0:1], v3, off offset:256
	s_or_b32 exec_lo, exec_lo, s3
	s_and_saveexec_b32 s0, s1
	s_cbranch_execz .LBB244_18
.LBB244_23:
	v_fma_f32 v3, -v2, v14, v11
	global_store_dword v[0:1], v3, off offset:512
	s_or_b32 exec_lo, exec_lo, s0
	s_and_b32 exec_lo, exec_lo, s2
	s_cbranch_execnz .LBB244_19
	s_branch .LBB244_20
	.section	.rodata,"a",@progbits
	.p2align	6, 0x0
	.amdhsa_kernel _ZN12_GLOBAL__N_121softmax_warp_backwardIfffLi8ELb1ELb0ELi64EEEvPT0_PKT_S5_iiiPKb
		.amdhsa_group_segment_fixed_size 0
		.amdhsa_private_segment_fixed_size 0
		.amdhsa_kernarg_size 304
		.amdhsa_user_sgpr_count 6
		.amdhsa_user_sgpr_private_segment_buffer 1
		.amdhsa_user_sgpr_dispatch_ptr 0
		.amdhsa_user_sgpr_queue_ptr 0
		.amdhsa_user_sgpr_kernarg_segment_ptr 1
		.amdhsa_user_sgpr_dispatch_id 0
		.amdhsa_user_sgpr_flat_scratch_init 0
		.amdhsa_user_sgpr_private_segment_size 0
		.amdhsa_wavefront_size32 1
		.amdhsa_uses_dynamic_stack 0
		.amdhsa_system_sgpr_private_segment_wavefront_offset 0
		.amdhsa_system_sgpr_workgroup_id_x 1
		.amdhsa_system_sgpr_workgroup_id_y 0
		.amdhsa_system_sgpr_workgroup_id_z 0
		.amdhsa_system_sgpr_workgroup_info 0
		.amdhsa_system_vgpr_workitem_id 1
		.amdhsa_next_free_vgpr 18
		.amdhsa_next_free_sgpr 16
		.amdhsa_reserve_vcc 1
		.amdhsa_reserve_flat_scratch 0
		.amdhsa_float_round_mode_32 0
		.amdhsa_float_round_mode_16_64 0
		.amdhsa_float_denorm_mode_32 3
		.amdhsa_float_denorm_mode_16_64 3
		.amdhsa_dx10_clamp 1
		.amdhsa_ieee_mode 1
		.amdhsa_fp16_overflow 0
		.amdhsa_workgroup_processor_mode 1
		.amdhsa_memory_ordered 1
		.amdhsa_forward_progress 1
		.amdhsa_shared_vgpr_count 0
		.amdhsa_exception_fp_ieee_invalid_op 0
		.amdhsa_exception_fp_denorm_src 0
		.amdhsa_exception_fp_ieee_div_zero 0
		.amdhsa_exception_fp_ieee_overflow 0
		.amdhsa_exception_fp_ieee_underflow 0
		.amdhsa_exception_fp_ieee_inexact 0
		.amdhsa_exception_int_div_zero 0
	.end_amdhsa_kernel
	.section	.text._ZN12_GLOBAL__N_121softmax_warp_backwardIfffLi8ELb1ELb0ELi64EEEvPT0_PKT_S5_iiiPKb,"axG",@progbits,_ZN12_GLOBAL__N_121softmax_warp_backwardIfffLi8ELb1ELb0ELi64EEEvPT0_PKT_S5_iiiPKb,comdat
.Lfunc_end244:
	.size	_ZN12_GLOBAL__N_121softmax_warp_backwardIfffLi8ELb1ELb0ELi64EEEvPT0_PKT_S5_iiiPKb, .Lfunc_end244-_ZN12_GLOBAL__N_121softmax_warp_backwardIfffLi8ELb1ELb0ELi64EEEvPT0_PKT_S5_iiiPKb
                                        ; -- End function
	.set _ZN12_GLOBAL__N_121softmax_warp_backwardIfffLi8ELb1ELb0ELi64EEEvPT0_PKT_S5_iiiPKb.num_vgpr, 18
	.set _ZN12_GLOBAL__N_121softmax_warp_backwardIfffLi8ELb1ELb0ELi64EEEvPT0_PKT_S5_iiiPKb.num_agpr, 0
	.set _ZN12_GLOBAL__N_121softmax_warp_backwardIfffLi8ELb1ELb0ELi64EEEvPT0_PKT_S5_iiiPKb.numbered_sgpr, 16
	.set _ZN12_GLOBAL__N_121softmax_warp_backwardIfffLi8ELb1ELb0ELi64EEEvPT0_PKT_S5_iiiPKb.num_named_barrier, 0
	.set _ZN12_GLOBAL__N_121softmax_warp_backwardIfffLi8ELb1ELb0ELi64EEEvPT0_PKT_S5_iiiPKb.private_seg_size, 0
	.set _ZN12_GLOBAL__N_121softmax_warp_backwardIfffLi8ELb1ELb0ELi64EEEvPT0_PKT_S5_iiiPKb.uses_vcc, 1
	.set _ZN12_GLOBAL__N_121softmax_warp_backwardIfffLi8ELb1ELb0ELi64EEEvPT0_PKT_S5_iiiPKb.uses_flat_scratch, 0
	.set _ZN12_GLOBAL__N_121softmax_warp_backwardIfffLi8ELb1ELb0ELi64EEEvPT0_PKT_S5_iiiPKb.has_dyn_sized_stack, 0
	.set _ZN12_GLOBAL__N_121softmax_warp_backwardIfffLi8ELb1ELb0ELi64EEEvPT0_PKT_S5_iiiPKb.has_recursion, 0
	.set _ZN12_GLOBAL__N_121softmax_warp_backwardIfffLi8ELb1ELb0ELi64EEEvPT0_PKT_S5_iiiPKb.has_indirect_call, 0
	.section	.AMDGPU.csdata,"",@progbits
; Kernel info:
; codeLenInByte = 1240
; TotalNumSgprs: 18
; NumVgprs: 18
; ScratchSize: 0
; MemoryBound: 0
; FloatMode: 240
; IeeeMode: 1
; LDSByteSize: 0 bytes/workgroup (compile time only)
; SGPRBlocks: 0
; VGPRBlocks: 2
; NumSGPRsForWavesPerEU: 18
; NumVGPRsForWavesPerEU: 18
; Occupancy: 16
; WaveLimiterHint : 0
; COMPUTE_PGM_RSRC2:SCRATCH_EN: 0
; COMPUTE_PGM_RSRC2:USER_SGPR: 6
; COMPUTE_PGM_RSRC2:TRAP_HANDLER: 0
; COMPUTE_PGM_RSRC2:TGID_X_EN: 1
; COMPUTE_PGM_RSRC2:TGID_Y_EN: 0
; COMPUTE_PGM_RSRC2:TGID_Z_EN: 0
; COMPUTE_PGM_RSRC2:TIDIG_COMP_CNT: 1
	.section	.text._ZN12_GLOBAL__N_121softmax_warp_backwardIfffLi8ELb1ELb0ELi32EEEvPT0_PKT_S5_iiiPKb,"axG",@progbits,_ZN12_GLOBAL__N_121softmax_warp_backwardIfffLi8ELb1ELb0ELi32EEEvPT0_PKT_S5_iiiPKb,comdat
	.globl	_ZN12_GLOBAL__N_121softmax_warp_backwardIfffLi8ELb1ELb0ELi32EEEvPT0_PKT_S5_iiiPKb ; -- Begin function _ZN12_GLOBAL__N_121softmax_warp_backwardIfffLi8ELb1ELb0ELi32EEEvPT0_PKT_S5_iiiPKb
	.p2align	8
	.type	_ZN12_GLOBAL__N_121softmax_warp_backwardIfffLi8ELb1ELb0ELi32EEEvPT0_PKT_S5_iiiPKb,@function
_ZN12_GLOBAL__N_121softmax_warp_backwardIfffLi8ELb1ELb0ELi32EEEvPT0_PKT_S5_iiiPKb: ; @_ZN12_GLOBAL__N_121softmax_warp_backwardIfffLi8ELb1ELb0ELi32EEEvPT0_PKT_S5_iiiPKb
; %bb.0:
	s_clause 0x1
	s_load_dword s0, s[4:5], 0x3c
	s_load_dwordx4 s[12:15], s[4:5], 0x18
	v_and_b32_e32 v6, 31, v0
	s_clause 0x1
	s_load_dwordx4 s[8:11], s[4:5], 0x0
	s_load_dwordx2 s[4:5], s[4:5], 0x10
	v_mov_b32_e32 v10, 0
	v_mov_b32_e32 v11, 0
	s_waitcnt lgkmcnt(0)
	s_lshr_b32 s0, s0, 16
	v_cmp_gt_i32_e32 vcc_lo, s14, v6
	v_mad_u64_u32 v[1:2], null, s6, s0, v[1:2]
	v_mad_u64_u32 v[2:3], null, v1, s13, v[6:7]
	v_sub_nc_u32_e32 v13, s12, v1
	v_cmp_lt_i32_e64 s3, 0, v13
	v_ashrrev_i32_e32 v3, 31, v2
	s_and_b32 s1, s3, vcc_lo
	v_lshlrev_b64 v[0:1], 2, v[2:3]
	v_add_co_u32 v2, s0, s10, v0
	v_add_co_ci_u32_e64 v3, null, s11, v1, s0
	v_add_co_u32 v4, s0, s4, v0
	v_add_co_ci_u32_e64 v5, null, s5, v1, s0
	s_and_saveexec_b32 s0, s1
	s_cbranch_execz .LBB245_2
; %bb.1:
	global_load_dword v11, v[2:3], off
	global_load_dword v10, v[4:5], off
.LBB245_2:
	s_or_b32 exec_lo, exec_lo, s0
	v_or_b32_e32 v7, 32, v6
	v_cmp_gt_i32_e64 s0, s14, v7
	s_and_b32 s1, s3, s0
	s_xor_b32 s1, s1, -1
	s_and_saveexec_b32 s2, s1
	s_xor_b32 s1, exec_lo, s2
                                        ; implicit-def: $vgpr7
                                        ; implicit-def: $vgpr9
                                        ; implicit-def: $vgpr12
                                        ; implicit-def: $vgpr14
                                        ; implicit-def: $vgpr15
                                        ; implicit-def: $vgpr16
                                        ; implicit-def: $vgpr8
; %bb.3:
	s_mov_b32 s2, 0
                                        ; implicit-def: $vgpr7
                                        ; implicit-def: $vgpr9
                                        ; implicit-def: $vgpr12
                                        ; implicit-def: $vgpr14
                                        ; implicit-def: $vgpr15
                                        ; implicit-def: $vgpr8
	v_mov_b32_e32 v16, s2
; %bb.4:
	s_or_saveexec_b32 s2, s1
	v_mov_b32_e32 v17, 1.0
	s_xor_b32 exec_lo, exec_lo, s2
	s_cbranch_execz .LBB245_6
; %bb.5:
	global_load_dword v17, v[4:5], off offset:128
	global_load_dword v16, v[2:3], off offset:128
	s_waitcnt vmcnt(1)
	v_mul_f32_e32 v18, 0x3fb8aa3b, v17
	v_cmp_ngt_f32_e64 s1, 0xc2ce8ed0, v17
	v_rndne_f32_e32 v19, v18
	v_fma_f32 v20, 0x3fb8aa3b, v17, -v18
	v_sub_f32_e32 v18, v18, v19
	v_fmamk_f32 v20, v17, 0x32a5705f, v20
	v_cvt_i32_f32_e32 v19, v19
	v_add_f32_e32 v18, v18, v20
	v_exp_f32_e32 v18, v18
	v_ldexp_f32 v18, v18, v19
	v_cndmask_b32_e64 v18, 0, v18, s1
	v_cmp_nlt_f32_e64 s1, 0x42b17218, v17
	v_cndmask_b32_e64 v17, 0x7f800000, v18, s1
.LBB245_6:
	s_or_b32 exec_lo, exec_lo, s2
	v_or_b32_e32 v18, 64, v6
	v_cmp_gt_i32_e64 s1, s14, v18
	s_and_b32 s2, s3, s1
	s_xor_b32 s2, s2, -1
	s_and_saveexec_b32 s4, s2
	s_xor_b32 s2, exec_lo, s4
; %bb.7:
	s_mov_b32 s4, 0
	v_mov_b32_e32 v15, s4
; %bb.8:
	s_or_saveexec_b32 s4, s2
	v_mov_b32_e32 v18, 1.0
	s_xor_b32 exec_lo, exec_lo, s4
	s_cbranch_execz .LBB245_10
; %bb.9:
	global_load_dword v18, v[4:5], off offset:256
	global_load_dword v15, v[2:3], off offset:256
	s_waitcnt vmcnt(1)
	v_mul_f32_e32 v19, 0x3fb8aa3b, v18
	v_cmp_ngt_f32_e64 s2, 0xc2ce8ed0, v18
	v_rndne_f32_e32 v20, v19
	v_fma_f32 v21, 0x3fb8aa3b, v18, -v19
	v_sub_f32_e32 v19, v19, v20
	v_fmamk_f32 v21, v18, 0x32a5705f, v21
	v_cvt_i32_f32_e32 v20, v20
	v_add_f32_e32 v19, v19, v21
	v_exp_f32_e32 v19, v19
	v_ldexp_f32 v19, v19, v20
	v_cndmask_b32_e64 v19, 0, v19, s2
	v_cmp_nlt_f32_e64 s2, 0x42b17218, v18
	v_cndmask_b32_e64 v18, 0x7f800000, v19, s2
.LBB245_10:
	s_or_b32 exec_lo, exec_lo, s4
	v_or_b32_e32 v19, 0x60, v6
	v_cmp_gt_i32_e64 s2, s14, v19
	s_and_b32 s4, s3, s2
	s_xor_b32 s4, s4, -1
	s_and_saveexec_b32 s5, s4
	s_xor_b32 s4, exec_lo, s5
; %bb.11:
	s_mov_b32 s5, 0
	;; [unrolled: 33-line block ×6, first 2 shown]
                                        ; implicit-def: $vgpr2_vgpr3
                                        ; implicit-def: $vgpr4_vgpr5
	v_mov_b32_e32 v8, s10
; %bb.28:
	s_or_saveexec_b32 s10, s3
	v_mov_b32_e32 v6, 1.0
	s_xor_b32 exec_lo, exec_lo, s10
	s_cbranch_execz .LBB245_30
; %bb.29:
	global_load_dword v4, v[4:5], off offset:896
	global_load_dword v8, v[2:3], off offset:896
	s_waitcnt vmcnt(1)
	v_mul_f32_e32 v2, 0x3fb8aa3b, v4
	v_cmp_ngt_f32_e64 s3, 0xc2ce8ed0, v4
	v_rndne_f32_e32 v3, v2
	v_fma_f32 v5, 0x3fb8aa3b, v4, -v2
	v_sub_f32_e32 v2, v2, v3
	v_fmamk_f32 v5, v4, 0x32a5705f, v5
	v_cvt_i32_f32_e32 v3, v3
	v_add_f32_e32 v2, v2, v5
	v_exp_f32_e32 v2, v2
	v_ldexp_f32 v2, v2, v3
	v_cndmask_b32_e64 v2, 0, v2, s3
	v_cmp_nlt_f32_e64 s3, 0x42b17218, v4
	v_cndmask_b32_e64 v6, 0x7f800000, v2, s3
.LBB245_30:
	s_or_b32 exec_lo, exec_lo, s10
	s_waitcnt vmcnt(1)
	v_add_f32_e32 v2, 0, v11
	v_mbcnt_lo_u32_b32 v3, -1, 0
	s_mov_b32 s10, exec_lo
	s_waitcnt vmcnt(0)
	v_add_f32_e32 v2, v2, v16
	v_xor_b32_e32 v4, 16, v3
	v_xor_b32_e32 v5, 8, v3
	v_add_f32_e32 v2, v2, v15
	v_cmp_gt_i32_e64 s3, 32, v4
	v_add_f32_e32 v2, v2, v14
	v_cndmask_b32_e64 v4, v3, v4, s3
	v_cmp_gt_i32_e64 s3, 32, v5
	v_add_f32_e32 v2, v2, v12
	v_lshlrev_b32_e32 v4, 2, v4
	v_cndmask_b32_e64 v5, v3, v5, s3
	v_add_f32_e32 v2, v2, v9
	v_lshlrev_b32_e32 v5, 2, v5
	v_add_f32_e32 v2, v2, v7
	v_add_f32_e32 v2, v2, v8
	ds_bpermute_b32 v4, v4, v2
	s_waitcnt lgkmcnt(0)
	v_add_f32_e32 v2, v2, v4
	ds_bpermute_b32 v4, v5, v2
	v_xor_b32_e32 v5, 4, v3
	v_cmp_gt_i32_e64 s3, 32, v5
	v_cndmask_b32_e64 v5, v3, v5, s3
	v_lshlrev_b32_e32 v5, 2, v5
	s_waitcnt lgkmcnt(0)
	v_add_f32_e32 v2, v2, v4
	ds_bpermute_b32 v4, v5, v2
	v_xor_b32_e32 v5, 2, v3
	v_cmp_gt_i32_e64 s3, 32, v5
	v_cndmask_b32_e64 v5, v3, v5, s3
	v_lshlrev_b32_e32 v5, 2, v5
	;; [unrolled: 7-line block ×3, first 2 shown]
	s_waitcnt lgkmcnt(0)
	v_add_f32_e32 v2, v2, v4
	ds_bpermute_b32 v3, v3, v2
	v_cmpx_lt_i32_e32 0, v13
	s_cbranch_execz .LBB245_40
; %bb.31:
	v_add_co_u32 v0, s3, s8, v0
	v_add_co_ci_u32_e64 v1, null, s9, v1, s3
	s_waitcnt lgkmcnt(0)
	v_add_f32_e32 v2, v2, v3
	s_and_saveexec_b32 s3, vcc_lo
	s_cbranch_execnz .LBB245_41
; %bb.32:
	s_or_b32 exec_lo, exec_lo, s3
	s_and_saveexec_b32 s3, s0
	s_cbranch_execnz .LBB245_42
.LBB245_33:
	s_or_b32 exec_lo, exec_lo, s3
	s_and_saveexec_b32 s0, s1
	s_cbranch_execnz .LBB245_43
.LBB245_34:
	s_or_b32 exec_lo, exec_lo, s0
	s_and_saveexec_b32 s0, s2
	s_cbranch_execnz .LBB245_44
.LBB245_35:
	s_or_b32 exec_lo, exec_lo, s0
	s_and_saveexec_b32 s0, s4
	s_cbranch_execnz .LBB245_45
.LBB245_36:
	s_or_b32 exec_lo, exec_lo, s0
	s_and_saveexec_b32 s0, s5
	s_cbranch_execnz .LBB245_46
.LBB245_37:
	s_or_b32 exec_lo, exec_lo, s0
	s_and_saveexec_b32 s0, s6
	s_cbranch_execnz .LBB245_47
.LBB245_38:
	s_or_b32 exec_lo, exec_lo, s0
	s_and_b32 exec_lo, exec_lo, s7
	s_cbranch_execz .LBB245_40
.LBB245_39:
	v_fma_f32 v2, -v2, v6, v8
	global_store_dword v[0:1], v2, off offset:896
.LBB245_40:
	s_endpgm
.LBB245_41:
	v_mul_f32_e32 v3, 0x3fb8aa3b, v10
	v_cmp_ngt_f32_e32 vcc_lo, 0xc2ce8ed0, v10
	v_rndne_f32_e32 v4, v3
	v_fma_f32 v5, 0x3fb8aa3b, v10, -v3
	v_sub_f32_e32 v3, v3, v4
	v_fmamk_f32 v5, v10, 0x32a5705f, v5
	v_cvt_i32_f32_e32 v4, v4
	v_add_f32_e32 v3, v3, v5
	v_exp_f32_e32 v3, v3
	v_ldexp_f32 v3, v3, v4
	v_cndmask_b32_e32 v3, 0, v3, vcc_lo
	v_cmp_nlt_f32_e32 vcc_lo, 0x42b17218, v10
	v_cndmask_b32_e32 v3, 0x7f800000, v3, vcc_lo
	v_fma_f32 v3, -v2, v3, v11
	global_store_dword v[0:1], v3, off
	s_or_b32 exec_lo, exec_lo, s3
	s_and_saveexec_b32 s3, s0
	s_cbranch_execz .LBB245_33
.LBB245_42:
	v_fma_f32 v3, -v2, v17, v16
	global_store_dword v[0:1], v3, off offset:128
	s_or_b32 exec_lo, exec_lo, s3
	s_and_saveexec_b32 s0, s1
	s_cbranch_execz .LBB245_34
.LBB245_43:
	v_fma_f32 v3, -v2, v18, v15
	global_store_dword v[0:1], v3, off offset:256
	s_or_b32 exec_lo, exec_lo, s0
	s_and_saveexec_b32 s0, s2
	s_cbranch_execz .LBB245_35
.LBB245_44:
	v_fma_f32 v3, -v2, v19, v14
	global_store_dword v[0:1], v3, off offset:384
	s_or_b32 exec_lo, exec_lo, s0
	s_and_saveexec_b32 s0, s4
	s_cbranch_execz .LBB245_36
.LBB245_45:
	v_fma_f32 v3, -v2, v20, v12
	global_store_dword v[0:1], v3, off offset:512
	s_or_b32 exec_lo, exec_lo, s0
	s_and_saveexec_b32 s0, s5
	s_cbranch_execz .LBB245_37
.LBB245_46:
	v_fma_f32 v3, -v2, v21, v9
	global_store_dword v[0:1], v3, off offset:640
	s_or_b32 exec_lo, exec_lo, s0
	s_and_saveexec_b32 s0, s6
	s_cbranch_execz .LBB245_38
.LBB245_47:
	v_fma_f32 v3, -v2, v22, v7
	global_store_dword v[0:1], v3, off offset:768
	s_or_b32 exec_lo, exec_lo, s0
	s_and_b32 exec_lo, exec_lo, s7
	s_cbranch_execnz .LBB245_39
	s_branch .LBB245_40
	.section	.rodata,"a",@progbits
	.p2align	6, 0x0
	.amdhsa_kernel _ZN12_GLOBAL__N_121softmax_warp_backwardIfffLi8ELb1ELb0ELi32EEEvPT0_PKT_S5_iiiPKb
		.amdhsa_group_segment_fixed_size 0
		.amdhsa_private_segment_fixed_size 0
		.amdhsa_kernarg_size 304
		.amdhsa_user_sgpr_count 6
		.amdhsa_user_sgpr_private_segment_buffer 1
		.amdhsa_user_sgpr_dispatch_ptr 0
		.amdhsa_user_sgpr_queue_ptr 0
		.amdhsa_user_sgpr_kernarg_segment_ptr 1
		.amdhsa_user_sgpr_dispatch_id 0
		.amdhsa_user_sgpr_flat_scratch_init 0
		.amdhsa_user_sgpr_private_segment_size 0
		.amdhsa_wavefront_size32 1
		.amdhsa_uses_dynamic_stack 0
		.amdhsa_system_sgpr_private_segment_wavefront_offset 0
		.amdhsa_system_sgpr_workgroup_id_x 1
		.amdhsa_system_sgpr_workgroup_id_y 0
		.amdhsa_system_sgpr_workgroup_id_z 0
		.amdhsa_system_sgpr_workgroup_info 0
		.amdhsa_system_vgpr_workitem_id 1
		.amdhsa_next_free_vgpr 26
		.amdhsa_next_free_sgpr 16
		.amdhsa_reserve_vcc 1
		.amdhsa_reserve_flat_scratch 0
		.amdhsa_float_round_mode_32 0
		.amdhsa_float_round_mode_16_64 0
		.amdhsa_float_denorm_mode_32 3
		.amdhsa_float_denorm_mode_16_64 3
		.amdhsa_dx10_clamp 1
		.amdhsa_ieee_mode 1
		.amdhsa_fp16_overflow 0
		.amdhsa_workgroup_processor_mode 1
		.amdhsa_memory_ordered 1
		.amdhsa_forward_progress 1
		.amdhsa_shared_vgpr_count 0
		.amdhsa_exception_fp_ieee_invalid_op 0
		.amdhsa_exception_fp_denorm_src 0
		.amdhsa_exception_fp_ieee_div_zero 0
		.amdhsa_exception_fp_ieee_overflow 0
		.amdhsa_exception_fp_ieee_underflow 0
		.amdhsa_exception_fp_ieee_inexact 0
		.amdhsa_exception_int_div_zero 0
	.end_amdhsa_kernel
	.section	.text._ZN12_GLOBAL__N_121softmax_warp_backwardIfffLi8ELb1ELb0ELi32EEEvPT0_PKT_S5_iiiPKb,"axG",@progbits,_ZN12_GLOBAL__N_121softmax_warp_backwardIfffLi8ELb1ELb0ELi32EEEvPT0_PKT_S5_iiiPKb,comdat
.Lfunc_end245:
	.size	_ZN12_GLOBAL__N_121softmax_warp_backwardIfffLi8ELb1ELb0ELi32EEEvPT0_PKT_S5_iiiPKb, .Lfunc_end245-_ZN12_GLOBAL__N_121softmax_warp_backwardIfffLi8ELb1ELb0ELi32EEEvPT0_PKT_S5_iiiPKb
                                        ; -- End function
	.set _ZN12_GLOBAL__N_121softmax_warp_backwardIfffLi8ELb1ELb0ELi32EEEvPT0_PKT_S5_iiiPKb.num_vgpr, 26
	.set _ZN12_GLOBAL__N_121softmax_warp_backwardIfffLi8ELb1ELb0ELi32EEEvPT0_PKT_S5_iiiPKb.num_agpr, 0
	.set _ZN12_GLOBAL__N_121softmax_warp_backwardIfffLi8ELb1ELb0ELi32EEEvPT0_PKT_S5_iiiPKb.numbered_sgpr, 16
	.set _ZN12_GLOBAL__N_121softmax_warp_backwardIfffLi8ELb1ELb0ELi32EEEvPT0_PKT_S5_iiiPKb.num_named_barrier, 0
	.set _ZN12_GLOBAL__N_121softmax_warp_backwardIfffLi8ELb1ELb0ELi32EEEvPT0_PKT_S5_iiiPKb.private_seg_size, 0
	.set _ZN12_GLOBAL__N_121softmax_warp_backwardIfffLi8ELb1ELb0ELi32EEEvPT0_PKT_S5_iiiPKb.uses_vcc, 1
	.set _ZN12_GLOBAL__N_121softmax_warp_backwardIfffLi8ELb1ELb0ELi32EEEvPT0_PKT_S5_iiiPKb.uses_flat_scratch, 0
	.set _ZN12_GLOBAL__N_121softmax_warp_backwardIfffLi8ELb1ELb0ELi32EEEvPT0_PKT_S5_iiiPKb.has_dyn_sized_stack, 0
	.set _ZN12_GLOBAL__N_121softmax_warp_backwardIfffLi8ELb1ELb0ELi32EEEvPT0_PKT_S5_iiiPKb.has_recursion, 0
	.set _ZN12_GLOBAL__N_121softmax_warp_backwardIfffLi8ELb1ELb0ELi32EEEvPT0_PKT_S5_iiiPKb.has_indirect_call, 0
	.section	.AMDGPU.csdata,"",@progbits
; Kernel info:
; codeLenInByte = 2092
; TotalNumSgprs: 18
; NumVgprs: 26
; ScratchSize: 0
; MemoryBound: 0
; FloatMode: 240
; IeeeMode: 1
; LDSByteSize: 0 bytes/workgroup (compile time only)
; SGPRBlocks: 0
; VGPRBlocks: 3
; NumSGPRsForWavesPerEU: 18
; NumVGPRsForWavesPerEU: 26
; Occupancy: 16
; WaveLimiterHint : 0
; COMPUTE_PGM_RSRC2:SCRATCH_EN: 0
; COMPUTE_PGM_RSRC2:USER_SGPR: 6
; COMPUTE_PGM_RSRC2:TRAP_HANDLER: 0
; COMPUTE_PGM_RSRC2:TGID_X_EN: 1
; COMPUTE_PGM_RSRC2:TGID_Y_EN: 0
; COMPUTE_PGM_RSRC2:TGID_Z_EN: 0
; COMPUTE_PGM_RSRC2:TIDIG_COMP_CNT: 1
	.section	.text._ZN12_GLOBAL__N_121softmax_warp_backwardIfffLi9ELb1ELb0ELi64EEEvPT0_PKT_S5_iiiPKb,"axG",@progbits,_ZN12_GLOBAL__N_121softmax_warp_backwardIfffLi9ELb1ELb0ELi64EEEvPT0_PKT_S5_iiiPKb,comdat
	.globl	_ZN12_GLOBAL__N_121softmax_warp_backwardIfffLi9ELb1ELb0ELi64EEEvPT0_PKT_S5_iiiPKb ; -- Begin function _ZN12_GLOBAL__N_121softmax_warp_backwardIfffLi9ELb1ELb0ELi64EEEvPT0_PKT_S5_iiiPKb
	.p2align	8
	.type	_ZN12_GLOBAL__N_121softmax_warp_backwardIfffLi9ELb1ELb0ELi64EEEvPT0_PKT_S5_iiiPKb,@function
_ZN12_GLOBAL__N_121softmax_warp_backwardIfffLi9ELb1ELb0ELi64EEEvPT0_PKT_S5_iiiPKb: ; @_ZN12_GLOBAL__N_121softmax_warp_backwardIfffLi9ELb1ELb0ELi64EEEvPT0_PKT_S5_iiiPKb
; %bb.0:
	s_clause 0x1
	s_load_dword s0, s[4:5], 0x3c
	s_load_dwordx4 s[12:15], s[4:5], 0x18
	v_and_b32_e32 v6, 63, v0
	s_clause 0x1
	s_load_dwordx4 s[8:11], s[4:5], 0x0
	s_load_dwordx2 s[4:5], s[4:5], 0x10
	v_mov_b32_e32 v10, 0
	v_mov_b32_e32 v11, 0
	s_waitcnt lgkmcnt(0)
	s_lshr_b32 s0, s0, 16
	v_cmp_gt_i32_e32 vcc_lo, s14, v6
	v_mad_u64_u32 v[1:2], null, s6, s0, v[1:2]
	v_mad_u64_u32 v[2:3], null, v1, s13, v[6:7]
	v_sub_nc_u32_e32 v13, s12, v1
	v_cmp_lt_i32_e64 s3, 0, v13
	v_ashrrev_i32_e32 v3, 31, v2
	s_and_b32 s1, s3, vcc_lo
	v_lshlrev_b64 v[0:1], 2, v[2:3]
	v_add_co_u32 v2, s0, s10, v0
	v_add_co_ci_u32_e64 v3, null, s11, v1, s0
	v_add_co_u32 v4, s0, s4, v0
	v_add_co_ci_u32_e64 v5, null, s5, v1, s0
	s_and_saveexec_b32 s0, s1
	s_cbranch_execz .LBB246_2
; %bb.1:
	global_load_dword v11, v[2:3], off
	global_load_dword v10, v[4:5], off
.LBB246_2:
	s_or_b32 exec_lo, exec_lo, s0
	v_or_b32_e32 v7, 64, v6
	v_cmp_gt_i32_e64 s0, s14, v7
	s_and_b32 s1, s3, s0
	s_xor_b32 s1, s1, -1
	s_and_saveexec_b32 s2, s1
	s_xor_b32 s1, exec_lo, s2
                                        ; implicit-def: $vgpr7
                                        ; implicit-def: $vgpr9
                                        ; implicit-def: $vgpr12
                                        ; implicit-def: $vgpr14
                                        ; implicit-def: $vgpr15
                                        ; implicit-def: $vgpr16
                                        ; implicit-def: $vgpr8
; %bb.3:
	s_mov_b32 s2, 0
                                        ; implicit-def: $vgpr7
                                        ; implicit-def: $vgpr9
                                        ; implicit-def: $vgpr12
                                        ; implicit-def: $vgpr14
                                        ; implicit-def: $vgpr15
                                        ; implicit-def: $vgpr8
	v_mov_b32_e32 v16, s2
; %bb.4:
	s_or_saveexec_b32 s2, s1
	v_mov_b32_e32 v17, 1.0
	s_xor_b32 exec_lo, exec_lo, s2
	s_cbranch_execz .LBB246_6
; %bb.5:
	global_load_dword v17, v[4:5], off offset:256
	global_load_dword v16, v[2:3], off offset:256
	s_waitcnt vmcnt(1)
	v_mul_f32_e32 v18, 0x3fb8aa3b, v17
	v_cmp_ngt_f32_e64 s1, 0xc2ce8ed0, v17
	v_rndne_f32_e32 v19, v18
	v_fma_f32 v20, 0x3fb8aa3b, v17, -v18
	v_sub_f32_e32 v18, v18, v19
	v_fmamk_f32 v20, v17, 0x32a5705f, v20
	v_cvt_i32_f32_e32 v19, v19
	v_add_f32_e32 v18, v18, v20
	v_exp_f32_e32 v18, v18
	v_ldexp_f32 v18, v18, v19
	v_cndmask_b32_e64 v18, 0, v18, s1
	v_cmp_nlt_f32_e64 s1, 0x42b17218, v17
	v_cndmask_b32_e64 v17, 0x7f800000, v18, s1
.LBB246_6:
	s_or_b32 exec_lo, exec_lo, s2
	v_or_b32_e32 v18, 0x80, v6
	v_cmp_gt_i32_e64 s1, s14, v18
	s_and_b32 s2, s3, s1
	s_xor_b32 s2, s2, -1
	s_and_saveexec_b32 s4, s2
	s_xor_b32 s2, exec_lo, s4
; %bb.7:
	s_mov_b32 s4, 0
	v_mov_b32_e32 v15, s4
; %bb.8:
	s_or_saveexec_b32 s4, s2
	v_mov_b32_e32 v18, 1.0
	s_xor_b32 exec_lo, exec_lo, s4
	s_cbranch_execz .LBB246_10
; %bb.9:
	global_load_dword v18, v[4:5], off offset:512
	global_load_dword v15, v[2:3], off offset:512
	s_waitcnt vmcnt(1)
	v_mul_f32_e32 v19, 0x3fb8aa3b, v18
	v_cmp_ngt_f32_e64 s2, 0xc2ce8ed0, v18
	v_rndne_f32_e32 v20, v19
	v_fma_f32 v21, 0x3fb8aa3b, v18, -v19
	v_sub_f32_e32 v19, v19, v20
	v_fmamk_f32 v21, v18, 0x32a5705f, v21
	v_cvt_i32_f32_e32 v20, v20
	v_add_f32_e32 v19, v19, v21
	v_exp_f32_e32 v19, v19
	v_ldexp_f32 v19, v19, v20
	v_cndmask_b32_e64 v19, 0, v19, s2
	v_cmp_nlt_f32_e64 s2, 0x42b17218, v18
	v_cndmask_b32_e64 v18, 0x7f800000, v19, s2
.LBB246_10:
	s_or_b32 exec_lo, exec_lo, s4
	v_or_b32_e32 v19, 0xc0, v6
	v_cmp_gt_i32_e64 s2, s14, v19
	s_and_b32 s4, s3, s2
	s_xor_b32 s4, s4, -1
	s_and_saveexec_b32 s5, s4
	s_xor_b32 s4, exec_lo, s5
; %bb.11:
	s_mov_b32 s5, 0
	v_mov_b32_e32 v14, s5
; %bb.12:
	s_or_saveexec_b32 s5, s4
	v_mov_b32_e32 v19, 1.0
	s_xor_b32 exec_lo, exec_lo, s5
	s_cbranch_execz .LBB246_14
; %bb.13:
	global_load_dword v19, v[4:5], off offset:768
	global_load_dword v14, v[2:3], off offset:768
	s_waitcnt vmcnt(1)
	v_mul_f32_e32 v20, 0x3fb8aa3b, v19
	v_cmp_ngt_f32_e64 s4, 0xc2ce8ed0, v19
	v_rndne_f32_e32 v21, v20
	v_fma_f32 v22, 0x3fb8aa3b, v19, -v20
	v_sub_f32_e32 v20, v20, v21
	v_fmamk_f32 v22, v19, 0x32a5705f, v22
	v_cvt_i32_f32_e32 v21, v21
	v_add_f32_e32 v20, v20, v22
	v_exp_f32_e32 v20, v20
	v_ldexp_f32 v20, v20, v21
	v_cndmask_b32_e64 v20, 0, v20, s4
	v_cmp_nlt_f32_e64 s4, 0x42b17218, v19
	v_cndmask_b32_e64 v19, 0x7f800000, v20, s4
.LBB246_14:
	s_or_b32 exec_lo, exec_lo, s5
	v_or_b32_e32 v20, 0x100, v6
	v_cmp_gt_i32_e64 s4, s14, v20
	s_and_b32 s5, s3, s4
	s_xor_b32 s5, s5, -1
	s_and_saveexec_b32 s6, s5
	s_xor_b32 s5, exec_lo, s6
; %bb.15:
	s_mov_b32 s6, 0
	v_mov_b32_e32 v12, s6
; %bb.16:
	s_or_saveexec_b32 s6, s5
	v_mov_b32_e32 v20, 1.0
	s_xor_b32 exec_lo, exec_lo, s6
	s_cbranch_execz .LBB246_18
; %bb.17:
	global_load_dword v20, v[4:5], off offset:1024
	global_load_dword v12, v[2:3], off offset:1024
	s_waitcnt vmcnt(1)
	v_mul_f32_e32 v21, 0x3fb8aa3b, v20
	v_cmp_ngt_f32_e64 s5, 0xc2ce8ed0, v20
	v_rndne_f32_e32 v22, v21
	v_fma_f32 v23, 0x3fb8aa3b, v20, -v21
	v_sub_f32_e32 v21, v21, v22
	v_fmamk_f32 v23, v20, 0x32a5705f, v23
	v_cvt_i32_f32_e32 v22, v22
	v_add_f32_e32 v21, v21, v23
	v_exp_f32_e32 v21, v21
	v_ldexp_f32 v21, v21, v22
	v_cndmask_b32_e64 v21, 0, v21, s5
	v_cmp_nlt_f32_e64 s5, 0x42b17218, v20
	v_cndmask_b32_e64 v20, 0x7f800000, v21, s5
.LBB246_18:
	s_or_b32 exec_lo, exec_lo, s6
	v_or_b32_e32 v21, 0x140, v6
	v_cmp_gt_i32_e64 s5, s14, v21
	s_and_b32 s6, s3, s5
	s_xor_b32 s6, s6, -1
	s_and_saveexec_b32 s7, s6
	s_xor_b32 s6, exec_lo, s7
; %bb.19:
	s_mov_b32 s7, 0
	v_mov_b32_e32 v9, s7
; %bb.20:
	s_or_saveexec_b32 s7, s6
	v_mov_b32_e32 v21, 1.0
	s_xor_b32 exec_lo, exec_lo, s7
	s_cbranch_execz .LBB246_22
; %bb.21:
	global_load_dword v21, v[4:5], off offset:1280
	global_load_dword v9, v[2:3], off offset:1280
	s_waitcnt vmcnt(1)
	v_mul_f32_e32 v22, 0x3fb8aa3b, v21
	v_cmp_ngt_f32_e64 s6, 0xc2ce8ed0, v21
	v_rndne_f32_e32 v23, v22
	v_fma_f32 v24, 0x3fb8aa3b, v21, -v22
	v_sub_f32_e32 v22, v22, v23
	v_fmamk_f32 v24, v21, 0x32a5705f, v24
	v_cvt_i32_f32_e32 v23, v23
	v_add_f32_e32 v22, v22, v24
	v_exp_f32_e32 v22, v22
	v_ldexp_f32 v22, v22, v23
	v_cndmask_b32_e64 v22, 0, v22, s6
	v_cmp_nlt_f32_e64 s6, 0x42b17218, v21
	v_cndmask_b32_e64 v21, 0x7f800000, v22, s6
.LBB246_22:
	s_or_b32 exec_lo, exec_lo, s7
	v_or_b32_e32 v22, 0x180, v6
	v_cmp_gt_i32_e64 s6, s14, v22
	s_and_b32 s7, s3, s6
	s_xor_b32 s7, s7, -1
	s_and_saveexec_b32 s10, s7
	s_xor_b32 s7, exec_lo, s10
; %bb.23:
	s_mov_b32 s10, 0
	v_mov_b32_e32 v7, s10
; %bb.24:
	s_or_saveexec_b32 s10, s7
	v_mov_b32_e32 v22, 1.0
	s_xor_b32 exec_lo, exec_lo, s10
	s_cbranch_execz .LBB246_26
; %bb.25:
	global_load_dword v22, v[4:5], off offset:1536
	global_load_dword v7, v[2:3], off offset:1536
	s_waitcnt vmcnt(1)
	v_mul_f32_e32 v23, 0x3fb8aa3b, v22
	v_cmp_ngt_f32_e64 s7, 0xc2ce8ed0, v22
	v_rndne_f32_e32 v24, v23
	v_fma_f32 v25, 0x3fb8aa3b, v22, -v23
	v_sub_f32_e32 v23, v23, v24
	v_fmamk_f32 v25, v22, 0x32a5705f, v25
	v_cvt_i32_f32_e32 v24, v24
	v_add_f32_e32 v23, v23, v25
	v_exp_f32_e32 v23, v23
	v_ldexp_f32 v23, v23, v24
	v_cndmask_b32_e64 v23, 0, v23, s7
	v_cmp_nlt_f32_e64 s7, 0x42b17218, v22
	v_cndmask_b32_e64 v22, 0x7f800000, v23, s7
.LBB246_26:
	s_or_b32 exec_lo, exec_lo, s10
	v_or_b32_e32 v6, 0x1c0, v6
	v_cmp_gt_i32_e64 s7, s14, v6
	s_and_b32 s3, s3, s7
	s_xor_b32 s3, s3, -1
	s_and_saveexec_b32 s10, s3
	s_xor_b32 s3, exec_lo, s10
; %bb.27:
	s_mov_b32 s10, 0
                                        ; implicit-def: $vgpr2_vgpr3
                                        ; implicit-def: $vgpr4_vgpr5
	v_mov_b32_e32 v8, s10
; %bb.28:
	s_or_saveexec_b32 s10, s3
	v_mov_b32_e32 v6, 1.0
	s_xor_b32 exec_lo, exec_lo, s10
	s_cbranch_execz .LBB246_30
; %bb.29:
	global_load_dword v4, v[4:5], off offset:1792
	global_load_dword v8, v[2:3], off offset:1792
	s_waitcnt vmcnt(1)
	v_mul_f32_e32 v2, 0x3fb8aa3b, v4
	v_cmp_ngt_f32_e64 s3, 0xc2ce8ed0, v4
	v_rndne_f32_e32 v3, v2
	v_fma_f32 v5, 0x3fb8aa3b, v4, -v2
	v_sub_f32_e32 v2, v2, v3
	v_fmamk_f32 v5, v4, 0x32a5705f, v5
	v_cvt_i32_f32_e32 v3, v3
	v_add_f32_e32 v2, v2, v5
	v_exp_f32_e32 v2, v2
	v_ldexp_f32 v2, v2, v3
	v_cndmask_b32_e64 v2, 0, v2, s3
	v_cmp_nlt_f32_e64 s3, 0x42b17218, v4
	v_cndmask_b32_e64 v6, 0x7f800000, v2, s3
.LBB246_30:
	s_or_b32 exec_lo, exec_lo, s10
	s_waitcnt vmcnt(1)
	v_add_f32_e32 v2, 0, v11
	v_mbcnt_lo_u32_b32 v3, -1, 0
	s_mov_b32 s10, exec_lo
	s_waitcnt vmcnt(0)
	v_add_f32_e32 v2, v2, v16
	v_or_b32_e32 v4, 32, v3
	v_xor_b32_e32 v5, 16, v3
	v_add_f32_e32 v2, v2, v15
	v_cmp_gt_i32_e64 s3, 64, v4
	v_add_f32_e32 v2, v2, v14
	v_cndmask_b32_e64 v4, v3, v4, s3
	v_cmp_gt_i32_e64 s3, 64, v5
	v_add_f32_e32 v2, v2, v12
	v_lshlrev_b32_e32 v4, 2, v4
	v_cndmask_b32_e64 v5, v3, v5, s3
	v_add_f32_e32 v2, v2, v9
	v_lshlrev_b32_e32 v5, 2, v5
	v_add_f32_e32 v2, v2, v7
	v_add_f32_e32 v2, v2, v8
	ds_bpermute_b32 v4, v4, v2
	s_waitcnt lgkmcnt(0)
	v_add_f32_e32 v2, v2, v4
	ds_bpermute_b32 v4, v5, v2
	v_xor_b32_e32 v5, 8, v3
	v_cmp_gt_i32_e64 s3, 64, v5
	v_cndmask_b32_e64 v5, v3, v5, s3
	v_lshlrev_b32_e32 v5, 2, v5
	s_waitcnt lgkmcnt(0)
	v_add_f32_e32 v2, v2, v4
	ds_bpermute_b32 v4, v5, v2
	v_xor_b32_e32 v5, 4, v3
	v_cmp_gt_i32_e64 s3, 64, v5
	v_cndmask_b32_e64 v5, v3, v5, s3
	v_lshlrev_b32_e32 v5, 2, v5
	;; [unrolled: 7-line block ×4, first 2 shown]
	s_waitcnt lgkmcnt(0)
	v_add_f32_e32 v2, v2, v4
	ds_bpermute_b32 v3, v3, v2
	v_cmpx_lt_i32_e32 0, v13
	s_cbranch_execz .LBB246_40
; %bb.31:
	v_add_co_u32 v0, s3, s8, v0
	v_add_co_ci_u32_e64 v1, null, s9, v1, s3
	s_waitcnt lgkmcnt(0)
	v_add_f32_e32 v2, v2, v3
	s_and_saveexec_b32 s3, vcc_lo
	s_cbranch_execnz .LBB246_41
; %bb.32:
	s_or_b32 exec_lo, exec_lo, s3
	s_and_saveexec_b32 s3, s0
	s_cbranch_execnz .LBB246_42
.LBB246_33:
	s_or_b32 exec_lo, exec_lo, s3
	s_and_saveexec_b32 s0, s1
	s_cbranch_execnz .LBB246_43
.LBB246_34:
	s_or_b32 exec_lo, exec_lo, s0
	s_and_saveexec_b32 s0, s2
	s_cbranch_execnz .LBB246_44
.LBB246_35:
	s_or_b32 exec_lo, exec_lo, s0
	s_and_saveexec_b32 s0, s4
	s_cbranch_execnz .LBB246_45
.LBB246_36:
	s_or_b32 exec_lo, exec_lo, s0
	s_and_saveexec_b32 s0, s5
	s_cbranch_execnz .LBB246_46
.LBB246_37:
	s_or_b32 exec_lo, exec_lo, s0
	s_and_saveexec_b32 s0, s6
	s_cbranch_execnz .LBB246_47
.LBB246_38:
	s_or_b32 exec_lo, exec_lo, s0
	s_and_b32 exec_lo, exec_lo, s7
	s_cbranch_execz .LBB246_40
.LBB246_39:
	v_fma_f32 v2, -v2, v6, v8
	global_store_dword v[0:1], v2, off offset:1792
.LBB246_40:
	s_endpgm
.LBB246_41:
	v_mul_f32_e32 v3, 0x3fb8aa3b, v10
	v_cmp_ngt_f32_e32 vcc_lo, 0xc2ce8ed0, v10
	v_rndne_f32_e32 v4, v3
	v_fma_f32 v5, 0x3fb8aa3b, v10, -v3
	v_sub_f32_e32 v3, v3, v4
	v_fmamk_f32 v5, v10, 0x32a5705f, v5
	v_cvt_i32_f32_e32 v4, v4
	v_add_f32_e32 v3, v3, v5
	v_exp_f32_e32 v3, v3
	v_ldexp_f32 v3, v3, v4
	v_cndmask_b32_e32 v3, 0, v3, vcc_lo
	v_cmp_nlt_f32_e32 vcc_lo, 0x42b17218, v10
	v_cndmask_b32_e32 v3, 0x7f800000, v3, vcc_lo
	v_fma_f32 v3, -v2, v3, v11
	global_store_dword v[0:1], v3, off
	s_or_b32 exec_lo, exec_lo, s3
	s_and_saveexec_b32 s3, s0
	s_cbranch_execz .LBB246_33
.LBB246_42:
	v_fma_f32 v3, -v2, v17, v16
	global_store_dword v[0:1], v3, off offset:256
	s_or_b32 exec_lo, exec_lo, s3
	s_and_saveexec_b32 s0, s1
	s_cbranch_execz .LBB246_34
.LBB246_43:
	v_fma_f32 v3, -v2, v18, v15
	global_store_dword v[0:1], v3, off offset:512
	s_or_b32 exec_lo, exec_lo, s0
	s_and_saveexec_b32 s0, s2
	s_cbranch_execz .LBB246_35
.LBB246_44:
	v_fma_f32 v3, -v2, v19, v14
	global_store_dword v[0:1], v3, off offset:768
	s_or_b32 exec_lo, exec_lo, s0
	s_and_saveexec_b32 s0, s4
	s_cbranch_execz .LBB246_36
.LBB246_45:
	v_fma_f32 v3, -v2, v20, v12
	global_store_dword v[0:1], v3, off offset:1024
	s_or_b32 exec_lo, exec_lo, s0
	s_and_saveexec_b32 s0, s5
	s_cbranch_execz .LBB246_37
.LBB246_46:
	v_fma_f32 v3, -v2, v21, v9
	global_store_dword v[0:1], v3, off offset:1280
	s_or_b32 exec_lo, exec_lo, s0
	s_and_saveexec_b32 s0, s6
	s_cbranch_execz .LBB246_38
.LBB246_47:
	v_fma_f32 v3, -v2, v22, v7
	global_store_dword v[0:1], v3, off offset:1536
	s_or_b32 exec_lo, exec_lo, s0
	s_and_b32 exec_lo, exec_lo, s7
	s_cbranch_execnz .LBB246_39
	s_branch .LBB246_40
	.section	.rodata,"a",@progbits
	.p2align	6, 0x0
	.amdhsa_kernel _ZN12_GLOBAL__N_121softmax_warp_backwardIfffLi9ELb1ELb0ELi64EEEvPT0_PKT_S5_iiiPKb
		.amdhsa_group_segment_fixed_size 0
		.amdhsa_private_segment_fixed_size 0
		.amdhsa_kernarg_size 304
		.amdhsa_user_sgpr_count 6
		.amdhsa_user_sgpr_private_segment_buffer 1
		.amdhsa_user_sgpr_dispatch_ptr 0
		.amdhsa_user_sgpr_queue_ptr 0
		.amdhsa_user_sgpr_kernarg_segment_ptr 1
		.amdhsa_user_sgpr_dispatch_id 0
		.amdhsa_user_sgpr_flat_scratch_init 0
		.amdhsa_user_sgpr_private_segment_size 0
		.amdhsa_wavefront_size32 1
		.amdhsa_uses_dynamic_stack 0
		.amdhsa_system_sgpr_private_segment_wavefront_offset 0
		.amdhsa_system_sgpr_workgroup_id_x 1
		.amdhsa_system_sgpr_workgroup_id_y 0
		.amdhsa_system_sgpr_workgroup_id_z 0
		.amdhsa_system_sgpr_workgroup_info 0
		.amdhsa_system_vgpr_workitem_id 1
		.amdhsa_next_free_vgpr 26
		.amdhsa_next_free_sgpr 16
		.amdhsa_reserve_vcc 1
		.amdhsa_reserve_flat_scratch 0
		.amdhsa_float_round_mode_32 0
		.amdhsa_float_round_mode_16_64 0
		.amdhsa_float_denorm_mode_32 3
		.amdhsa_float_denorm_mode_16_64 3
		.amdhsa_dx10_clamp 1
		.amdhsa_ieee_mode 1
		.amdhsa_fp16_overflow 0
		.amdhsa_workgroup_processor_mode 1
		.amdhsa_memory_ordered 1
		.amdhsa_forward_progress 1
		.amdhsa_shared_vgpr_count 0
		.amdhsa_exception_fp_ieee_invalid_op 0
		.amdhsa_exception_fp_denorm_src 0
		.amdhsa_exception_fp_ieee_div_zero 0
		.amdhsa_exception_fp_ieee_overflow 0
		.amdhsa_exception_fp_ieee_underflow 0
		.amdhsa_exception_fp_ieee_inexact 0
		.amdhsa_exception_int_div_zero 0
	.end_amdhsa_kernel
	.section	.text._ZN12_GLOBAL__N_121softmax_warp_backwardIfffLi9ELb1ELb0ELi64EEEvPT0_PKT_S5_iiiPKb,"axG",@progbits,_ZN12_GLOBAL__N_121softmax_warp_backwardIfffLi9ELb1ELb0ELi64EEEvPT0_PKT_S5_iiiPKb,comdat
.Lfunc_end246:
	.size	_ZN12_GLOBAL__N_121softmax_warp_backwardIfffLi9ELb1ELb0ELi64EEEvPT0_PKT_S5_iiiPKb, .Lfunc_end246-_ZN12_GLOBAL__N_121softmax_warp_backwardIfffLi9ELb1ELb0ELi64EEEvPT0_PKT_S5_iiiPKb
                                        ; -- End function
	.set _ZN12_GLOBAL__N_121softmax_warp_backwardIfffLi9ELb1ELb0ELi64EEEvPT0_PKT_S5_iiiPKb.num_vgpr, 26
	.set _ZN12_GLOBAL__N_121softmax_warp_backwardIfffLi9ELb1ELb0ELi64EEEvPT0_PKT_S5_iiiPKb.num_agpr, 0
	.set _ZN12_GLOBAL__N_121softmax_warp_backwardIfffLi9ELb1ELb0ELi64EEEvPT0_PKT_S5_iiiPKb.numbered_sgpr, 16
	.set _ZN12_GLOBAL__N_121softmax_warp_backwardIfffLi9ELb1ELb0ELi64EEEvPT0_PKT_S5_iiiPKb.num_named_barrier, 0
	.set _ZN12_GLOBAL__N_121softmax_warp_backwardIfffLi9ELb1ELb0ELi64EEEvPT0_PKT_S5_iiiPKb.private_seg_size, 0
	.set _ZN12_GLOBAL__N_121softmax_warp_backwardIfffLi9ELb1ELb0ELi64EEEvPT0_PKT_S5_iiiPKb.uses_vcc, 1
	.set _ZN12_GLOBAL__N_121softmax_warp_backwardIfffLi9ELb1ELb0ELi64EEEvPT0_PKT_S5_iiiPKb.uses_flat_scratch, 0
	.set _ZN12_GLOBAL__N_121softmax_warp_backwardIfffLi9ELb1ELb0ELi64EEEvPT0_PKT_S5_iiiPKb.has_dyn_sized_stack, 0
	.set _ZN12_GLOBAL__N_121softmax_warp_backwardIfffLi9ELb1ELb0ELi64EEEvPT0_PKT_S5_iiiPKb.has_recursion, 0
	.set _ZN12_GLOBAL__N_121softmax_warp_backwardIfffLi9ELb1ELb0ELi64EEEvPT0_PKT_S5_iiiPKb.has_indirect_call, 0
	.section	.AMDGPU.csdata,"",@progbits
; Kernel info:
; codeLenInByte = 2136
; TotalNumSgprs: 18
; NumVgprs: 26
; ScratchSize: 0
; MemoryBound: 0
; FloatMode: 240
; IeeeMode: 1
; LDSByteSize: 0 bytes/workgroup (compile time only)
; SGPRBlocks: 0
; VGPRBlocks: 3
; NumSGPRsForWavesPerEU: 18
; NumVGPRsForWavesPerEU: 26
; Occupancy: 16
; WaveLimiterHint : 0
; COMPUTE_PGM_RSRC2:SCRATCH_EN: 0
; COMPUTE_PGM_RSRC2:USER_SGPR: 6
; COMPUTE_PGM_RSRC2:TRAP_HANDLER: 0
; COMPUTE_PGM_RSRC2:TGID_X_EN: 1
; COMPUTE_PGM_RSRC2:TGID_Y_EN: 0
; COMPUTE_PGM_RSRC2:TGID_Z_EN: 0
; COMPUTE_PGM_RSRC2:TIDIG_COMP_CNT: 1
	.section	.text._ZN12_GLOBAL__N_121softmax_warp_backwardIfffLi9ELb1ELb0ELi32EEEvPT0_PKT_S5_iiiPKb,"axG",@progbits,_ZN12_GLOBAL__N_121softmax_warp_backwardIfffLi9ELb1ELb0ELi32EEEvPT0_PKT_S5_iiiPKb,comdat
	.globl	_ZN12_GLOBAL__N_121softmax_warp_backwardIfffLi9ELb1ELb0ELi32EEEvPT0_PKT_S5_iiiPKb ; -- Begin function _ZN12_GLOBAL__N_121softmax_warp_backwardIfffLi9ELb1ELb0ELi32EEEvPT0_PKT_S5_iiiPKb
	.p2align	8
	.type	_ZN12_GLOBAL__N_121softmax_warp_backwardIfffLi9ELb1ELb0ELi32EEEvPT0_PKT_S5_iiiPKb,@function
_ZN12_GLOBAL__N_121softmax_warp_backwardIfffLi9ELb1ELb0ELi32EEEvPT0_PKT_S5_iiiPKb: ; @_ZN12_GLOBAL__N_121softmax_warp_backwardIfffLi9ELb1ELb0ELi32EEEvPT0_PKT_S5_iiiPKb
; %bb.0:
	s_clause 0x1
	s_load_dword s0, s[4:5], 0x3c
	s_load_dwordx4 s[20:23], s[4:5], 0x18
	v_and_b32_e32 v6, 31, v0
	s_clause 0x1
	s_load_dwordx4 s[16:19], s[4:5], 0x0
	s_load_dwordx2 s[4:5], s[4:5], 0x10
	v_mov_b32_e32 v17, 0
	v_mov_b32_e32 v18, 0
	s_waitcnt lgkmcnt(0)
	s_lshr_b32 s0, s0, 16
	v_cmp_gt_i32_e32 vcc_lo, s22, v6
	v_mad_u64_u32 v[1:2], null, s6, s0, v[1:2]
	v_mad_u64_u32 v[2:3], null, v1, s21, v[6:7]
	v_sub_nc_u32_e32 v20, s20, v1
	v_cmp_lt_i32_e64 s3, 0, v20
	v_ashrrev_i32_e32 v3, 31, v2
	s_and_b32 s1, s3, vcc_lo
	v_lshlrev_b64 v[0:1], 2, v[2:3]
	v_add_co_u32 v2, s0, s18, v0
	v_add_co_ci_u32_e64 v3, null, s19, v1, s0
	v_add_co_u32 v4, s0, s4, v0
	v_add_co_ci_u32_e64 v5, null, s5, v1, s0
	s_and_saveexec_b32 s0, s1
	s_cbranch_execz .LBB247_2
; %bb.1:
	global_load_dword v18, v[2:3], off
	global_load_dword v17, v[4:5], off
.LBB247_2:
	s_or_b32 exec_lo, exec_lo, s0
	v_or_b32_e32 v7, 32, v6
	v_cmp_gt_i32_e64 s0, s22, v7
	s_and_b32 s1, s3, s0
	s_xor_b32 s1, s1, -1
	s_and_saveexec_b32 s2, s1
	s_xor_b32 s1, exec_lo, s2
                                        ; implicit-def: $vgpr7
                                        ; implicit-def: $vgpr8
                                        ; implicit-def: $vgpr10
                                        ; implicit-def: $vgpr11
                                        ; implicit-def: $vgpr12
                                        ; implicit-def: $vgpr13
                                        ; implicit-def: $vgpr14
                                        ; implicit-def: $vgpr15
                                        ; implicit-def: $vgpr16
                                        ; implicit-def: $vgpr19
                                        ; implicit-def: $vgpr21
                                        ; implicit-def: $vgpr22
                                        ; implicit-def: $vgpr24
                                        ; implicit-def: $vgpr23
                                        ; implicit-def: $vgpr9
; %bb.3:
	s_mov_b32 s2, 0
                                        ; implicit-def: $vgpr7
                                        ; implicit-def: $vgpr8
                                        ; implicit-def: $vgpr10
                                        ; implicit-def: $vgpr11
                                        ; implicit-def: $vgpr12
                                        ; implicit-def: $vgpr13
                                        ; implicit-def: $vgpr14
                                        ; implicit-def: $vgpr15
                                        ; implicit-def: $vgpr16
                                        ; implicit-def: $vgpr19
                                        ; implicit-def: $vgpr21
                                        ; implicit-def: $vgpr22
                                        ; implicit-def: $vgpr24
                                        ; implicit-def: $vgpr9
	v_mov_b32_e32 v23, s2
; %bb.4:
	s_or_saveexec_b32 s2, s1
	v_mov_b32_e32 v25, 1.0
	s_xor_b32 exec_lo, exec_lo, s2
	s_cbranch_execz .LBB247_6
; %bb.5:
	global_load_dword v25, v[4:5], off offset:128
	global_load_dword v23, v[2:3], off offset:128
	s_waitcnt vmcnt(1)
	v_mul_f32_e32 v26, 0x3fb8aa3b, v25
	v_cmp_ngt_f32_e64 s1, 0xc2ce8ed0, v25
	v_rndne_f32_e32 v27, v26
	v_fma_f32 v28, 0x3fb8aa3b, v25, -v26
	v_sub_f32_e32 v26, v26, v27
	v_fmamk_f32 v28, v25, 0x32a5705f, v28
	v_cvt_i32_f32_e32 v27, v27
	v_add_f32_e32 v26, v26, v28
	v_exp_f32_e32 v26, v26
	v_ldexp_f32 v26, v26, v27
	v_cndmask_b32_e64 v26, 0, v26, s1
	v_cmp_nlt_f32_e64 s1, 0x42b17218, v25
	v_cndmask_b32_e64 v25, 0x7f800000, v26, s1
.LBB247_6:
	s_or_b32 exec_lo, exec_lo, s2
	v_or_b32_e32 v26, 64, v6
	v_cmp_gt_i32_e64 s1, s22, v26
	s_and_b32 s2, s3, s1
	s_xor_b32 s2, s2, -1
	s_and_saveexec_b32 s4, s2
	s_xor_b32 s2, exec_lo, s4
; %bb.7:
	s_mov_b32 s4, 0
	v_mov_b32_e32 v24, s4
; %bb.8:
	s_or_saveexec_b32 s4, s2
	v_mov_b32_e32 v26, 1.0
	s_xor_b32 exec_lo, exec_lo, s4
	s_cbranch_execz .LBB247_10
; %bb.9:
	global_load_dword v26, v[4:5], off offset:256
	global_load_dword v24, v[2:3], off offset:256
	s_waitcnt vmcnt(1)
	v_mul_f32_e32 v27, 0x3fb8aa3b, v26
	v_cmp_ngt_f32_e64 s2, 0xc2ce8ed0, v26
	v_rndne_f32_e32 v28, v27
	v_fma_f32 v29, 0x3fb8aa3b, v26, -v27
	v_sub_f32_e32 v27, v27, v28
	v_fmamk_f32 v29, v26, 0x32a5705f, v29
	v_cvt_i32_f32_e32 v28, v28
	v_add_f32_e32 v27, v27, v29
	v_exp_f32_e32 v27, v27
	v_ldexp_f32 v27, v27, v28
	v_cndmask_b32_e64 v27, 0, v27, s2
	v_cmp_nlt_f32_e64 s2, 0x42b17218, v26
	v_cndmask_b32_e64 v26, 0x7f800000, v27, s2
.LBB247_10:
	s_or_b32 exec_lo, exec_lo, s4
	v_or_b32_e32 v27, 0x60, v6
	v_cmp_gt_i32_e64 s2, s22, v27
	s_and_b32 s4, s3, s2
	s_xor_b32 s4, s4, -1
	s_and_saveexec_b32 s5, s4
	s_xor_b32 s4, exec_lo, s5
; %bb.11:
	s_mov_b32 s5, 0
	;; [unrolled: 33-line block ×14, first 2 shown]
                                        ; implicit-def: $vgpr2_vgpr3
                                        ; implicit-def: $vgpr4_vgpr5
	v_mov_b32_e32 v9, s18
; %bb.60:
	s_or_saveexec_b32 s18, s3
	v_mov_b32_e32 v6, 1.0
	s_xor_b32 exec_lo, exec_lo, s18
	s_cbranch_execz .LBB247_62
; %bb.61:
	global_load_dword v4, v[4:5], off offset:1920
	global_load_dword v9, v[2:3], off offset:1920
	s_waitcnt vmcnt(1)
	v_mul_f32_e32 v2, 0x3fb8aa3b, v4
	v_cmp_ngt_f32_e64 s3, 0xc2ce8ed0, v4
	v_rndne_f32_e32 v3, v2
	v_fma_f32 v5, 0x3fb8aa3b, v4, -v2
	v_sub_f32_e32 v2, v2, v3
	v_fmamk_f32 v5, v4, 0x32a5705f, v5
	v_cvt_i32_f32_e32 v3, v3
	v_add_f32_e32 v2, v2, v5
	v_exp_f32_e32 v2, v2
	v_ldexp_f32 v2, v2, v3
	v_cndmask_b32_e64 v2, 0, v2, s3
	v_cmp_nlt_f32_e64 s3, 0x42b17218, v4
	v_cndmask_b32_e64 v6, 0x7f800000, v2, s3
.LBB247_62:
	s_or_b32 exec_lo, exec_lo, s18
	s_waitcnt vmcnt(1)
	v_add_f32_e32 v2, 0, v18
	v_mbcnt_lo_u32_b32 v3, -1, 0
	s_mov_b32 s18, exec_lo
	s_waitcnt vmcnt(0)
	v_add_f32_e32 v2, v2, v23
	v_xor_b32_e32 v4, 16, v3
	v_xor_b32_e32 v5, 8, v3
	v_add_f32_e32 v2, v2, v24
	v_cmp_gt_i32_e64 s3, 32, v4
	v_add_f32_e32 v2, v2, v22
	v_cndmask_b32_e64 v4, v3, v4, s3
	v_cmp_gt_i32_e64 s3, 32, v5
	v_add_f32_e32 v2, v2, v21
	v_lshlrev_b32_e32 v4, 2, v4
	v_cndmask_b32_e64 v5, v3, v5, s3
	v_add_f32_e32 v2, v2, v19
	v_lshlrev_b32_e32 v5, 2, v5
	v_add_f32_e32 v2, v2, v16
	v_add_f32_e32 v2, v2, v15
	;; [unrolled: 1-line block ×10, first 2 shown]
	ds_bpermute_b32 v4, v4, v2
	s_waitcnt lgkmcnt(0)
	v_add_f32_e32 v2, v2, v4
	ds_bpermute_b32 v4, v5, v2
	v_xor_b32_e32 v5, 4, v3
	v_cmp_gt_i32_e64 s3, 32, v5
	v_cndmask_b32_e64 v5, v3, v5, s3
	v_lshlrev_b32_e32 v5, 2, v5
	s_waitcnt lgkmcnt(0)
	v_add_f32_e32 v2, v2, v4
	ds_bpermute_b32 v4, v5, v2
	v_xor_b32_e32 v5, 2, v3
	v_cmp_gt_i32_e64 s3, 32, v5
	v_cndmask_b32_e64 v5, v3, v5, s3
	v_lshlrev_b32_e32 v5, 2, v5
	;; [unrolled: 7-line block ×3, first 2 shown]
	s_waitcnt lgkmcnt(0)
	v_add_f32_e32 v2, v2, v4
	ds_bpermute_b32 v3, v3, v2
	v_cmpx_lt_i32_e32 0, v20
	s_cbranch_execz .LBB247_80
; %bb.63:
	v_add_co_u32 v0, s3, s16, v0
	v_add_co_ci_u32_e64 v1, null, s17, v1, s3
	s_waitcnt lgkmcnt(0)
	v_add_f32_e32 v2, v2, v3
	s_and_saveexec_b32 s3, vcc_lo
	s_cbranch_execnz .LBB247_81
; %bb.64:
	s_or_b32 exec_lo, exec_lo, s3
	s_and_saveexec_b32 s3, s0
	s_cbranch_execnz .LBB247_82
.LBB247_65:
	s_or_b32 exec_lo, exec_lo, s3
	s_and_saveexec_b32 s0, s1
	s_cbranch_execnz .LBB247_83
.LBB247_66:
	s_or_b32 exec_lo, exec_lo, s0
	s_and_saveexec_b32 s0, s2
	s_cbranch_execnz .LBB247_84
.LBB247_67:
	s_or_b32 exec_lo, exec_lo, s0
	s_and_saveexec_b32 s0, s4
	s_cbranch_execnz .LBB247_85
.LBB247_68:
	s_or_b32 exec_lo, exec_lo, s0
	s_and_saveexec_b32 s0, s5
	s_cbranch_execnz .LBB247_86
.LBB247_69:
	s_or_b32 exec_lo, exec_lo, s0
	s_and_saveexec_b32 s0, s6
	s_cbranch_execnz .LBB247_87
.LBB247_70:
	s_or_b32 exec_lo, exec_lo, s0
	s_and_saveexec_b32 s0, s7
	s_cbranch_execnz .LBB247_88
.LBB247_71:
	s_or_b32 exec_lo, exec_lo, s0
	s_and_saveexec_b32 s0, s8
	s_cbranch_execnz .LBB247_89
.LBB247_72:
	s_or_b32 exec_lo, exec_lo, s0
	s_and_saveexec_b32 s0, s9
	s_cbranch_execnz .LBB247_90
.LBB247_73:
	s_or_b32 exec_lo, exec_lo, s0
	s_and_saveexec_b32 s0, s10
	s_cbranch_execnz .LBB247_91
.LBB247_74:
	s_or_b32 exec_lo, exec_lo, s0
	s_and_saveexec_b32 s0, s11
	s_cbranch_execnz .LBB247_92
.LBB247_75:
	s_or_b32 exec_lo, exec_lo, s0
	s_and_saveexec_b32 s0, s12
	s_cbranch_execnz .LBB247_93
.LBB247_76:
	s_or_b32 exec_lo, exec_lo, s0
	s_and_saveexec_b32 s0, s13
	s_cbranch_execnz .LBB247_94
.LBB247_77:
	s_or_b32 exec_lo, exec_lo, s0
	s_and_saveexec_b32 s0, s14
	s_cbranch_execnz .LBB247_95
.LBB247_78:
	s_or_b32 exec_lo, exec_lo, s0
	s_and_b32 exec_lo, exec_lo, s15
	s_cbranch_execz .LBB247_80
.LBB247_79:
	v_fma_f32 v2, -v2, v6, v9
	global_store_dword v[0:1], v2, off offset:1920
.LBB247_80:
	s_endpgm
.LBB247_81:
	v_mul_f32_e32 v3, 0x3fb8aa3b, v17
	v_cmp_ngt_f32_e32 vcc_lo, 0xc2ce8ed0, v17
	v_rndne_f32_e32 v4, v3
	v_fma_f32 v5, 0x3fb8aa3b, v17, -v3
	v_sub_f32_e32 v3, v3, v4
	v_fmamk_f32 v5, v17, 0x32a5705f, v5
	v_cvt_i32_f32_e32 v4, v4
	v_add_f32_e32 v3, v3, v5
	v_exp_f32_e32 v3, v3
	v_ldexp_f32 v3, v3, v4
	v_cndmask_b32_e32 v3, 0, v3, vcc_lo
	v_cmp_nlt_f32_e32 vcc_lo, 0x42b17218, v17
	v_cndmask_b32_e32 v3, 0x7f800000, v3, vcc_lo
	v_fma_f32 v3, -v2, v3, v18
	global_store_dword v[0:1], v3, off
	s_or_b32 exec_lo, exec_lo, s3
	s_and_saveexec_b32 s3, s0
	s_cbranch_execz .LBB247_65
.LBB247_82:
	v_fma_f32 v3, -v2, v25, v23
	global_store_dword v[0:1], v3, off offset:128
	s_or_b32 exec_lo, exec_lo, s3
	s_and_saveexec_b32 s0, s1
	s_cbranch_execz .LBB247_66
.LBB247_83:
	v_fma_f32 v3, -v2, v26, v24
	global_store_dword v[0:1], v3, off offset:256
	s_or_b32 exec_lo, exec_lo, s0
	s_and_saveexec_b32 s0, s2
	s_cbranch_execz .LBB247_67
.LBB247_84:
	v_fma_f32 v3, -v2, v27, v22
	global_store_dword v[0:1], v3, off offset:384
	s_or_b32 exec_lo, exec_lo, s0
	s_and_saveexec_b32 s0, s4
	s_cbranch_execz .LBB247_68
.LBB247_85:
	v_fma_f32 v3, -v2, v28, v21
	global_store_dword v[0:1], v3, off offset:512
	s_or_b32 exec_lo, exec_lo, s0
	s_and_saveexec_b32 s0, s5
	s_cbranch_execz .LBB247_69
.LBB247_86:
	v_fma_f32 v3, -v2, v29, v19
	global_store_dword v[0:1], v3, off offset:640
	s_or_b32 exec_lo, exec_lo, s0
	s_and_saveexec_b32 s0, s6
	s_cbranch_execz .LBB247_70
.LBB247_87:
	v_fma_f32 v3, -v2, v30, v16
	global_store_dword v[0:1], v3, off offset:768
	s_or_b32 exec_lo, exec_lo, s0
	s_and_saveexec_b32 s0, s7
	s_cbranch_execz .LBB247_71
.LBB247_88:
	v_fma_f32 v3, -v2, v31, v15
	global_store_dword v[0:1], v3, off offset:896
	s_or_b32 exec_lo, exec_lo, s0
	s_and_saveexec_b32 s0, s8
	s_cbranch_execz .LBB247_72
.LBB247_89:
	v_fma_f32 v3, -v2, v32, v14
	global_store_dword v[0:1], v3, off offset:1024
	s_or_b32 exec_lo, exec_lo, s0
	s_and_saveexec_b32 s0, s9
	s_cbranch_execz .LBB247_73
.LBB247_90:
	v_fma_f32 v3, -v2, v33, v13
	global_store_dword v[0:1], v3, off offset:1152
	s_or_b32 exec_lo, exec_lo, s0
	s_and_saveexec_b32 s0, s10
	s_cbranch_execz .LBB247_74
.LBB247_91:
	v_fma_f32 v3, -v2, v34, v12
	global_store_dword v[0:1], v3, off offset:1280
	s_or_b32 exec_lo, exec_lo, s0
	s_and_saveexec_b32 s0, s11
	s_cbranch_execz .LBB247_75
.LBB247_92:
	v_fma_f32 v3, -v2, v35, v11
	global_store_dword v[0:1], v3, off offset:1408
	s_or_b32 exec_lo, exec_lo, s0
	s_and_saveexec_b32 s0, s12
	s_cbranch_execz .LBB247_76
.LBB247_93:
	v_fma_f32 v3, -v2, v36, v10
	global_store_dword v[0:1], v3, off offset:1536
	s_or_b32 exec_lo, exec_lo, s0
	s_and_saveexec_b32 s0, s13
	s_cbranch_execz .LBB247_77
.LBB247_94:
	v_fma_f32 v3, -v2, v37, v8
	global_store_dword v[0:1], v3, off offset:1664
	s_or_b32 exec_lo, exec_lo, s0
	s_and_saveexec_b32 s0, s14
	s_cbranch_execz .LBB247_78
.LBB247_95:
	v_fma_f32 v3, -v2, v38, v7
	global_store_dword v[0:1], v3, off offset:1792
	s_or_b32 exec_lo, exec_lo, s0
	s_and_b32 exec_lo, exec_lo, s15
	s_cbranch_execnz .LBB247_79
	s_branch .LBB247_80
	.section	.rodata,"a",@progbits
	.p2align	6, 0x0
	.amdhsa_kernel _ZN12_GLOBAL__N_121softmax_warp_backwardIfffLi9ELb1ELb0ELi32EEEvPT0_PKT_S5_iiiPKb
		.amdhsa_group_segment_fixed_size 0
		.amdhsa_private_segment_fixed_size 0
		.amdhsa_kernarg_size 304
		.amdhsa_user_sgpr_count 6
		.amdhsa_user_sgpr_private_segment_buffer 1
		.amdhsa_user_sgpr_dispatch_ptr 0
		.amdhsa_user_sgpr_queue_ptr 0
		.amdhsa_user_sgpr_kernarg_segment_ptr 1
		.amdhsa_user_sgpr_dispatch_id 0
		.amdhsa_user_sgpr_flat_scratch_init 0
		.amdhsa_user_sgpr_private_segment_size 0
		.amdhsa_wavefront_size32 1
		.amdhsa_uses_dynamic_stack 0
		.amdhsa_system_sgpr_private_segment_wavefront_offset 0
		.amdhsa_system_sgpr_workgroup_id_x 1
		.amdhsa_system_sgpr_workgroup_id_y 0
		.amdhsa_system_sgpr_workgroup_id_z 0
		.amdhsa_system_sgpr_workgroup_info 0
		.amdhsa_system_vgpr_workitem_id 1
		.amdhsa_next_free_vgpr 42
		.amdhsa_next_free_sgpr 24
		.amdhsa_reserve_vcc 1
		.amdhsa_reserve_flat_scratch 0
		.amdhsa_float_round_mode_32 0
		.amdhsa_float_round_mode_16_64 0
		.amdhsa_float_denorm_mode_32 3
		.amdhsa_float_denorm_mode_16_64 3
		.amdhsa_dx10_clamp 1
		.amdhsa_ieee_mode 1
		.amdhsa_fp16_overflow 0
		.amdhsa_workgroup_processor_mode 1
		.amdhsa_memory_ordered 1
		.amdhsa_forward_progress 1
		.amdhsa_shared_vgpr_count 0
		.amdhsa_exception_fp_ieee_invalid_op 0
		.amdhsa_exception_fp_denorm_src 0
		.amdhsa_exception_fp_ieee_div_zero 0
		.amdhsa_exception_fp_ieee_overflow 0
		.amdhsa_exception_fp_ieee_underflow 0
		.amdhsa_exception_fp_ieee_inexact 0
		.amdhsa_exception_int_div_zero 0
	.end_amdhsa_kernel
	.section	.text._ZN12_GLOBAL__N_121softmax_warp_backwardIfffLi9ELb1ELb0ELi32EEEvPT0_PKT_S5_iiiPKb,"axG",@progbits,_ZN12_GLOBAL__N_121softmax_warp_backwardIfffLi9ELb1ELb0ELi32EEEvPT0_PKT_S5_iiiPKb,comdat
.Lfunc_end247:
	.size	_ZN12_GLOBAL__N_121softmax_warp_backwardIfffLi9ELb1ELb0ELi32EEEvPT0_PKT_S5_iiiPKb, .Lfunc_end247-_ZN12_GLOBAL__N_121softmax_warp_backwardIfffLi9ELb1ELb0ELi32EEEvPT0_PKT_S5_iiiPKb
                                        ; -- End function
	.set _ZN12_GLOBAL__N_121softmax_warp_backwardIfffLi9ELb1ELb0ELi32EEEvPT0_PKT_S5_iiiPKb.num_vgpr, 42
	.set _ZN12_GLOBAL__N_121softmax_warp_backwardIfffLi9ELb1ELb0ELi32EEEvPT0_PKT_S5_iiiPKb.num_agpr, 0
	.set _ZN12_GLOBAL__N_121softmax_warp_backwardIfffLi9ELb1ELb0ELi32EEEvPT0_PKT_S5_iiiPKb.numbered_sgpr, 24
	.set _ZN12_GLOBAL__N_121softmax_warp_backwardIfffLi9ELb1ELb0ELi32EEEvPT0_PKT_S5_iiiPKb.num_named_barrier, 0
	.set _ZN12_GLOBAL__N_121softmax_warp_backwardIfffLi9ELb1ELb0ELi32EEEvPT0_PKT_S5_iiiPKb.private_seg_size, 0
	.set _ZN12_GLOBAL__N_121softmax_warp_backwardIfffLi9ELb1ELb0ELi32EEEvPT0_PKT_S5_iiiPKb.uses_vcc, 1
	.set _ZN12_GLOBAL__N_121softmax_warp_backwardIfffLi9ELb1ELb0ELi32EEEvPT0_PKT_S5_iiiPKb.uses_flat_scratch, 0
	.set _ZN12_GLOBAL__N_121softmax_warp_backwardIfffLi9ELb1ELb0ELi32EEEvPT0_PKT_S5_iiiPKb.has_dyn_sized_stack, 0
	.set _ZN12_GLOBAL__N_121softmax_warp_backwardIfffLi9ELb1ELb0ELi32EEEvPT0_PKT_S5_iiiPKb.has_recursion, 0
	.set _ZN12_GLOBAL__N_121softmax_warp_backwardIfffLi9ELb1ELb0ELi32EEEvPT0_PKT_S5_iiiPKb.has_indirect_call, 0
	.section	.AMDGPU.csdata,"",@progbits
; Kernel info:
; codeLenInByte = 3884
; TotalNumSgprs: 26
; NumVgprs: 42
; ScratchSize: 0
; MemoryBound: 0
; FloatMode: 240
; IeeeMode: 1
; LDSByteSize: 0 bytes/workgroup (compile time only)
; SGPRBlocks: 0
; VGPRBlocks: 5
; NumSGPRsForWavesPerEU: 26
; NumVGPRsForWavesPerEU: 42
; Occupancy: 16
; WaveLimiterHint : 0
; COMPUTE_PGM_RSRC2:SCRATCH_EN: 0
; COMPUTE_PGM_RSRC2:USER_SGPR: 6
; COMPUTE_PGM_RSRC2:TRAP_HANDLER: 0
; COMPUTE_PGM_RSRC2:TGID_X_EN: 1
; COMPUTE_PGM_RSRC2:TGID_Y_EN: 0
; COMPUTE_PGM_RSRC2:TGID_Z_EN: 0
; COMPUTE_PGM_RSRC2:TIDIG_COMP_CNT: 1
	.section	.text._ZN12_GLOBAL__N_121softmax_warp_backwardIfffLi10ELb1ELb0ELi64EEEvPT0_PKT_S5_iiiPKb,"axG",@progbits,_ZN12_GLOBAL__N_121softmax_warp_backwardIfffLi10ELb1ELb0ELi64EEEvPT0_PKT_S5_iiiPKb,comdat
	.globl	_ZN12_GLOBAL__N_121softmax_warp_backwardIfffLi10ELb1ELb0ELi64EEEvPT0_PKT_S5_iiiPKb ; -- Begin function _ZN12_GLOBAL__N_121softmax_warp_backwardIfffLi10ELb1ELb0ELi64EEEvPT0_PKT_S5_iiiPKb
	.p2align	8
	.type	_ZN12_GLOBAL__N_121softmax_warp_backwardIfffLi10ELb1ELb0ELi64EEEvPT0_PKT_S5_iiiPKb,@function
_ZN12_GLOBAL__N_121softmax_warp_backwardIfffLi10ELb1ELb0ELi64EEEvPT0_PKT_S5_iiiPKb: ; @_ZN12_GLOBAL__N_121softmax_warp_backwardIfffLi10ELb1ELb0ELi64EEEvPT0_PKT_S5_iiiPKb
; %bb.0:
	s_clause 0x1
	s_load_dword s0, s[4:5], 0x3c
	s_load_dwordx4 s[20:23], s[4:5], 0x18
	v_and_b32_e32 v7, 63, v0
	s_clause 0x1
	s_load_dwordx4 s[16:19], s[4:5], 0x0
	s_load_dwordx2 s[4:5], s[4:5], 0x10
	v_mov_b32_e32 v18, 0
	v_mov_b32_e32 v19, 0
	s_waitcnt lgkmcnt(0)
	s_lshr_b32 s0, s0, 16
	v_cmp_gt_i32_e32 vcc_lo, s22, v7
	v_mad_u64_u32 v[1:2], null, s6, s0, v[1:2]
	v_mad_u64_u32 v[2:3], null, v1, s21, v[7:8]
	v_sub_nc_u32_e32 v21, s20, v1
	v_cmp_lt_i32_e64 s3, 0, v21
	v_ashrrev_i32_e32 v3, 31, v2
	s_and_b32 s1, s3, vcc_lo
	v_lshlrev_b64 v[1:2], 2, v[2:3]
	v_add_co_u32 v3, s0, s18, v1
	v_add_co_ci_u32_e64 v4, null, s19, v2, s0
	v_add_co_u32 v5, s0, s4, v1
	v_add_co_ci_u32_e64 v6, null, s5, v2, s0
	s_and_saveexec_b32 s0, s1
	s_cbranch_execz .LBB248_2
; %bb.1:
	global_load_dword v19, v[3:4], off
	global_load_dword v18, v[5:6], off
.LBB248_2:
	s_or_b32 exec_lo, exec_lo, s0
	v_or_b32_e32 v8, 64, v7
	v_cmp_gt_i32_e64 s0, s22, v8
	s_and_b32 s1, s3, s0
	s_xor_b32 s1, s1, -1
	s_and_saveexec_b32 s2, s1
	s_xor_b32 s1, exec_lo, s2
                                        ; implicit-def: $vgpr8
                                        ; implicit-def: $vgpr10
                                        ; implicit-def: $vgpr11
                                        ; implicit-def: $vgpr12
                                        ; implicit-def: $vgpr13
                                        ; implicit-def: $vgpr14
                                        ; implicit-def: $vgpr15
                                        ; implicit-def: $vgpr16
                                        ; implicit-def: $vgpr17
                                        ; implicit-def: $vgpr20
                                        ; implicit-def: $vgpr22
                                        ; implicit-def: $vgpr23
                                        ; implicit-def: $vgpr25
                                        ; implicit-def: $vgpr24
                                        ; implicit-def: $vgpr9
; %bb.3:
	s_mov_b32 s2, 0
                                        ; implicit-def: $vgpr8
                                        ; implicit-def: $vgpr10
                                        ; implicit-def: $vgpr11
                                        ; implicit-def: $vgpr12
                                        ; implicit-def: $vgpr13
                                        ; implicit-def: $vgpr14
                                        ; implicit-def: $vgpr15
                                        ; implicit-def: $vgpr16
                                        ; implicit-def: $vgpr17
                                        ; implicit-def: $vgpr20
                                        ; implicit-def: $vgpr22
                                        ; implicit-def: $vgpr23
                                        ; implicit-def: $vgpr25
                                        ; implicit-def: $vgpr9
	v_mov_b32_e32 v24, s2
; %bb.4:
	s_or_saveexec_b32 s2, s1
	v_mov_b32_e32 v26, 1.0
	s_xor_b32 exec_lo, exec_lo, s2
	s_cbranch_execz .LBB248_6
; %bb.5:
	global_load_dword v26, v[5:6], off offset:256
	global_load_dword v24, v[3:4], off offset:256
	s_waitcnt vmcnt(1)
	v_mul_f32_e32 v27, 0x3fb8aa3b, v26
	v_cmp_ngt_f32_e64 s1, 0xc2ce8ed0, v26
	v_rndne_f32_e32 v28, v27
	v_fma_f32 v29, 0x3fb8aa3b, v26, -v27
	v_sub_f32_e32 v27, v27, v28
	v_fmamk_f32 v29, v26, 0x32a5705f, v29
	v_cvt_i32_f32_e32 v28, v28
	v_add_f32_e32 v27, v27, v29
	v_exp_f32_e32 v27, v27
	v_ldexp_f32 v27, v27, v28
	v_cndmask_b32_e64 v27, 0, v27, s1
	v_cmp_nlt_f32_e64 s1, 0x42b17218, v26
	v_cndmask_b32_e64 v26, 0x7f800000, v27, s1
.LBB248_6:
	s_or_b32 exec_lo, exec_lo, s2
	v_or_b32_e32 v27, 0x80, v7
	v_cmp_gt_i32_e64 s1, s22, v27
	s_and_b32 s2, s3, s1
	s_xor_b32 s2, s2, -1
	s_and_saveexec_b32 s4, s2
	s_xor_b32 s2, exec_lo, s4
; %bb.7:
	s_mov_b32 s4, 0
	v_mov_b32_e32 v25, s4
; %bb.8:
	s_or_saveexec_b32 s4, s2
	v_mov_b32_e32 v27, 1.0
	s_xor_b32 exec_lo, exec_lo, s4
	s_cbranch_execz .LBB248_10
; %bb.9:
	global_load_dword v27, v[5:6], off offset:512
	global_load_dword v25, v[3:4], off offset:512
	s_waitcnt vmcnt(1)
	v_mul_f32_e32 v28, 0x3fb8aa3b, v27
	v_cmp_ngt_f32_e64 s2, 0xc2ce8ed0, v27
	v_rndne_f32_e32 v29, v28
	v_fma_f32 v30, 0x3fb8aa3b, v27, -v28
	v_sub_f32_e32 v28, v28, v29
	v_fmamk_f32 v30, v27, 0x32a5705f, v30
	v_cvt_i32_f32_e32 v29, v29
	v_add_f32_e32 v28, v28, v30
	v_exp_f32_e32 v28, v28
	v_ldexp_f32 v28, v28, v29
	v_cndmask_b32_e64 v28, 0, v28, s2
	v_cmp_nlt_f32_e64 s2, 0x42b17218, v27
	v_cndmask_b32_e64 v27, 0x7f800000, v28, s2
.LBB248_10:
	s_or_b32 exec_lo, exec_lo, s4
	v_or_b32_e32 v28, 0xc0, v7
	v_cmp_gt_i32_e64 s2, s22, v28
	s_and_b32 s4, s3, s2
	s_xor_b32 s4, s4, -1
	s_and_saveexec_b32 s5, s4
	s_xor_b32 s4, exec_lo, s5
; %bb.11:
	s_mov_b32 s5, 0
	;; [unrolled: 33-line block ×7, first 2 shown]
	v_mov_b32_e32 v15, s10
; %bb.32:
	s_or_saveexec_b32 s10, s9
	v_mov_b32_e32 v33, 1.0
	s_xor_b32 exec_lo, exec_lo, s10
	s_cbranch_execz .LBB248_34
; %bb.33:
	v_add_co_u32 v33, s9, 0x800, v5
	v_add_co_ci_u32_e64 v34, null, 0, v6, s9
	global_load_dword v35, v[33:34], off
	v_add_co_u32 v33, s9, 0x800, v3
	v_add_co_ci_u32_e64 v34, null, 0, v4, s9
	global_load_dword v15, v[33:34], off
	s_waitcnt vmcnt(1)
	v_mul_f32_e32 v33, 0x3fb8aa3b, v35
	v_cmp_ngt_f32_e64 s9, 0xc2ce8ed0, v35
	v_fma_f32 v34, 0x3fb8aa3b, v35, -v33
	v_rndne_f32_e32 v36, v33
	v_fmamk_f32 v34, v35, 0x32a5705f, v34
	v_sub_f32_e32 v33, v33, v36
	v_add_f32_e32 v33, v33, v34
	v_cvt_i32_f32_e32 v34, v36
	v_exp_f32_e32 v33, v33
	v_ldexp_f32 v33, v33, v34
	v_cndmask_b32_e64 v33, 0, v33, s9
	v_cmp_nlt_f32_e64 s9, 0x42b17218, v35
	v_cndmask_b32_e64 v33, 0x7f800000, v33, s9
.LBB248_34:
	s_or_b32 exec_lo, exec_lo, s10
	v_or_b32_e32 v34, 0x240, v7
	v_cmp_gt_i32_e64 s9, s22, v34
	s_and_b32 s10, s3, s9
	s_xor_b32 s10, s10, -1
	s_and_saveexec_b32 s11, s10
	s_xor_b32 s10, exec_lo, s11
; %bb.35:
	s_mov_b32 s11, 0
	v_mov_b32_e32 v14, s11
; %bb.36:
	s_or_saveexec_b32 s11, s10
	v_mov_b32_e32 v34, 1.0
	s_xor_b32 exec_lo, exec_lo, s11
	s_cbranch_execz .LBB248_38
; %bb.37:
	v_add_co_u32 v34, s10, 0x800, v5
	v_add_co_ci_u32_e64 v35, null, 0, v6, s10
	global_load_dword v36, v[34:35], off offset:256
	v_add_co_u32 v34, s10, 0x800, v3
	v_add_co_ci_u32_e64 v35, null, 0, v4, s10
	global_load_dword v14, v[34:35], off offset:256
	s_waitcnt vmcnt(1)
	v_mul_f32_e32 v34, 0x3fb8aa3b, v36
	v_cmp_ngt_f32_e64 s10, 0xc2ce8ed0, v36
	v_fma_f32 v35, 0x3fb8aa3b, v36, -v34
	v_rndne_f32_e32 v37, v34
	v_fmamk_f32 v35, v36, 0x32a5705f, v35
	v_sub_f32_e32 v34, v34, v37
	v_add_f32_e32 v34, v34, v35
	v_cvt_i32_f32_e32 v35, v37
	v_exp_f32_e32 v34, v34
	v_ldexp_f32 v34, v34, v35
	v_cndmask_b32_e64 v34, 0, v34, s10
	v_cmp_nlt_f32_e64 s10, 0x42b17218, v36
	v_cndmask_b32_e64 v34, 0x7f800000, v34, s10
.LBB248_38:
	s_or_b32 exec_lo, exec_lo, s11
	v_or_b32_e32 v35, 0x280, v7
	v_cmp_gt_i32_e64 s10, s22, v35
	s_and_b32 s11, s3, s10
	s_xor_b32 s11, s11, -1
	s_and_saveexec_b32 s12, s11
	s_xor_b32 s11, exec_lo, s12
; %bb.39:
	s_mov_b32 s12, 0
	v_mov_b32_e32 v13, s12
; %bb.40:
	s_or_saveexec_b32 s12, s11
	v_mov_b32_e32 v35, 1.0
	s_xor_b32 exec_lo, exec_lo, s12
	s_cbranch_execz .LBB248_42
; %bb.41:
	v_add_co_u32 v35, s11, 0x800, v5
	v_add_co_ci_u32_e64 v36, null, 0, v6, s11
	global_load_dword v37, v[35:36], off offset:512
	v_add_co_u32 v35, s11, 0x800, v3
	v_add_co_ci_u32_e64 v36, null, 0, v4, s11
	global_load_dword v13, v[35:36], off offset:512
	s_waitcnt vmcnt(1)
	v_mul_f32_e32 v35, 0x3fb8aa3b, v37
	v_cmp_ngt_f32_e64 s11, 0xc2ce8ed0, v37
	v_fma_f32 v36, 0x3fb8aa3b, v37, -v35
	v_rndne_f32_e32 v38, v35
	v_fmamk_f32 v36, v37, 0x32a5705f, v36
	v_sub_f32_e32 v35, v35, v38
	v_add_f32_e32 v35, v35, v36
	v_cvt_i32_f32_e32 v36, v38
	v_exp_f32_e32 v35, v35
	v_ldexp_f32 v35, v35, v36
	v_cndmask_b32_e64 v35, 0, v35, s11
	v_cmp_nlt_f32_e64 s11, 0x42b17218, v37
	v_cndmask_b32_e64 v35, 0x7f800000, v35, s11
.LBB248_42:
	;; [unrolled: 37-line block ×6, first 2 shown]
	s_or_b32 exec_lo, exec_lo, s18
	v_or_b32_e32 v0, 0x3c0, v0
	v_cmp_gt_i32_e64 s15, s22, v0
	s_and_b32 s3, s3, s15
	s_xor_b32 s3, s3, -1
	s_and_saveexec_b32 s18, s3
	s_xor_b32 s3, exec_lo, s18
; %bb.59:
	s_mov_b32 s18, 0
                                        ; implicit-def: $vgpr3
                                        ; implicit-def: $vgpr5
	v_mov_b32_e32 v9, s18
; %bb.60:
	s_or_saveexec_b32 s18, s3
	v_mov_b32_e32 v39, 1.0
	s_xor_b32 exec_lo, exec_lo, s18
	s_cbranch_execz .LBB248_62
; %bb.61:
	v_add_co_u32 v5, s3, 0x800, v5
	v_add_co_ci_u32_e64 v6, null, 0, v6, s3
	v_add_co_u32 v3, s3, 0x800, v3
	v_add_co_ci_u32_e64 v4, null, 0, v4, s3
	global_load_dword v0, v[5:6], off offset:1792
	global_load_dword v9, v[3:4], off offset:1792
	s_waitcnt vmcnt(1)
	v_mul_f32_e32 v3, 0x3fb8aa3b, v0
	v_cmp_ngt_f32_e64 s3, 0xc2ce8ed0, v0
	v_fma_f32 v4, 0x3fb8aa3b, v0, -v3
	v_rndne_f32_e32 v5, v3
	v_fmamk_f32 v4, v0, 0x32a5705f, v4
	v_sub_f32_e32 v3, v3, v5
	v_add_f32_e32 v3, v3, v4
	v_cvt_i32_f32_e32 v4, v5
	v_exp_f32_e32 v3, v3
	v_ldexp_f32 v3, v3, v4
	v_cndmask_b32_e64 v3, 0, v3, s3
	v_cmp_nlt_f32_e64 s3, 0x42b17218, v0
	v_cndmask_b32_e64 v39, 0x7f800000, v3, s3
.LBB248_62:
	s_or_b32 exec_lo, exec_lo, s18
	s_waitcnt vmcnt(1)
	v_add_f32_e32 v0, 0, v19
	v_mbcnt_lo_u32_b32 v3, -1, 0
	s_mov_b32 s18, exec_lo
	s_waitcnt vmcnt(0)
	v_add_f32_e32 v0, v0, v24
	v_or_b32_e32 v4, 32, v3
	v_xor_b32_e32 v5, 16, v3
	v_add_f32_e32 v0, v0, v25
	v_cmp_gt_i32_e64 s3, 64, v4
	v_add_f32_e32 v0, v0, v23
	v_cndmask_b32_e64 v4, v3, v4, s3
	v_cmp_gt_i32_e64 s3, 64, v5
	v_add_f32_e32 v0, v0, v22
	v_lshlrev_b32_e32 v4, 2, v4
	v_cndmask_b32_e64 v5, v3, v5, s3
	v_add_f32_e32 v0, v0, v20
	v_lshlrev_b32_e32 v5, 2, v5
	v_add_f32_e32 v0, v0, v17
	v_add_f32_e32 v0, v0, v16
	;; [unrolled: 1-line block ×10, first 2 shown]
	ds_bpermute_b32 v4, v4, v0
	s_waitcnt lgkmcnt(0)
	v_add_f32_e32 v0, v0, v4
	ds_bpermute_b32 v4, v5, v0
	v_xor_b32_e32 v5, 8, v3
	v_cmp_gt_i32_e64 s3, 64, v5
	v_cndmask_b32_e64 v5, v3, v5, s3
	v_lshlrev_b32_e32 v5, 2, v5
	s_waitcnt lgkmcnt(0)
	v_add_f32_e32 v0, v0, v4
	ds_bpermute_b32 v4, v5, v0
	v_xor_b32_e32 v5, 4, v3
	v_cmp_gt_i32_e64 s3, 64, v5
	v_cndmask_b32_e64 v5, v3, v5, s3
	v_lshlrev_b32_e32 v5, 2, v5
	;; [unrolled: 7-line block ×3, first 2 shown]
	s_waitcnt lgkmcnt(0)
	v_add_f32_e32 v0, v0, v4
	ds_bpermute_b32 v4, v5, v0
	v_xor_b32_e32 v5, 1, v3
	v_cmp_gt_i32_e64 s3, 64, v5
	v_cndmask_b32_e64 v5, v3, v5, s3
	s_waitcnt lgkmcnt(0)
	v_add_f32_e32 v3, v0, v4
	v_lshlrev_b32_e32 v0, 2, v5
	ds_bpermute_b32 v4, v0, v3
	v_cmpx_lt_i32_e32 0, v21
	s_cbranch_execz .LBB248_80
; %bb.63:
	v_add_co_u32 v0, s3, s16, v1
	v_add_co_ci_u32_e64 v1, null, s17, v2, s3
	s_waitcnt lgkmcnt(0)
	v_add_f32_e32 v2, v3, v4
	s_and_saveexec_b32 s3, vcc_lo
	s_cbranch_execnz .LBB248_81
; %bb.64:
	s_or_b32 exec_lo, exec_lo, s3
	s_and_saveexec_b32 s3, s0
	s_cbranch_execnz .LBB248_82
.LBB248_65:
	s_or_b32 exec_lo, exec_lo, s3
	s_and_saveexec_b32 s0, s1
	s_cbranch_execnz .LBB248_83
.LBB248_66:
	s_or_b32 exec_lo, exec_lo, s0
	s_and_saveexec_b32 s0, s2
	s_cbranch_execnz .LBB248_84
.LBB248_67:
	s_or_b32 exec_lo, exec_lo, s0
	s_and_saveexec_b32 s0, s4
	s_cbranch_execnz .LBB248_85
.LBB248_68:
	s_or_b32 exec_lo, exec_lo, s0
	s_and_saveexec_b32 s0, s5
	s_cbranch_execnz .LBB248_86
.LBB248_69:
	s_or_b32 exec_lo, exec_lo, s0
	s_and_saveexec_b32 s0, s6
	s_cbranch_execnz .LBB248_87
.LBB248_70:
	s_or_b32 exec_lo, exec_lo, s0
	s_and_saveexec_b32 s0, s7
	s_cbranch_execnz .LBB248_88
.LBB248_71:
	s_or_b32 exec_lo, exec_lo, s0
	s_and_saveexec_b32 s0, s8
	s_cbranch_execnz .LBB248_89
.LBB248_72:
	s_or_b32 exec_lo, exec_lo, s0
	s_and_saveexec_b32 s0, s9
	s_cbranch_execnz .LBB248_90
.LBB248_73:
	s_or_b32 exec_lo, exec_lo, s0
	s_and_saveexec_b32 s0, s10
	s_cbranch_execnz .LBB248_91
.LBB248_74:
	s_or_b32 exec_lo, exec_lo, s0
	s_and_saveexec_b32 s0, s11
	s_cbranch_execnz .LBB248_92
.LBB248_75:
	s_or_b32 exec_lo, exec_lo, s0
	s_and_saveexec_b32 s0, s12
	s_cbranch_execnz .LBB248_93
.LBB248_76:
	s_or_b32 exec_lo, exec_lo, s0
	s_and_saveexec_b32 s0, s13
	s_cbranch_execnz .LBB248_94
.LBB248_77:
	s_or_b32 exec_lo, exec_lo, s0
	s_and_saveexec_b32 s0, s14
	s_cbranch_execnz .LBB248_95
.LBB248_78:
	s_or_b32 exec_lo, exec_lo, s0
	s_and_b32 exec_lo, exec_lo, s15
	s_cbranch_execz .LBB248_80
.LBB248_79:
	v_add_co_u32 v0, vcc_lo, 0x800, v0
	v_fma_f32 v2, -v2, v39, v9
	v_add_co_ci_u32_e64 v1, null, 0, v1, vcc_lo
	global_store_dword v[0:1], v2, off offset:1792
.LBB248_80:
	s_endpgm
.LBB248_81:
	v_mul_f32_e32 v3, 0x3fb8aa3b, v18
	v_cmp_ngt_f32_e32 vcc_lo, 0xc2ce8ed0, v18
	v_rndne_f32_e32 v4, v3
	v_fma_f32 v5, 0x3fb8aa3b, v18, -v3
	v_sub_f32_e32 v3, v3, v4
	v_fmamk_f32 v5, v18, 0x32a5705f, v5
	v_cvt_i32_f32_e32 v4, v4
	v_add_f32_e32 v3, v3, v5
	v_exp_f32_e32 v3, v3
	v_ldexp_f32 v3, v3, v4
	v_cndmask_b32_e32 v3, 0, v3, vcc_lo
	v_cmp_nlt_f32_e32 vcc_lo, 0x42b17218, v18
	v_cndmask_b32_e32 v3, 0x7f800000, v3, vcc_lo
	v_fma_f32 v3, -v2, v3, v19
	global_store_dword v[0:1], v3, off
	s_or_b32 exec_lo, exec_lo, s3
	s_and_saveexec_b32 s3, s0
	s_cbranch_execz .LBB248_65
.LBB248_82:
	v_fma_f32 v3, -v2, v26, v24
	global_store_dword v[0:1], v3, off offset:256
	s_or_b32 exec_lo, exec_lo, s3
	s_and_saveexec_b32 s0, s1
	s_cbranch_execz .LBB248_66
.LBB248_83:
	v_fma_f32 v3, -v2, v27, v25
	global_store_dword v[0:1], v3, off offset:512
	s_or_b32 exec_lo, exec_lo, s0
	s_and_saveexec_b32 s0, s2
	s_cbranch_execz .LBB248_67
.LBB248_84:
	v_fma_f32 v3, -v2, v28, v23
	global_store_dword v[0:1], v3, off offset:768
	s_or_b32 exec_lo, exec_lo, s0
	s_and_saveexec_b32 s0, s4
	s_cbranch_execz .LBB248_68
.LBB248_85:
	v_fma_f32 v3, -v2, v29, v22
	global_store_dword v[0:1], v3, off offset:1024
	s_or_b32 exec_lo, exec_lo, s0
	s_and_saveexec_b32 s0, s5
	s_cbranch_execz .LBB248_69
.LBB248_86:
	v_fma_f32 v3, -v2, v30, v20
	global_store_dword v[0:1], v3, off offset:1280
	s_or_b32 exec_lo, exec_lo, s0
	s_and_saveexec_b32 s0, s6
	s_cbranch_execz .LBB248_70
.LBB248_87:
	v_fma_f32 v3, -v2, v31, v17
	global_store_dword v[0:1], v3, off offset:1536
	s_or_b32 exec_lo, exec_lo, s0
	s_and_saveexec_b32 s0, s7
	s_cbranch_execz .LBB248_71
.LBB248_88:
	v_fma_f32 v3, -v2, v32, v16
	global_store_dword v[0:1], v3, off offset:1792
	s_or_b32 exec_lo, exec_lo, s0
	s_and_saveexec_b32 s0, s8
	s_cbranch_execz .LBB248_72
.LBB248_89:
	v_add_co_u32 v3, vcc_lo, 0x800, v0
	v_fma_f32 v5, -v2, v33, v15
	v_add_co_ci_u32_e64 v4, null, 0, v1, vcc_lo
	global_store_dword v[3:4], v5, off
	s_or_b32 exec_lo, exec_lo, s0
	s_and_saveexec_b32 s0, s9
	s_cbranch_execz .LBB248_73
.LBB248_90:
	v_add_co_u32 v3, vcc_lo, 0x800, v0
	v_fma_f32 v5, -v2, v34, v14
	v_add_co_ci_u32_e64 v4, null, 0, v1, vcc_lo
	global_store_dword v[3:4], v5, off offset:256
	s_or_b32 exec_lo, exec_lo, s0
	s_and_saveexec_b32 s0, s10
	s_cbranch_execz .LBB248_74
.LBB248_91:
	v_add_co_u32 v3, vcc_lo, 0x800, v0
	v_fma_f32 v5, -v2, v35, v13
	v_add_co_ci_u32_e64 v4, null, 0, v1, vcc_lo
	global_store_dword v[3:4], v5, off offset:512
	s_or_b32 exec_lo, exec_lo, s0
	s_and_saveexec_b32 s0, s11
	s_cbranch_execz .LBB248_75
.LBB248_92:
	v_add_co_u32 v3, vcc_lo, 0x800, v0
	v_fma_f32 v5, -v2, v36, v12
	v_add_co_ci_u32_e64 v4, null, 0, v1, vcc_lo
	global_store_dword v[3:4], v5, off offset:768
	s_or_b32 exec_lo, exec_lo, s0
	s_and_saveexec_b32 s0, s12
	s_cbranch_execz .LBB248_76
.LBB248_93:
	v_add_co_u32 v3, vcc_lo, 0x800, v0
	v_fma_f32 v5, -v2, v37, v11
	v_add_co_ci_u32_e64 v4, null, 0, v1, vcc_lo
	global_store_dword v[3:4], v5, off offset:1024
	s_or_b32 exec_lo, exec_lo, s0
	s_and_saveexec_b32 s0, s13
	s_cbranch_execz .LBB248_77
.LBB248_94:
	v_add_co_u32 v3, vcc_lo, 0x800, v0
	v_fma_f32 v5, -v2, v38, v10
	v_add_co_ci_u32_e64 v4, null, 0, v1, vcc_lo
	global_store_dword v[3:4], v5, off offset:1280
	s_or_b32 exec_lo, exec_lo, s0
	s_and_saveexec_b32 s0, s14
	s_cbranch_execz .LBB248_78
.LBB248_95:
	v_add_co_u32 v3, vcc_lo, 0x800, v0
	v_fma_f32 v5, -v2, v7, v8
	v_add_co_ci_u32_e64 v4, null, 0, v1, vcc_lo
	global_store_dword v[3:4], v5, off offset:1536
	s_or_b32 exec_lo, exec_lo, s0
	s_and_b32 exec_lo, exec_lo, s15
	s_cbranch_execnz .LBB248_79
	s_branch .LBB248_80
	.section	.rodata,"a",@progbits
	.p2align	6, 0x0
	.amdhsa_kernel _ZN12_GLOBAL__N_121softmax_warp_backwardIfffLi10ELb1ELb0ELi64EEEvPT0_PKT_S5_iiiPKb
		.amdhsa_group_segment_fixed_size 0
		.amdhsa_private_segment_fixed_size 0
		.amdhsa_kernarg_size 304
		.amdhsa_user_sgpr_count 6
		.amdhsa_user_sgpr_private_segment_buffer 1
		.amdhsa_user_sgpr_dispatch_ptr 0
		.amdhsa_user_sgpr_queue_ptr 0
		.amdhsa_user_sgpr_kernarg_segment_ptr 1
		.amdhsa_user_sgpr_dispatch_id 0
		.amdhsa_user_sgpr_flat_scratch_init 0
		.amdhsa_user_sgpr_private_segment_size 0
		.amdhsa_wavefront_size32 1
		.amdhsa_uses_dynamic_stack 0
		.amdhsa_system_sgpr_private_segment_wavefront_offset 0
		.amdhsa_system_sgpr_workgroup_id_x 1
		.amdhsa_system_sgpr_workgroup_id_y 0
		.amdhsa_system_sgpr_workgroup_id_z 0
		.amdhsa_system_sgpr_workgroup_info 0
		.amdhsa_system_vgpr_workitem_id 1
		.amdhsa_next_free_vgpr 42
		.amdhsa_next_free_sgpr 24
		.amdhsa_reserve_vcc 1
		.amdhsa_reserve_flat_scratch 0
		.amdhsa_float_round_mode_32 0
		.amdhsa_float_round_mode_16_64 0
		.amdhsa_float_denorm_mode_32 3
		.amdhsa_float_denorm_mode_16_64 3
		.amdhsa_dx10_clamp 1
		.amdhsa_ieee_mode 1
		.amdhsa_fp16_overflow 0
		.amdhsa_workgroup_processor_mode 1
		.amdhsa_memory_ordered 1
		.amdhsa_forward_progress 1
		.amdhsa_shared_vgpr_count 0
		.amdhsa_exception_fp_ieee_invalid_op 0
		.amdhsa_exception_fp_denorm_src 0
		.amdhsa_exception_fp_ieee_div_zero 0
		.amdhsa_exception_fp_ieee_overflow 0
		.amdhsa_exception_fp_ieee_underflow 0
		.amdhsa_exception_fp_ieee_inexact 0
		.amdhsa_exception_int_div_zero 0
	.end_amdhsa_kernel
	.section	.text._ZN12_GLOBAL__N_121softmax_warp_backwardIfffLi10ELb1ELb0ELi64EEEvPT0_PKT_S5_iiiPKb,"axG",@progbits,_ZN12_GLOBAL__N_121softmax_warp_backwardIfffLi10ELb1ELb0ELi64EEEvPT0_PKT_S5_iiiPKb,comdat
.Lfunc_end248:
	.size	_ZN12_GLOBAL__N_121softmax_warp_backwardIfffLi10ELb1ELb0ELi64EEEvPT0_PKT_S5_iiiPKb, .Lfunc_end248-_ZN12_GLOBAL__N_121softmax_warp_backwardIfffLi10ELb1ELb0ELi64EEEvPT0_PKT_S5_iiiPKb
                                        ; -- End function
	.set _ZN12_GLOBAL__N_121softmax_warp_backwardIfffLi10ELb1ELb0ELi64EEEvPT0_PKT_S5_iiiPKb.num_vgpr, 42
	.set _ZN12_GLOBAL__N_121softmax_warp_backwardIfffLi10ELb1ELb0ELi64EEEvPT0_PKT_S5_iiiPKb.num_agpr, 0
	.set _ZN12_GLOBAL__N_121softmax_warp_backwardIfffLi10ELb1ELb0ELi64EEEvPT0_PKT_S5_iiiPKb.numbered_sgpr, 24
	.set _ZN12_GLOBAL__N_121softmax_warp_backwardIfffLi10ELb1ELb0ELi64EEEvPT0_PKT_S5_iiiPKb.num_named_barrier, 0
	.set _ZN12_GLOBAL__N_121softmax_warp_backwardIfffLi10ELb1ELb0ELi64EEEvPT0_PKT_S5_iiiPKb.private_seg_size, 0
	.set _ZN12_GLOBAL__N_121softmax_warp_backwardIfffLi10ELb1ELb0ELi64EEEvPT0_PKT_S5_iiiPKb.uses_vcc, 1
	.set _ZN12_GLOBAL__N_121softmax_warp_backwardIfffLi10ELb1ELb0ELi64EEEvPT0_PKT_S5_iiiPKb.uses_flat_scratch, 0
	.set _ZN12_GLOBAL__N_121softmax_warp_backwardIfffLi10ELb1ELb0ELi64EEEvPT0_PKT_S5_iiiPKb.has_dyn_sized_stack, 0
	.set _ZN12_GLOBAL__N_121softmax_warp_backwardIfffLi10ELb1ELb0ELi64EEEvPT0_PKT_S5_iiiPKb.has_recursion, 0
	.set _ZN12_GLOBAL__N_121softmax_warp_backwardIfffLi10ELb1ELb0ELi64EEEvPT0_PKT_S5_iiiPKb.has_indirect_call, 0
	.section	.AMDGPU.csdata,"",@progbits
; Kernel info:
; codeLenInByte = 4408
; TotalNumSgprs: 26
; NumVgprs: 42
; ScratchSize: 0
; MemoryBound: 0
; FloatMode: 240
; IeeeMode: 1
; LDSByteSize: 0 bytes/workgroup (compile time only)
; SGPRBlocks: 0
; VGPRBlocks: 5
; NumSGPRsForWavesPerEU: 26
; NumVGPRsForWavesPerEU: 42
; Occupancy: 16
; WaveLimiterHint : 0
; COMPUTE_PGM_RSRC2:SCRATCH_EN: 0
; COMPUTE_PGM_RSRC2:USER_SGPR: 6
; COMPUTE_PGM_RSRC2:TRAP_HANDLER: 0
; COMPUTE_PGM_RSRC2:TGID_X_EN: 1
; COMPUTE_PGM_RSRC2:TGID_Y_EN: 0
; COMPUTE_PGM_RSRC2:TGID_Z_EN: 0
; COMPUTE_PGM_RSRC2:TIDIG_COMP_CNT: 1
	.section	.text._ZN12_GLOBAL__N_121softmax_warp_backwardIfffLi10ELb1ELb0ELi32EEEvPT0_PKT_S5_iiiPKb,"axG",@progbits,_ZN12_GLOBAL__N_121softmax_warp_backwardIfffLi10ELb1ELb0ELi32EEEvPT0_PKT_S5_iiiPKb,comdat
	.globl	_ZN12_GLOBAL__N_121softmax_warp_backwardIfffLi10ELb1ELb0ELi32EEEvPT0_PKT_S5_iiiPKb ; -- Begin function _ZN12_GLOBAL__N_121softmax_warp_backwardIfffLi10ELb1ELb0ELi32EEEvPT0_PKT_S5_iiiPKb
	.p2align	8
	.type	_ZN12_GLOBAL__N_121softmax_warp_backwardIfffLi10ELb1ELb0ELi32EEEvPT0_PKT_S5_iiiPKb,@function
_ZN12_GLOBAL__N_121softmax_warp_backwardIfffLi10ELb1ELb0ELi32EEEvPT0_PKT_S5_iiiPKb: ; @_ZN12_GLOBAL__N_121softmax_warp_backwardIfffLi10ELb1ELb0ELi32EEEvPT0_PKT_S5_iiiPKb
; %bb.0:
	s_clause 0x1
	s_load_dword s0, s[4:5], 0x3c
	s_load_dwordx4 s[40:43], s[4:5], 0x18
	v_and_b32_e32 v7, 31, v0
	s_clause 0x1
	s_load_dwordx4 s[36:39], s[4:5], 0x0
	s_load_dwordx2 s[4:5], s[4:5], 0x10
	v_mov_b32_e32 v31, 0
	v_mov_b32_e32 v33, 1.0
	s_waitcnt lgkmcnt(0)
	s_lshr_b32 s0, s0, 16
	v_cmp_gt_i32_e32 vcc_lo, s42, v7
	v_mad_u64_u32 v[1:2], null, s6, s0, v[1:2]
	v_mad_u64_u32 v[2:3], null, v1, s41, v[7:8]
	v_sub_nc_u32_e32 v30, s40, v1
	v_cmp_lt_i32_e64 s2, 0, v30
	v_ashrrev_i32_e32 v3, 31, v2
	v_lshlrev_b64 v[1:2], 2, v[2:3]
	v_add_co_u32 v3, s0, s38, v1
	v_add_co_ci_u32_e64 v4, null, s39, v2, s0
	v_add_co_u32 v5, s0, s4, v1
	v_add_co_ci_u32_e64 v6, null, s5, v2, s0
	s_and_b32 s0, s2, vcc_lo
	s_and_saveexec_b32 s1, s0
	s_cbranch_execz .LBB249_2
; %bb.1:
	global_load_dword v8, v[5:6], off
	global_load_dword v31, v[3:4], off
	s_waitcnt vmcnt(1)
	v_mul_f32_e32 v9, 0x3fb8aa3b, v8
	v_cmp_ngt_f32_e64 s0, 0xc2ce8ed0, v8
	v_rndne_f32_e32 v10, v9
	v_fma_f32 v11, 0x3fb8aa3b, v8, -v9
	v_sub_f32_e32 v9, v9, v10
	v_fmamk_f32 v11, v8, 0x32a5705f, v11
	v_cvt_i32_f32_e32 v10, v10
	v_add_f32_e32 v9, v9, v11
	v_exp_f32_e32 v9, v9
	v_ldexp_f32 v9, v9, v10
	v_cndmask_b32_e64 v9, 0, v9, s0
	v_cmp_nlt_f32_e64 s0, 0x42b17218, v8
	v_cndmask_b32_e64 v33, 0x7f800000, v9, s0
.LBB249_2:
	s_or_b32 exec_lo, exec_lo, s1
	v_or_b32_e32 v8, 32, v7
	v_cmp_gt_i32_e64 s0, s42, v8
	s_and_b32 s1, s2, s0
	s_xor_b32 s1, s1, -1
	s_mov_b32 s3, exec_lo
	s_and_b32 s4, s3, s1
                                        ; implicit-def: $vgpr8
                                        ; implicit-def: $vgpr9
                                        ; implicit-def: $vgpr10
                                        ; implicit-def: $vgpr12
                                        ; implicit-def: $vgpr13
                                        ; implicit-def: $vgpr14
                                        ; implicit-def: $vgpr15
                                        ; implicit-def: $vgpr16
                                        ; implicit-def: $vgpr17
                                        ; implicit-def: $vgpr18
                                        ; implicit-def: $vgpr19
                                        ; implicit-def: $vgpr20
                                        ; implicit-def: $vgpr21
                                        ; implicit-def: $vgpr22
                                        ; implicit-def: $vgpr23
                                        ; implicit-def: $vgpr24
                                        ; implicit-def: $vgpr25
                                        ; implicit-def: $vgpr26
                                        ; implicit-def: $vgpr27
                                        ; implicit-def: $vgpr28
                                        ; implicit-def: $vgpr29
                                        ; implicit-def: $vgpr32
                                        ; implicit-def: $vgpr34
                                        ; implicit-def: $vgpr35
                                        ; implicit-def: $vgpr36
                                        ; implicit-def: $vgpr37
                                        ; implicit-def: $vgpr38
                                        ; implicit-def: $vgpr40
                                        ; implicit-def: $vgpr41
                                        ; implicit-def: $vgpr39
                                        ; implicit-def: $vgpr11
	s_xor_b32 s1, s4, s3
	s_mov_b32 exec_lo, s4
; %bb.3:
	s_mov_b32 s3, 0
                                        ; implicit-def: $vgpr8
                                        ; implicit-def: $vgpr9
                                        ; implicit-def: $vgpr10
                                        ; implicit-def: $vgpr12
                                        ; implicit-def: $vgpr13
                                        ; implicit-def: $vgpr14
                                        ; implicit-def: $vgpr15
                                        ; implicit-def: $vgpr16
                                        ; implicit-def: $vgpr17
                                        ; implicit-def: $vgpr18
                                        ; implicit-def: $vgpr19
                                        ; implicit-def: $vgpr20
                                        ; implicit-def: $vgpr21
                                        ; implicit-def: $vgpr22
                                        ; implicit-def: $vgpr23
                                        ; implicit-def: $vgpr24
                                        ; implicit-def: $vgpr25
                                        ; implicit-def: $vgpr26
                                        ; implicit-def: $vgpr27
                                        ; implicit-def: $vgpr28
                                        ; implicit-def: $vgpr29
                                        ; implicit-def: $vgpr32
                                        ; implicit-def: $vgpr34
                                        ; implicit-def: $vgpr35
                                        ; implicit-def: $vgpr36
                                        ; implicit-def: $vgpr37
                                        ; implicit-def: $vgpr38
                                        ; implicit-def: $vgpr40
                                        ; implicit-def: $vgpr41
                                        ; implicit-def: $vgpr11
	v_mov_b32_e32 v39, s3
; %bb.4:
	s_or_saveexec_b32 s3, s1
	v_mov_b32_e32 v42, 1.0
	s_xor_b32 exec_lo, exec_lo, s3
	s_cbranch_execz .LBB249_6
; %bb.5:
	global_load_dword v42, v[5:6], off offset:128
	global_load_dword v39, v[3:4], off offset:128
	s_waitcnt vmcnt(1)
	v_mul_f32_e32 v43, 0x3fb8aa3b, v42
	v_cmp_ngt_f32_e64 s1, 0xc2ce8ed0, v42
	v_rndne_f32_e32 v44, v43
	v_fma_f32 v45, 0x3fb8aa3b, v42, -v43
	v_sub_f32_e32 v43, v43, v44
	v_fmamk_f32 v45, v42, 0x32a5705f, v45
	v_cvt_i32_f32_e32 v44, v44
	v_add_f32_e32 v43, v43, v45
	v_exp_f32_e32 v43, v43
	v_ldexp_f32 v43, v43, v44
	v_cndmask_b32_e64 v43, 0, v43, s1
	v_cmp_nlt_f32_e64 s1, 0x42b17218, v42
	v_cndmask_b32_e64 v42, 0x7f800000, v43, s1
.LBB249_6:
	s_or_b32 exec_lo, exec_lo, s3
	v_or_b32_e32 v43, 64, v7
	v_cmp_gt_i32_e64 s1, s42, v43
	s_and_b32 s3, s2, s1
	s_xor_b32 s3, s3, -1
	s_and_saveexec_b32 s4, s3
	s_xor_b32 s3, exec_lo, s4
; %bb.7:
	s_mov_b32 s4, 0
	v_mov_b32_e32 v41, s4
; %bb.8:
	s_or_saveexec_b32 s4, s3
	v_mov_b32_e32 v43, 1.0
	s_xor_b32 exec_lo, exec_lo, s4
	s_cbranch_execz .LBB249_10
; %bb.9:
	global_load_dword v43, v[5:6], off offset:256
	global_load_dword v41, v[3:4], off offset:256
	s_waitcnt vmcnt(1)
	v_mul_f32_e32 v44, 0x3fb8aa3b, v43
	v_cmp_ngt_f32_e64 s3, 0xc2ce8ed0, v43
	v_rndne_f32_e32 v45, v44
	v_fma_f32 v46, 0x3fb8aa3b, v43, -v44
	v_sub_f32_e32 v44, v44, v45
	v_fmamk_f32 v46, v43, 0x32a5705f, v46
	v_cvt_i32_f32_e32 v45, v45
	v_add_f32_e32 v44, v44, v46
	v_exp_f32_e32 v44, v44
	v_ldexp_f32 v44, v44, v45
	v_cndmask_b32_e64 v44, 0, v44, s3
	v_cmp_nlt_f32_e64 s3, 0x42b17218, v43
	v_cndmask_b32_e64 v43, 0x7f800000, v44, s3
.LBB249_10:
	s_or_b32 exec_lo, exec_lo, s4
	v_or_b32_e32 v44, 0x60, v7
	v_cmp_gt_i32_e64 s3, s42, v44
	s_and_b32 s4, s2, s3
	s_xor_b32 s4, s4, -1
	s_and_saveexec_b32 s5, s4
	s_xor_b32 s4, exec_lo, s5
; %bb.11:
	s_mov_b32 s5, 0
	;; [unrolled: 33-line block ×15, first 2 shown]
	v_mov_b32_e32 v23, s18
; %bb.64:
	s_or_saveexec_b32 s18, s17
	v_mov_b32_e32 v57, 1.0
	s_xor_b32 exec_lo, exec_lo, s18
	s_cbranch_execz .LBB249_66
; %bb.65:
	v_add_co_u32 v57, s17, 0x800, v5
	v_add_co_ci_u32_e64 v58, null, 0, v6, s17
	global_load_dword v59, v[57:58], off
	v_add_co_u32 v57, s17, 0x800, v3
	v_add_co_ci_u32_e64 v58, null, 0, v4, s17
	global_load_dword v23, v[57:58], off
	s_waitcnt vmcnt(1)
	v_mul_f32_e32 v57, 0x3fb8aa3b, v59
	v_cmp_ngt_f32_e64 s17, 0xc2ce8ed0, v59
	v_fma_f32 v58, 0x3fb8aa3b, v59, -v57
	v_rndne_f32_e32 v60, v57
	v_fmamk_f32 v58, v59, 0x32a5705f, v58
	v_sub_f32_e32 v57, v57, v60
	v_add_f32_e32 v57, v57, v58
	v_cvt_i32_f32_e32 v58, v60
	v_exp_f32_e32 v57, v57
	v_ldexp_f32 v57, v57, v58
	v_cndmask_b32_e64 v57, 0, v57, s17
	v_cmp_nlt_f32_e64 s17, 0x42b17218, v59
	v_cndmask_b32_e64 v57, 0x7f800000, v57, s17
.LBB249_66:
	s_or_b32 exec_lo, exec_lo, s18
	v_or_b32_e32 v58, 0x220, v7
	v_cmp_gt_i32_e64 s17, s42, v58
	s_and_b32 s18, s2, s17
	s_xor_b32 s18, s18, -1
	s_and_saveexec_b32 s19, s18
	s_xor_b32 s18, exec_lo, s19
; %bb.67:
	s_mov_b32 s19, 0
	v_mov_b32_e32 v22, s19
; %bb.68:
	s_or_saveexec_b32 s19, s18
	v_mov_b32_e32 v58, 1.0
	s_xor_b32 exec_lo, exec_lo, s19
	s_cbranch_execz .LBB249_70
; %bb.69:
	v_add_co_u32 v58, s18, 0x800, v5
	v_add_co_ci_u32_e64 v59, null, 0, v6, s18
	global_load_dword v60, v[58:59], off offset:128
	v_add_co_u32 v58, s18, 0x800, v3
	v_add_co_ci_u32_e64 v59, null, 0, v4, s18
	global_load_dword v22, v[58:59], off offset:128
	s_waitcnt vmcnt(1)
	v_mul_f32_e32 v58, 0x3fb8aa3b, v60
	v_cmp_ngt_f32_e64 s18, 0xc2ce8ed0, v60
	v_fma_f32 v59, 0x3fb8aa3b, v60, -v58
	v_rndne_f32_e32 v61, v58
	v_fmamk_f32 v59, v60, 0x32a5705f, v59
	v_sub_f32_e32 v58, v58, v61
	v_add_f32_e32 v58, v58, v59
	v_cvt_i32_f32_e32 v59, v61
	v_exp_f32_e32 v58, v58
	v_ldexp_f32 v58, v58, v59
	v_cndmask_b32_e64 v58, 0, v58, s18
	v_cmp_nlt_f32_e64 s18, 0x42b17218, v60
	v_cndmask_b32_e64 v58, 0x7f800000, v58, s18
.LBB249_70:
	s_or_b32 exec_lo, exec_lo, s19
	v_or_b32_e32 v59, 0x240, v7
	v_cmp_gt_i32_e64 s18, s42, v59
	s_and_b32 s19, s2, s18
	s_xor_b32 s19, s19, -1
	s_and_saveexec_b32 s20, s19
	s_xor_b32 s19, exec_lo, s20
; %bb.71:
	s_mov_b32 s20, 0
	v_mov_b32_e32 v21, s20
; %bb.72:
	s_or_saveexec_b32 s20, s19
	v_mov_b32_e32 v59, 1.0
	s_xor_b32 exec_lo, exec_lo, s20
	s_cbranch_execz .LBB249_74
; %bb.73:
	v_add_co_u32 v59, s19, 0x800, v5
	v_add_co_ci_u32_e64 v60, null, 0, v6, s19
	global_load_dword v61, v[59:60], off offset:256
	v_add_co_u32 v59, s19, 0x800, v3
	v_add_co_ci_u32_e64 v60, null, 0, v4, s19
	global_load_dword v21, v[59:60], off offset:256
	s_waitcnt vmcnt(1)
	v_mul_f32_e32 v59, 0x3fb8aa3b, v61
	v_cmp_ngt_f32_e64 s19, 0xc2ce8ed0, v61
	v_fma_f32 v60, 0x3fb8aa3b, v61, -v59
	v_rndne_f32_e32 v62, v59
	v_fmamk_f32 v60, v61, 0x32a5705f, v60
	v_sub_f32_e32 v59, v59, v62
	v_add_f32_e32 v59, v59, v60
	v_cvt_i32_f32_e32 v60, v62
	v_exp_f32_e32 v59, v59
	v_ldexp_f32 v59, v59, v60
	v_cndmask_b32_e64 v59, 0, v59, s19
	v_cmp_nlt_f32_e64 s19, 0x42b17218, v61
	v_cndmask_b32_e64 v59, 0x7f800000, v59, s19
.LBB249_74:
	;; [unrolled: 37-line block ×14, first 2 shown]
	s_or_b32 exec_lo, exec_lo, s33
	v_or_b32_e32 v0, 0x3e0, v0
	v_cmp_gt_i32_e64 s31, s42, v0
	s_and_b32 s2, s2, s31
	s_xor_b32 s2, s2, -1
	s_and_saveexec_b32 s33, s2
	s_xor_b32 s2, exec_lo, s33
; %bb.123:
	s_mov_b32 s33, 0
                                        ; implicit-def: $vgpr3
                                        ; implicit-def: $vgpr5
	v_mov_b32_e32 v11, s33
; %bb.124:
	s_or_saveexec_b32 s33, s2
	v_mov_b32_e32 v71, 1.0
	s_xor_b32 exec_lo, exec_lo, s33
	s_cbranch_execz .LBB249_126
; %bb.125:
	v_add_co_u32 v5, s2, 0x800, v5
	v_add_co_ci_u32_e64 v6, null, 0, v6, s2
	v_add_co_u32 v3, s2, 0x800, v3
	v_add_co_ci_u32_e64 v4, null, 0, v4, s2
	global_load_dword v0, v[5:6], off offset:1920
	global_load_dword v11, v[3:4], off offset:1920
	s_waitcnt vmcnt(1)
	v_mul_f32_e32 v3, 0x3fb8aa3b, v0
	v_cmp_ngt_f32_e64 s2, 0xc2ce8ed0, v0
	v_fma_f32 v4, 0x3fb8aa3b, v0, -v3
	v_rndne_f32_e32 v5, v3
	v_fmamk_f32 v4, v0, 0x32a5705f, v4
	v_sub_f32_e32 v3, v3, v5
	v_add_f32_e32 v3, v3, v4
	v_cvt_i32_f32_e32 v4, v5
	v_exp_f32_e32 v3, v3
	v_ldexp_f32 v3, v3, v4
	v_cndmask_b32_e64 v3, 0, v3, s2
	v_cmp_nlt_f32_e64 s2, 0x42b17218, v0
	v_cndmask_b32_e64 v71, 0x7f800000, v3, s2
.LBB249_126:
	s_or_b32 exec_lo, exec_lo, s33
	s_waitcnt vmcnt(0)
	v_add_f32_e32 v0, 0, v31
	v_mbcnt_lo_u32_b32 v3, -1, 0
	s_mov_b32 s33, exec_lo
	v_add_f32_e32 v0, v0, v39
	v_xor_b32_e32 v4, 16, v3
	v_xor_b32_e32 v5, 8, v3
	v_add_f32_e32 v0, v0, v41
	v_cmp_gt_i32_e64 s2, 32, v4
	v_add_f32_e32 v0, v0, v40
	v_cndmask_b32_e64 v4, v3, v4, s2
	v_cmp_gt_i32_e64 s2, 32, v5
	v_add_f32_e32 v0, v0, v38
	v_lshlrev_b32_e32 v4, 2, v4
	v_cndmask_b32_e64 v5, v3, v5, s2
	v_add_f32_e32 v0, v0, v37
	v_lshlrev_b32_e32 v5, 2, v5
	v_add_f32_e32 v0, v0, v36
	v_add_f32_e32 v0, v0, v35
	v_add_f32_e32 v0, v0, v34
	v_add_f32_e32 v0, v0, v32
	v_add_f32_e32 v0, v0, v29
	v_add_f32_e32 v0, v0, v28
	v_add_f32_e32 v0, v0, v27
	v_add_f32_e32 v0, v0, v26
	v_add_f32_e32 v0, v0, v25
	v_add_f32_e32 v0, v0, v24
	v_add_f32_e32 v0, v0, v23
	v_add_f32_e32 v0, v0, v22
	v_add_f32_e32 v0, v0, v21
	v_add_f32_e32 v0, v0, v20
	v_add_f32_e32 v0, v0, v19
	v_add_f32_e32 v0, v0, v18
	v_add_f32_e32 v0, v0, v17
	v_add_f32_e32 v0, v0, v16
	v_add_f32_e32 v0, v0, v15
	v_add_f32_e32 v0, v0, v14
	v_add_f32_e32 v0, v0, v13
	v_add_f32_e32 v0, v0, v12
	v_add_f32_e32 v0, v0, v10
	v_add_f32_e32 v0, v0, v9
	v_add_f32_e32 v0, v0, v8
	v_add_f32_e32 v0, v0, v11
	ds_bpermute_b32 v4, v4, v0
	s_waitcnt lgkmcnt(0)
	v_add_f32_e32 v0, v0, v4
	ds_bpermute_b32 v4, v5, v0
	v_xor_b32_e32 v5, 4, v3
	v_cmp_gt_i32_e64 s2, 32, v5
	v_cndmask_b32_e64 v5, v3, v5, s2
	v_lshlrev_b32_e32 v5, 2, v5
	s_waitcnt lgkmcnt(0)
	v_add_f32_e32 v0, v0, v4
	ds_bpermute_b32 v4, v5, v0
	v_xor_b32_e32 v5, 2, v3
	v_cmp_gt_i32_e64 s2, 32, v5
	v_cndmask_b32_e64 v5, v3, v5, s2
	v_lshlrev_b32_e32 v5, 2, v5
	s_waitcnt lgkmcnt(0)
	v_add_f32_e32 v0, v0, v4
	ds_bpermute_b32 v4, v5, v0
	v_xor_b32_e32 v5, 1, v3
	v_cmp_gt_i32_e64 s2, 32, v5
	v_cndmask_b32_e64 v5, v3, v5, s2
	s_waitcnt lgkmcnt(0)
	v_add_f32_e32 v3, v0, v4
	v_lshlrev_b32_e32 v0, 2, v5
	ds_bpermute_b32 v4, v0, v3
	v_cmpx_lt_i32_e32 0, v30
	s_cbranch_execz .LBB249_160
; %bb.127:
	v_add_co_u32 v0, s2, s36, v1
	v_add_co_ci_u32_e64 v1, null, s37, v2, s2
	s_waitcnt lgkmcnt(0)
	v_add_f32_e32 v2, v3, v4
	s_and_saveexec_b32 s2, vcc_lo
	s_cbranch_execnz .LBB249_161
; %bb.128:
	s_or_b32 exec_lo, exec_lo, s2
	s_and_saveexec_b32 s2, s0
	s_cbranch_execnz .LBB249_162
.LBB249_129:
	s_or_b32 exec_lo, exec_lo, s2
	s_and_saveexec_b32 s0, s1
	s_cbranch_execnz .LBB249_163
.LBB249_130:
	s_or_b32 exec_lo, exec_lo, s0
	s_and_saveexec_b32 s0, s3
	s_cbranch_execnz .LBB249_164
.LBB249_131:
	s_or_b32 exec_lo, exec_lo, s0
	s_and_saveexec_b32 s0, s4
	s_cbranch_execnz .LBB249_165
.LBB249_132:
	s_or_b32 exec_lo, exec_lo, s0
	s_and_saveexec_b32 s0, s5
	s_cbranch_execnz .LBB249_166
.LBB249_133:
	s_or_b32 exec_lo, exec_lo, s0
	s_and_saveexec_b32 s0, s6
	s_cbranch_execnz .LBB249_167
.LBB249_134:
	s_or_b32 exec_lo, exec_lo, s0
	s_and_saveexec_b32 s0, s7
	s_cbranch_execnz .LBB249_168
.LBB249_135:
	s_or_b32 exec_lo, exec_lo, s0
	s_and_saveexec_b32 s0, s8
	s_cbranch_execnz .LBB249_169
.LBB249_136:
	s_or_b32 exec_lo, exec_lo, s0
	s_and_saveexec_b32 s0, s9
	s_cbranch_execnz .LBB249_170
.LBB249_137:
	s_or_b32 exec_lo, exec_lo, s0
	s_and_saveexec_b32 s0, s10
	s_cbranch_execnz .LBB249_171
.LBB249_138:
	s_or_b32 exec_lo, exec_lo, s0
	s_and_saveexec_b32 s0, s11
	s_cbranch_execnz .LBB249_172
.LBB249_139:
	s_or_b32 exec_lo, exec_lo, s0
	s_and_saveexec_b32 s0, s12
	s_cbranch_execnz .LBB249_173
.LBB249_140:
	s_or_b32 exec_lo, exec_lo, s0
	s_and_saveexec_b32 s0, s13
	s_cbranch_execnz .LBB249_174
.LBB249_141:
	s_or_b32 exec_lo, exec_lo, s0
	s_and_saveexec_b32 s0, s14
	s_cbranch_execnz .LBB249_175
.LBB249_142:
	s_or_b32 exec_lo, exec_lo, s0
	s_and_saveexec_b32 s0, s15
	s_cbranch_execnz .LBB249_176
.LBB249_143:
	s_or_b32 exec_lo, exec_lo, s0
	s_and_saveexec_b32 s0, s16
	s_cbranch_execnz .LBB249_177
.LBB249_144:
	s_or_b32 exec_lo, exec_lo, s0
	s_and_saveexec_b32 s0, s17
	s_cbranch_execnz .LBB249_178
.LBB249_145:
	s_or_b32 exec_lo, exec_lo, s0
	s_and_saveexec_b32 s0, s18
	s_cbranch_execnz .LBB249_179
.LBB249_146:
	s_or_b32 exec_lo, exec_lo, s0
	s_and_saveexec_b32 s0, s19
	s_cbranch_execnz .LBB249_180
.LBB249_147:
	s_or_b32 exec_lo, exec_lo, s0
	s_and_saveexec_b32 s0, s20
	s_cbranch_execnz .LBB249_181
.LBB249_148:
	s_or_b32 exec_lo, exec_lo, s0
	s_and_saveexec_b32 s0, s21
	s_cbranch_execnz .LBB249_182
.LBB249_149:
	s_or_b32 exec_lo, exec_lo, s0
	s_and_saveexec_b32 s0, s22
	s_cbranch_execnz .LBB249_183
.LBB249_150:
	s_or_b32 exec_lo, exec_lo, s0
	s_and_saveexec_b32 s0, s23
	s_cbranch_execnz .LBB249_184
.LBB249_151:
	s_or_b32 exec_lo, exec_lo, s0
	s_and_saveexec_b32 s0, s24
	s_cbranch_execnz .LBB249_185
.LBB249_152:
	s_or_b32 exec_lo, exec_lo, s0
	s_and_saveexec_b32 s0, s25
	s_cbranch_execnz .LBB249_186
.LBB249_153:
	s_or_b32 exec_lo, exec_lo, s0
	s_and_saveexec_b32 s0, s26
	s_cbranch_execnz .LBB249_187
.LBB249_154:
	s_or_b32 exec_lo, exec_lo, s0
	s_and_saveexec_b32 s0, s27
	s_cbranch_execnz .LBB249_188
.LBB249_155:
	s_or_b32 exec_lo, exec_lo, s0
	s_and_saveexec_b32 s0, s28
	s_cbranch_execnz .LBB249_189
.LBB249_156:
	s_or_b32 exec_lo, exec_lo, s0
	s_and_saveexec_b32 s0, s29
	s_cbranch_execnz .LBB249_190
.LBB249_157:
	s_or_b32 exec_lo, exec_lo, s0
	s_and_saveexec_b32 s0, s30
	s_cbranch_execnz .LBB249_191
.LBB249_158:
	s_or_b32 exec_lo, exec_lo, s0
	s_and_b32 exec_lo, exec_lo, s31
	s_cbranch_execz .LBB249_160
.LBB249_159:
	v_add_co_u32 v0, vcc_lo, 0x800, v0
	v_fma_f32 v2, -v2, v71, v11
	v_add_co_ci_u32_e64 v1, null, 0, v1, vcc_lo
	global_store_dword v[0:1], v2, off offset:1920
.LBB249_160:
	s_endpgm
.LBB249_161:
	v_fma_f32 v3, -v2, v33, v31
	global_store_dword v[0:1], v3, off
	s_or_b32 exec_lo, exec_lo, s2
	s_and_saveexec_b32 s2, s0
	s_cbranch_execz .LBB249_129
.LBB249_162:
	v_fma_f32 v3, -v2, v42, v39
	global_store_dword v[0:1], v3, off offset:128
	s_or_b32 exec_lo, exec_lo, s2
	s_and_saveexec_b32 s0, s1
	s_cbranch_execz .LBB249_130
.LBB249_163:
	v_fma_f32 v3, -v2, v43, v41
	global_store_dword v[0:1], v3, off offset:256
	s_or_b32 exec_lo, exec_lo, s0
	s_and_saveexec_b32 s0, s3
	s_cbranch_execz .LBB249_131
.LBB249_164:
	v_fma_f32 v3, -v2, v44, v40
	global_store_dword v[0:1], v3, off offset:384
	s_or_b32 exec_lo, exec_lo, s0
	s_and_saveexec_b32 s0, s4
	s_cbranch_execz .LBB249_132
.LBB249_165:
	v_fma_f32 v3, -v2, v45, v38
	global_store_dword v[0:1], v3, off offset:512
	s_or_b32 exec_lo, exec_lo, s0
	s_and_saveexec_b32 s0, s5
	s_cbranch_execz .LBB249_133
.LBB249_166:
	v_fma_f32 v3, -v2, v46, v37
	global_store_dword v[0:1], v3, off offset:640
	s_or_b32 exec_lo, exec_lo, s0
	s_and_saveexec_b32 s0, s6
	s_cbranch_execz .LBB249_134
.LBB249_167:
	v_fma_f32 v3, -v2, v47, v36
	global_store_dword v[0:1], v3, off offset:768
	s_or_b32 exec_lo, exec_lo, s0
	s_and_saveexec_b32 s0, s7
	s_cbranch_execz .LBB249_135
.LBB249_168:
	v_fma_f32 v3, -v2, v48, v35
	global_store_dword v[0:1], v3, off offset:896
	s_or_b32 exec_lo, exec_lo, s0
	s_and_saveexec_b32 s0, s8
	s_cbranch_execz .LBB249_136
.LBB249_169:
	v_fma_f32 v3, -v2, v49, v34
	global_store_dword v[0:1], v3, off offset:1024
	s_or_b32 exec_lo, exec_lo, s0
	s_and_saveexec_b32 s0, s9
	s_cbranch_execz .LBB249_137
.LBB249_170:
	v_fma_f32 v3, -v2, v50, v32
	global_store_dword v[0:1], v3, off offset:1152
	s_or_b32 exec_lo, exec_lo, s0
	s_and_saveexec_b32 s0, s10
	s_cbranch_execz .LBB249_138
.LBB249_171:
	v_fma_f32 v3, -v2, v51, v29
	global_store_dword v[0:1], v3, off offset:1280
	s_or_b32 exec_lo, exec_lo, s0
	s_and_saveexec_b32 s0, s11
	s_cbranch_execz .LBB249_139
.LBB249_172:
	v_fma_f32 v3, -v2, v52, v28
	global_store_dword v[0:1], v3, off offset:1408
	s_or_b32 exec_lo, exec_lo, s0
	s_and_saveexec_b32 s0, s12
	s_cbranch_execz .LBB249_140
.LBB249_173:
	v_fma_f32 v3, -v2, v53, v27
	global_store_dword v[0:1], v3, off offset:1536
	s_or_b32 exec_lo, exec_lo, s0
	s_and_saveexec_b32 s0, s13
	s_cbranch_execz .LBB249_141
.LBB249_174:
	v_fma_f32 v3, -v2, v54, v26
	global_store_dword v[0:1], v3, off offset:1664
	s_or_b32 exec_lo, exec_lo, s0
	s_and_saveexec_b32 s0, s14
	s_cbranch_execz .LBB249_142
.LBB249_175:
	v_fma_f32 v3, -v2, v55, v25
	global_store_dword v[0:1], v3, off offset:1792
	s_or_b32 exec_lo, exec_lo, s0
	s_and_saveexec_b32 s0, s15
	s_cbranch_execz .LBB249_143
.LBB249_176:
	v_fma_f32 v3, -v2, v56, v24
	global_store_dword v[0:1], v3, off offset:1920
	s_or_b32 exec_lo, exec_lo, s0
	s_and_saveexec_b32 s0, s16
	s_cbranch_execz .LBB249_144
.LBB249_177:
	v_add_co_u32 v3, vcc_lo, 0x800, v0
	v_fma_f32 v5, -v2, v57, v23
	v_add_co_ci_u32_e64 v4, null, 0, v1, vcc_lo
	global_store_dword v[3:4], v5, off
	s_or_b32 exec_lo, exec_lo, s0
	s_and_saveexec_b32 s0, s17
	s_cbranch_execz .LBB249_145
.LBB249_178:
	v_add_co_u32 v3, vcc_lo, 0x800, v0
	v_fma_f32 v5, -v2, v58, v22
	v_add_co_ci_u32_e64 v4, null, 0, v1, vcc_lo
	global_store_dword v[3:4], v5, off offset:128
	s_or_b32 exec_lo, exec_lo, s0
	s_and_saveexec_b32 s0, s18
	s_cbranch_execz .LBB249_146
.LBB249_179:
	v_add_co_u32 v3, vcc_lo, 0x800, v0
	v_fma_f32 v5, -v2, v59, v21
	v_add_co_ci_u32_e64 v4, null, 0, v1, vcc_lo
	global_store_dword v[3:4], v5, off offset:256
	s_or_b32 exec_lo, exec_lo, s0
	s_and_saveexec_b32 s0, s19
	s_cbranch_execz .LBB249_147
.LBB249_180:
	v_add_co_u32 v3, vcc_lo, 0x800, v0
	v_fma_f32 v5, -v2, v60, v20
	v_add_co_ci_u32_e64 v4, null, 0, v1, vcc_lo
	global_store_dword v[3:4], v5, off offset:384
	s_or_b32 exec_lo, exec_lo, s0
	s_and_saveexec_b32 s0, s20
	s_cbranch_execz .LBB249_148
.LBB249_181:
	v_add_co_u32 v3, vcc_lo, 0x800, v0
	v_fma_f32 v5, -v2, v61, v19
	v_add_co_ci_u32_e64 v4, null, 0, v1, vcc_lo
	global_store_dword v[3:4], v5, off offset:512
	s_or_b32 exec_lo, exec_lo, s0
	s_and_saveexec_b32 s0, s21
	s_cbranch_execz .LBB249_149
.LBB249_182:
	v_add_co_u32 v3, vcc_lo, 0x800, v0
	v_fma_f32 v5, -v2, v62, v18
	v_add_co_ci_u32_e64 v4, null, 0, v1, vcc_lo
	global_store_dword v[3:4], v5, off offset:640
	s_or_b32 exec_lo, exec_lo, s0
	s_and_saveexec_b32 s0, s22
	s_cbranch_execz .LBB249_150
.LBB249_183:
	v_add_co_u32 v3, vcc_lo, 0x800, v0
	v_fma_f32 v5, -v2, v63, v17
	v_add_co_ci_u32_e64 v4, null, 0, v1, vcc_lo
	global_store_dword v[3:4], v5, off offset:768
	s_or_b32 exec_lo, exec_lo, s0
	s_and_saveexec_b32 s0, s23
	s_cbranch_execz .LBB249_151
.LBB249_184:
	v_add_co_u32 v3, vcc_lo, 0x800, v0
	v_fma_f32 v5, -v2, v64, v16
	v_add_co_ci_u32_e64 v4, null, 0, v1, vcc_lo
	global_store_dword v[3:4], v5, off offset:896
	s_or_b32 exec_lo, exec_lo, s0
	s_and_saveexec_b32 s0, s24
	s_cbranch_execz .LBB249_152
.LBB249_185:
	v_add_co_u32 v3, vcc_lo, 0x800, v0
	v_fma_f32 v5, -v2, v65, v15
	v_add_co_ci_u32_e64 v4, null, 0, v1, vcc_lo
	global_store_dword v[3:4], v5, off offset:1024
	s_or_b32 exec_lo, exec_lo, s0
	s_and_saveexec_b32 s0, s25
	s_cbranch_execz .LBB249_153
.LBB249_186:
	v_add_co_u32 v3, vcc_lo, 0x800, v0
	v_fma_f32 v5, -v2, v66, v14
	v_add_co_ci_u32_e64 v4, null, 0, v1, vcc_lo
	global_store_dword v[3:4], v5, off offset:1152
	s_or_b32 exec_lo, exec_lo, s0
	s_and_saveexec_b32 s0, s26
	s_cbranch_execz .LBB249_154
.LBB249_187:
	v_add_co_u32 v3, vcc_lo, 0x800, v0
	v_fma_f32 v5, -v2, v67, v13
	v_add_co_ci_u32_e64 v4, null, 0, v1, vcc_lo
	global_store_dword v[3:4], v5, off offset:1280
	s_or_b32 exec_lo, exec_lo, s0
	s_and_saveexec_b32 s0, s27
	s_cbranch_execz .LBB249_155
.LBB249_188:
	v_add_co_u32 v3, vcc_lo, 0x800, v0
	v_fma_f32 v5, -v2, v68, v12
	v_add_co_ci_u32_e64 v4, null, 0, v1, vcc_lo
	global_store_dword v[3:4], v5, off offset:1408
	s_or_b32 exec_lo, exec_lo, s0
	s_and_saveexec_b32 s0, s28
	s_cbranch_execz .LBB249_156
.LBB249_189:
	v_add_co_u32 v3, vcc_lo, 0x800, v0
	v_fma_f32 v5, -v2, v69, v10
	v_add_co_ci_u32_e64 v4, null, 0, v1, vcc_lo
	global_store_dword v[3:4], v5, off offset:1536
	s_or_b32 exec_lo, exec_lo, s0
	s_and_saveexec_b32 s0, s29
	s_cbranch_execz .LBB249_157
.LBB249_190:
	v_add_co_u32 v3, vcc_lo, 0x800, v0
	v_fma_f32 v5, -v2, v70, v9
	v_add_co_ci_u32_e64 v4, null, 0, v1, vcc_lo
	global_store_dword v[3:4], v5, off offset:1664
	s_or_b32 exec_lo, exec_lo, s0
	s_and_saveexec_b32 s0, s30
	s_cbranch_execz .LBB249_158
.LBB249_191:
	v_add_co_u32 v3, vcc_lo, 0x800, v0
	v_fma_f32 v5, -v2, v7, v8
	v_add_co_ci_u32_e64 v4, null, 0, v1, vcc_lo
	global_store_dword v[3:4], v5, off offset:1792
	s_or_b32 exec_lo, exec_lo, s0
	s_and_b32 exec_lo, exec_lo, s31
	s_cbranch_execnz .LBB249_159
	s_branch .LBB249_160
	.section	.rodata,"a",@progbits
	.p2align	6, 0x0
	.amdhsa_kernel _ZN12_GLOBAL__N_121softmax_warp_backwardIfffLi10ELb1ELb0ELi32EEEvPT0_PKT_S5_iiiPKb
		.amdhsa_group_segment_fixed_size 0
		.amdhsa_private_segment_fixed_size 0
		.amdhsa_kernarg_size 304
		.amdhsa_user_sgpr_count 6
		.amdhsa_user_sgpr_private_segment_buffer 1
		.amdhsa_user_sgpr_dispatch_ptr 0
		.amdhsa_user_sgpr_queue_ptr 0
		.amdhsa_user_sgpr_kernarg_segment_ptr 1
		.amdhsa_user_sgpr_dispatch_id 0
		.amdhsa_user_sgpr_flat_scratch_init 0
		.amdhsa_user_sgpr_private_segment_size 0
		.amdhsa_wavefront_size32 1
		.amdhsa_uses_dynamic_stack 0
		.amdhsa_system_sgpr_private_segment_wavefront_offset 0
		.amdhsa_system_sgpr_workgroup_id_x 1
		.amdhsa_system_sgpr_workgroup_id_y 0
		.amdhsa_system_sgpr_workgroup_id_z 0
		.amdhsa_system_sgpr_workgroup_info 0
		.amdhsa_system_vgpr_workitem_id 1
		.amdhsa_next_free_vgpr 74
		.amdhsa_next_free_sgpr 44
		.amdhsa_reserve_vcc 1
		.amdhsa_reserve_flat_scratch 0
		.amdhsa_float_round_mode_32 0
		.amdhsa_float_round_mode_16_64 0
		.amdhsa_float_denorm_mode_32 3
		.amdhsa_float_denorm_mode_16_64 3
		.amdhsa_dx10_clamp 1
		.amdhsa_ieee_mode 1
		.amdhsa_fp16_overflow 0
		.amdhsa_workgroup_processor_mode 1
		.amdhsa_memory_ordered 1
		.amdhsa_forward_progress 1
		.amdhsa_shared_vgpr_count 0
		.amdhsa_exception_fp_ieee_invalid_op 0
		.amdhsa_exception_fp_denorm_src 0
		.amdhsa_exception_fp_ieee_div_zero 0
		.amdhsa_exception_fp_ieee_overflow 0
		.amdhsa_exception_fp_ieee_underflow 0
		.amdhsa_exception_fp_ieee_inexact 0
		.amdhsa_exception_int_div_zero 0
	.end_amdhsa_kernel
	.section	.text._ZN12_GLOBAL__N_121softmax_warp_backwardIfffLi10ELb1ELb0ELi32EEEvPT0_PKT_S5_iiiPKb,"axG",@progbits,_ZN12_GLOBAL__N_121softmax_warp_backwardIfffLi10ELb1ELb0ELi32EEEvPT0_PKT_S5_iiiPKb,comdat
.Lfunc_end249:
	.size	_ZN12_GLOBAL__N_121softmax_warp_backwardIfffLi10ELb1ELb0ELi32EEEvPT0_PKT_S5_iiiPKb, .Lfunc_end249-_ZN12_GLOBAL__N_121softmax_warp_backwardIfffLi10ELb1ELb0ELi32EEEvPT0_PKT_S5_iiiPKb
                                        ; -- End function
	.set _ZN12_GLOBAL__N_121softmax_warp_backwardIfffLi10ELb1ELb0ELi32EEEvPT0_PKT_S5_iiiPKb.num_vgpr, 74
	.set _ZN12_GLOBAL__N_121softmax_warp_backwardIfffLi10ELb1ELb0ELi32EEEvPT0_PKT_S5_iiiPKb.num_agpr, 0
	.set _ZN12_GLOBAL__N_121softmax_warp_backwardIfffLi10ELb1ELb0ELi32EEEvPT0_PKT_S5_iiiPKb.numbered_sgpr, 44
	.set _ZN12_GLOBAL__N_121softmax_warp_backwardIfffLi10ELb1ELb0ELi32EEEvPT0_PKT_S5_iiiPKb.num_named_barrier, 0
	.set _ZN12_GLOBAL__N_121softmax_warp_backwardIfffLi10ELb1ELb0ELi32EEEvPT0_PKT_S5_iiiPKb.private_seg_size, 0
	.set _ZN12_GLOBAL__N_121softmax_warp_backwardIfffLi10ELb1ELb0ELi32EEEvPT0_PKT_S5_iiiPKb.uses_vcc, 1
	.set _ZN12_GLOBAL__N_121softmax_warp_backwardIfffLi10ELb1ELb0ELi32EEEvPT0_PKT_S5_iiiPKb.uses_flat_scratch, 0
	.set _ZN12_GLOBAL__N_121softmax_warp_backwardIfffLi10ELb1ELb0ELi32EEEvPT0_PKT_S5_iiiPKb.has_dyn_sized_stack, 0
	.set _ZN12_GLOBAL__N_121softmax_warp_backwardIfffLi10ELb1ELb0ELi32EEEvPT0_PKT_S5_iiiPKb.has_recursion, 0
	.set _ZN12_GLOBAL__N_121softmax_warp_backwardIfffLi10ELb1ELb0ELi32EEEvPT0_PKT_S5_iiiPKb.has_indirect_call, 0
	.section	.AMDGPU.csdata,"",@progbits
; Kernel info:
; codeLenInByte = 8452
; TotalNumSgprs: 46
; NumVgprs: 74
; ScratchSize: 0
; MemoryBound: 0
; FloatMode: 240
; IeeeMode: 1
; LDSByteSize: 0 bytes/workgroup (compile time only)
; SGPRBlocks: 0
; VGPRBlocks: 9
; NumSGPRsForWavesPerEU: 46
; NumVGPRsForWavesPerEU: 74
; Occupancy: 12
; WaveLimiterHint : 0
; COMPUTE_PGM_RSRC2:SCRATCH_EN: 0
; COMPUTE_PGM_RSRC2:USER_SGPR: 6
; COMPUTE_PGM_RSRC2:TRAP_HANDLER: 0
; COMPUTE_PGM_RSRC2:TGID_X_EN: 1
; COMPUTE_PGM_RSRC2:TGID_Y_EN: 0
; COMPUTE_PGM_RSRC2:TGID_Z_EN: 0
; COMPUTE_PGM_RSRC2:TIDIG_COMP_CNT: 1
	.section	.text._ZN2at6native12_GLOBAL__N_124cunn_SoftMaxBackwardSmemILi4EfffNS1_26LogSoftMaxBackwardEpilogueEEEvPT0_PKT2_S8_l,"axG",@progbits,_ZN2at6native12_GLOBAL__N_124cunn_SoftMaxBackwardSmemILi4EfffNS1_26LogSoftMaxBackwardEpilogueEEEvPT0_PKT2_S8_l,comdat
	.globl	_ZN2at6native12_GLOBAL__N_124cunn_SoftMaxBackwardSmemILi4EfffNS1_26LogSoftMaxBackwardEpilogueEEEvPT0_PKT2_S8_l ; -- Begin function _ZN2at6native12_GLOBAL__N_124cunn_SoftMaxBackwardSmemILi4EfffNS1_26LogSoftMaxBackwardEpilogueEEEvPT0_PKT2_S8_l
	.p2align	8
	.type	_ZN2at6native12_GLOBAL__N_124cunn_SoftMaxBackwardSmemILi4EfffNS1_26LogSoftMaxBackwardEpilogueEEEvPT0_PKT2_S8_l,@function
_ZN2at6native12_GLOBAL__N_124cunn_SoftMaxBackwardSmemILi4EfffNS1_26LogSoftMaxBackwardEpilogueEEEvPT0_PKT2_S8_l: ; @_ZN2at6native12_GLOBAL__N_124cunn_SoftMaxBackwardSmemILi4EfffNS1_26LogSoftMaxBackwardEpilogueEEEvPT0_PKT2_S8_l
; %bb.0:
	s_load_dwordx8 s[8:15], s[4:5], 0x0
	v_mov_b32_e32 v2, 0
	v_lshlrev_b32_e32 v1, 2, v0
	v_lshl_add_u32 v5, v0, 4, 0
	s_waitcnt lgkmcnt(0)
	v_cmp_gt_i64_e32 vcc_lo, s[14:15], v[1:2]
	s_mul_i32 s0, s15, s6
	s_mul_hi_u32 s1, s14, s6
	s_mul_i32 s2, s14, s6
	s_add_i32 s3, s1, s0
	s_and_saveexec_b32 s1, vcc_lo
	s_cbranch_execz .LBB250_4
; %bb.1:
	s_load_dword s0, s[4:5], 0x2c
	s_lshl_b64 s[6:7], s[2:3], 2
	v_lshl_add_u32 v6, v0, 4, 0
	s_add_u32 s6, s12, s6
	s_addc_u32 s7, s13, s7
	v_mov_b32_e32 v2, 0
	v_mov_b32_e32 v3, v0
	s_mov_b32 s13, 0
	s_waitcnt lgkmcnt(0)
	s_and_b32 s12, s0, 0xffff
	v_add_lshl_u32 v1, v0, s12, 2
	s_lshl_b32 s16, s12, 2
	s_lshl_b32 s17, s12, 4
	.p2align	6
.LBB250_2:                              ; =>This Inner Loop Header: Depth=1
	v_ashrrev_i32_e32 v4, 31, v3
	v_lshlrev_b64 v[7:8], 4, v[3:4]
	v_add_nc_u32_e32 v3, s12, v3
	v_add_co_u32 v7, s0, s6, v7
	v_add_co_ci_u32_e64 v8, null, s7, v8, s0
	global_load_dwordx4 v[7:10], v[7:8], off
	s_waitcnt vmcnt(0)
	v_add_f32_e32 v2, v2, v7
	ds_write_b128 v6, v[7:10]
	v_add_nc_u32_e32 v6, s17, v6
	v_add_f32_e32 v4, v2, v8
	v_ashrrev_i32_e32 v2, 31, v1
	v_add_f32_e32 v4, v4, v9
	v_cmp_le_i64_e64 s0, s[14:15], v[1:2]
	v_add_nc_u32_e32 v1, s16, v1
	v_add_f32_e32 v2, v4, v10
	s_or_b32 s13, s0, s13
	s_andn2_b32 exec_lo, exec_lo, s13
	s_cbranch_execnz .LBB250_2
; %bb.3:
	s_or_b32 exec_lo, exec_lo, s13
.LBB250_4:
	s_or_b32 exec_lo, exec_lo, s1
	v_mbcnt_lo_u32_b32 v6, -1, 0
	s_lshl_b32 s1, s14, 2
	s_mov_b32 s6, exec_lo
	s_add_i32 s1, s1, 0
	s_waitcnt lgkmcnt(0)
	v_lshl_or_b32 v1, v6, 2, 64
	v_cmp_gt_u32_e64 s0, 24, v6
	s_barrier
	buffer_gl0_inv
	ds_bpermute_b32 v4, v1, v2
	v_cndmask_b32_e64 v3, 0, 8, s0
	v_cmp_gt_u32_e64 s0, 28, v6
	v_add_lshl_u32 v3, v3, v6, 2
	s_waitcnt lgkmcnt(0)
	v_add_f32_e32 v4, v2, v4
	v_cndmask_b32_e64 v2, 0, 4, s0
	v_cmp_gt_u32_e64 s0, 30, v6
	ds_bpermute_b32 v7, v3, v4
	v_add_lshl_u32 v2, v2, v6, 2
	s_waitcnt lgkmcnt(0)
	v_add_f32_e32 v7, v4, v7
	v_cndmask_b32_e64 v4, 0, 2, s0
	v_cmp_ne_u32_e64 s0, 31, v6
	ds_bpermute_b32 v8, v2, v7
	v_add_lshl_u32 v4, v4, v6, 2
	v_add_co_ci_u32_e64 v6, null, 0, v6, s0
	v_lshlrev_b32_e32 v6, 2, v6
	s_waitcnt lgkmcnt(0)
	v_add_f32_e32 v7, v7, v8
	ds_bpermute_b32 v8, v4, v7
	s_waitcnt lgkmcnt(0)
	v_add_f32_e32 v8, v7, v8
	v_and_b32_e32 v7, 31, v0
	ds_bpermute_b32 v9, v6, v8
	v_cmpx_eq_u32_e32 0, v7
	s_cbranch_execz .LBB250_6
; %bb.5:
	v_lshrrev_b32_e32 v10, 3, v0
	s_waitcnt lgkmcnt(0)
	v_add_f32_e32 v8, v8, v9
	v_add_nc_u32_e32 v10, s1, v10
	ds_write_b32 v10, v8
.LBB250_6:
	s_or_b32 exec_lo, exec_lo, s6
	s_waitcnt lgkmcnt(0)
	s_barrier
	buffer_gl0_inv
	s_load_dword s4, s[4:5], 0x2c
	v_mov_b32_e32 v8, 0
	s_mov_b32 s5, exec_lo
	s_waitcnt lgkmcnt(0)
	s_bfe_u32 s0, s4, 0xb0005
	v_cmpx_gt_u32_e64 s0, v0
; %bb.7:
	v_lshl_add_u32 v7, v7, 2, s1
	ds_read_b32 v8, v7
; %bb.8:
	s_or_b32 exec_lo, exec_lo, s5
	s_mov_b32 s5, exec_lo
	v_cmpx_gt_u32_e32 32, v0
	s_cbranch_execz .LBB250_10
; %bb.9:
	s_waitcnt lgkmcnt(0)
	ds_bpermute_b32 v1, v1, v8
	s_waitcnt lgkmcnt(0)
	v_add_f32_e32 v1, v8, v1
	ds_bpermute_b32 v3, v3, v1
	s_waitcnt lgkmcnt(0)
	v_add_f32_e32 v1, v1, v3
	;; [unrolled: 3-line block ×5, first 2 shown]
.LBB250_10:
	s_or_b32 exec_lo, exec_lo, s5
	s_mov_b32 s5, exec_lo
	v_cmpx_eq_u32_e32 0, v0
	s_cbranch_execz .LBB250_12
; %bb.11:
	v_mov_b32_e32 v1, s1
	s_waitcnt lgkmcnt(0)
	ds_write_b32 v1, v8
.LBB250_12:
	s_or_b32 exec_lo, exec_lo, s5
	s_waitcnt lgkmcnt(0)
	s_barrier
	buffer_gl0_inv
	s_and_saveexec_b32 s0, vcc_lo
	s_cbranch_execz .LBB250_15
; %bb.13:
	v_mov_b32_e32 v1, s1
	s_lshl_b64 s[0:1], s[2:3], 2
	s_and_b32 s5, 0xffff, s4
	s_add_u32 s6, s8, s0
	v_add_lshl_u32 v2, v0, s5, 2
	ds_read_b32 v4, v1
	s_addc_u32 s7, s9, s1
	s_add_u32 s8, s10, s0
	s_addc_u32 s9, s11, s1
	s_lshl_b32 s10, s5, 2
	s_mov_b32 s11, 0
	s_lshl_b32 s12, s5, 4
.LBB250_14:                             ; =>This Inner Loop Header: Depth=1
	v_ashrrev_i32_e32 v1, 31, v0
	v_ashrrev_i32_e32 v3, 31, v2
	ds_read_b128 v[10:13], v5
	v_add_nc_u32_e32 v5, s12, v5
	v_lshlrev_b64 v[14:15], 4, v[0:1]
	v_add_nc_u32_e32 v0, s5, v0
	v_add_co_u32 v6, vcc_lo, s8, v14
	v_add_co_ci_u32_e64 v7, null, s9, v15, vcc_lo
	v_cmp_le_i64_e32 vcc_lo, s[14:15], v[2:3]
	v_add_co_u32 v14, s0, s6, v14
	global_load_dwordx4 v[6:9], v[6:7], off
	v_add_co_ci_u32_e64 v15, null, s7, v15, s0
	v_add_nc_u32_e32 v2, s10, v2
	s_or_b32 s11, vcc_lo, s11
	s_waitcnt vmcnt(0)
	v_mul_f32_e32 v1, 0x3fb8aa3b, v6
	v_mul_f32_e32 v3, 0x3fb8aa3b, v7
	;; [unrolled: 1-line block ×4, first 2 shown]
	v_cmp_ngt_f32_e64 s1, 0xc2ce8ed0, v7
	v_fma_f32 v18, 0x3fb8aa3b, v6, -v1
	v_rndne_f32_e32 v19, v1
	v_fma_f32 v20, 0x3fb8aa3b, v7, -v3
	v_rndne_f32_e32 v21, v3
	v_fma_f32 v22, 0x3fb8aa3b, v8, -v16
	v_rndne_f32_e32 v23, v16
	v_fma_f32 v24, 0x3fb8aa3b, v9, -v17
	v_rndne_f32_e32 v25, v17
	v_fmac_f32_e32 v18, 0x32a5705f, v6
	v_sub_f32_e32 v1, v1, v19
	v_fmac_f32_e32 v20, 0x32a5705f, v7
	v_sub_f32_e32 v3, v3, v21
	;; [unrolled: 2-line block ×4, first 2 shown]
	v_add_f32_e32 v1, v1, v18
	v_add_f32_e32 v3, v3, v20
	;; [unrolled: 1-line block ×3, first 2 shown]
	v_cvt_i32_f32_e32 v19, v19
	v_add_f32_e32 v17, v17, v24
	v_exp_f32_e32 v1, v1
	v_exp_f32_e32 v3, v3
	;; [unrolled: 1-line block ×3, first 2 shown]
	v_cvt_i32_f32_e32 v21, v21
	v_exp_f32_e32 v17, v17
	v_cvt_i32_f32_e32 v23, v23
	v_cvt_i32_f32_e32 v25, v25
	v_cmp_ngt_f32_e64 s2, 0xc2ce8ed0, v8
	v_cmp_ngt_f32_e64 s3, 0xc2ce8ed0, v9
	;; [unrolled: 1-line block ×3, first 2 shown]
	v_ldexp_f32 v1, v1, v19
	v_ldexp_f32 v3, v3, v21
	v_ldexp_f32 v16, v16, v23
	v_ldexp_f32 v17, v17, v25
	v_cndmask_b32_e64 v1, 0, v1, s4
	v_cndmask_b32_e64 v3, 0, v3, s1
	v_cmp_nlt_f32_e64 s1, 0x42b17218, v7
	v_cndmask_b32_e64 v7, 0, v16, s2
	v_cmp_nlt_f32_e64 s2, 0x42b17218, v8
	;; [unrolled: 2-line block ×3, first 2 shown]
	v_cmp_nlt_f32_e64 s4, 0x42b17218, v6
	v_cndmask_b32_e64 v3, 0x7f800000, v3, s1
	v_cndmask_b32_e64 v9, 0x7f800000, v7, s2
	;; [unrolled: 1-line block ×4, first 2 shown]
	s_waitcnt lgkmcnt(0)
	v_fma_f32 v7, -v4, v3, v11
	v_fma_f32 v8, -v4, v9, v12
	;; [unrolled: 1-line block ×4, first 2 shown]
	global_store_dwordx4 v[14:15], v[6:9], off
	s_andn2_b32 exec_lo, exec_lo, s11
	s_cbranch_execnz .LBB250_14
.LBB250_15:
	s_endpgm
	.section	.rodata,"a",@progbits
	.p2align	6, 0x0
	.amdhsa_kernel _ZN2at6native12_GLOBAL__N_124cunn_SoftMaxBackwardSmemILi4EfffNS1_26LogSoftMaxBackwardEpilogueEEEvPT0_PKT2_S8_l
		.amdhsa_group_segment_fixed_size 0
		.amdhsa_private_segment_fixed_size 0
		.amdhsa_kernarg_size 288
		.amdhsa_user_sgpr_count 6
		.amdhsa_user_sgpr_private_segment_buffer 1
		.amdhsa_user_sgpr_dispatch_ptr 0
		.amdhsa_user_sgpr_queue_ptr 0
		.amdhsa_user_sgpr_kernarg_segment_ptr 1
		.amdhsa_user_sgpr_dispatch_id 0
		.amdhsa_user_sgpr_flat_scratch_init 0
		.amdhsa_user_sgpr_private_segment_size 0
		.amdhsa_wavefront_size32 1
		.amdhsa_uses_dynamic_stack 0
		.amdhsa_system_sgpr_private_segment_wavefront_offset 0
		.amdhsa_system_sgpr_workgroup_id_x 1
		.amdhsa_system_sgpr_workgroup_id_y 0
		.amdhsa_system_sgpr_workgroup_id_z 0
		.amdhsa_system_sgpr_workgroup_info 0
		.amdhsa_system_vgpr_workitem_id 0
		.amdhsa_next_free_vgpr 26
		.amdhsa_next_free_sgpr 18
		.amdhsa_reserve_vcc 1
		.amdhsa_reserve_flat_scratch 0
		.amdhsa_float_round_mode_32 0
		.amdhsa_float_round_mode_16_64 0
		.amdhsa_float_denorm_mode_32 3
		.amdhsa_float_denorm_mode_16_64 3
		.amdhsa_dx10_clamp 1
		.amdhsa_ieee_mode 1
		.amdhsa_fp16_overflow 0
		.amdhsa_workgroup_processor_mode 1
		.amdhsa_memory_ordered 1
		.amdhsa_forward_progress 1
		.amdhsa_shared_vgpr_count 0
		.amdhsa_exception_fp_ieee_invalid_op 0
		.amdhsa_exception_fp_denorm_src 0
		.amdhsa_exception_fp_ieee_div_zero 0
		.amdhsa_exception_fp_ieee_overflow 0
		.amdhsa_exception_fp_ieee_underflow 0
		.amdhsa_exception_fp_ieee_inexact 0
		.amdhsa_exception_int_div_zero 0
	.end_amdhsa_kernel
	.section	.text._ZN2at6native12_GLOBAL__N_124cunn_SoftMaxBackwardSmemILi4EfffNS1_26LogSoftMaxBackwardEpilogueEEEvPT0_PKT2_S8_l,"axG",@progbits,_ZN2at6native12_GLOBAL__N_124cunn_SoftMaxBackwardSmemILi4EfffNS1_26LogSoftMaxBackwardEpilogueEEEvPT0_PKT2_S8_l,comdat
.Lfunc_end250:
	.size	_ZN2at6native12_GLOBAL__N_124cunn_SoftMaxBackwardSmemILi4EfffNS1_26LogSoftMaxBackwardEpilogueEEEvPT0_PKT2_S8_l, .Lfunc_end250-_ZN2at6native12_GLOBAL__N_124cunn_SoftMaxBackwardSmemILi4EfffNS1_26LogSoftMaxBackwardEpilogueEEEvPT0_PKT2_S8_l
                                        ; -- End function
	.set _ZN2at6native12_GLOBAL__N_124cunn_SoftMaxBackwardSmemILi4EfffNS1_26LogSoftMaxBackwardEpilogueEEEvPT0_PKT2_S8_l.num_vgpr, 26
	.set _ZN2at6native12_GLOBAL__N_124cunn_SoftMaxBackwardSmemILi4EfffNS1_26LogSoftMaxBackwardEpilogueEEEvPT0_PKT2_S8_l.num_agpr, 0
	.set _ZN2at6native12_GLOBAL__N_124cunn_SoftMaxBackwardSmemILi4EfffNS1_26LogSoftMaxBackwardEpilogueEEEvPT0_PKT2_S8_l.numbered_sgpr, 18
	.set _ZN2at6native12_GLOBAL__N_124cunn_SoftMaxBackwardSmemILi4EfffNS1_26LogSoftMaxBackwardEpilogueEEEvPT0_PKT2_S8_l.num_named_barrier, 0
	.set _ZN2at6native12_GLOBAL__N_124cunn_SoftMaxBackwardSmemILi4EfffNS1_26LogSoftMaxBackwardEpilogueEEEvPT0_PKT2_S8_l.private_seg_size, 0
	.set _ZN2at6native12_GLOBAL__N_124cunn_SoftMaxBackwardSmemILi4EfffNS1_26LogSoftMaxBackwardEpilogueEEEvPT0_PKT2_S8_l.uses_vcc, 1
	.set _ZN2at6native12_GLOBAL__N_124cunn_SoftMaxBackwardSmemILi4EfffNS1_26LogSoftMaxBackwardEpilogueEEEvPT0_PKT2_S8_l.uses_flat_scratch, 0
	.set _ZN2at6native12_GLOBAL__N_124cunn_SoftMaxBackwardSmemILi4EfffNS1_26LogSoftMaxBackwardEpilogueEEEvPT0_PKT2_S8_l.has_dyn_sized_stack, 0
	.set _ZN2at6native12_GLOBAL__N_124cunn_SoftMaxBackwardSmemILi4EfffNS1_26LogSoftMaxBackwardEpilogueEEEvPT0_PKT2_S8_l.has_recursion, 0
	.set _ZN2at6native12_GLOBAL__N_124cunn_SoftMaxBackwardSmemILi4EfffNS1_26LogSoftMaxBackwardEpilogueEEEvPT0_PKT2_S8_l.has_indirect_call, 0
	.section	.AMDGPU.csdata,"",@progbits
; Kernel info:
; codeLenInByte = 1316
; TotalNumSgprs: 20
; NumVgprs: 26
; ScratchSize: 0
; MemoryBound: 0
; FloatMode: 240
; IeeeMode: 1
; LDSByteSize: 0 bytes/workgroup (compile time only)
; SGPRBlocks: 0
; VGPRBlocks: 3
; NumSGPRsForWavesPerEU: 20
; NumVGPRsForWavesPerEU: 26
; Occupancy: 16
; WaveLimiterHint : 0
; COMPUTE_PGM_RSRC2:SCRATCH_EN: 0
; COMPUTE_PGM_RSRC2:USER_SGPR: 6
; COMPUTE_PGM_RSRC2:TRAP_HANDLER: 0
; COMPUTE_PGM_RSRC2:TGID_X_EN: 1
; COMPUTE_PGM_RSRC2:TGID_Y_EN: 0
; COMPUTE_PGM_RSRC2:TGID_Z_EN: 0
; COMPUTE_PGM_RSRC2:TIDIG_COMP_CNT: 0
	.section	.text._ZN2at6native12_GLOBAL__N_120cunn_SoftMaxBackwardILi4EfffNS1_26LogSoftMaxBackwardEpilogueEEEvPT0_PKT2_S8_l,"axG",@progbits,_ZN2at6native12_GLOBAL__N_120cunn_SoftMaxBackwardILi4EfffNS1_26LogSoftMaxBackwardEpilogueEEEvPT0_PKT2_S8_l,comdat
	.globl	_ZN2at6native12_GLOBAL__N_120cunn_SoftMaxBackwardILi4EfffNS1_26LogSoftMaxBackwardEpilogueEEEvPT0_PKT2_S8_l ; -- Begin function _ZN2at6native12_GLOBAL__N_120cunn_SoftMaxBackwardILi4EfffNS1_26LogSoftMaxBackwardEpilogueEEEvPT0_PKT2_S8_l
	.p2align	8
	.type	_ZN2at6native12_GLOBAL__N_120cunn_SoftMaxBackwardILi4EfffNS1_26LogSoftMaxBackwardEpilogueEEEvPT0_PKT2_S8_l,@function
_ZN2at6native12_GLOBAL__N_120cunn_SoftMaxBackwardILi4EfffNS1_26LogSoftMaxBackwardEpilogueEEEvPT0_PKT2_S8_l: ; @_ZN2at6native12_GLOBAL__N_120cunn_SoftMaxBackwardILi4EfffNS1_26LogSoftMaxBackwardEpilogueEEEvPT0_PKT2_S8_l
; %bb.0:
	s_load_dwordx8 s[8:15], s[4:5], 0x0
	s_mov_b32 s3, 0
	s_waitcnt lgkmcnt(0)
	s_mul_i32 s1, s15, s6
	s_mul_hi_u32 s2, s14, s6
	s_mul_i32 s0, s14, s6
	s_add_i32 s1, s2, s1
	v_cmp_lt_i64_e64 s7, 0x7ffffffe, s[14:15]
	s_lshl_b64 s[28:29], s[0:1], 2
	s_mov_b64 s[18:19], s[14:15]
	s_add_u32 s16, s12, s28
	s_addc_u32 s17, s13, s29
	s_bfe_u32 s2, s16, 0x20002
	s_cmp_lg_u32 s2, 0
	s_cselect_b32 s26, -1, 0
	s_and_b32 vcc_lo, exec_lo, s7
	s_cbranch_vccz .LBB251_16
; %bb.1:
	v_mov_b32_e32 v1, 0
	s_add_u32 s0, s4, 32
	s_addc_u32 s1, s5, 0
	s_and_b32 vcc_lo, exec_lo, s26
	s_cbranch_vccz .LBB251_39
; %bb.2:
	s_lshl_b32 s0, s2, 2
	v_mov_b32_e32 v6, v1
	s_sub_u32 s22, s16, s0
	s_mov_b32 s24, 0
	s_subb_u32 s23, s17, 0
	s_mov_b32 s0, exec_lo
	v_cmpx_le_u64_e64 s[2:3], v[0:1]
	s_cbranch_execz .LBB251_4
; %bb.3:
	v_lshlrev_b32_e32 v2, 2, v0
	global_load_dword v2, v2, s[22:23]
	s_waitcnt vmcnt(0)
	v_add_f32_e32 v6, 0, v2
.LBB251_4:
	s_or_b32 exec_lo, exec_lo, s0
	s_load_dword s20, s[4:5], 0x2c
	s_add_u32 s21, s2, s14
	s_addc_u32 s25, 0, s15
	s_add_u32 s0, s4, 32
	s_addc_u32 s1, s5, 0
	s_waitcnt lgkmcnt(0)
	s_and_b32 s27, s20, 0xffff
	s_sub_u32 s20, s21, s27
	s_subb_u32 s21, s25, 0
	s_lshl_b32 s25, s27, 2
	s_add_u32 s22, s22, s25
	s_addc_u32 s23, s23, 0
	s_and_b32 vcc_lo, exec_lo, s24
	s_cbranch_vccz .LBB251_6
.LBB251_5:
	v_mov_b32_e32 v6, 0
	s_mov_b64 s[20:21], s[18:19]
	s_mov_b64 s[22:23], s[16:17]
.LBB251_6:
	s_load_dword s24, s[0:1], 0x0
	v_mov_b32_e32 v2, 0
	s_waitcnt lgkmcnt(0)
	s_cmp_lt_u32 s6, s24
	s_cselect_b32 s24, 12, 18
	s_add_u32 s0, s0, s24
	s_addc_u32 s1, s1, 0
	global_load_ushort v2, v2, s[0:1]
	s_mov_b32 s0, 0
	s_waitcnt vmcnt(0)
	v_readfirstlane_b32 s1, v2
	v_and_b32_e32 v7, 0xffff, v2
	s_and_b32 s24, 0xffff, s1
	s_mov_b32 s1, s21
	s_lshl_b32 s27, s24, 2
	s_cmp_lg_u64 s[0:1], 0
	s_cbranch_scc0 .LBB251_40
; %bb.7:
	v_cvt_f32_u32_e32 v2, s27
	s_sub_u32 s25, 0, s27
	s_subb_u32 s30, 0, 0
	v_fmamk_f32 v2, 0, 0x4f800000, v2
	v_rcp_f32_e32 v2, v2
	v_mul_f32_e32 v2, 0x5f7ffffc, v2
	v_mul_f32_e32 v3, 0x2f800000, v2
	v_trunc_f32_e32 v3, v3
	v_fmamk_f32 v2, v3, 0xcf800000, v2
	v_cvt_u32_f32_e32 v3, v3
	v_cvt_u32_f32_e32 v2, v2
	v_readfirstlane_b32 s1, v3
	v_readfirstlane_b32 s24, v2
	s_mul_i32 s31, s25, s1
	s_mul_hi_u32 s34, s25, s24
	s_mul_i32 s33, s30, s24
	s_add_i32 s31, s34, s31
	s_mul_i32 s35, s25, s24
	s_add_i32 s31, s31, s33
	s_mul_hi_u32 s34, s24, s35
	s_mul_i32 s37, s24, s31
	s_mul_hi_u32 s36, s1, s35
	s_mul_i32 s33, s1, s35
	s_mul_hi_u32 s35, s24, s31
	s_add_u32 s34, s34, s37
	s_addc_u32 s35, 0, s35
	s_mul_hi_u32 s38, s1, s31
	s_add_u32 s33, s34, s33
	s_mul_i32 s31, s1, s31
	s_addc_u32 s33, s35, s36
	s_addc_u32 s34, s38, 0
	s_add_u32 s31, s33, s31
	s_addc_u32 s33, 0, s34
	s_add_u32 s24, s24, s31
	s_cselect_b32 s31, -1, 0
	s_mul_hi_u32 s34, s25, s24
	s_cmp_lg_u32 s31, 0
	s_mul_i32 s31, s25, s24
	s_addc_u32 s1, s1, s33
	s_mul_i32 s30, s30, s24
	s_mul_i32 s25, s25, s1
	s_mul_hi_u32 s33, s24, s31
	s_add_i32 s25, s34, s25
	s_mul_hi_u32 s34, s1, s31
	s_add_i32 s25, s25, s30
	s_mul_i32 s30, s1, s31
	s_mul_i32 s36, s24, s25
	s_mul_hi_u32 s35, s24, s25
	s_add_u32 s33, s33, s36
	s_addc_u32 s35, 0, s35
	s_mul_hi_u32 s31, s1, s25
	s_add_u32 s30, s33, s30
	s_mul_i32 s25, s1, s25
	s_addc_u32 s30, s35, s34
	s_addc_u32 s31, s31, 0
	s_add_u32 s25, s30, s25
	s_addc_u32 s30, 0, s31
	s_add_u32 s24, s24, s25
	s_cselect_b32 s25, -1, 0
	s_mul_hi_u32 s31, s20, s24
	s_cmp_lg_u32 s25, 0
	s_mul_hi_u32 s25, s21, s24
	s_addc_u32 s1, s1, s30
	s_mul_i32 s24, s21, s24
	s_mul_i32 s33, s20, s1
	s_mul_hi_u32 s30, s20, s1
	s_add_u32 s31, s31, s33
	s_addc_u32 s30, 0, s30
	s_mul_hi_u32 s34, s21, s1
	s_add_u32 s24, s31, s24
	s_mul_i32 s1, s21, s1
	s_addc_u32 s24, s30, s25
	s_addc_u32 s25, s34, 0
	s_add_u32 s1, s24, s1
	s_addc_u32 s24, 0, s25
	s_mul_hi_u32 s25, s27, s1
	s_mul_i32 s24, s27, s24
	s_mul_i32 s1, s27, s1
	s_add_i32 s25, s25, s24
	s_sub_u32 s1, s20, s1
	s_cselect_b32 s24, -1, 0
	s_cmp_lg_u32 s24, 0
	s_subb_u32 s24, s21, s25
	s_sub_u32 s25, s1, s27
	s_cselect_b32 s30, -1, 0
	s_cmp_lg_u32 s30, 0
	s_subb_u32 s30, s24, 0
	;; [unrolled: 4-line block ×3, first 2 shown]
	s_cmp_ge_u32 s25, s27
	s_cselect_b32 s34, -1, 0
	s_cmp_eq_u32 s30, 0
	s_cselect_b32 s34, s34, -1
	s_cmp_lg_u32 s34, 0
	s_cselect_b32 s30, s33, s30
	s_cselect_b32 s31, s31, s25
	s_cmp_ge_u32 s1, s27
	s_cselect_b32 s25, -1, 0
	s_cmp_eq_u32 s24, 0
	s_cselect_b32 s25, s25, -1
	s_cmp_lg_u32 s25, 0
	s_cselect_b32 s25, s30, s24
	s_cselect_b32 s24, s31, s1
	s_andn2_b32 vcc_lo, exec_lo, s0
	s_cbranch_vccnz .LBB251_9
.LBB251_8:
	v_cvt_f32_u32_e32 v2, s27
	s_sub_i32 s1, 0, s27
	s_mov_b32 s25, 0
	v_rcp_iflag_f32_e32 v2, v2
	v_mul_f32_e32 v2, 0x4f7ffffe, v2
	v_cvt_u32_f32_e32 v2, v2
	v_readfirstlane_b32 s0, v2
	s_mul_i32 s1, s1, s0
	s_mul_hi_u32 s1, s0, s1
	s_add_i32 s0, s0, s1
	s_mul_hi_u32 s0, s20, s0
	s_mul_i32 s0, s0, s27
	s_sub_i32 s0, s20, s0
	s_sub_i32 s1, s0, s27
	s_cmp_ge_u32 s0, s27
	s_cselect_b32 s0, s1, s0
	s_sub_i32 s1, s0, s27
	s_cmp_ge_u32 s0, s27
	s_cselect_b32 s24, s1, s0
.LBB251_9:
	v_lshlrev_b32_e32 v2, 4, v0
	v_mov_b32_e32 v5, v1
	v_lshlrev_b32_e32 v8, 4, v7
	v_mov_b32_e32 v4, v0
	s_sub_u32 s24, s20, s24
	v_add_co_u32 v2, s0, s22, v2
	v_add_co_ci_u32_e64 v3, null, s23, 0, s0
	s_subb_u32 s25, s21, s25
	v_add_co_u32 v2, vcc_lo, v2, 8
	v_add_co_ci_u32_e64 v3, null, 0, v3, vcc_lo
	s_mov_b32 s1, 0
	.p2align	6
.LBB251_10:                             ; =>This Inner Loop Header: Depth=1
	global_load_dwordx4 v[9:12], v[2:3], off offset:-8
	v_add_co_u32 v4, vcc_lo, v4, v7
	v_add_co_ci_u32_e64 v5, null, 0, v5, vcc_lo
	v_add_co_u32 v2, s0, v2, v8
	v_add_co_ci_u32_e64 v3, null, 0, v3, s0
	v_lshlrev_b64 v[13:14], 2, v[4:5]
	v_cmp_le_i64_e32 vcc_lo, s[24:25], v[13:14]
	s_or_b32 s1, vcc_lo, s1
	s_waitcnt vmcnt(0)
	v_add_f32_e32 v1, v6, v9
	v_add_f32_e32 v1, v1, v10
	;; [unrolled: 1-line block ×4, first 2 shown]
	s_andn2_b32 exec_lo, exec_lo, s1
	s_cbranch_execnz .LBB251_10
; %bb.11:
	s_or_b32 exec_lo, exec_lo, s1
	v_add_co_u32 v1, s0, s24, v0
	v_add_co_ci_u32_e64 v2, null, s25, 0, s0
	s_mov_b32 s0, exec_lo
	v_cmpx_gt_u64_e64 s[20:21], v[1:2]
	s_cbranch_execz .LBB251_15
; %bb.12:
	s_mov_b32 s1, 0
	.p2align	6
.LBB251_13:                             ; =>This Inner Loop Header: Depth=1
	v_lshlrev_b64 v[3:4], 2, v[1:2]
	v_add_co_u32 v3, vcc_lo, s22, v3
	v_add_co_ci_u32_e64 v4, null, s23, v4, vcc_lo
	v_add_co_u32 v1, vcc_lo, v1, v7
	v_add_co_ci_u32_e64 v2, null, 0, v2, vcc_lo
	global_load_dword v3, v[3:4], off
	v_cmp_le_i64_e32 vcc_lo, s[20:21], v[1:2]
	s_or_b32 s1, vcc_lo, s1
	s_waitcnt vmcnt(0)
	v_add_f32_e32 v6, v6, v3
	s_andn2_b32 exec_lo, exec_lo, s1
	s_cbranch_execnz .LBB251_13
; %bb.14:
	s_or_b32 exec_lo, exec_lo, s1
.LBB251_15:
	s_or_b32 exec_lo, exec_lo, s0
	s_branch .LBB251_31
.LBB251_16:
                                        ; implicit-def: $vgpr6
	s_cbranch_execz .LBB251_31
; %bb.17:
	s_add_u32 s20, s4, 32
	s_addc_u32 s21, s5, 0
	s_and_b32 vcc_lo, exec_lo, s26
	s_cbranch_vccz .LBB251_41
; %bb.18:
	s_lshl_b64 s[0:1], s[2:3], 2
	v_cmp_le_u32_e32 vcc_lo, s2, v0
	s_sub_u32 s22, s16, s0
	s_subb_u32 s23, s17, s1
	s_add_i32 s1, s2, s14
	v_mov_b32_e32 v6, 0
	v_cmp_gt_i32_e64 s0, s1, v0
	s_and_b32 s20, vcc_lo, s0
	s_and_saveexec_b32 s0, s20
	s_cbranch_execz .LBB251_20
; %bb.19:
	v_lshlrev_b32_e32 v1, 2, v0
	global_load_dword v1, v1, s[22:23]
	s_waitcnt vmcnt(0)
	v_add_f32_e32 v6, 0, v1
.LBB251_20:
	s_or_b32 exec_lo, exec_lo, s0
	s_load_dword s0, s[4:5], 0x2c
	s_add_u32 s20, s4, 32
	s_addc_u32 s21, s5, 0
	s_waitcnt lgkmcnt(0)
	s_and_b32 s0, s0, 0xffff
	v_sub_nc_u32_e64 v1, s1, s0 clamp
	s_lshl_b32 s0, s0, 2
	s_add_u32 s0, s22, s0
	s_addc_u32 s1, s23, 0
	v_readfirstlane_b32 s24, v1
	s_branch .LBB251_22
.LBB251_21:
	v_mov_b32_e32 v6, 0
	s_mov_b32 s24, s14
	s_mov_b64 s[0:1], s[16:17]
.LBB251_22:
	s_load_dword s22, s[20:21], 0x0
	v_mov_b32_e32 v1, 0
	s_waitcnt lgkmcnt(0)
	s_cmp_lt_u32 s6, s22
	s_cselect_b32 s22, 12, 18
	s_add_u32 s20, s20, s22
	s_addc_u32 s21, s21, 0
	global_load_ushort v3, v1, s[20:21]
	s_waitcnt vmcnt(0)
	v_readfirstlane_b32 s20, v3
	s_lshl_b32 s20, s20, 2
	v_cvt_f32_u32_e32 v1, s20
	s_sub_i32 s22, 0, s20
	v_rcp_iflag_f32_e32 v1, v1
	v_mul_f32_e32 v1, 0x4f7ffffe, v1
	v_cvt_u32_f32_e32 v1, v1
	v_readfirstlane_b32 s21, v1
	v_lshlrev_b32_e32 v1, 2, v0
	s_mul_i32 s22, s22, s21
	s_mul_hi_u32 s22, s21, s22
	s_add_i32 s21, s21, s22
	s_mul_hi_u32 s21, s24, s21
	s_mul_i32 s21, s21, s20
	s_sub_i32 s21, s24, s21
	s_sub_i32 s22, s21, s20
	s_cmp_ge_u32 s21, s20
	s_cselect_b32 s21, s22, s21
	s_sub_i32 s22, s21, s20
	s_cmp_ge_u32 s21, s20
	s_cselect_b32 s20, s22, s21
	s_mov_b32 s22, 0
	s_sub_i32 s20, s24, s20
	s_mov_b32 s21, exec_lo
	v_cmpx_gt_i32_e64 s20, v1
	s_cbranch_execz .LBB251_26
; %bb.23:
	v_mov_b32_e32 v1, v0
	.p2align	6
.LBB251_24:                             ; =>This Inner Loop Header: Depth=1
	v_ashrrev_i32_e32 v2, 31, v1
	v_lshlrev_b64 v[4:5], 4, v[1:2]
	v_add_nc_u32_e32 v1, v1, v3
	v_add_co_u32 v4, vcc_lo, s0, v4
	v_add_co_ci_u32_e64 v5, null, s1, v5, vcc_lo
	global_load_dwordx4 v[7:10], v[4:5], off
	v_lshlrev_b32_e32 v4, 2, v1
	v_cmp_le_i32_e32 vcc_lo, s20, v4
	s_or_b32 s22, vcc_lo, s22
	s_waitcnt vmcnt(0)
	v_add_f32_e32 v2, v6, v7
	v_add_f32_e32 v2, v2, v8
	;; [unrolled: 1-line block ×4, first 2 shown]
	s_andn2_b32 exec_lo, exec_lo, s22
	s_cbranch_execnz .LBB251_24
; %bb.25:
	s_or_b32 exec_lo, exec_lo, s22
.LBB251_26:
	s_or_b32 exec_lo, exec_lo, s21
	v_add_nc_u32_e32 v1, s20, v0
	s_mov_b32 s20, exec_lo
	v_cmpx_gt_i32_e64 s24, v1
	s_cbranch_execz .LBB251_30
; %bb.27:
	s_mov_b32 s21, 0
.LBB251_28:                             ; =>This Inner Loop Header: Depth=1
	v_ashrrev_i32_e32 v2, 31, v1
	v_lshlrev_b64 v[4:5], 2, v[1:2]
	v_add_nc_u32_e32 v1, v1, v3
	v_add_co_u32 v4, vcc_lo, s0, v4
	v_add_co_ci_u32_e64 v5, null, s1, v5, vcc_lo
	v_cmp_le_i32_e32 vcc_lo, s24, v1
	global_load_dword v2, v[4:5], off
	s_or_b32 s21, vcc_lo, s21
	s_waitcnt vmcnt(0)
	v_add_f32_e32 v6, v6, v2
	s_andn2_b32 exec_lo, exec_lo, s21
	s_cbranch_execnz .LBB251_28
; %bb.29:
	s_or_b32 exec_lo, exec_lo, s21
.LBB251_30:
	s_or_b32 exec_lo, exec_lo, s20
.LBB251_31:
	v_lshl_add_u32 v1, v0, 2, 0
	s_barrier
	buffer_gl0_inv
	s_add_u32 s20, s4, 32
	ds_write_b32 v1, v6
	s_waitcnt lgkmcnt(0)
	s_barrier
	buffer_gl0_inv
	s_load_dword s1, s[4:5], 0x2c
	s_addc_u32 s21, s5, 0
	s_waitcnt lgkmcnt(0)
	s_bfe_u32 s0, s1, 0xb0005
	s_and_b32 s0, s0, 0xffff
	s_min_u32 s4, s0, 32
	v_cmp_gt_u32_e32 vcc_lo, s4, v0
	s_and_saveexec_b32 s4, vcc_lo
	s_cbranch_execz .LBB251_33
; %bb.32:
	v_mad_u32_u24 v10, 0x7c, v0, v1
	ds_read2_b32 v[2:3], v10 offset1:1
	ds_read2_b32 v[4:5], v10 offset0:2 offset1:3
	ds_read2_b32 v[6:7], v10 offset0:4 offset1:5
	;; [unrolled: 1-line block ×3, first 2 shown]
	s_waitcnt lgkmcnt(3)
	v_add_f32_e32 v2, 0, v2
	v_add_f32_e32 v2, v2, v3
	s_waitcnt lgkmcnt(2)
	v_add_f32_e32 v2, v2, v4
	v_add_f32_e32 v4, v2, v5
	ds_read2_b32 v[2:3], v10 offset0:8 offset1:9
	s_waitcnt lgkmcnt(2)
	v_add_f32_e32 v4, v4, v6
	v_add_f32_e32 v6, v4, v7
	ds_read2_b32 v[4:5], v10 offset0:10 offset1:11
	s_waitcnt lgkmcnt(2)
	v_add_f32_e32 v6, v6, v8
	v_add_f32_e32 v11, v6, v9
	ds_read2_b32 v[6:7], v10 offset0:12 offset1:13
	ds_read2_b32 v[8:9], v10 offset0:14 offset1:15
	s_waitcnt lgkmcnt(3)
	v_add_f32_e32 v2, v11, v2
	v_add_f32_e32 v2, v2, v3
	s_waitcnt lgkmcnt(2)
	v_add_f32_e32 v2, v2, v4
	v_add_f32_e32 v4, v2, v5
	ds_read2_b32 v[2:3], v10 offset0:16 offset1:17
	s_waitcnt lgkmcnt(2)
	v_add_f32_e32 v4, v4, v6
	v_add_f32_e32 v6, v4, v7
	ds_read2_b32 v[4:5], v10 offset0:18 offset1:19
	;; [unrolled: 4-line block ×3, first 2 shown]
	ds_read2_b32 v[8:9], v10 offset0:22 offset1:23
	s_waitcnt lgkmcnt(3)
	v_add_f32_e32 v2, v11, v2
	v_add_f32_e32 v2, v2, v3
	s_waitcnt lgkmcnt(2)
	v_add_f32_e32 v2, v2, v4
	v_add_f32_e32 v2, v2, v5
	s_waitcnt lgkmcnt(1)
	v_add_f32_e32 v4, v2, v6
	ds_read2_b32 v[2:3], v10 offset0:24 offset1:25
	v_add_f32_e32 v4, v4, v7
	s_waitcnt lgkmcnt(1)
	v_add_f32_e32 v6, v4, v8
	ds_read2_b32 v[4:5], v10 offset0:26 offset1:27
	v_add_f32_e32 v11, v6, v9
	ds_read2_b32 v[6:7], v10 offset0:28 offset1:29
	ds_read2_b32 v[8:9], v10 offset0:30 offset1:31
	s_waitcnt lgkmcnt(3)
	v_add_f32_e32 v2, v11, v2
	v_add_f32_e32 v2, v2, v3
	s_waitcnt lgkmcnt(2)
	v_add_f32_e32 v2, v2, v4
	v_add_f32_e32 v2, v2, v5
	;; [unrolled: 3-line block ×4, first 2 shown]
	ds_write_b32 v1, v2
.LBB251_33:
	s_or_b32 exec_lo, exec_lo, s4
	s_and_b32 s33, 0xffff, s1
	s_mov_b32 s1, exec_lo
	s_waitcnt lgkmcnt(0)
	s_barrier
	buffer_gl0_inv
	v_cmpx_eq_u32_e32 0, v0
	s_cbranch_execz .LBB251_46
; %bb.34:
	v_mov_b32_e32 v1, 0
	s_cmp_lt_u32 s33, 32
	s_cbranch_scc1 .LBB251_45
; %bb.35:
	s_add_i32 s4, s0, -1
	v_mov_b32_e32 v1, 0
	s_and_b32 s4, s4, 0xffff
	s_cmp_lt_u32 s4, 7
	s_cbranch_scc1 .LBB251_42
; %bb.36:
	s_and_b32 s4, s0, 0x7f8
	s_mov_b32 s5, 0
	s_mov_b32 s22, 0
	.p2align	6
.LBB251_37:                             ; =>This Inner Loop Header: Depth=1
	v_mov_b32_e32 v8, s22
	s_add_i32 s5, s5, 8
	s_add_i32 s22, s22, 32
	s_cmp_eq_u32 s4, s5
	ds_read2_b32 v[2:3], v8 offset1:1
	ds_read2_b32 v[4:5], v8 offset0:2 offset1:3
	ds_read2_b32 v[6:7], v8 offset0:4 offset1:5
	;; [unrolled: 1-line block ×3, first 2 shown]
	s_waitcnt lgkmcnt(3)
	v_add_f32_e32 v1, v1, v2
	v_add_f32_e32 v1, v1, v3
	s_waitcnt lgkmcnt(2)
	v_add_f32_e32 v1, v1, v4
	v_add_f32_e32 v1, v1, v5
	;; [unrolled: 3-line block ×4, first 2 shown]
	s_cbranch_scc0 .LBB251_37
; %bb.38:
	s_and_b32 s0, s0, 7
	s_cmp_eq_u32 s0, 0
	s_cbranch_scc0 .LBB251_43
	s_branch .LBB251_45
.LBB251_39:
                                        ; implicit-def: $sgpr22_sgpr23
                                        ; implicit-def: $sgpr20_sgpr21
                                        ; implicit-def: $vgpr6
	s_cbranch_execnz .LBB251_5
	s_branch .LBB251_6
.LBB251_40:
                                        ; implicit-def: $sgpr24_sgpr25
	s_branch .LBB251_8
.LBB251_41:
                                        ; implicit-def: $sgpr0_sgpr1
                                        ; implicit-def: $sgpr24
                                        ; implicit-def: $vgpr6
	s_cbranch_execnz .LBB251_21
	s_branch .LBB251_22
.LBB251_42:
	s_mov_b32 s4, 0
	s_and_b32 s0, s0, 7
	s_cmp_eq_u32 s0, 0
	s_cbranch_scc1 .LBB251_45
.LBB251_43:
	s_lshl_b32 s4, s4, 2
	s_add_i32 s4, s4, 0
.LBB251_44:                             ; =>This Inner Loop Header: Depth=1
	v_mov_b32_e32 v2, s4
	s_add_i32 s0, s0, -1
	s_add_i32 s4, s4, 4
	s_cmp_lg_u32 s0, 0
	ds_read_b32 v2, v2
	s_waitcnt lgkmcnt(0)
	v_add_f32_e32 v1, v1, v2
	s_cbranch_scc1 .LBB251_44
.LBB251_45:
	v_mov_b32_e32 v2, 0
	ds_write_b32 v2, v1
.LBB251_46:
	s_or_b32 exec_lo, exec_lo, s1
	v_mov_b32_e32 v1, 0
	s_waitcnt lgkmcnt(0)
	s_barrier
	buffer_gl0_inv
	s_add_u32 s22, s8, s28
	ds_read_b32 v6, v1
	s_addc_u32 s23, s9, s29
	s_add_u32 s24, s10, s28
	s_addc_u32 s25, s11, s29
	s_lshr_b64 s[0:1], s[22:23], 2
	s_mov_b32 s27, 0
	s_and_b32 s26, s0, 3
	s_bfe_u32 s0, s24, 0x20002
	s_mov_b32 s1, s27
	s_cmp_eq_u64 s[26:27], s[0:1]
	s_cselect_b32 s0, -1, 0
	s_cmp_eq_u64 s[26:27], s[2:3]
	s_cselect_b32 s1, -1, 0
	s_and_b32 s0, s0, s1
	s_andn2_b32 vcc_lo, exec_lo, s0
	s_mov_b32 s0, -1
	s_cbranch_vccz .LBB251_65
; %bb.47:
	s_and_b32 vcc_lo, exec_lo, s7
	s_cbranch_vccz .LBB251_56
; %bb.48:
	s_lshl_b32 s40, s33, 2
	s_mov_b32 s42, 0
	v_cvt_f32_u32_e32 v1, s40
	s_sub_i32 s1, 0, s40
	s_mov_b32 s41, exec_lo
	v_rcp_iflag_f32_e32 v1, v1
	v_mul_f32_e32 v1, 0x4f7ffffe, v1
	v_cvt_u32_f32_e32 v1, v1
	v_readfirstlane_b32 s0, v1
	v_mov_b32_e32 v1, 0
	s_mul_i32 s1, s1, s0
	v_mov_b32_e32 v3, v1
	s_mul_hi_u32 s1, s0, s1
	v_mov_b32_e32 v2, v0
	s_add_i32 s0, s0, s1
	s_mul_hi_u32 s0, s14, s0
	s_mul_i32 s0, s0, s40
	s_sub_i32 s0, s14, s0
	s_sub_i32 s1, s0, s40
	s_cmp_ge_u32 s0, s40
	s_cselect_b32 s0, s1, s0
	s_sub_i32 s1, s0, s40
	s_cmp_ge_u32 s0, s40
	s_cselect_b32 s0, s1, s0
	s_bfe_i64 s[4:5], s[14:15], 0x200000
	s_sub_u32 s30, s4, s0
	s_subb_u32 s31, s5, 0
	v_cmpx_gt_i64_e64 s[30:31], v[0:1]
	s_cbranch_execz .LBB251_52
; %bb.49:
	s_lshl_b32 s43, s33, 4
	s_add_u32 s0, s28, s40
	s_addc_u32 s1, s29, 0
	s_add_u32 s44, s10, s0
	s_addc_u32 s45, s11, s1
	s_lshl_b32 s2, s33, 3
	s_mul_i32 s34, s33, 12
	s_add_u32 s2, s28, s2
	s_addc_u32 s3, s29, 0
	s_add_u32 s46, s10, s2
	s_addc_u32 s47, s11, s3
	;; [unrolled: 2-line block ×7, first 2 shown]
	s_add_u32 s56, s8, s0
	v_lshlrev_b64 v[4:5], 2, v[0:1]
	s_addc_u32 s57, s9, s1
	v_mov_b32_e32 v3, v1
	s_add_u32 s58, s8, s2
	v_mov_b32_e32 v2, v0
	s_addc_u32 s59, s9, s3
	s_add_u32 s60, s8, s34
	s_addc_u32 s61, s9, s35
	s_mov_b64 s[34:35], s[22:23]
	s_mov_b64 s[36:37], s[16:17]
	;; [unrolled: 1-line block ×3, first 2 shown]
.LBB251_50:                             ; =>This Inner Loop Header: Depth=1
	v_add_co_u32 v7, vcc_lo, s38, v4
	v_add_co_ci_u32_e64 v8, null, s39, v5, vcc_lo
	v_add_co_u32 v9, vcc_lo, s44, v4
	v_add_co_ci_u32_e64 v10, null, s45, v5, vcc_lo
	;; [unrolled: 2-line block ×4, first 2 shown]
	global_load_dword v1, v[7:8], off
	global_load_dword v15, v[9:10], off
	;; [unrolled: 1-line block ×4, first 2 shown]
	v_add_co_u32 v7, vcc_lo, s36, v4
	v_add_co_ci_u32_e64 v8, null, s37, v5, vcc_lo
	v_add_co_u32 v9, vcc_lo, s50, v4
	v_add_co_ci_u32_e64 v10, null, s51, v5, vcc_lo
	;; [unrolled: 2-line block ×4, first 2 shown]
	global_load_dword v18, v[7:8], off
	global_load_dword v19, v[9:10], off
	global_load_dword v20, v[11:12], off
	global_load_dword v21, v[13:14], off
	s_add_u32 s38, s38, s43
	s_addc_u32 s39, s39, 0
	s_add_u32 s44, s44, s43
	v_add_co_u32 v7, vcc_lo, s34, v4
	s_addc_u32 s45, s45, 0
	s_add_u32 s46, s46, s43
	v_add_co_ci_u32_e64 v8, null, s35, v5, vcc_lo
	v_add_co_u32 v9, vcc_lo, s56, v4
	s_addc_u32 s47, s47, 0
	s_add_u32 s48, s48, s43
	v_add_co_ci_u32_e64 v10, null, s57, v5, vcc_lo
	;; [unrolled: 4-line block ×5, first 2 shown]
	s_addc_u32 s53, s53, 0
	s_add_u32 s54, s54, s43
	s_addc_u32 s55, s55, 0
	s_add_u32 s34, s34, s43
	s_addc_u32 s35, s35, 0
	v_cmp_le_i64_e32 vcc_lo, s[30:31], v[2:3]
	s_add_u32 s56, s56, s43
	s_addc_u32 s57, s57, 0
	s_add_u32 s58, s58, s43
	s_addc_u32 s59, s59, 0
	;; [unrolled: 2-line block ×3, first 2 shown]
	s_or_b32 s42, vcc_lo, s42
	s_waitcnt vmcnt(7)
	v_mul_f32_e32 v22, 0x3fb8aa3b, v1
	s_waitcnt vmcnt(6)
	v_mul_f32_e32 v23, 0x3fb8aa3b, v15
	;; [unrolled: 2-line block ×4, first 2 shown]
	v_cmp_ngt_f32_e64 s3, 0xc2ce8ed0, v1
	v_fma_f32 v26, 0x3fb8aa3b, v1, -v22
	v_rndne_f32_e32 v27, v22
	v_fma_f32 v28, 0x3fb8aa3b, v15, -v23
	v_rndne_f32_e32 v29, v23
	;; [unrolled: 2-line block ×4, first 2 shown]
	v_fmac_f32_e32 v26, 0x32a5705f, v1
	v_sub_f32_e32 v22, v22, v27
	v_fmac_f32_e32 v28, 0x32a5705f, v15
	v_sub_f32_e32 v23, v23, v29
	v_fmac_f32_e32 v30, 0x32a5705f, v16
	v_sub_f32_e32 v24, v24, v31
	v_fmac_f32_e32 v32, 0x32a5705f, v17
	v_sub_f32_e32 v25, v25, v33
	v_add_f32_e32 v22, v22, v26
	v_add_f32_e32 v23, v23, v28
	v_add_f32_e32 v24, v24, v30
	v_cvt_i32_f32_e32 v27, v27
	v_add_f32_e32 v25, v25, v32
	v_exp_f32_e32 v22, v22
	v_exp_f32_e32 v23, v23
	;; [unrolled: 1-line block ×3, first 2 shown]
	v_cvt_i32_f32_e32 v29, v29
	v_exp_f32_e32 v25, v25
	v_cvt_i32_f32_e32 v31, v31
	v_cvt_i32_f32_e32 v33, v33
	v_cmp_ngt_f32_e64 s0, 0xc2ce8ed0, v15
	v_cmp_ngt_f32_e64 s1, 0xc2ce8ed0, v16
	;; [unrolled: 1-line block ×3, first 2 shown]
	v_ldexp_f32 v22, v22, v27
	v_ldexp_f32 v23, v23, v29
	;; [unrolled: 1-line block ×4, first 2 shown]
	v_cndmask_b32_e64 v22, 0, v22, s3
	v_cmp_nlt_f32_e64 s3, 0x42b17218, v1
	v_cndmask_b32_e64 v23, 0, v23, s0
	v_cmp_nlt_f32_e64 s0, 0x42b17218, v15
	;; [unrolled: 2-line block ×4, first 2 shown]
	v_cndmask_b32_e64 v1, 0x7f800000, v22, s3
	v_cndmask_b32_e64 v17, 0x7f800000, v23, s0
	;; [unrolled: 1-line block ×4, first 2 shown]
	s_waitcnt vmcnt(3) lgkmcnt(0)
	v_fma_f32 v1, -v6, v1, v18
	s_waitcnt vmcnt(2)
	v_fma_f32 v17, -v6, v17, v19
	s_waitcnt vmcnt(1)
	;; [unrolled: 2-line block ×3, first 2 shown]
	v_fma_f32 v16, -v6, v16, v21
	global_store_dword v[7:8], v1, off
	global_store_dword v[9:10], v17, off
	;; [unrolled: 1-line block ×4, first 2 shown]
	s_andn2_b32 exec_lo, exec_lo, s42
	s_cbranch_execnz .LBB251_50
; %bb.51:
	s_or_b32 exec_lo, exec_lo, s42
.LBB251_52:
	s_or_b32 exec_lo, exec_lo, s41
	s_mov_b32 s1, exec_lo
	v_cmpx_gt_i64_e64 s[4:5], v[2:3]
	s_cbranch_execz .LBB251_55
; %bb.53:
	v_lshlrev_b64 v[4:5], 2, v[2:3]
	s_mov_b32 s2, 0
	v_add_co_u32 v1, vcc_lo, s28, v4
	v_add_co_ci_u32_e64 v4, null, s29, v5, vcc_lo
.LBB251_54:                             ; =>This Inner Loop Header: Depth=1
	v_add_co_u32 v7, vcc_lo, s10, v1
	v_add_co_ci_u32_e64 v8, null, s11, v4, vcc_lo
	v_add_co_u32 v2, s0, v2, s33
	v_add_co_ci_u32_e64 v3, null, 0, v3, s0
	global_load_dword v5, v[7:8], off
	v_add_co_u32 v7, vcc_lo, s12, v1
	v_add_co_ci_u32_e64 v8, null, s13, v4, vcc_lo
	global_load_dword v9, v[7:8], off
	s_waitcnt vmcnt(1)
	v_mul_f32_e32 v7, 0x3fb8aa3b, v5
	v_cmp_ngt_f32_e64 s0, 0xc2ce8ed0, v5
	v_fma_f32 v8, 0x3fb8aa3b, v5, -v7
	v_rndne_f32_e32 v10, v7
	v_fmac_f32_e32 v8, 0x32a5705f, v5
	v_sub_f32_e32 v7, v7, v10
	v_cvt_i32_f32_e32 v10, v10
	v_add_f32_e32 v7, v7, v8
	v_exp_f32_e32 v8, v7
	v_add_co_u32 v7, vcc_lo, s8, v1
	v_ldexp_f32 v8, v8, v10
	v_cndmask_b32_e64 v10, 0, v8, s0
	v_add_co_ci_u32_e64 v8, null, s9, v4, vcc_lo
	v_cmp_nlt_f32_e32 vcc_lo, 0x42b17218, v5
	v_add_co_u32 v1, s0, v1, s40
	v_add_co_ci_u32_e64 v4, null, 0, v4, s0
	v_cndmask_b32_e32 v5, 0x7f800000, v10, vcc_lo
	v_cmp_le_i64_e32 vcc_lo, s[4:5], v[2:3]
	s_waitcnt vmcnt(0) lgkmcnt(0)
	v_fma_f32 v5, -v6, v5, v9
	s_or_b32 s2, vcc_lo, s2
	global_store_dword v[7:8], v5, off
	s_andn2_b32 exec_lo, exec_lo, s2
	s_cbranch_execnz .LBB251_54
.LBB251_55:
	s_or_b32 exec_lo, exec_lo, s1
	s_mov_b32 s0, 0
.LBB251_56:
	s_and_b32 vcc_lo, exec_lo, s0
	s_cbranch_vccz .LBB251_91
; %bb.57:
	s_lshl_b32 s0, s33, 2
	s_mov_b32 s9, 0
	v_cvt_f32_u32_e32 v1, s0
	s_sub_i32 s2, 0, s0
	s_mov_b32 s5, exec_lo
	v_rcp_iflag_f32_e32 v1, v1
	v_mul_f32_e32 v1, 0x4f7ffffe, v1
	v_cvt_u32_f32_e32 v1, v1
	v_readfirstlane_b32 s1, v1
	v_mov_b32_e32 v1, v0
	s_mul_i32 s2, s2, s1
	s_mul_hi_u32 s2, s1, s2
	s_add_i32 s1, s1, s2
	s_mul_hi_u32 s1, s14, s1
	s_mul_i32 s1, s1, s0
	s_sub_i32 s1, s14, s1
	s_sub_i32 s2, s1, s0
	s_cmp_ge_u32 s1, s0
	s_cselect_b32 s1, s2, s1
	s_sub_i32 s2, s1, s0
	s_cmp_ge_u32 s1, s0
	s_cselect_b32 s0, s2, s1
	s_sub_i32 s8, s14, s0
	v_cmpx_gt_i32_e64 s8, v0
	s_cbranch_execz .LBB251_61
; %bb.58:
	v_mov_b32_e32 v2, 0
	v_mov_b32_e32 v1, v0
	s_lshl_b32 s10, s33, 1
	s_mul_i32 s11, s33, 3
	s_add_i32 s12, s33, s33
.LBB251_59:                             ; =>This Inner Loop Header: Depth=1
	v_lshlrev_b64 v[3:4], 2, v[1:2]
	v_add_nc_u32_e32 v7, s33, v1
	v_mov_b32_e32 v8, v2
	v_add_nc_u32_e32 v9, s10, v1
	v_mov_b32_e32 v10, v2
	v_add_nc_u32_e32 v1, s11, v1
	v_add_co_u32 v15, vcc_lo, s24, v3
	v_lshlrev_b64 v[11:12], 2, v[7:8]
	v_add_co_ci_u32_e64 v16, null, s25, v4, vcc_lo
	v_lshlrev_b64 v[8:9], 2, v[9:10]
	v_lshlrev_b64 v[13:14], 2, v[1:2]
	v_add3_u32 v1, s12, s33, v7
	global_load_dword v5, v[15:16], off
	v_add_co_u32 v15, vcc_lo, s24, v11
	v_add_co_ci_u32_e64 v16, null, s25, v12, vcc_lo
	v_add_co_u32 v17, vcc_lo, s24, v8
	v_add_co_ci_u32_e64 v18, null, s25, v9, vcc_lo
	;; [unrolled: 2-line block ×3, first 2 shown]
	s_clause 0x2
	global_load_dword v23, v[15:16], off
	global_load_dword v24, v[17:18], off
	;; [unrolled: 1-line block ×3, first 2 shown]
	v_add_co_u32 v15, vcc_lo, s16, v3
	v_add_co_ci_u32_e64 v16, null, s17, v4, vcc_lo
	v_add_co_u32 v17, vcc_lo, s16, v11
	v_add_co_ci_u32_e64 v18, null, s17, v12, vcc_lo
	;; [unrolled: 2-line block ×4, first 2 shown]
	s_clause 0x3
	global_load_dword v15, v[15:16], off
	global_load_dword v16, v[17:18], off
	global_load_dword v17, v[19:20], off
	global_load_dword v18, v[21:22], off
	v_add_co_u32 v10, s0, s22, v11
	v_add_co_ci_u32_e64 v11, null, s23, v12, s0
	v_add_co_u32 v7, s0, s22, v8
	v_add_co_ci_u32_e64 v8, null, s23, v9, s0
	v_add_co_u32 v12, s0, s22, v13
	v_add_co_u32 v3, vcc_lo, s22, v3
	v_add_co_ci_u32_e64 v4, null, s23, v4, vcc_lo
	v_cmp_le_i32_e32 vcc_lo, s8, v1
	s_or_b32 s9, vcc_lo, s9
	s_waitcnt vmcnt(7)
	v_mul_f32_e32 v9, 0x3fb8aa3b, v5
	v_cmp_ngt_f32_e64 s1, 0xc2ce8ed0, v5
	v_cmp_nlt_f32_e64 s4, 0x42b17218, v5
	v_fma_f32 v13, 0x3fb8aa3b, v5, -v9
	v_rndne_f32_e32 v19, v9
	v_fmac_f32_e32 v13, 0x32a5705f, v5
	v_sub_f32_e32 v9, v9, v19
	s_waitcnt vmcnt(6)
	v_mul_f32_e32 v20, 0x3fb8aa3b, v23
	s_waitcnt vmcnt(5)
	v_mul_f32_e32 v21, 0x3fb8aa3b, v24
	;; [unrolled: 2-line block ×3, first 2 shown]
	v_cvt_i32_f32_e32 v19, v19
	v_add_f32_e32 v9, v9, v13
	v_fma_f32 v26, 0x3fb8aa3b, v23, -v20
	v_rndne_f32_e32 v27, v20
	v_fma_f32 v28, 0x3fb8aa3b, v24, -v21
	v_rndne_f32_e32 v29, v21
	;; [unrolled: 2-line block ×3, first 2 shown]
	v_fmac_f32_e32 v26, 0x32a5705f, v23
	v_sub_f32_e32 v13, v20, v27
	v_fmac_f32_e32 v28, 0x32a5705f, v24
	v_sub_f32_e32 v21, v21, v29
	;; [unrolled: 2-line block ×3, first 2 shown]
	v_exp_f32_e32 v9, v9
	v_add_f32_e32 v13, v13, v26
	v_add_f32_e32 v21, v21, v28
	v_cvt_i32_f32_e32 v20, v27
	v_add_f32_e32 v22, v22, v30
	v_cvt_i32_f32_e32 v27, v29
	v_exp_f32_e32 v13, v13
	v_exp_f32_e32 v21, v21
	v_cvt_i32_f32_e32 v29, v31
	v_exp_f32_e32 v22, v22
	v_ldexp_f32 v9, v9, v19
	v_cmp_ngt_f32_e64 s2, 0xc2ce8ed0, v24
	v_cmp_ngt_f32_e64 s3, 0xc2ce8ed0, v25
	v_cndmask_b32_e64 v9, 0, v9, s1
	v_ldexp_f32 v13, v13, v20
	v_cmp_ngt_f32_e64 s1, 0xc2ce8ed0, v23
	v_ldexp_f32 v19, v21, v27
	v_ldexp_f32 v20, v22, v29
	v_cndmask_b32_e64 v5, 0x7f800000, v9, s4
	v_cndmask_b32_e64 v9, 0, v13, s1
	;; [unrolled: 1-line block ×4, first 2 shown]
	v_cmp_nlt_f32_e64 s3, 0x42b17218, v23
	v_cmp_nlt_f32_e64 s1, 0x42b17218, v24
	;; [unrolled: 1-line block ×3, first 2 shown]
	s_waitcnt vmcnt(3) lgkmcnt(0)
	v_fma_f32 v5, -v6, v5, v15
	v_cndmask_b32_e64 v9, 0x7f800000, v9, s3
	v_cndmask_b32_e64 v20, 0x7f800000, v13, s1
	;; [unrolled: 1-line block ×3, first 2 shown]
	v_add_co_ci_u32_e64 v13, null, s23, v14, s0
	s_waitcnt vmcnt(2)
	v_fma_f32 v9, -v6, v9, v16
	s_waitcnt vmcnt(1)
	v_fma_f32 v14, -v6, v20, v17
	;; [unrolled: 2-line block ×3, first 2 shown]
	global_store_dword v[3:4], v5, off
	global_store_dword v[10:11], v9, off
	;; [unrolled: 1-line block ×4, first 2 shown]
	s_andn2_b32 exec_lo, exec_lo, s9
	s_cbranch_execnz .LBB251_59
; %bb.60:
	s_or_b32 exec_lo, exec_lo, s9
.LBB251_61:
	s_or_b32 exec_lo, exec_lo, s5
	s_mov_b32 s1, exec_lo
	v_cmpx_gt_i32_e64 s14, v1
	s_cbranch_execz .LBB251_64
; %bb.62:
	s_mov_b32 s2, 0
.LBB251_63:                             ; =>This Inner Loop Header: Depth=1
	v_ashrrev_i32_e32 v2, 31, v1
	v_lshlrev_b64 v[2:3], 2, v[1:2]
	v_add_nc_u32_e32 v1, s33, v1
	v_add_co_u32 v4, vcc_lo, s24, v2
	v_add_co_ci_u32_e64 v5, null, s25, v3, vcc_lo
	global_load_dword v7, v[4:5], off
	v_add_co_u32 v4, vcc_lo, s16, v2
	v_add_co_ci_u32_e64 v5, null, s17, v3, vcc_lo
	v_add_co_u32 v2, s0, s22, v2
	v_add_co_ci_u32_e64 v3, null, s23, v3, s0
	global_load_dword v4, v[4:5], off
	s_waitcnt vmcnt(1)
	v_mul_f32_e32 v5, 0x3fb8aa3b, v7
	v_cmp_ngt_f32_e32 vcc_lo, 0xc2ce8ed0, v7
	v_fma_f32 v8, 0x3fb8aa3b, v7, -v5
	v_rndne_f32_e32 v9, v5
	v_fmac_f32_e32 v8, 0x32a5705f, v7
	v_sub_f32_e32 v5, v5, v9
	v_add_f32_e32 v5, v5, v8
	v_cvt_i32_f32_e32 v8, v9
	v_exp_f32_e32 v5, v5
	v_ldexp_f32 v5, v5, v8
	v_cndmask_b32_e32 v5, 0, v5, vcc_lo
	v_cmp_nlt_f32_e32 vcc_lo, 0x42b17218, v7
	v_cndmask_b32_e32 v5, 0x7f800000, v5, vcc_lo
	v_cmp_le_i32_e32 vcc_lo, s14, v1
	s_waitcnt vmcnt(0) lgkmcnt(0)
	v_fma_f32 v4, -v6, v5, v4
	s_or_b32 s2, vcc_lo, s2
	global_store_dword v[2:3], v4, off
	s_andn2_b32 exec_lo, exec_lo, s2
	s_cbranch_execnz .LBB251_63
.LBB251_64:
	s_or_b32 exec_lo, exec_lo, s1
	s_mov_b32 s0, 0
.LBB251_65:
	s_andn2_b32 vcc_lo, exec_lo, s0
	s_cbranch_vccnz .LBB251_92
.LBB251_66:
	s_cmp_lg_u64 s[26:27], 0
	s_mov_b32 s1, -1
	s_cselect_b32 s36, -1, 0
	s_and_b32 vcc_lo, exec_lo, s7
	v_cndmask_b32_e64 v1, 0, 1, s36
	v_cmp_ne_u32_e64 s0, 1, v1
	s_cbranch_vccz .LBB251_80
; %bb.67:
	v_mov_b32_e32 v1, 0
	s_and_b32 vcc_lo, exec_lo, s0
	s_mov_b64 s[4:5], s[22:23]
	s_mov_b64 s[8:9], s[24:25]
	;; [unrolled: 1-line block ×3, first 2 shown]
	s_cbranch_vccnz .LBB251_71
; %bb.68:
	s_lshl_b32 s2, s26, 2
	s_mov_b32 s4, exec_lo
	s_sub_u32 s0, s22, s2
	s_subb_u32 s1, s23, 0
	s_sub_u32 s7, s24, s2
	s_subb_u32 s9, s25, 0
	;; [unrolled: 2-line block ×3, first 2 shown]
	v_cmpx_le_u64_e64 s[26:27], v[0:1]
	s_cbranch_execz .LBB251_70
; %bb.69:
	v_lshlrev_b64 v[2:3], 2, v[0:1]
	v_add_co_u32 v4, vcc_lo, s7, v2
	v_add_co_ci_u32_e64 v5, null, s9, v3, vcc_lo
	global_load_dword v7, v[4:5], off
	v_add_co_u32 v4, vcc_lo, s2, v2
	v_add_co_ci_u32_e64 v5, null, s3, v3, vcc_lo
	global_load_dword v4, v[4:5], off
	s_waitcnt vmcnt(1)
	v_mul_f32_e32 v5, 0x3fb8aa3b, v7
	v_cmp_ngt_f32_e32 vcc_lo, 0xc2ce8ed0, v7
	v_fma_f32 v8, 0x3fb8aa3b, v7, -v5
	v_rndne_f32_e32 v9, v5
	v_fmamk_f32 v8, v7, 0x32a5705f, v8
	v_sub_f32_e32 v5, v5, v9
	v_add_f32_e32 v5, v5, v8
	v_cvt_i32_f32_e32 v8, v9
	v_exp_f32_e32 v5, v5
	v_ldexp_f32 v5, v5, v8
	v_cndmask_b32_e32 v5, 0, v5, vcc_lo
	v_cmp_nlt_f32_e32 vcc_lo, 0x42b17218, v7
	v_cndmask_b32_e32 v5, 0x7f800000, v5, vcc_lo
	v_add_co_u32 v2, vcc_lo, s0, v2
	v_add_co_ci_u32_e64 v3, null, s1, v3, vcc_lo
	s_waitcnt vmcnt(0) lgkmcnt(0)
	v_fma_f32 v4, -v6, v5, v4
	global_store_dword v[2:3], v4, off
.LBB251_70:
	s_or_b32 exec_lo, exec_lo, s4
	s_add_u32 s4, s26, s14
	s_addc_u32 s5, 0, s15
	s_sub_u32 s18, s4, s33
	s_subb_u32 s19, s5, 0
	s_lshl_b32 s10, s33, 2
	s_add_u32 s4, s0, s10
	s_addc_u32 s5, s1, 0
	s_add_u32 s8, s7, s10
	s_addc_u32 s9, s9, 0
	;; [unrolled: 2-line block ×3, first 2 shown]
.LBB251_71:
	s_load_dword s0, s[20:21], 0x0
	v_mov_b32_e32 v2, 0
	s_waitcnt lgkmcnt(0)
	s_cmp_lt_u32 s6, s0
	s_cselect_b32 s0, 12, 18
	s_add_u32 s0, s20, s0
	s_addc_u32 s1, s21, 0
	global_load_ushort v2, v2, s[0:1]
	s_mov_b32 s0, 0
	s_waitcnt vmcnt(0)
	v_readfirstlane_b32 s1, v2
	s_and_b32 s7, s1, 0xffff
	s_mov_b32 s1, s19
	s_lshl_b32 s12, s7, 2
	s_cmp_lg_u64 s[0:1], 0
	s_cbranch_scc0 .LBB251_93
; %bb.72:
	v_cvt_f32_u32_e32 v2, s12
	s_sub_u32 s3, 0, s12
	s_subb_u32 s13, 0, 0
	v_fmamk_f32 v2, 0, 0x4f800000, v2
	v_rcp_f32_e32 v2, v2
	v_mul_f32_e32 v2, 0x5f7ffffc, v2
	v_mul_f32_e32 v3, 0x2f800000, v2
	v_trunc_f32_e32 v3, v3
	v_fmamk_f32 v2, v3, 0xcf800000, v2
	v_cvt_u32_f32_e32 v3, v3
	v_cvt_u32_f32_e32 v2, v2
	v_readfirstlane_b32 s1, v3
	v_readfirstlane_b32 s2, v2
	s_mul_i32 s15, s3, s1
	s_mul_hi_u32 s28, s3, s2
	s_mul_i32 s27, s13, s2
	s_add_i32 s15, s28, s15
	s_mul_i32 s29, s3, s2
	s_add_i32 s15, s15, s27
	s_mul_hi_u32 s28, s2, s29
	s_mul_i32 s31, s2, s15
	s_mul_hi_u32 s30, s1, s29
	s_mul_i32 s27, s1, s29
	s_mul_hi_u32 s29, s2, s15
	s_add_u32 s28, s28, s31
	s_addc_u32 s29, 0, s29
	s_mul_hi_u32 s34, s1, s15
	s_add_u32 s27, s28, s27
	s_mul_i32 s15, s1, s15
	s_addc_u32 s27, s29, s30
	s_addc_u32 s28, s34, 0
	s_add_u32 s15, s27, s15
	s_addc_u32 s27, 0, s28
	s_add_u32 s2, s2, s15
	s_cselect_b32 s15, -1, 0
	s_mul_hi_u32 s28, s3, s2
	s_cmp_lg_u32 s15, 0
	s_mul_i32 s15, s3, s2
	s_addc_u32 s1, s1, s27
	s_mul_i32 s13, s13, s2
	s_mul_i32 s3, s3, s1
	s_mul_hi_u32 s27, s2, s15
	s_add_i32 s3, s28, s3
	s_mul_hi_u32 s28, s1, s15
	s_add_i32 s3, s3, s13
	s_mul_i32 s13, s1, s15
	s_mul_i32 s30, s2, s3
	s_mul_hi_u32 s29, s2, s3
	s_add_u32 s27, s27, s30
	s_addc_u32 s29, 0, s29
	s_mul_hi_u32 s15, s1, s3
	s_add_u32 s13, s27, s13
	s_mul_i32 s3, s1, s3
	s_addc_u32 s13, s29, s28
	s_addc_u32 s15, s15, 0
	s_add_u32 s3, s13, s3
	s_addc_u32 s13, 0, s15
	s_add_u32 s2, s2, s3
	s_cselect_b32 s3, -1, 0
	s_mul_hi_u32 s15, s18, s2
	s_cmp_lg_u32 s3, 0
	s_mul_hi_u32 s3, s19, s2
	s_addc_u32 s1, s1, s13
	s_mul_i32 s2, s19, s2
	s_mul_i32 s27, s18, s1
	s_mul_hi_u32 s13, s18, s1
	s_add_u32 s15, s15, s27
	s_addc_u32 s13, 0, s13
	s_mul_hi_u32 s28, s19, s1
	s_add_u32 s2, s15, s2
	s_mul_i32 s1, s19, s1
	s_addc_u32 s2, s13, s3
	s_addc_u32 s3, s28, 0
	s_add_u32 s1, s2, s1
	s_addc_u32 s2, 0, s3
	s_mul_hi_u32 s3, s12, s1
	s_mul_i32 s2, s12, s2
	s_mul_i32 s1, s12, s1
	s_add_i32 s3, s3, s2
	s_sub_u32 s1, s18, s1
	s_cselect_b32 s2, -1, 0
	s_cmp_lg_u32 s2, 0
	s_subb_u32 s2, s19, s3
	s_sub_u32 s3, s1, s12
	s_cselect_b32 s13, -1, 0
	s_cmp_lg_u32 s13, 0
	s_subb_u32 s13, s2, 0
	;; [unrolled: 4-line block ×3, first 2 shown]
	s_cmp_ge_u32 s3, s12
	s_cselect_b32 s28, -1, 0
	s_cmp_eq_u32 s13, 0
	s_cselect_b32 s28, s28, -1
	s_cmp_lg_u32 s28, 0
	s_cselect_b32 s13, s27, s13
	s_cselect_b32 s15, s15, s3
	s_cmp_ge_u32 s1, s12
	s_cselect_b32 s3, -1, 0
	s_cmp_eq_u32 s2, 0
	s_cselect_b32 s3, s3, -1
	s_cmp_lg_u32 s3, 0
	s_cselect_b32 s3, s13, s2
	s_cselect_b32 s2, s15, s1
	s_andn2_b32 vcc_lo, exec_lo, s0
	s_cbranch_vccnz .LBB251_74
.LBB251_73:
	v_cvt_f32_u32_e32 v2, s12
	s_sub_i32 s1, 0, s12
	s_mov_b32 s3, 0
	v_rcp_iflag_f32_e32 v2, v2
	v_mul_f32_e32 v2, 0x4f7ffffe, v2
	v_cvt_u32_f32_e32 v2, v2
	v_readfirstlane_b32 s0, v2
	s_mul_i32 s1, s1, s0
	s_mul_hi_u32 s1, s0, s1
	s_add_i32 s0, s0, s1
	s_mul_hi_u32 s0, s18, s0
	s_mul_i32 s0, s0, s12
	s_sub_i32 s0, s18, s0
	s_sub_i32 s1, s0, s12
	s_cmp_ge_u32 s0, s12
	s_cselect_b32 s0, s1, s0
	s_sub_i32 s1, s0, s12
	s_cmp_ge_u32 s0, s12
	s_cselect_b32 s2, s1, s0
.LBB251_74:
	v_lshlrev_b64 v[2:3], 4, v[0:1]
	v_mov_b32_e32 v5, v1
	v_mov_b32_e32 v4, v0
	s_sub_u32 s12, s18, s2
	s_subb_u32 s13, s19, s3
	s_lshl_b32 s15, s7, 4
	s_mov_b32 s3, 0
	s_mov_b64 s[28:29], s[10:11]
	s_mov_b64 s[30:31], s[8:9]
	;; [unrolled: 1-line block ×3, first 2 shown]
.LBB251_75:                             ; =>This Inner Loop Header: Depth=1
	v_add_co_u32 v7, vcc_lo, s30, v2
	v_add_co_ci_u32_e64 v8, null, s31, v3, vcc_lo
	v_add_co_u32 v11, vcc_lo, s28, v2
	v_add_co_ci_u32_e64 v12, null, s29, v3, vcc_lo
	global_load_dwordx4 v[7:10], v[7:8], off
	v_add_co_u32 v15, vcc_lo, s34, v2
	global_load_dwordx4 v[11:14], v[11:12], off
	v_add_co_ci_u32_e64 v16, null, s35, v3, vcc_lo
	v_add_co_u32 v4, vcc_lo, v4, s7
	v_add_co_ci_u32_e64 v5, null, 0, v5, vcc_lo
	s_add_u32 s34, s34, s15
	s_addc_u32 s35, s35, 0
	s_add_u32 s30, s30, s15
	v_lshlrev_b64 v[17:18], 2, v[4:5]
	s_addc_u32 s31, s31, 0
	s_add_u32 s28, s28, s15
	s_addc_u32 s29, s29, 0
	s_waitcnt vmcnt(1)
	v_mul_f32_e32 v1, 0x3fb8aa3b, v7
	v_mul_f32_e32 v19, 0x3fb8aa3b, v8
	;; [unrolled: 1-line block ×4, first 2 shown]
	v_cmp_ngt_f32_e32 vcc_lo, 0xc2ce8ed0, v8
	v_fma_f32 v22, 0x3fb8aa3b, v7, -v1
	v_rndne_f32_e32 v23, v1
	v_fma_f32 v24, 0x3fb8aa3b, v8, -v19
	v_rndne_f32_e32 v25, v19
	;; [unrolled: 2-line block ×4, first 2 shown]
	v_fmac_f32_e32 v22, 0x32a5705f, v7
	v_sub_f32_e32 v1, v1, v23
	v_fmac_f32_e32 v24, 0x32a5705f, v8
	v_sub_f32_e32 v19, v19, v25
	;; [unrolled: 2-line block ×4, first 2 shown]
	v_add_f32_e32 v1, v1, v22
	v_add_f32_e32 v19, v19, v24
	;; [unrolled: 1-line block ×3, first 2 shown]
	v_cvt_i32_f32_e32 v23, v23
	v_add_f32_e32 v21, v21, v28
	v_exp_f32_e32 v1, v1
	v_exp_f32_e32 v19, v19
	;; [unrolled: 1-line block ×3, first 2 shown]
	v_cvt_i32_f32_e32 v25, v25
	v_exp_f32_e32 v21, v21
	v_cvt_i32_f32_e32 v27, v27
	v_cvt_i32_f32_e32 v29, v29
	v_cmp_ngt_f32_e64 s0, 0xc2ce8ed0, v9
	v_cmp_ngt_f32_e64 s1, 0xc2ce8ed0, v10
	;; [unrolled: 1-line block ×3, first 2 shown]
	v_ldexp_f32 v1, v1, v23
	v_ldexp_f32 v19, v19, v25
	;; [unrolled: 1-line block ×4, first 2 shown]
	v_cndmask_b32_e64 v1, 0, v1, s2
	v_cndmask_b32_e32 v19, 0, v19, vcc_lo
	v_cmp_nlt_f32_e32 vcc_lo, 0x42b17218, v8
	v_cndmask_b32_e64 v8, 0, v20, s0
	v_cmp_nlt_f32_e64 s0, 0x42b17218, v9
	v_cndmask_b32_e64 v9, 0, v21, s1
	v_cmp_nlt_f32_e64 s1, 0x42b17218, v10
	v_cmp_nlt_f32_e64 s2, 0x42b17218, v7
	v_cndmask_b32_e32 v10, 0x7f800000, v19, vcc_lo
	v_cndmask_b32_e64 v19, 0x7f800000, v8, s0
	v_cmp_le_i64_e32 vcc_lo, s[12:13], v[17:18]
	v_cndmask_b32_e64 v20, 0x7f800000, v9, s1
	v_cndmask_b32_e64 v1, 0x7f800000, v1, s2
	s_waitcnt vmcnt(0)
	v_fma_f32 v8, -v6, v10, v12
	v_fma_f32 v9, -v6, v19, v13
	;; [unrolled: 1-line block ×4, first 2 shown]
	s_or_b32 s3, vcc_lo, s3
	global_store_dwordx4 v[15:16], v[7:10], off
	s_andn2_b32 exec_lo, exec_lo, s3
	s_cbranch_execnz .LBB251_75
; %bb.76:
	s_or_b32 exec_lo, exec_lo, s3
	v_add_co_u32 v1, s0, s12, v0
	v_add_co_ci_u32_e64 v2, null, s13, 0, s0
	s_mov_b32 s1, exec_lo
	v_cmpx_gt_u64_e64 s[18:19], v[1:2]
	s_cbranch_execz .LBB251_79
; %bb.77:
	s_mov_b32 s2, 0
.LBB251_78:                             ; =>This Inner Loop Header: Depth=1
	v_lshlrev_b64 v[3:4], 2, v[1:2]
	v_add_co_u32 v7, vcc_lo, s8, v3
	v_add_co_ci_u32_e64 v8, null, s9, v4, vcc_lo
	global_load_dword v5, v[7:8], off
	v_add_co_u32 v7, vcc_lo, s10, v3
	v_add_co_ci_u32_e64 v8, null, s11, v4, vcc_lo
	v_add_co_u32 v1, vcc_lo, v1, s7
	v_add_co_ci_u32_e64 v2, null, 0, v2, vcc_lo
	global_load_dword v7, v[7:8], off
	v_cmp_le_i64_e32 vcc_lo, s[18:19], v[1:2]
	s_or_b32 s2, vcc_lo, s2
	s_waitcnt vmcnt(1)
	v_mul_f32_e32 v8, 0x3fb8aa3b, v5
	v_cmp_ngt_f32_e64 s0, 0xc2ce8ed0, v5
	v_fma_f32 v9, 0x3fb8aa3b, v5, -v8
	v_rndne_f32_e32 v10, v8
	v_fmac_f32_e32 v9, 0x32a5705f, v5
	v_sub_f32_e32 v8, v8, v10
	v_add_f32_e32 v8, v8, v9
	v_cvt_i32_f32_e32 v9, v10
	v_exp_f32_e32 v8, v8
	v_ldexp_f32 v8, v8, v9
	v_cndmask_b32_e64 v8, 0, v8, s0
	v_cmp_nlt_f32_e64 s0, 0x42b17218, v5
	v_cndmask_b32_e64 v5, 0x7f800000, v8, s0
	v_add_co_u32 v3, s0, s4, v3
	v_add_co_ci_u32_e64 v4, null, s5, v4, s0
	s_waitcnt vmcnt(0)
	v_fma_f32 v5, -v6, v5, v7
	global_store_dword v[3:4], v5, off
	s_andn2_b32 exec_lo, exec_lo, s2
	s_cbranch_execnz .LBB251_78
.LBB251_79:
	s_or_b32 exec_lo, exec_lo, s1
	s_mov_b32 s1, 0
.LBB251_80:
	s_and_b32 vcc_lo, exec_lo, s1
	s_cbranch_vccz .LBB251_92
; %bb.81:
	s_andn2_b32 vcc_lo, exec_lo, s36
	s_cbranch_vccnz .LBB251_85
; %bb.82:
	s_lshl_b32 s1, s26, 2
	s_mov_b32 s7, exec_lo
	s_sub_u32 s3, s22, s1
	s_subb_u32 s4, s23, 0
	s_sub_u32 s0, s24, s1
	s_subb_u32 s5, s25, 0
	;; [unrolled: 2-line block ×3, first 2 shown]
	v_cmpx_le_u32_e64 s26, v0
	s_cbranch_execz .LBB251_84
; %bb.83:
	v_mov_b32_e32 v1, 0
	v_lshlrev_b64 v[1:2], 2, v[0:1]
	v_add_co_u32 v3, vcc_lo, s0, v1
	v_add_co_ci_u32_e64 v4, null, s5, v2, vcc_lo
	global_load_dword v5, v[3:4], off
	v_add_co_u32 v3, vcc_lo, s1, v1
	v_add_co_ci_u32_e64 v4, null, s2, v2, vcc_lo
	global_load_dword v3, v[3:4], off
	s_waitcnt vmcnt(1)
	v_mul_f32_e32 v4, 0x3fb8aa3b, v5
	v_cmp_ngt_f32_e32 vcc_lo, 0xc2ce8ed0, v5
	v_fma_f32 v7, 0x3fb8aa3b, v5, -v4
	v_rndne_f32_e32 v8, v4
	v_fmamk_f32 v7, v5, 0x32a5705f, v7
	v_sub_f32_e32 v4, v4, v8
	v_add_f32_e32 v4, v4, v7
	v_cvt_i32_f32_e32 v7, v8
	v_exp_f32_e32 v4, v4
	v_ldexp_f32 v4, v4, v7
	v_cndmask_b32_e32 v4, 0, v4, vcc_lo
	v_cmp_nlt_f32_e32 vcc_lo, 0x42b17218, v5
	v_cndmask_b32_e32 v4, 0x7f800000, v4, vcc_lo
	v_add_co_u32 v1, vcc_lo, s3, v1
	v_add_co_ci_u32_e64 v2, null, s4, v2, vcc_lo
	s_waitcnt vmcnt(0) lgkmcnt(0)
	v_fma_f32 v3, -v6, v4, v3
	global_store_dword v[1:2], v3, off
.LBB251_84:
	s_or_b32 exec_lo, exec_lo, s7
	s_add_i32 s7, s26, s14
	v_sub_nc_u32_e64 v1, s7, s33 clamp
	s_lshl_b32 s7, s33, 2
	s_add_u32 s22, s3, s7
	s_addc_u32 s23, s4, 0
	v_readfirstlane_b32 s14, v1
	s_add_u32 s24, s0, s7
	s_addc_u32 s25, s5, 0
	s_add_u32 s16, s1, s7
	s_addc_u32 s17, s2, 0
.LBB251_85:
	s_load_dword s0, s[20:21], 0x0
	v_mov_b32_e32 v1, 0
	s_mov_b32 s3, 0
	s_waitcnt lgkmcnt(0)
	s_cmp_lt_u32 s6, s0
	s_cselect_b32 s0, 12, 18
	s_add_u32 s0, s20, s0
	s_addc_u32 s1, s21, 0
	global_load_ushort v3, v1, s[0:1]
	s_waitcnt vmcnt(0)
	v_readfirstlane_b32 s0, v3
	s_lshl_b32 s0, s0, 2
	v_cvt_f32_u32_e32 v1, s0
	s_sub_i32 s2, 0, s0
	v_rcp_iflag_f32_e32 v1, v1
	v_mul_f32_e32 v1, 0x4f7ffffe, v1
	v_cvt_u32_f32_e32 v1, v1
	v_readfirstlane_b32 s1, v1
	v_lshlrev_b32_e32 v1, 2, v0
	s_mul_i32 s2, s2, s1
	s_mul_hi_u32 s2, s1, s2
	s_add_i32 s1, s1, s2
	s_mul_hi_u32 s1, s14, s1
	s_mul_i32 s1, s1, s0
	s_sub_i32 s1, s14, s1
	s_sub_i32 s2, s1, s0
	s_cmp_ge_u32 s1, s0
	s_cselect_b32 s1, s2, s1
	s_sub_i32 s2, s1, s0
	s_cmp_ge_u32 s1, s0
	s_cselect_b32 s0, s2, s1
	s_mov_b32 s2, exec_lo
	s_sub_i32 s1, s14, s0
	v_cmpx_gt_i32_e64 s1, v1
	s_cbranch_execz .LBB251_88
; %bb.86:
	v_mov_b32_e32 v1, v0
.LBB251_87:                             ; =>This Inner Loop Header: Depth=1
	v_ashrrev_i32_e32 v2, 31, v1
	v_lshlrev_b64 v[4:5], 4, v[1:2]
	v_add_nc_u32_e32 v1, v1, v3
	v_add_co_u32 v7, vcc_lo, s24, v4
	v_add_co_ci_u32_e64 v8, null, s25, v5, vcc_lo
	v_add_co_u32 v11, vcc_lo, s16, v4
	v_add_co_ci_u32_e64 v12, null, s17, v5, vcc_lo
	global_load_dwordx4 v[7:10], v[7:8], off
	v_add_co_u32 v4, s0, s22, v4
	global_load_dwordx4 v[11:14], v[11:12], off
	v_add_co_ci_u32_e64 v5, null, s23, v5, s0
	s_waitcnt vmcnt(1)
	v_mul_f32_e32 v2, 0x3fb8aa3b, v7
	v_mul_f32_e32 v15, 0x3fb8aa3b, v8
	;; [unrolled: 1-line block ×4, first 2 shown]
	v_cmp_ngt_f32_e32 vcc_lo, 0xc2ce8ed0, v7
	v_fma_f32 v18, 0x3fb8aa3b, v7, -v2
	v_rndne_f32_e32 v19, v2
	v_fma_f32 v20, 0x3fb8aa3b, v8, -v15
	v_rndne_f32_e32 v21, v15
	v_fma_f32 v22, 0x3fb8aa3b, v9, -v16
	v_fmac_f32_e32 v18, 0x32a5705f, v7
	v_sub_f32_e32 v2, v2, v19
	v_rndne_f32_e32 v23, v16
	v_fmac_f32_e32 v20, 0x32a5705f, v8
	v_sub_f32_e32 v15, v15, v21
	v_fma_f32 v24, 0x3fb8aa3b, v10, -v17
	v_add_f32_e32 v2, v2, v18
	v_rndne_f32_e32 v25, v17
	v_fmac_f32_e32 v22, 0x32a5705f, v9
	v_sub_f32_e32 v16, v16, v23
	v_add_f32_e32 v15, v15, v20
	v_exp_f32_e32 v2, v2
	v_fmac_f32_e32 v24, 0x32a5705f, v10
	v_sub_f32_e32 v17, v17, v25
	v_add_f32_e32 v16, v16, v22
	v_exp_f32_e32 v15, v15
	v_cvt_i32_f32_e32 v18, v19
	v_cvt_i32_f32_e32 v19, v21
	v_add_f32_e32 v17, v17, v24
	v_exp_f32_e32 v16, v16
	v_cvt_i32_f32_e32 v20, v23
	v_ldexp_f32 v2, v2, v18
	v_cvt_i32_f32_e32 v21, v25
	v_exp_f32_e32 v17, v17
	v_lshlrev_b32_e32 v22, 2, v1
	v_ldexp_f32 v15, v15, v19
	v_cndmask_b32_e32 v2, 0, v2, vcc_lo
	v_cmp_ngt_f32_e32 vcc_lo, 0xc2ce8ed0, v8
	v_ldexp_f32 v16, v16, v20
	v_cndmask_b32_e32 v15, 0, v15, vcc_lo
	v_cmp_ngt_f32_e32 vcc_lo, 0xc2ce8ed0, v9
	;; [unrolled: 3-line block ×3, first 2 shown]
	v_cndmask_b32_e32 v17, 0, v17, vcc_lo
	v_cmp_nlt_f32_e32 vcc_lo, 0x42b17218, v7
	v_cndmask_b32_e32 v2, 0x7f800000, v2, vcc_lo
	v_cmp_nlt_f32_e32 vcc_lo, 0x42b17218, v8
	s_waitcnt vmcnt(0)
	v_fma_f32 v7, -v6, v2, v11
	v_cndmask_b32_e32 v8, 0x7f800000, v15, vcc_lo
	v_cmp_nlt_f32_e32 vcc_lo, 0x42b17218, v9
	v_fma_f32 v8, -v6, v8, v12
	v_cndmask_b32_e32 v9, 0x7f800000, v16, vcc_lo
	v_cmp_nlt_f32_e32 vcc_lo, 0x42b17218, v10
	v_fma_f32 v9, -v6, v9, v13
	v_cndmask_b32_e32 v10, 0x7f800000, v17, vcc_lo
	v_cmp_le_i32_e32 vcc_lo, s1, v22
	v_fma_f32 v10, -v6, v10, v14
	s_or_b32 s3, vcc_lo, s3
	global_store_dwordx4 v[4:5], v[7:10], off
	s_andn2_b32 exec_lo, exec_lo, s3
	s_cbranch_execnz .LBB251_87
.LBB251_88:
	s_or_b32 exec_lo, exec_lo, s2
	v_add_nc_u32_e32 v0, s1, v0
	s_mov_b32 s0, exec_lo
	v_cmpx_gt_i32_e64 s14, v0
	s_cbranch_execz .LBB251_92
; %bb.89:
	s_mov_b32 s1, 0
.LBB251_90:                             ; =>This Inner Loop Header: Depth=1
	v_ashrrev_i32_e32 v1, 31, v0
	v_lshlrev_b64 v[1:2], 2, v[0:1]
	v_add_nc_u32_e32 v0, v0, v3
	v_add_co_u32 v4, vcc_lo, s24, v1
	v_add_co_ci_u32_e64 v5, null, s25, v2, vcc_lo
	global_load_dword v7, v[4:5], off
	v_add_co_u32 v4, vcc_lo, s16, v1
	v_add_co_ci_u32_e64 v5, null, s17, v2, vcc_lo
	v_add_co_u32 v1, s0, s22, v1
	v_add_co_ci_u32_e64 v2, null, s23, v2, s0
	global_load_dword v4, v[4:5], off
	s_waitcnt vmcnt(1)
	v_mul_f32_e32 v5, 0x3fb8aa3b, v7
	v_cmp_ngt_f32_e32 vcc_lo, 0xc2ce8ed0, v7
	v_fma_f32 v8, 0x3fb8aa3b, v7, -v5
	v_rndne_f32_e32 v9, v5
	v_fmac_f32_e32 v8, 0x32a5705f, v7
	v_sub_f32_e32 v5, v5, v9
	v_add_f32_e32 v5, v5, v8
	v_cvt_i32_f32_e32 v8, v9
	v_exp_f32_e32 v5, v5
	v_ldexp_f32 v5, v5, v8
	v_cndmask_b32_e32 v5, 0, v5, vcc_lo
	v_cmp_nlt_f32_e32 vcc_lo, 0x42b17218, v7
	v_cndmask_b32_e32 v5, 0x7f800000, v5, vcc_lo
	v_cmp_le_i32_e32 vcc_lo, s14, v0
	s_waitcnt vmcnt(0)
	v_fma_f32 v4, -v6, v5, v4
	s_or_b32 s1, vcc_lo, s1
	global_store_dword v[1:2], v4, off
	s_andn2_b32 exec_lo, exec_lo, s1
	s_cbranch_execnz .LBB251_90
	s_branch .LBB251_92
.LBB251_91:
	s_cbranch_execz .LBB251_66
.LBB251_92:
	s_endpgm
.LBB251_93:
                                        ; implicit-def: $sgpr2_sgpr3
	s_branch .LBB251_73
	.section	.rodata,"a",@progbits
	.p2align	6, 0x0
	.amdhsa_kernel _ZN2at6native12_GLOBAL__N_120cunn_SoftMaxBackwardILi4EfffNS1_26LogSoftMaxBackwardEpilogueEEEvPT0_PKT2_S8_l
		.amdhsa_group_segment_fixed_size 0
		.amdhsa_private_segment_fixed_size 0
		.amdhsa_kernarg_size 288
		.amdhsa_user_sgpr_count 6
		.amdhsa_user_sgpr_private_segment_buffer 1
		.amdhsa_user_sgpr_dispatch_ptr 0
		.amdhsa_user_sgpr_queue_ptr 0
		.amdhsa_user_sgpr_kernarg_segment_ptr 1
		.amdhsa_user_sgpr_dispatch_id 0
		.amdhsa_user_sgpr_flat_scratch_init 0
		.amdhsa_user_sgpr_private_segment_size 0
		.amdhsa_wavefront_size32 1
		.amdhsa_uses_dynamic_stack 0
		.amdhsa_system_sgpr_private_segment_wavefront_offset 0
		.amdhsa_system_sgpr_workgroup_id_x 1
		.amdhsa_system_sgpr_workgroup_id_y 0
		.amdhsa_system_sgpr_workgroup_id_z 0
		.amdhsa_system_sgpr_workgroup_info 0
		.amdhsa_system_vgpr_workitem_id 0
		.amdhsa_next_free_vgpr 34
		.amdhsa_next_free_sgpr 62
		.amdhsa_reserve_vcc 1
		.amdhsa_reserve_flat_scratch 0
		.amdhsa_float_round_mode_32 0
		.amdhsa_float_round_mode_16_64 0
		.amdhsa_float_denorm_mode_32 3
		.amdhsa_float_denorm_mode_16_64 3
		.amdhsa_dx10_clamp 1
		.amdhsa_ieee_mode 1
		.amdhsa_fp16_overflow 0
		.amdhsa_workgroup_processor_mode 1
		.amdhsa_memory_ordered 1
		.amdhsa_forward_progress 1
		.amdhsa_shared_vgpr_count 0
		.amdhsa_exception_fp_ieee_invalid_op 0
		.amdhsa_exception_fp_denorm_src 0
		.amdhsa_exception_fp_ieee_div_zero 0
		.amdhsa_exception_fp_ieee_overflow 0
		.amdhsa_exception_fp_ieee_underflow 0
		.amdhsa_exception_fp_ieee_inexact 0
		.amdhsa_exception_int_div_zero 0
	.end_amdhsa_kernel
	.section	.text._ZN2at6native12_GLOBAL__N_120cunn_SoftMaxBackwardILi4EfffNS1_26LogSoftMaxBackwardEpilogueEEEvPT0_PKT2_S8_l,"axG",@progbits,_ZN2at6native12_GLOBAL__N_120cunn_SoftMaxBackwardILi4EfffNS1_26LogSoftMaxBackwardEpilogueEEEvPT0_PKT2_S8_l,comdat
.Lfunc_end251:
	.size	_ZN2at6native12_GLOBAL__N_120cunn_SoftMaxBackwardILi4EfffNS1_26LogSoftMaxBackwardEpilogueEEEvPT0_PKT2_S8_l, .Lfunc_end251-_ZN2at6native12_GLOBAL__N_120cunn_SoftMaxBackwardILi4EfffNS1_26LogSoftMaxBackwardEpilogueEEEvPT0_PKT2_S8_l
                                        ; -- End function
	.set _ZN2at6native12_GLOBAL__N_120cunn_SoftMaxBackwardILi4EfffNS1_26LogSoftMaxBackwardEpilogueEEEvPT0_PKT2_S8_l.num_vgpr, 34
	.set _ZN2at6native12_GLOBAL__N_120cunn_SoftMaxBackwardILi4EfffNS1_26LogSoftMaxBackwardEpilogueEEEvPT0_PKT2_S8_l.num_agpr, 0
	.set _ZN2at6native12_GLOBAL__N_120cunn_SoftMaxBackwardILi4EfffNS1_26LogSoftMaxBackwardEpilogueEEEvPT0_PKT2_S8_l.numbered_sgpr, 62
	.set _ZN2at6native12_GLOBAL__N_120cunn_SoftMaxBackwardILi4EfffNS1_26LogSoftMaxBackwardEpilogueEEEvPT0_PKT2_S8_l.num_named_barrier, 0
	.set _ZN2at6native12_GLOBAL__N_120cunn_SoftMaxBackwardILi4EfffNS1_26LogSoftMaxBackwardEpilogueEEEvPT0_PKT2_S8_l.private_seg_size, 0
	.set _ZN2at6native12_GLOBAL__N_120cunn_SoftMaxBackwardILi4EfffNS1_26LogSoftMaxBackwardEpilogueEEEvPT0_PKT2_S8_l.uses_vcc, 1
	.set _ZN2at6native12_GLOBAL__N_120cunn_SoftMaxBackwardILi4EfffNS1_26LogSoftMaxBackwardEpilogueEEEvPT0_PKT2_S8_l.uses_flat_scratch, 0
	.set _ZN2at6native12_GLOBAL__N_120cunn_SoftMaxBackwardILi4EfffNS1_26LogSoftMaxBackwardEpilogueEEEvPT0_PKT2_S8_l.has_dyn_sized_stack, 0
	.set _ZN2at6native12_GLOBAL__N_120cunn_SoftMaxBackwardILi4EfffNS1_26LogSoftMaxBackwardEpilogueEEEvPT0_PKT2_S8_l.has_recursion, 0
	.set _ZN2at6native12_GLOBAL__N_120cunn_SoftMaxBackwardILi4EfffNS1_26LogSoftMaxBackwardEpilogueEEEvPT0_PKT2_S8_l.has_indirect_call, 0
	.section	.AMDGPU.csdata,"",@progbits
; Kernel info:
; codeLenInByte = 8272
; TotalNumSgprs: 64
; NumVgprs: 34
; ScratchSize: 0
; MemoryBound: 0
; FloatMode: 240
; IeeeMode: 1
; LDSByteSize: 0 bytes/workgroup (compile time only)
; SGPRBlocks: 0
; VGPRBlocks: 4
; NumSGPRsForWavesPerEU: 64
; NumVGPRsForWavesPerEU: 34
; Occupancy: 16
; WaveLimiterHint : 0
; COMPUTE_PGM_RSRC2:SCRATCH_EN: 0
; COMPUTE_PGM_RSRC2:USER_SGPR: 6
; COMPUTE_PGM_RSRC2:TRAP_HANDLER: 0
; COMPUTE_PGM_RSRC2:TGID_X_EN: 1
; COMPUTE_PGM_RSRC2:TGID_Y_EN: 0
; COMPUTE_PGM_RSRC2:TGID_Z_EN: 0
; COMPUTE_PGM_RSRC2:TIDIG_COMP_CNT: 0
	.section	.text._ZN12_GLOBAL__N_121softmax_warp_backwardIN3c104HalfES2_fLi0ELb1ELb0ELi64EEEvPT0_PKT_S7_iiiPKb,"axG",@progbits,_ZN12_GLOBAL__N_121softmax_warp_backwardIN3c104HalfES2_fLi0ELb1ELb0ELi64EEEvPT0_PKT_S7_iiiPKb,comdat
	.globl	_ZN12_GLOBAL__N_121softmax_warp_backwardIN3c104HalfES2_fLi0ELb1ELb0ELi64EEEvPT0_PKT_S7_iiiPKb ; -- Begin function _ZN12_GLOBAL__N_121softmax_warp_backwardIN3c104HalfES2_fLi0ELb1ELb0ELi64EEEvPT0_PKT_S7_iiiPKb
	.p2align	8
	.type	_ZN12_GLOBAL__N_121softmax_warp_backwardIN3c104HalfES2_fLi0ELb1ELb0ELi64EEEvPT0_PKT_S7_iiiPKb,@function
_ZN12_GLOBAL__N_121softmax_warp_backwardIN3c104HalfES2_fLi0ELb1ELb0ELi64EEEvPT0_PKT_S7_iiiPKb: ; @_ZN12_GLOBAL__N_121softmax_warp_backwardIN3c104HalfES2_fLi0ELb1ELb0ELi64EEEvPT0_PKT_S7_iiiPKb
; %bb.0:
	s_clause 0x3
	s_load_dword s7, s[4:5], 0x3c
	s_load_dwordx4 s[0:3], s[4:5], 0x18
	s_load_dwordx4 s[8:11], s[4:5], 0x0
	s_load_dwordx2 s[4:5], s[4:5], 0x10
	v_mov_b32_e32 v7, 0
	v_mov_b32_e32 v8, 0
	s_waitcnt lgkmcnt(0)
	s_lshr_b32 s3, s7, 16
	s_and_b32 s3, s3, 0xffff
	s_cmp_gt_i32 s2, 0
	s_mul_i32 s6, s6, s3
	v_add_lshl_u32 v2, s6, v1, 1
	v_mul_lo_u32 v0, v2, s1
	v_sub_nc_u32_e32 v6, s0, v2
	s_cselect_b32 s1, -1, 0
	v_cmp_lt_i32_e32 vcc_lo, 0, v6
	v_ashrrev_i32_e32 v1, 31, v0
	s_and_b32 s3, s1, vcc_lo
	v_lshlrev_b64 v[0:1], 1, v[0:1]
	v_add_co_u32 v2, s0, s10, v0
	v_add_co_ci_u32_e64 v3, null, s11, v1, s0
	v_add_co_u32 v4, s0, s4, v0
	v_add_co_ci_u32_e64 v5, null, s5, v1, s0
	s_and_saveexec_b32 s0, s3
	s_cbranch_execz .LBB252_2
; %bb.1:
	global_load_ushort v7, v[2:3], off
	global_load_ushort v9, v[4:5], off
	s_waitcnt vmcnt(1)
	v_cvt_f32_f16_e32 v8, v7
	s_waitcnt vmcnt(0)
	v_cvt_f32_f16_e32 v7, v9
.LBB252_2:
	s_or_b32 exec_lo, exec_lo, s0
	v_cmp_gt_i32_e64 s0, 2, v6
	s_xor_b32 s3, s1, -1
	s_or_b32 s0, s3, s0
	s_and_saveexec_b32 s3, s0
	s_xor_b32 s0, exec_lo, s3
                                        ; implicit-def: $vgpr9
	s_cbranch_execnz .LBB252_6
; %bb.3:
	s_or_saveexec_b32 s4, s0
	v_mov_b32_e32 v10, 1.0
	s_xor_b32 exec_lo, exec_lo, s4
	s_cbranch_execnz .LBB252_7
.LBB252_4:
	s_or_b32 exec_lo, exec_lo, s4
	s_and_saveexec_b32 s0, vcc_lo
	s_cbranch_execnz .LBB252_8
.LBB252_5:
	s_endpgm
.LBB252_6:
	v_mov_b32_e32 v9, 0
                                        ; implicit-def: $vgpr4
                                        ; implicit-def: $vgpr2
	s_or_saveexec_b32 s4, s0
	v_mov_b32_e32 v10, 1.0
	s_xor_b32 exec_lo, exec_lo, s4
	s_cbranch_execz .LBB252_4
.LBB252_7:
	s_mov_b32 s3, 0
	s_lshl_b64 s[6:7], s[2:3], 1
	v_add_co_u32 v4, s0, v4, s6
	v_add_co_ci_u32_e64 v5, null, s7, v5, s0
	v_add_co_u32 v2, s0, v2, s6
	v_add_co_ci_u32_e64 v3, null, s7, v3, s0
	global_load_ushort v4, v[4:5], off
	s_mov_b32 s0, 0x3fb8aa3b
	global_load_ushort v2, v[2:3], off
	s_waitcnt vmcnt(1)
	v_cvt_f32_f16_e32 v3, v4
	v_mul_f32_e32 v5, 0x3fb8aa3b, v3
	v_fma_mix_f32 v9, v4, s0, -v5 op_sel_hi:[1,0,0]
	v_rndne_f32_e32 v10, v5
	s_mov_b32 s0, 0x32a5705f
	v_fma_mix_f32 v4, v4, s0, v9 op_sel_hi:[1,0,0]
	v_sub_f32_e32 v5, v5, v10
	v_cmp_ngt_f32_e64 s0, 0xc2ce8ed0, v3
	s_waitcnt vmcnt(0)
	v_cvt_f32_f16_e32 v9, v2
	v_add_f32_e32 v4, v5, v4
	v_cvt_i32_f32_e32 v5, v10
	v_exp_f32_e32 v4, v4
	v_ldexp_f32 v4, v4, v5
	v_cndmask_b32_e64 v4, 0, v4, s0
	v_cmp_nlt_f32_e64 s0, 0x42b17218, v3
	v_cndmask_b32_e64 v10, 0x7f800000, v4, s0
	s_or_b32 exec_lo, exec_lo, s4
	s_and_saveexec_b32 s0, vcc_lo
	s_cbranch_execz .LBB252_5
.LBB252_8:
	v_add_co_u32 v0, vcc_lo, s8, v0
	v_add_co_ci_u32_e64 v1, null, s9, v1, vcc_lo
	s_andn2_b32 vcc_lo, exec_lo, s1
	s_cbranch_vccnz .LBB252_10
; %bb.9:
	v_mul_f32_e32 v2, 0x3fb8aa3b, v7
	v_cmp_ngt_f32_e32 vcc_lo, 0xc2ce8ed0, v7
	v_rndne_f32_e32 v3, v2
	v_fma_f32 v4, 0x3fb8aa3b, v7, -v2
	v_sub_f32_e32 v2, v2, v3
	v_fmamk_f32 v4, v7, 0x32a5705f, v4
	v_cvt_i32_f32_e32 v3, v3
	v_add_f32_e32 v2, v2, v4
	v_exp_f32_e32 v2, v2
	v_ldexp_f32 v2, v2, v3
	v_add_f32_e32 v3, 0, v8
	v_cndmask_b32_e32 v2, 0, v2, vcc_lo
	v_cmp_nlt_f32_e32 vcc_lo, 0x42b17218, v7
	v_cndmask_b32_e32 v2, 0x7f800000, v2, vcc_lo
	v_fma_mixlo_f16 v2, -v3, v2, v8
	global_store_short v[0:1], v2, off
.LBB252_10:
	v_cmp_ne_u32_e32 vcc_lo, 1, v6
	s_and_b32 s0, vcc_lo, s1
	s_and_b32 exec_lo, exec_lo, s0
	s_cbranch_execz .LBB252_5
; %bb.11:
	s_mov_b32 s3, 0
	v_add_f32_e32 v2, 0, v9
	s_lshl_b64 s[0:1], s[2:3], 1
	v_add_co_u32 v0, vcc_lo, v0, s0
	v_add_co_ci_u32_e64 v1, null, s1, v1, vcc_lo
	v_fma_mixlo_f16 v2, -v2, v10, v9
	global_store_short v[0:1], v2, off
	s_endpgm
	.section	.rodata,"a",@progbits
	.p2align	6, 0x0
	.amdhsa_kernel _ZN12_GLOBAL__N_121softmax_warp_backwardIN3c104HalfES2_fLi0ELb1ELb0ELi64EEEvPT0_PKT_S7_iiiPKb
		.amdhsa_group_segment_fixed_size 0
		.amdhsa_private_segment_fixed_size 0
		.amdhsa_kernarg_size 304
		.amdhsa_user_sgpr_count 6
		.amdhsa_user_sgpr_private_segment_buffer 1
		.amdhsa_user_sgpr_dispatch_ptr 0
		.amdhsa_user_sgpr_queue_ptr 0
		.amdhsa_user_sgpr_kernarg_segment_ptr 1
		.amdhsa_user_sgpr_dispatch_id 0
		.amdhsa_user_sgpr_flat_scratch_init 0
		.amdhsa_user_sgpr_private_segment_size 0
		.amdhsa_wavefront_size32 1
		.amdhsa_uses_dynamic_stack 0
		.amdhsa_system_sgpr_private_segment_wavefront_offset 0
		.amdhsa_system_sgpr_workgroup_id_x 1
		.amdhsa_system_sgpr_workgroup_id_y 0
		.amdhsa_system_sgpr_workgroup_id_z 0
		.amdhsa_system_sgpr_workgroup_info 0
		.amdhsa_system_vgpr_workitem_id 1
		.amdhsa_next_free_vgpr 11
		.amdhsa_next_free_sgpr 12
		.amdhsa_reserve_vcc 1
		.amdhsa_reserve_flat_scratch 0
		.amdhsa_float_round_mode_32 0
		.amdhsa_float_round_mode_16_64 0
		.amdhsa_float_denorm_mode_32 3
		.amdhsa_float_denorm_mode_16_64 3
		.amdhsa_dx10_clamp 1
		.amdhsa_ieee_mode 1
		.amdhsa_fp16_overflow 0
		.amdhsa_workgroup_processor_mode 1
		.amdhsa_memory_ordered 1
		.amdhsa_forward_progress 1
		.amdhsa_shared_vgpr_count 0
		.amdhsa_exception_fp_ieee_invalid_op 0
		.amdhsa_exception_fp_denorm_src 0
		.amdhsa_exception_fp_ieee_div_zero 0
		.amdhsa_exception_fp_ieee_overflow 0
		.amdhsa_exception_fp_ieee_underflow 0
		.amdhsa_exception_fp_ieee_inexact 0
		.amdhsa_exception_int_div_zero 0
	.end_amdhsa_kernel
	.section	.text._ZN12_GLOBAL__N_121softmax_warp_backwardIN3c104HalfES2_fLi0ELb1ELb0ELi64EEEvPT0_PKT_S7_iiiPKb,"axG",@progbits,_ZN12_GLOBAL__N_121softmax_warp_backwardIN3c104HalfES2_fLi0ELb1ELb0ELi64EEEvPT0_PKT_S7_iiiPKb,comdat
.Lfunc_end252:
	.size	_ZN12_GLOBAL__N_121softmax_warp_backwardIN3c104HalfES2_fLi0ELb1ELb0ELi64EEEvPT0_PKT_S7_iiiPKb, .Lfunc_end252-_ZN12_GLOBAL__N_121softmax_warp_backwardIN3c104HalfES2_fLi0ELb1ELb0ELi64EEEvPT0_PKT_S7_iiiPKb
                                        ; -- End function
	.set _ZN12_GLOBAL__N_121softmax_warp_backwardIN3c104HalfES2_fLi0ELb1ELb0ELi64EEEvPT0_PKT_S7_iiiPKb.num_vgpr, 11
	.set _ZN12_GLOBAL__N_121softmax_warp_backwardIN3c104HalfES2_fLi0ELb1ELb0ELi64EEEvPT0_PKT_S7_iiiPKb.num_agpr, 0
	.set _ZN12_GLOBAL__N_121softmax_warp_backwardIN3c104HalfES2_fLi0ELb1ELb0ELi64EEEvPT0_PKT_S7_iiiPKb.numbered_sgpr, 12
	.set _ZN12_GLOBAL__N_121softmax_warp_backwardIN3c104HalfES2_fLi0ELb1ELb0ELi64EEEvPT0_PKT_S7_iiiPKb.num_named_barrier, 0
	.set _ZN12_GLOBAL__N_121softmax_warp_backwardIN3c104HalfES2_fLi0ELb1ELb0ELi64EEEvPT0_PKT_S7_iiiPKb.private_seg_size, 0
	.set _ZN12_GLOBAL__N_121softmax_warp_backwardIN3c104HalfES2_fLi0ELb1ELb0ELi64EEEvPT0_PKT_S7_iiiPKb.uses_vcc, 1
	.set _ZN12_GLOBAL__N_121softmax_warp_backwardIN3c104HalfES2_fLi0ELb1ELb0ELi64EEEvPT0_PKT_S7_iiiPKb.uses_flat_scratch, 0
	.set _ZN12_GLOBAL__N_121softmax_warp_backwardIN3c104HalfES2_fLi0ELb1ELb0ELi64EEEvPT0_PKT_S7_iiiPKb.has_dyn_sized_stack, 0
	.set _ZN12_GLOBAL__N_121softmax_warp_backwardIN3c104HalfES2_fLi0ELb1ELb0ELi64EEEvPT0_PKT_S7_iiiPKb.has_recursion, 0
	.set _ZN12_GLOBAL__N_121softmax_warp_backwardIN3c104HalfES2_fLi0ELb1ELb0ELi64EEEvPT0_PKT_S7_iiiPKb.has_indirect_call, 0
	.section	.AMDGPU.csdata,"",@progbits
; Kernel info:
; codeLenInByte = 656
; TotalNumSgprs: 14
; NumVgprs: 11
; ScratchSize: 0
; MemoryBound: 0
; FloatMode: 240
; IeeeMode: 1
; LDSByteSize: 0 bytes/workgroup (compile time only)
; SGPRBlocks: 0
; VGPRBlocks: 1
; NumSGPRsForWavesPerEU: 14
; NumVGPRsForWavesPerEU: 11
; Occupancy: 16
; WaveLimiterHint : 0
; COMPUTE_PGM_RSRC2:SCRATCH_EN: 0
; COMPUTE_PGM_RSRC2:USER_SGPR: 6
; COMPUTE_PGM_RSRC2:TRAP_HANDLER: 0
; COMPUTE_PGM_RSRC2:TGID_X_EN: 1
; COMPUTE_PGM_RSRC2:TGID_Y_EN: 0
; COMPUTE_PGM_RSRC2:TGID_Z_EN: 0
; COMPUTE_PGM_RSRC2:TIDIG_COMP_CNT: 1
	.section	.text._ZN12_GLOBAL__N_121softmax_warp_backwardIN3c104HalfES2_fLi0ELb1ELb0ELi32EEEvPT0_PKT_S7_iiiPKb,"axG",@progbits,_ZN12_GLOBAL__N_121softmax_warp_backwardIN3c104HalfES2_fLi0ELb1ELb0ELi32EEEvPT0_PKT_S7_iiiPKb,comdat
	.globl	_ZN12_GLOBAL__N_121softmax_warp_backwardIN3c104HalfES2_fLi0ELb1ELb0ELi32EEEvPT0_PKT_S7_iiiPKb ; -- Begin function _ZN12_GLOBAL__N_121softmax_warp_backwardIN3c104HalfES2_fLi0ELb1ELb0ELi32EEEvPT0_PKT_S7_iiiPKb
	.p2align	8
	.type	_ZN12_GLOBAL__N_121softmax_warp_backwardIN3c104HalfES2_fLi0ELb1ELb0ELi32EEEvPT0_PKT_S7_iiiPKb,@function
_ZN12_GLOBAL__N_121softmax_warp_backwardIN3c104HalfES2_fLi0ELb1ELb0ELi32EEEvPT0_PKT_S7_iiiPKb: ; @_ZN12_GLOBAL__N_121softmax_warp_backwardIN3c104HalfES2_fLi0ELb1ELb0ELi32EEEvPT0_PKT_S7_iiiPKb
; %bb.0:
	s_clause 0x3
	s_load_dword s7, s[4:5], 0x3c
	s_load_dwordx4 s[0:3], s[4:5], 0x18
	s_load_dwordx4 s[8:11], s[4:5], 0x0
	s_load_dwordx2 s[4:5], s[4:5], 0x10
	v_mov_b32_e32 v7, 0
	v_mov_b32_e32 v8, 0
	s_waitcnt lgkmcnt(0)
	s_lshr_b32 s3, s7, 16
	s_and_b32 s3, s3, 0xffff
	s_cmp_gt_i32 s2, 0
	s_mul_i32 s6, s6, s3
	v_add_lshl_u32 v2, s6, v1, 1
	v_mul_lo_u32 v0, v2, s1
	v_sub_nc_u32_e32 v6, s0, v2
	s_cselect_b32 s1, -1, 0
	v_cmp_lt_i32_e32 vcc_lo, 0, v6
	v_ashrrev_i32_e32 v1, 31, v0
	s_and_b32 s3, s1, vcc_lo
	v_lshlrev_b64 v[0:1], 1, v[0:1]
	v_add_co_u32 v2, s0, s10, v0
	v_add_co_ci_u32_e64 v3, null, s11, v1, s0
	v_add_co_u32 v4, s0, s4, v0
	v_add_co_ci_u32_e64 v5, null, s5, v1, s0
	s_and_saveexec_b32 s0, s3
	s_cbranch_execz .LBB253_2
; %bb.1:
	global_load_ushort v7, v[2:3], off
	global_load_ushort v9, v[4:5], off
	s_waitcnt vmcnt(1)
	v_cvt_f32_f16_e32 v8, v7
	s_waitcnt vmcnt(0)
	v_cvt_f32_f16_e32 v7, v9
.LBB253_2:
	s_or_b32 exec_lo, exec_lo, s0
	v_cmp_gt_i32_e64 s0, 2, v6
	s_xor_b32 s3, s1, -1
	s_or_b32 s0, s3, s0
	s_and_saveexec_b32 s3, s0
	s_xor_b32 s0, exec_lo, s3
                                        ; implicit-def: $vgpr9
	s_cbranch_execnz .LBB253_6
; %bb.3:
	s_or_saveexec_b32 s4, s0
	v_mov_b32_e32 v10, 1.0
	s_xor_b32 exec_lo, exec_lo, s4
	s_cbranch_execnz .LBB253_7
.LBB253_4:
	s_or_b32 exec_lo, exec_lo, s4
	s_and_saveexec_b32 s0, vcc_lo
	s_cbranch_execnz .LBB253_8
.LBB253_5:
	s_endpgm
.LBB253_6:
	v_mov_b32_e32 v9, 0
                                        ; implicit-def: $vgpr4
                                        ; implicit-def: $vgpr2
	s_or_saveexec_b32 s4, s0
	v_mov_b32_e32 v10, 1.0
	s_xor_b32 exec_lo, exec_lo, s4
	s_cbranch_execz .LBB253_4
.LBB253_7:
	s_mov_b32 s3, 0
	s_lshl_b64 s[6:7], s[2:3], 1
	v_add_co_u32 v4, s0, v4, s6
	v_add_co_ci_u32_e64 v5, null, s7, v5, s0
	v_add_co_u32 v2, s0, v2, s6
	v_add_co_ci_u32_e64 v3, null, s7, v3, s0
	global_load_ushort v4, v[4:5], off
	s_mov_b32 s0, 0x3fb8aa3b
	global_load_ushort v2, v[2:3], off
	s_waitcnt vmcnt(1)
	v_cvt_f32_f16_e32 v3, v4
	v_mul_f32_e32 v5, 0x3fb8aa3b, v3
	v_fma_mix_f32 v9, v4, s0, -v5 op_sel_hi:[1,0,0]
	v_rndne_f32_e32 v10, v5
	s_mov_b32 s0, 0x32a5705f
	v_fma_mix_f32 v4, v4, s0, v9 op_sel_hi:[1,0,0]
	v_sub_f32_e32 v5, v5, v10
	v_cmp_ngt_f32_e64 s0, 0xc2ce8ed0, v3
	s_waitcnt vmcnt(0)
	v_cvt_f32_f16_e32 v9, v2
	v_add_f32_e32 v4, v5, v4
	v_cvt_i32_f32_e32 v5, v10
	v_exp_f32_e32 v4, v4
	v_ldexp_f32 v4, v4, v5
	v_cndmask_b32_e64 v4, 0, v4, s0
	v_cmp_nlt_f32_e64 s0, 0x42b17218, v3
	v_cndmask_b32_e64 v10, 0x7f800000, v4, s0
	s_or_b32 exec_lo, exec_lo, s4
	s_and_saveexec_b32 s0, vcc_lo
	s_cbranch_execz .LBB253_5
.LBB253_8:
	v_add_co_u32 v0, vcc_lo, s8, v0
	v_add_co_ci_u32_e64 v1, null, s9, v1, vcc_lo
	s_andn2_b32 vcc_lo, exec_lo, s1
	s_cbranch_vccnz .LBB253_10
; %bb.9:
	v_mul_f32_e32 v2, 0x3fb8aa3b, v7
	v_cmp_ngt_f32_e32 vcc_lo, 0xc2ce8ed0, v7
	v_rndne_f32_e32 v3, v2
	v_fma_f32 v4, 0x3fb8aa3b, v7, -v2
	v_sub_f32_e32 v2, v2, v3
	v_fmamk_f32 v4, v7, 0x32a5705f, v4
	v_cvt_i32_f32_e32 v3, v3
	v_add_f32_e32 v2, v2, v4
	v_exp_f32_e32 v2, v2
	v_ldexp_f32 v2, v2, v3
	v_add_f32_e32 v3, 0, v8
	v_cndmask_b32_e32 v2, 0, v2, vcc_lo
	v_cmp_nlt_f32_e32 vcc_lo, 0x42b17218, v7
	v_cndmask_b32_e32 v2, 0x7f800000, v2, vcc_lo
	v_fma_mixlo_f16 v2, -v3, v2, v8
	global_store_short v[0:1], v2, off
.LBB253_10:
	v_cmp_ne_u32_e32 vcc_lo, 1, v6
	s_and_b32 s0, vcc_lo, s1
	s_and_b32 exec_lo, exec_lo, s0
	s_cbranch_execz .LBB253_5
; %bb.11:
	s_mov_b32 s3, 0
	v_add_f32_e32 v2, 0, v9
	s_lshl_b64 s[0:1], s[2:3], 1
	v_add_co_u32 v0, vcc_lo, v0, s0
	v_add_co_ci_u32_e64 v1, null, s1, v1, vcc_lo
	v_fma_mixlo_f16 v2, -v2, v10, v9
	global_store_short v[0:1], v2, off
	s_endpgm
	.section	.rodata,"a",@progbits
	.p2align	6, 0x0
	.amdhsa_kernel _ZN12_GLOBAL__N_121softmax_warp_backwardIN3c104HalfES2_fLi0ELb1ELb0ELi32EEEvPT0_PKT_S7_iiiPKb
		.amdhsa_group_segment_fixed_size 0
		.amdhsa_private_segment_fixed_size 0
		.amdhsa_kernarg_size 304
		.amdhsa_user_sgpr_count 6
		.amdhsa_user_sgpr_private_segment_buffer 1
		.amdhsa_user_sgpr_dispatch_ptr 0
		.amdhsa_user_sgpr_queue_ptr 0
		.amdhsa_user_sgpr_kernarg_segment_ptr 1
		.amdhsa_user_sgpr_dispatch_id 0
		.amdhsa_user_sgpr_flat_scratch_init 0
		.amdhsa_user_sgpr_private_segment_size 0
		.amdhsa_wavefront_size32 1
		.amdhsa_uses_dynamic_stack 0
		.amdhsa_system_sgpr_private_segment_wavefront_offset 0
		.amdhsa_system_sgpr_workgroup_id_x 1
		.amdhsa_system_sgpr_workgroup_id_y 0
		.amdhsa_system_sgpr_workgroup_id_z 0
		.amdhsa_system_sgpr_workgroup_info 0
		.amdhsa_system_vgpr_workitem_id 1
		.amdhsa_next_free_vgpr 11
		.amdhsa_next_free_sgpr 12
		.amdhsa_reserve_vcc 1
		.amdhsa_reserve_flat_scratch 0
		.amdhsa_float_round_mode_32 0
		.amdhsa_float_round_mode_16_64 0
		.amdhsa_float_denorm_mode_32 3
		.amdhsa_float_denorm_mode_16_64 3
		.amdhsa_dx10_clamp 1
		.amdhsa_ieee_mode 1
		.amdhsa_fp16_overflow 0
		.amdhsa_workgroup_processor_mode 1
		.amdhsa_memory_ordered 1
		.amdhsa_forward_progress 1
		.amdhsa_shared_vgpr_count 0
		.amdhsa_exception_fp_ieee_invalid_op 0
		.amdhsa_exception_fp_denorm_src 0
		.amdhsa_exception_fp_ieee_div_zero 0
		.amdhsa_exception_fp_ieee_overflow 0
		.amdhsa_exception_fp_ieee_underflow 0
		.amdhsa_exception_fp_ieee_inexact 0
		.amdhsa_exception_int_div_zero 0
	.end_amdhsa_kernel
	.section	.text._ZN12_GLOBAL__N_121softmax_warp_backwardIN3c104HalfES2_fLi0ELb1ELb0ELi32EEEvPT0_PKT_S7_iiiPKb,"axG",@progbits,_ZN12_GLOBAL__N_121softmax_warp_backwardIN3c104HalfES2_fLi0ELb1ELb0ELi32EEEvPT0_PKT_S7_iiiPKb,comdat
.Lfunc_end253:
	.size	_ZN12_GLOBAL__N_121softmax_warp_backwardIN3c104HalfES2_fLi0ELb1ELb0ELi32EEEvPT0_PKT_S7_iiiPKb, .Lfunc_end253-_ZN12_GLOBAL__N_121softmax_warp_backwardIN3c104HalfES2_fLi0ELb1ELb0ELi32EEEvPT0_PKT_S7_iiiPKb
                                        ; -- End function
	.set _ZN12_GLOBAL__N_121softmax_warp_backwardIN3c104HalfES2_fLi0ELb1ELb0ELi32EEEvPT0_PKT_S7_iiiPKb.num_vgpr, 11
	.set _ZN12_GLOBAL__N_121softmax_warp_backwardIN3c104HalfES2_fLi0ELb1ELb0ELi32EEEvPT0_PKT_S7_iiiPKb.num_agpr, 0
	.set _ZN12_GLOBAL__N_121softmax_warp_backwardIN3c104HalfES2_fLi0ELb1ELb0ELi32EEEvPT0_PKT_S7_iiiPKb.numbered_sgpr, 12
	.set _ZN12_GLOBAL__N_121softmax_warp_backwardIN3c104HalfES2_fLi0ELb1ELb0ELi32EEEvPT0_PKT_S7_iiiPKb.num_named_barrier, 0
	.set _ZN12_GLOBAL__N_121softmax_warp_backwardIN3c104HalfES2_fLi0ELb1ELb0ELi32EEEvPT0_PKT_S7_iiiPKb.private_seg_size, 0
	.set _ZN12_GLOBAL__N_121softmax_warp_backwardIN3c104HalfES2_fLi0ELb1ELb0ELi32EEEvPT0_PKT_S7_iiiPKb.uses_vcc, 1
	.set _ZN12_GLOBAL__N_121softmax_warp_backwardIN3c104HalfES2_fLi0ELb1ELb0ELi32EEEvPT0_PKT_S7_iiiPKb.uses_flat_scratch, 0
	.set _ZN12_GLOBAL__N_121softmax_warp_backwardIN3c104HalfES2_fLi0ELb1ELb0ELi32EEEvPT0_PKT_S7_iiiPKb.has_dyn_sized_stack, 0
	.set _ZN12_GLOBAL__N_121softmax_warp_backwardIN3c104HalfES2_fLi0ELb1ELb0ELi32EEEvPT0_PKT_S7_iiiPKb.has_recursion, 0
	.set _ZN12_GLOBAL__N_121softmax_warp_backwardIN3c104HalfES2_fLi0ELb1ELb0ELi32EEEvPT0_PKT_S7_iiiPKb.has_indirect_call, 0
	.section	.AMDGPU.csdata,"",@progbits
; Kernel info:
; codeLenInByte = 656
; TotalNumSgprs: 14
; NumVgprs: 11
; ScratchSize: 0
; MemoryBound: 0
; FloatMode: 240
; IeeeMode: 1
; LDSByteSize: 0 bytes/workgroup (compile time only)
; SGPRBlocks: 0
; VGPRBlocks: 1
; NumSGPRsForWavesPerEU: 14
; NumVGPRsForWavesPerEU: 11
; Occupancy: 16
; WaveLimiterHint : 0
; COMPUTE_PGM_RSRC2:SCRATCH_EN: 0
; COMPUTE_PGM_RSRC2:USER_SGPR: 6
; COMPUTE_PGM_RSRC2:TRAP_HANDLER: 0
; COMPUTE_PGM_RSRC2:TGID_X_EN: 1
; COMPUTE_PGM_RSRC2:TGID_Y_EN: 0
; COMPUTE_PGM_RSRC2:TGID_Z_EN: 0
; COMPUTE_PGM_RSRC2:TIDIG_COMP_CNT: 1
	.section	.text._ZN12_GLOBAL__N_121softmax_warp_backwardIN3c104HalfES2_fLi1ELb1ELb0ELi64EEEvPT0_PKT_S7_iiiPKb,"axG",@progbits,_ZN12_GLOBAL__N_121softmax_warp_backwardIN3c104HalfES2_fLi1ELb1ELb0ELi64EEEvPT0_PKT_S7_iiiPKb,comdat
	.globl	_ZN12_GLOBAL__N_121softmax_warp_backwardIN3c104HalfES2_fLi1ELb1ELb0ELi64EEEvPT0_PKT_S7_iiiPKb ; -- Begin function _ZN12_GLOBAL__N_121softmax_warp_backwardIN3c104HalfES2_fLi1ELb1ELb0ELi64EEEvPT0_PKT_S7_iiiPKb
	.p2align	8
	.type	_ZN12_GLOBAL__N_121softmax_warp_backwardIN3c104HalfES2_fLi1ELb1ELb0ELi64EEEvPT0_PKT_S7_iiiPKb,@function
_ZN12_GLOBAL__N_121softmax_warp_backwardIN3c104HalfES2_fLi1ELb1ELb0ELi64EEEvPT0_PKT_S7_iiiPKb: ; @_ZN12_GLOBAL__N_121softmax_warp_backwardIN3c104HalfES2_fLi1ELb1ELb0ELi64EEEvPT0_PKT_S7_iiiPKb
; %bb.0:
	s_clause 0x1
	s_load_dword s7, s[4:5], 0x3c
	s_load_dwordx4 s[0:3], s[4:5], 0x18
	v_and_b32_e32 v3, 1, v0
	s_clause 0x1
	s_load_dwordx4 s[8:11], s[4:5], 0x0
	s_load_dwordx2 s[4:5], s[4:5], 0x10
	v_mov_b32_e32 v7, 0
	v_mov_b32_e32 v8, 0
	s_waitcnt lgkmcnt(0)
	s_lshr_b32 s3, s7, 16
	v_cmp_gt_i32_e32 vcc_lo, s2, v3
	s_and_b32 s3, s3, 0xffff
	s_mul_i32 s6, s6, s3
	v_add_lshl_u32 v2, s6, v1, 1
	v_mul_lo_u32 v1, v2, s1
	v_sub_nc_u32_e32 v6, s0, v2
	v_cmp_lt_i32_e64 s0, 0, v6
	v_or_b32_e32 v0, v1, v3
	s_and_b32 s3, vcc_lo, s0
	v_ashrrev_i32_e32 v1, 31, v0
	v_lshlrev_b64 v[0:1], 1, v[0:1]
	v_add_co_u32 v2, s1, s10, v0
	v_add_co_ci_u32_e64 v3, null, s11, v1, s1
	v_add_co_u32 v4, s1, s4, v0
	v_add_co_ci_u32_e64 v5, null, s5, v1, s1
	s_and_saveexec_b32 s1, s3
	s_cbranch_execz .LBB254_2
; %bb.1:
	global_load_ushort v7, v[2:3], off
	global_load_ushort v9, v[4:5], off
	s_waitcnt vmcnt(1)
	v_cvt_f32_f16_e32 v8, v7
	s_waitcnt vmcnt(0)
	v_cvt_f32_f16_e32 v7, v9
.LBB254_2:
	s_or_b32 exec_lo, exec_lo, s1
	v_cmp_gt_i32_e64 s1, 2, v6
	s_xor_b32 s3, vcc_lo, -1
	s_or_b32 s1, s3, s1
	s_and_saveexec_b32 s3, s1
	s_xor_b32 s1, exec_lo, s3
                                        ; implicit-def: $vgpr9
; %bb.3:
	v_mov_b32_e32 v9, 0
                                        ; implicit-def: $vgpr4
                                        ; implicit-def: $vgpr2
; %bb.4:
	s_or_saveexec_b32 s4, s1
	v_mov_b32_e32 v10, 1.0
	s_xor_b32 exec_lo, exec_lo, s4
	s_cbranch_execz .LBB254_6
; %bb.5:
	s_mov_b32 s3, 0
	s_lshl_b64 s[6:7], s[2:3], 1
	v_add_co_u32 v4, s1, v4, s6
	v_add_co_ci_u32_e64 v5, null, s7, v5, s1
	v_add_co_u32 v2, s1, v2, s6
	v_add_co_ci_u32_e64 v3, null, s7, v3, s1
	global_load_ushort v4, v[4:5], off
	s_mov_b32 s1, 0x3fb8aa3b
	global_load_ushort v2, v[2:3], off
	s_waitcnt vmcnt(1)
	v_cvt_f32_f16_e32 v3, v4
	v_mul_f32_e32 v5, 0x3fb8aa3b, v3
	v_fma_mix_f32 v9, v4, s1, -v5 op_sel_hi:[1,0,0]
	v_rndne_f32_e32 v10, v5
	s_mov_b32 s1, 0x32a5705f
	v_fma_mix_f32 v4, v4, s1, v9 op_sel_hi:[1,0,0]
	v_sub_f32_e32 v5, v5, v10
	v_cmp_ngt_f32_e64 s1, 0xc2ce8ed0, v3
	s_waitcnt vmcnt(0)
	v_cvt_f32_f16_e32 v9, v2
	v_add_f32_e32 v4, v5, v4
	v_cvt_i32_f32_e32 v5, v10
	v_exp_f32_e32 v4, v4
	v_ldexp_f32 v4, v4, v5
	v_cndmask_b32_e64 v4, 0, v4, s1
	v_cmp_nlt_f32_e64 s1, 0x42b17218, v3
	v_cndmask_b32_e64 v10, 0x7f800000, v4, s1
.LBB254_6:
	s_or_b32 exec_lo, exec_lo, s4
	v_mbcnt_lo_u32_b32 v2, -1, 0
	v_and_b32_e32 v3, 30, v2
	v_xor_b32_e32 v4, 1, v2
	v_add_nc_u32_e32 v3, 2, v3
	v_cmp_lt_i32_e64 s1, v4, v3
	v_cndmask_b32_e64 v2, v2, v4, s1
	v_add_f32_e32 v4, 0, v8
	v_lshlrev_b32_e32 v3, 2, v2
	v_add_f32_e32 v2, 0, v9
	ds_bpermute_b32 v5, v3, v4
	ds_bpermute_b32 v3, v3, v2
	s_and_saveexec_b32 s1, s0
	s_cbranch_execz .LBB254_11
; %bb.7:
	v_add_co_u32 v0, s0, s8, v0
	v_add_co_ci_u32_e64 v1, null, s9, v1, s0
	s_and_saveexec_b32 s1, vcc_lo
	s_cbranch_execz .LBB254_9
; %bb.8:
	v_mul_f32_e32 v11, 0x3fb8aa3b, v7
	v_cmp_ngt_f32_e64 s0, 0xc2ce8ed0, v7
	s_waitcnt lgkmcnt(1)
	v_add_f32_e32 v4, v4, v5
	v_rndne_f32_e32 v12, v11
	v_fma_f32 v13, 0x3fb8aa3b, v7, -v11
	v_sub_f32_e32 v11, v11, v12
	v_fmamk_f32 v13, v7, 0x32a5705f, v13
	v_cvt_i32_f32_e32 v12, v12
	v_add_f32_e32 v11, v11, v13
	v_exp_f32_e32 v11, v11
	v_ldexp_f32 v11, v11, v12
	v_cndmask_b32_e64 v11, 0, v11, s0
	v_cmp_nlt_f32_e64 s0, 0x42b17218, v7
	v_cndmask_b32_e64 v5, 0x7f800000, v11, s0
	v_fma_mixlo_f16 v4, -v4, v5, v8
	global_store_short v[0:1], v4, off
.LBB254_9:
	s_or_b32 exec_lo, exec_lo, s1
	v_cmp_ne_u32_e64 s0, 1, v6
	s_and_b32 s0, s0, vcc_lo
	s_and_b32 exec_lo, exec_lo, s0
	s_cbranch_execz .LBB254_11
; %bb.10:
	s_mov_b32 s3, 0
	s_waitcnt lgkmcnt(0)
	v_add_f32_e32 v2, v2, v3
	s_lshl_b64 s[0:1], s[2:3], 1
	v_add_co_u32 v0, vcc_lo, v0, s0
	v_add_co_ci_u32_e64 v1, null, s1, v1, vcc_lo
	v_fma_mixlo_f16 v2, -v2, v10, v9
	global_store_short v[0:1], v2, off
.LBB254_11:
	s_endpgm
	.section	.rodata,"a",@progbits
	.p2align	6, 0x0
	.amdhsa_kernel _ZN12_GLOBAL__N_121softmax_warp_backwardIN3c104HalfES2_fLi1ELb1ELb0ELi64EEEvPT0_PKT_S7_iiiPKb
		.amdhsa_group_segment_fixed_size 0
		.amdhsa_private_segment_fixed_size 0
		.amdhsa_kernarg_size 304
		.amdhsa_user_sgpr_count 6
		.amdhsa_user_sgpr_private_segment_buffer 1
		.amdhsa_user_sgpr_dispatch_ptr 0
		.amdhsa_user_sgpr_queue_ptr 0
		.amdhsa_user_sgpr_kernarg_segment_ptr 1
		.amdhsa_user_sgpr_dispatch_id 0
		.amdhsa_user_sgpr_flat_scratch_init 0
		.amdhsa_user_sgpr_private_segment_size 0
		.amdhsa_wavefront_size32 1
		.amdhsa_uses_dynamic_stack 0
		.amdhsa_system_sgpr_private_segment_wavefront_offset 0
		.amdhsa_system_sgpr_workgroup_id_x 1
		.amdhsa_system_sgpr_workgroup_id_y 0
		.amdhsa_system_sgpr_workgroup_id_z 0
		.amdhsa_system_sgpr_workgroup_info 0
		.amdhsa_system_vgpr_workitem_id 1
		.amdhsa_next_free_vgpr 14
		.amdhsa_next_free_sgpr 12
		.amdhsa_reserve_vcc 1
		.amdhsa_reserve_flat_scratch 0
		.amdhsa_float_round_mode_32 0
		.amdhsa_float_round_mode_16_64 0
		.amdhsa_float_denorm_mode_32 3
		.amdhsa_float_denorm_mode_16_64 3
		.amdhsa_dx10_clamp 1
		.amdhsa_ieee_mode 1
		.amdhsa_fp16_overflow 0
		.amdhsa_workgroup_processor_mode 1
		.amdhsa_memory_ordered 1
		.amdhsa_forward_progress 1
		.amdhsa_shared_vgpr_count 0
		.amdhsa_exception_fp_ieee_invalid_op 0
		.amdhsa_exception_fp_denorm_src 0
		.amdhsa_exception_fp_ieee_div_zero 0
		.amdhsa_exception_fp_ieee_overflow 0
		.amdhsa_exception_fp_ieee_underflow 0
		.amdhsa_exception_fp_ieee_inexact 0
		.amdhsa_exception_int_div_zero 0
	.end_amdhsa_kernel
	.section	.text._ZN12_GLOBAL__N_121softmax_warp_backwardIN3c104HalfES2_fLi1ELb1ELb0ELi64EEEvPT0_PKT_S7_iiiPKb,"axG",@progbits,_ZN12_GLOBAL__N_121softmax_warp_backwardIN3c104HalfES2_fLi1ELb1ELb0ELi64EEEvPT0_PKT_S7_iiiPKb,comdat
.Lfunc_end254:
	.size	_ZN12_GLOBAL__N_121softmax_warp_backwardIN3c104HalfES2_fLi1ELb1ELb0ELi64EEEvPT0_PKT_S7_iiiPKb, .Lfunc_end254-_ZN12_GLOBAL__N_121softmax_warp_backwardIN3c104HalfES2_fLi1ELb1ELb0ELi64EEEvPT0_PKT_S7_iiiPKb
                                        ; -- End function
	.set _ZN12_GLOBAL__N_121softmax_warp_backwardIN3c104HalfES2_fLi1ELb1ELb0ELi64EEEvPT0_PKT_S7_iiiPKb.num_vgpr, 14
	.set _ZN12_GLOBAL__N_121softmax_warp_backwardIN3c104HalfES2_fLi1ELb1ELb0ELi64EEEvPT0_PKT_S7_iiiPKb.num_agpr, 0
	.set _ZN12_GLOBAL__N_121softmax_warp_backwardIN3c104HalfES2_fLi1ELb1ELb0ELi64EEEvPT0_PKT_S7_iiiPKb.numbered_sgpr, 12
	.set _ZN12_GLOBAL__N_121softmax_warp_backwardIN3c104HalfES2_fLi1ELb1ELb0ELi64EEEvPT0_PKT_S7_iiiPKb.num_named_barrier, 0
	.set _ZN12_GLOBAL__N_121softmax_warp_backwardIN3c104HalfES2_fLi1ELb1ELb0ELi64EEEvPT0_PKT_S7_iiiPKb.private_seg_size, 0
	.set _ZN12_GLOBAL__N_121softmax_warp_backwardIN3c104HalfES2_fLi1ELb1ELb0ELi64EEEvPT0_PKT_S7_iiiPKb.uses_vcc, 1
	.set _ZN12_GLOBAL__N_121softmax_warp_backwardIN3c104HalfES2_fLi1ELb1ELb0ELi64EEEvPT0_PKT_S7_iiiPKb.uses_flat_scratch, 0
	.set _ZN12_GLOBAL__N_121softmax_warp_backwardIN3c104HalfES2_fLi1ELb1ELb0ELi64EEEvPT0_PKT_S7_iiiPKb.has_dyn_sized_stack, 0
	.set _ZN12_GLOBAL__N_121softmax_warp_backwardIN3c104HalfES2_fLi1ELb1ELb0ELi64EEEvPT0_PKT_S7_iiiPKb.has_recursion, 0
	.set _ZN12_GLOBAL__N_121softmax_warp_backwardIN3c104HalfES2_fLi1ELb1ELb0ELi64EEEvPT0_PKT_S7_iiiPKb.has_indirect_call, 0
	.section	.AMDGPU.csdata,"",@progbits
; Kernel info:
; codeLenInByte = 728
; TotalNumSgprs: 14
; NumVgprs: 14
; ScratchSize: 0
; MemoryBound: 0
; FloatMode: 240
; IeeeMode: 1
; LDSByteSize: 0 bytes/workgroup (compile time only)
; SGPRBlocks: 0
; VGPRBlocks: 1
; NumSGPRsForWavesPerEU: 14
; NumVGPRsForWavesPerEU: 14
; Occupancy: 16
; WaveLimiterHint : 0
; COMPUTE_PGM_RSRC2:SCRATCH_EN: 0
; COMPUTE_PGM_RSRC2:USER_SGPR: 6
; COMPUTE_PGM_RSRC2:TRAP_HANDLER: 0
; COMPUTE_PGM_RSRC2:TGID_X_EN: 1
; COMPUTE_PGM_RSRC2:TGID_Y_EN: 0
; COMPUTE_PGM_RSRC2:TGID_Z_EN: 0
; COMPUTE_PGM_RSRC2:TIDIG_COMP_CNT: 1
	.section	.text._ZN12_GLOBAL__N_121softmax_warp_backwardIN3c104HalfES2_fLi1ELb1ELb0ELi32EEEvPT0_PKT_S7_iiiPKb,"axG",@progbits,_ZN12_GLOBAL__N_121softmax_warp_backwardIN3c104HalfES2_fLi1ELb1ELb0ELi32EEEvPT0_PKT_S7_iiiPKb,comdat
	.globl	_ZN12_GLOBAL__N_121softmax_warp_backwardIN3c104HalfES2_fLi1ELb1ELb0ELi32EEEvPT0_PKT_S7_iiiPKb ; -- Begin function _ZN12_GLOBAL__N_121softmax_warp_backwardIN3c104HalfES2_fLi1ELb1ELb0ELi32EEEvPT0_PKT_S7_iiiPKb
	.p2align	8
	.type	_ZN12_GLOBAL__N_121softmax_warp_backwardIN3c104HalfES2_fLi1ELb1ELb0ELi32EEEvPT0_PKT_S7_iiiPKb,@function
_ZN12_GLOBAL__N_121softmax_warp_backwardIN3c104HalfES2_fLi1ELb1ELb0ELi32EEEvPT0_PKT_S7_iiiPKb: ; @_ZN12_GLOBAL__N_121softmax_warp_backwardIN3c104HalfES2_fLi1ELb1ELb0ELi32EEEvPT0_PKT_S7_iiiPKb
; %bb.0:
	s_clause 0x1
	s_load_dword s7, s[4:5], 0x3c
	s_load_dwordx4 s[0:3], s[4:5], 0x18
	v_and_b32_e32 v3, 1, v0
	s_clause 0x1
	s_load_dwordx4 s[8:11], s[4:5], 0x0
	s_load_dwordx2 s[4:5], s[4:5], 0x10
	v_mov_b32_e32 v7, 0
	v_mov_b32_e32 v8, 0
	s_waitcnt lgkmcnt(0)
	s_lshr_b32 s3, s7, 16
	v_cmp_gt_i32_e32 vcc_lo, s2, v3
	s_and_b32 s3, s3, 0xffff
	s_mul_i32 s6, s6, s3
	v_add_lshl_u32 v2, s6, v1, 1
	v_mul_lo_u32 v1, v2, s1
	v_sub_nc_u32_e32 v6, s0, v2
	v_cmp_lt_i32_e64 s0, 0, v6
	v_or_b32_e32 v0, v1, v3
	s_and_b32 s3, vcc_lo, s0
	v_ashrrev_i32_e32 v1, 31, v0
	v_lshlrev_b64 v[0:1], 1, v[0:1]
	v_add_co_u32 v2, s1, s10, v0
	v_add_co_ci_u32_e64 v3, null, s11, v1, s1
	v_add_co_u32 v4, s1, s4, v0
	v_add_co_ci_u32_e64 v5, null, s5, v1, s1
	s_and_saveexec_b32 s1, s3
	s_cbranch_execz .LBB255_2
; %bb.1:
	global_load_ushort v7, v[2:3], off
	global_load_ushort v9, v[4:5], off
	s_waitcnt vmcnt(1)
	v_cvt_f32_f16_e32 v8, v7
	s_waitcnt vmcnt(0)
	v_cvt_f32_f16_e32 v7, v9
.LBB255_2:
	s_or_b32 exec_lo, exec_lo, s1
	v_cmp_gt_i32_e64 s1, 2, v6
	s_xor_b32 s3, vcc_lo, -1
	s_or_b32 s1, s3, s1
	s_and_saveexec_b32 s3, s1
	s_xor_b32 s1, exec_lo, s3
                                        ; implicit-def: $vgpr9
; %bb.3:
	v_mov_b32_e32 v9, 0
                                        ; implicit-def: $vgpr4
                                        ; implicit-def: $vgpr2
; %bb.4:
	s_or_saveexec_b32 s4, s1
	v_mov_b32_e32 v10, 1.0
	s_xor_b32 exec_lo, exec_lo, s4
	s_cbranch_execz .LBB255_6
; %bb.5:
	s_mov_b32 s3, 0
	s_lshl_b64 s[6:7], s[2:3], 1
	v_add_co_u32 v4, s1, v4, s6
	v_add_co_ci_u32_e64 v5, null, s7, v5, s1
	v_add_co_u32 v2, s1, v2, s6
	v_add_co_ci_u32_e64 v3, null, s7, v3, s1
	global_load_ushort v4, v[4:5], off
	s_mov_b32 s1, 0x3fb8aa3b
	global_load_ushort v2, v[2:3], off
	s_waitcnt vmcnt(1)
	v_cvt_f32_f16_e32 v3, v4
	v_mul_f32_e32 v5, 0x3fb8aa3b, v3
	v_fma_mix_f32 v9, v4, s1, -v5 op_sel_hi:[1,0,0]
	v_rndne_f32_e32 v10, v5
	s_mov_b32 s1, 0x32a5705f
	v_fma_mix_f32 v4, v4, s1, v9 op_sel_hi:[1,0,0]
	v_sub_f32_e32 v5, v5, v10
	v_cmp_ngt_f32_e64 s1, 0xc2ce8ed0, v3
	s_waitcnt vmcnt(0)
	v_cvt_f32_f16_e32 v9, v2
	v_add_f32_e32 v4, v5, v4
	v_cvt_i32_f32_e32 v5, v10
	v_exp_f32_e32 v4, v4
	v_ldexp_f32 v4, v4, v5
	v_cndmask_b32_e64 v4, 0, v4, s1
	v_cmp_nlt_f32_e64 s1, 0x42b17218, v3
	v_cndmask_b32_e64 v10, 0x7f800000, v4, s1
.LBB255_6:
	s_or_b32 exec_lo, exec_lo, s4
	v_mbcnt_lo_u32_b32 v2, -1, 0
	v_and_b32_e32 v3, 30, v2
	v_xor_b32_e32 v4, 1, v2
	v_add_nc_u32_e32 v3, 2, v3
	v_cmp_lt_i32_e64 s1, v4, v3
	v_cndmask_b32_e64 v2, v2, v4, s1
	v_add_f32_e32 v4, 0, v8
	v_lshlrev_b32_e32 v3, 2, v2
	v_add_f32_e32 v2, 0, v9
	ds_bpermute_b32 v5, v3, v4
	ds_bpermute_b32 v3, v3, v2
	s_and_saveexec_b32 s1, s0
	s_cbranch_execz .LBB255_11
; %bb.7:
	v_add_co_u32 v0, s0, s8, v0
	v_add_co_ci_u32_e64 v1, null, s9, v1, s0
	s_and_saveexec_b32 s1, vcc_lo
	s_cbranch_execz .LBB255_9
; %bb.8:
	v_mul_f32_e32 v11, 0x3fb8aa3b, v7
	v_cmp_ngt_f32_e64 s0, 0xc2ce8ed0, v7
	s_waitcnt lgkmcnt(1)
	v_add_f32_e32 v4, v4, v5
	v_rndne_f32_e32 v12, v11
	v_fma_f32 v13, 0x3fb8aa3b, v7, -v11
	v_sub_f32_e32 v11, v11, v12
	v_fmamk_f32 v13, v7, 0x32a5705f, v13
	v_cvt_i32_f32_e32 v12, v12
	v_add_f32_e32 v11, v11, v13
	v_exp_f32_e32 v11, v11
	v_ldexp_f32 v11, v11, v12
	v_cndmask_b32_e64 v11, 0, v11, s0
	v_cmp_nlt_f32_e64 s0, 0x42b17218, v7
	v_cndmask_b32_e64 v5, 0x7f800000, v11, s0
	v_fma_mixlo_f16 v4, -v4, v5, v8
	global_store_short v[0:1], v4, off
.LBB255_9:
	s_or_b32 exec_lo, exec_lo, s1
	v_cmp_ne_u32_e64 s0, 1, v6
	s_and_b32 s0, s0, vcc_lo
	s_and_b32 exec_lo, exec_lo, s0
	s_cbranch_execz .LBB255_11
; %bb.10:
	s_mov_b32 s3, 0
	s_waitcnt lgkmcnt(0)
	v_add_f32_e32 v2, v2, v3
	s_lshl_b64 s[0:1], s[2:3], 1
	v_add_co_u32 v0, vcc_lo, v0, s0
	v_add_co_ci_u32_e64 v1, null, s1, v1, vcc_lo
	v_fma_mixlo_f16 v2, -v2, v10, v9
	global_store_short v[0:1], v2, off
.LBB255_11:
	s_endpgm
	.section	.rodata,"a",@progbits
	.p2align	6, 0x0
	.amdhsa_kernel _ZN12_GLOBAL__N_121softmax_warp_backwardIN3c104HalfES2_fLi1ELb1ELb0ELi32EEEvPT0_PKT_S7_iiiPKb
		.amdhsa_group_segment_fixed_size 0
		.amdhsa_private_segment_fixed_size 0
		.amdhsa_kernarg_size 304
		.amdhsa_user_sgpr_count 6
		.amdhsa_user_sgpr_private_segment_buffer 1
		.amdhsa_user_sgpr_dispatch_ptr 0
		.amdhsa_user_sgpr_queue_ptr 0
		.amdhsa_user_sgpr_kernarg_segment_ptr 1
		.amdhsa_user_sgpr_dispatch_id 0
		.amdhsa_user_sgpr_flat_scratch_init 0
		.amdhsa_user_sgpr_private_segment_size 0
		.amdhsa_wavefront_size32 1
		.amdhsa_uses_dynamic_stack 0
		.amdhsa_system_sgpr_private_segment_wavefront_offset 0
		.amdhsa_system_sgpr_workgroup_id_x 1
		.amdhsa_system_sgpr_workgroup_id_y 0
		.amdhsa_system_sgpr_workgroup_id_z 0
		.amdhsa_system_sgpr_workgroup_info 0
		.amdhsa_system_vgpr_workitem_id 1
		.amdhsa_next_free_vgpr 14
		.amdhsa_next_free_sgpr 12
		.amdhsa_reserve_vcc 1
		.amdhsa_reserve_flat_scratch 0
		.amdhsa_float_round_mode_32 0
		.amdhsa_float_round_mode_16_64 0
		.amdhsa_float_denorm_mode_32 3
		.amdhsa_float_denorm_mode_16_64 3
		.amdhsa_dx10_clamp 1
		.amdhsa_ieee_mode 1
		.amdhsa_fp16_overflow 0
		.amdhsa_workgroup_processor_mode 1
		.amdhsa_memory_ordered 1
		.amdhsa_forward_progress 1
		.amdhsa_shared_vgpr_count 0
		.amdhsa_exception_fp_ieee_invalid_op 0
		.amdhsa_exception_fp_denorm_src 0
		.amdhsa_exception_fp_ieee_div_zero 0
		.amdhsa_exception_fp_ieee_overflow 0
		.amdhsa_exception_fp_ieee_underflow 0
		.amdhsa_exception_fp_ieee_inexact 0
		.amdhsa_exception_int_div_zero 0
	.end_amdhsa_kernel
	.section	.text._ZN12_GLOBAL__N_121softmax_warp_backwardIN3c104HalfES2_fLi1ELb1ELb0ELi32EEEvPT0_PKT_S7_iiiPKb,"axG",@progbits,_ZN12_GLOBAL__N_121softmax_warp_backwardIN3c104HalfES2_fLi1ELb1ELb0ELi32EEEvPT0_PKT_S7_iiiPKb,comdat
.Lfunc_end255:
	.size	_ZN12_GLOBAL__N_121softmax_warp_backwardIN3c104HalfES2_fLi1ELb1ELb0ELi32EEEvPT0_PKT_S7_iiiPKb, .Lfunc_end255-_ZN12_GLOBAL__N_121softmax_warp_backwardIN3c104HalfES2_fLi1ELb1ELb0ELi32EEEvPT0_PKT_S7_iiiPKb
                                        ; -- End function
	.set _ZN12_GLOBAL__N_121softmax_warp_backwardIN3c104HalfES2_fLi1ELb1ELb0ELi32EEEvPT0_PKT_S7_iiiPKb.num_vgpr, 14
	.set _ZN12_GLOBAL__N_121softmax_warp_backwardIN3c104HalfES2_fLi1ELb1ELb0ELi32EEEvPT0_PKT_S7_iiiPKb.num_agpr, 0
	.set _ZN12_GLOBAL__N_121softmax_warp_backwardIN3c104HalfES2_fLi1ELb1ELb0ELi32EEEvPT0_PKT_S7_iiiPKb.numbered_sgpr, 12
	.set _ZN12_GLOBAL__N_121softmax_warp_backwardIN3c104HalfES2_fLi1ELb1ELb0ELi32EEEvPT0_PKT_S7_iiiPKb.num_named_barrier, 0
	.set _ZN12_GLOBAL__N_121softmax_warp_backwardIN3c104HalfES2_fLi1ELb1ELb0ELi32EEEvPT0_PKT_S7_iiiPKb.private_seg_size, 0
	.set _ZN12_GLOBAL__N_121softmax_warp_backwardIN3c104HalfES2_fLi1ELb1ELb0ELi32EEEvPT0_PKT_S7_iiiPKb.uses_vcc, 1
	.set _ZN12_GLOBAL__N_121softmax_warp_backwardIN3c104HalfES2_fLi1ELb1ELb0ELi32EEEvPT0_PKT_S7_iiiPKb.uses_flat_scratch, 0
	.set _ZN12_GLOBAL__N_121softmax_warp_backwardIN3c104HalfES2_fLi1ELb1ELb0ELi32EEEvPT0_PKT_S7_iiiPKb.has_dyn_sized_stack, 0
	.set _ZN12_GLOBAL__N_121softmax_warp_backwardIN3c104HalfES2_fLi1ELb1ELb0ELi32EEEvPT0_PKT_S7_iiiPKb.has_recursion, 0
	.set _ZN12_GLOBAL__N_121softmax_warp_backwardIN3c104HalfES2_fLi1ELb1ELb0ELi32EEEvPT0_PKT_S7_iiiPKb.has_indirect_call, 0
	.section	.AMDGPU.csdata,"",@progbits
; Kernel info:
; codeLenInByte = 728
; TotalNumSgprs: 14
; NumVgprs: 14
; ScratchSize: 0
; MemoryBound: 0
; FloatMode: 240
; IeeeMode: 1
; LDSByteSize: 0 bytes/workgroup (compile time only)
; SGPRBlocks: 0
; VGPRBlocks: 1
; NumSGPRsForWavesPerEU: 14
; NumVGPRsForWavesPerEU: 14
; Occupancy: 16
; WaveLimiterHint : 0
; COMPUTE_PGM_RSRC2:SCRATCH_EN: 0
; COMPUTE_PGM_RSRC2:USER_SGPR: 6
; COMPUTE_PGM_RSRC2:TRAP_HANDLER: 0
; COMPUTE_PGM_RSRC2:TGID_X_EN: 1
; COMPUTE_PGM_RSRC2:TGID_Y_EN: 0
; COMPUTE_PGM_RSRC2:TGID_Z_EN: 0
; COMPUTE_PGM_RSRC2:TIDIG_COMP_CNT: 1
	.section	.text._ZN12_GLOBAL__N_121softmax_warp_backwardIN3c104HalfES2_fLi2ELb1ELb0ELi64EEEvPT0_PKT_S7_iiiPKb,"axG",@progbits,_ZN12_GLOBAL__N_121softmax_warp_backwardIN3c104HalfES2_fLi2ELb1ELb0ELi64EEEvPT0_PKT_S7_iiiPKb,comdat
	.globl	_ZN12_GLOBAL__N_121softmax_warp_backwardIN3c104HalfES2_fLi2ELb1ELb0ELi64EEEvPT0_PKT_S7_iiiPKb ; -- Begin function _ZN12_GLOBAL__N_121softmax_warp_backwardIN3c104HalfES2_fLi2ELb1ELb0ELi64EEEvPT0_PKT_S7_iiiPKb
	.p2align	8
	.type	_ZN12_GLOBAL__N_121softmax_warp_backwardIN3c104HalfES2_fLi2ELb1ELb0ELi64EEEvPT0_PKT_S7_iiiPKb,@function
_ZN12_GLOBAL__N_121softmax_warp_backwardIN3c104HalfES2_fLi2ELb1ELb0ELi64EEEvPT0_PKT_S7_iiiPKb: ; @_ZN12_GLOBAL__N_121softmax_warp_backwardIN3c104HalfES2_fLi2ELb1ELb0ELi64EEEvPT0_PKT_S7_iiiPKb
; %bb.0:
	s_clause 0x1
	s_load_dword s7, s[4:5], 0x3c
	s_load_dwordx4 s[0:3], s[4:5], 0x18
	v_and_b32_e32 v2, 3, v0
	s_clause 0x1
	s_load_dwordx4 s[8:11], s[4:5], 0x0
	s_load_dwordx2 s[4:5], s[4:5], 0x10
	v_mov_b32_e32 v7, 0
	v_mov_b32_e32 v8, 0
	s_waitcnt lgkmcnt(0)
	s_lshr_b32 s3, s7, 16
	v_cmp_gt_i32_e32 vcc_lo, s2, v2
	s_and_b32 s3, s3, 0xffff
	s_mul_i32 s6, s6, s3
	v_add_lshl_u32 v3, s6, v1, 1
	v_mad_u64_u32 v[0:1], null, v3, s1, v[2:3]
	v_sub_nc_u32_e32 v6, s0, v3
	v_cmp_lt_i32_e64 s0, 0, v6
	v_ashrrev_i32_e32 v1, 31, v0
	s_and_b32 s3, vcc_lo, s0
	v_lshlrev_b64 v[0:1], 1, v[0:1]
	v_add_co_u32 v2, s1, s10, v0
	v_add_co_ci_u32_e64 v3, null, s11, v1, s1
	v_add_co_u32 v4, s1, s4, v0
	v_add_co_ci_u32_e64 v5, null, s5, v1, s1
	s_and_saveexec_b32 s1, s3
	s_cbranch_execz .LBB256_2
; %bb.1:
	global_load_ushort v7, v[2:3], off
	global_load_ushort v9, v[4:5], off
	s_waitcnt vmcnt(1)
	v_cvt_f32_f16_e32 v8, v7
	s_waitcnt vmcnt(0)
	v_cvt_f32_f16_e32 v7, v9
.LBB256_2:
	s_or_b32 exec_lo, exec_lo, s1
	v_cmp_gt_i32_e64 s1, 2, v6
	s_xor_b32 s3, vcc_lo, -1
	s_or_b32 s1, s3, s1
	s_and_saveexec_b32 s3, s1
	s_xor_b32 s1, exec_lo, s3
                                        ; implicit-def: $vgpr9
; %bb.3:
	v_mov_b32_e32 v9, 0
                                        ; implicit-def: $vgpr4
                                        ; implicit-def: $vgpr2
; %bb.4:
	s_or_saveexec_b32 s4, s1
	v_mov_b32_e32 v10, 1.0
	s_xor_b32 exec_lo, exec_lo, s4
	s_cbranch_execz .LBB256_6
; %bb.5:
	s_mov_b32 s3, 0
	s_lshl_b64 s[6:7], s[2:3], 1
	v_add_co_u32 v4, s1, v4, s6
	v_add_co_ci_u32_e64 v5, null, s7, v5, s1
	v_add_co_u32 v2, s1, v2, s6
	v_add_co_ci_u32_e64 v3, null, s7, v3, s1
	global_load_ushort v4, v[4:5], off
	s_mov_b32 s1, 0x3fb8aa3b
	global_load_ushort v2, v[2:3], off
	s_waitcnt vmcnt(1)
	v_cvt_f32_f16_e32 v3, v4
	v_mul_f32_e32 v5, 0x3fb8aa3b, v3
	v_fma_mix_f32 v9, v4, s1, -v5 op_sel_hi:[1,0,0]
	v_rndne_f32_e32 v10, v5
	s_mov_b32 s1, 0x32a5705f
	v_fma_mix_f32 v4, v4, s1, v9 op_sel_hi:[1,0,0]
	v_sub_f32_e32 v5, v5, v10
	v_cmp_ngt_f32_e64 s1, 0xc2ce8ed0, v3
	s_waitcnt vmcnt(0)
	v_cvt_f32_f16_e32 v9, v2
	v_add_f32_e32 v4, v5, v4
	v_cvt_i32_f32_e32 v5, v10
	v_exp_f32_e32 v4, v4
	v_ldexp_f32 v4, v4, v5
	v_cndmask_b32_e64 v4, 0, v4, s1
	v_cmp_nlt_f32_e64 s1, 0x42b17218, v3
	v_cndmask_b32_e64 v10, 0x7f800000, v4, s1
.LBB256_6:
	s_or_b32 exec_lo, exec_lo, s4
	v_mbcnt_lo_u32_b32 v2, -1, 0
	v_add_f32_e32 v5, 0, v8
	v_add_f32_e32 v11, 0, v9
	v_and_b32_e32 v3, 28, v2
	v_xor_b32_e32 v4, 2, v2
	v_add_nc_u32_e32 v3, 4, v3
	v_cmp_lt_i32_e64 s1, v4, v3
	v_cndmask_b32_e64 v4, v2, v4, s1
	v_lshlrev_b32_e32 v4, 2, v4
	ds_bpermute_b32 v12, v4, v5
	ds_bpermute_b32 v13, v4, v11
	v_xor_b32_e32 v4, 1, v2
	v_cmp_lt_i32_e64 s1, v4, v3
	v_cndmask_b32_e64 v2, v2, v4, s1
	v_lshlrev_b32_e32 v3, 2, v2
	s_waitcnt lgkmcnt(1)
	v_add_f32_e32 v4, v5, v12
	s_waitcnt lgkmcnt(0)
	v_add_f32_e32 v2, v11, v13
	ds_bpermute_b32 v5, v3, v4
	ds_bpermute_b32 v3, v3, v2
	s_and_saveexec_b32 s1, s0
	s_cbranch_execz .LBB256_11
; %bb.7:
	v_add_co_u32 v0, s0, s8, v0
	v_add_co_ci_u32_e64 v1, null, s9, v1, s0
	s_and_saveexec_b32 s1, vcc_lo
	s_cbranch_execz .LBB256_9
; %bb.8:
	v_mul_f32_e32 v11, 0x3fb8aa3b, v7
	v_cmp_ngt_f32_e64 s0, 0xc2ce8ed0, v7
	s_waitcnt lgkmcnt(1)
	v_add_f32_e32 v4, v4, v5
	v_rndne_f32_e32 v12, v11
	v_fma_f32 v13, 0x3fb8aa3b, v7, -v11
	v_sub_f32_e32 v11, v11, v12
	v_fmamk_f32 v13, v7, 0x32a5705f, v13
	v_cvt_i32_f32_e32 v12, v12
	v_add_f32_e32 v11, v11, v13
	v_exp_f32_e32 v11, v11
	v_ldexp_f32 v11, v11, v12
	v_cndmask_b32_e64 v11, 0, v11, s0
	v_cmp_nlt_f32_e64 s0, 0x42b17218, v7
	v_cndmask_b32_e64 v5, 0x7f800000, v11, s0
	v_fma_mixlo_f16 v4, -v4, v5, v8
	global_store_short v[0:1], v4, off
.LBB256_9:
	s_or_b32 exec_lo, exec_lo, s1
	v_cmp_ne_u32_e64 s0, 1, v6
	s_and_b32 s0, s0, vcc_lo
	s_and_b32 exec_lo, exec_lo, s0
	s_cbranch_execz .LBB256_11
; %bb.10:
	s_mov_b32 s3, 0
	s_waitcnt lgkmcnt(0)
	v_add_f32_e32 v2, v2, v3
	s_lshl_b64 s[0:1], s[2:3], 1
	v_add_co_u32 v0, vcc_lo, v0, s0
	v_add_co_ci_u32_e64 v1, null, s1, v1, vcc_lo
	v_fma_mixlo_f16 v2, -v2, v10, v9
	global_store_short v[0:1], v2, off
.LBB256_11:
	s_endpgm
	.section	.rodata,"a",@progbits
	.p2align	6, 0x0
	.amdhsa_kernel _ZN12_GLOBAL__N_121softmax_warp_backwardIN3c104HalfES2_fLi2ELb1ELb0ELi64EEEvPT0_PKT_S7_iiiPKb
		.amdhsa_group_segment_fixed_size 0
		.amdhsa_private_segment_fixed_size 0
		.amdhsa_kernarg_size 304
		.amdhsa_user_sgpr_count 6
		.amdhsa_user_sgpr_private_segment_buffer 1
		.amdhsa_user_sgpr_dispatch_ptr 0
		.amdhsa_user_sgpr_queue_ptr 0
		.amdhsa_user_sgpr_kernarg_segment_ptr 1
		.amdhsa_user_sgpr_dispatch_id 0
		.amdhsa_user_sgpr_flat_scratch_init 0
		.amdhsa_user_sgpr_private_segment_size 0
		.amdhsa_wavefront_size32 1
		.amdhsa_uses_dynamic_stack 0
		.amdhsa_system_sgpr_private_segment_wavefront_offset 0
		.amdhsa_system_sgpr_workgroup_id_x 1
		.amdhsa_system_sgpr_workgroup_id_y 0
		.amdhsa_system_sgpr_workgroup_id_z 0
		.amdhsa_system_sgpr_workgroup_info 0
		.amdhsa_system_vgpr_workitem_id 1
		.amdhsa_next_free_vgpr 14
		.amdhsa_next_free_sgpr 12
		.amdhsa_reserve_vcc 1
		.amdhsa_reserve_flat_scratch 0
		.amdhsa_float_round_mode_32 0
		.amdhsa_float_round_mode_16_64 0
		.amdhsa_float_denorm_mode_32 3
		.amdhsa_float_denorm_mode_16_64 3
		.amdhsa_dx10_clamp 1
		.amdhsa_ieee_mode 1
		.amdhsa_fp16_overflow 0
		.amdhsa_workgroup_processor_mode 1
		.amdhsa_memory_ordered 1
		.amdhsa_forward_progress 1
		.amdhsa_shared_vgpr_count 0
		.amdhsa_exception_fp_ieee_invalid_op 0
		.amdhsa_exception_fp_denorm_src 0
		.amdhsa_exception_fp_ieee_div_zero 0
		.amdhsa_exception_fp_ieee_overflow 0
		.amdhsa_exception_fp_ieee_underflow 0
		.amdhsa_exception_fp_ieee_inexact 0
		.amdhsa_exception_int_div_zero 0
	.end_amdhsa_kernel
	.section	.text._ZN12_GLOBAL__N_121softmax_warp_backwardIN3c104HalfES2_fLi2ELb1ELb0ELi64EEEvPT0_PKT_S7_iiiPKb,"axG",@progbits,_ZN12_GLOBAL__N_121softmax_warp_backwardIN3c104HalfES2_fLi2ELb1ELb0ELi64EEEvPT0_PKT_S7_iiiPKb,comdat
.Lfunc_end256:
	.size	_ZN12_GLOBAL__N_121softmax_warp_backwardIN3c104HalfES2_fLi2ELb1ELb0ELi64EEEvPT0_PKT_S7_iiiPKb, .Lfunc_end256-_ZN12_GLOBAL__N_121softmax_warp_backwardIN3c104HalfES2_fLi2ELb1ELb0ELi64EEEvPT0_PKT_S7_iiiPKb
                                        ; -- End function
	.set _ZN12_GLOBAL__N_121softmax_warp_backwardIN3c104HalfES2_fLi2ELb1ELb0ELi64EEEvPT0_PKT_S7_iiiPKb.num_vgpr, 14
	.set _ZN12_GLOBAL__N_121softmax_warp_backwardIN3c104HalfES2_fLi2ELb1ELb0ELi64EEEvPT0_PKT_S7_iiiPKb.num_agpr, 0
	.set _ZN12_GLOBAL__N_121softmax_warp_backwardIN3c104HalfES2_fLi2ELb1ELb0ELi64EEEvPT0_PKT_S7_iiiPKb.numbered_sgpr, 12
	.set _ZN12_GLOBAL__N_121softmax_warp_backwardIN3c104HalfES2_fLi2ELb1ELb0ELi64EEEvPT0_PKT_S7_iiiPKb.num_named_barrier, 0
	.set _ZN12_GLOBAL__N_121softmax_warp_backwardIN3c104HalfES2_fLi2ELb1ELb0ELi64EEEvPT0_PKT_S7_iiiPKb.private_seg_size, 0
	.set _ZN12_GLOBAL__N_121softmax_warp_backwardIN3c104HalfES2_fLi2ELb1ELb0ELi64EEEvPT0_PKT_S7_iiiPKb.uses_vcc, 1
	.set _ZN12_GLOBAL__N_121softmax_warp_backwardIN3c104HalfES2_fLi2ELb1ELb0ELi64EEEvPT0_PKT_S7_iiiPKb.uses_flat_scratch, 0
	.set _ZN12_GLOBAL__N_121softmax_warp_backwardIN3c104HalfES2_fLi2ELb1ELb0ELi64EEEvPT0_PKT_S7_iiiPKb.has_dyn_sized_stack, 0
	.set _ZN12_GLOBAL__N_121softmax_warp_backwardIN3c104HalfES2_fLi2ELb1ELb0ELi64EEEvPT0_PKT_S7_iiiPKb.has_recursion, 0
	.set _ZN12_GLOBAL__N_121softmax_warp_backwardIN3c104HalfES2_fLi2ELb1ELb0ELi64EEEvPT0_PKT_S7_iiiPKb.has_indirect_call, 0
	.section	.AMDGPU.csdata,"",@progbits
; Kernel info:
; codeLenInByte = 780
; TotalNumSgprs: 14
; NumVgprs: 14
; ScratchSize: 0
; MemoryBound: 0
; FloatMode: 240
; IeeeMode: 1
; LDSByteSize: 0 bytes/workgroup (compile time only)
; SGPRBlocks: 0
; VGPRBlocks: 1
; NumSGPRsForWavesPerEU: 14
; NumVGPRsForWavesPerEU: 14
; Occupancy: 16
; WaveLimiterHint : 0
; COMPUTE_PGM_RSRC2:SCRATCH_EN: 0
; COMPUTE_PGM_RSRC2:USER_SGPR: 6
; COMPUTE_PGM_RSRC2:TRAP_HANDLER: 0
; COMPUTE_PGM_RSRC2:TGID_X_EN: 1
; COMPUTE_PGM_RSRC2:TGID_Y_EN: 0
; COMPUTE_PGM_RSRC2:TGID_Z_EN: 0
; COMPUTE_PGM_RSRC2:TIDIG_COMP_CNT: 1
	.section	.text._ZN12_GLOBAL__N_121softmax_warp_backwardIN3c104HalfES2_fLi2ELb1ELb0ELi32EEEvPT0_PKT_S7_iiiPKb,"axG",@progbits,_ZN12_GLOBAL__N_121softmax_warp_backwardIN3c104HalfES2_fLi2ELb1ELb0ELi32EEEvPT0_PKT_S7_iiiPKb,comdat
	.globl	_ZN12_GLOBAL__N_121softmax_warp_backwardIN3c104HalfES2_fLi2ELb1ELb0ELi32EEEvPT0_PKT_S7_iiiPKb ; -- Begin function _ZN12_GLOBAL__N_121softmax_warp_backwardIN3c104HalfES2_fLi2ELb1ELb0ELi32EEEvPT0_PKT_S7_iiiPKb
	.p2align	8
	.type	_ZN12_GLOBAL__N_121softmax_warp_backwardIN3c104HalfES2_fLi2ELb1ELb0ELi32EEEvPT0_PKT_S7_iiiPKb,@function
_ZN12_GLOBAL__N_121softmax_warp_backwardIN3c104HalfES2_fLi2ELb1ELb0ELi32EEEvPT0_PKT_S7_iiiPKb: ; @_ZN12_GLOBAL__N_121softmax_warp_backwardIN3c104HalfES2_fLi2ELb1ELb0ELi32EEEvPT0_PKT_S7_iiiPKb
; %bb.0:
	s_clause 0x1
	s_load_dword s7, s[4:5], 0x3c
	s_load_dwordx4 s[0:3], s[4:5], 0x18
	v_and_b32_e32 v2, 3, v0
	s_clause 0x1
	s_load_dwordx4 s[8:11], s[4:5], 0x0
	s_load_dwordx2 s[4:5], s[4:5], 0x10
	v_mov_b32_e32 v7, 0
	v_mov_b32_e32 v8, 0
	s_waitcnt lgkmcnt(0)
	s_lshr_b32 s3, s7, 16
	v_cmp_gt_i32_e32 vcc_lo, s2, v2
	s_and_b32 s3, s3, 0xffff
	s_mul_i32 s6, s6, s3
	v_add_lshl_u32 v3, s6, v1, 1
	v_mad_u64_u32 v[0:1], null, v3, s1, v[2:3]
	v_sub_nc_u32_e32 v6, s0, v3
	v_cmp_lt_i32_e64 s0, 0, v6
	v_ashrrev_i32_e32 v1, 31, v0
	s_and_b32 s3, vcc_lo, s0
	v_lshlrev_b64 v[0:1], 1, v[0:1]
	v_add_co_u32 v2, s1, s10, v0
	v_add_co_ci_u32_e64 v3, null, s11, v1, s1
	v_add_co_u32 v4, s1, s4, v0
	v_add_co_ci_u32_e64 v5, null, s5, v1, s1
	s_and_saveexec_b32 s1, s3
	s_cbranch_execz .LBB257_2
; %bb.1:
	global_load_ushort v7, v[2:3], off
	global_load_ushort v9, v[4:5], off
	s_waitcnt vmcnt(1)
	v_cvt_f32_f16_e32 v8, v7
	s_waitcnt vmcnt(0)
	v_cvt_f32_f16_e32 v7, v9
.LBB257_2:
	s_or_b32 exec_lo, exec_lo, s1
	v_cmp_gt_i32_e64 s1, 2, v6
	s_xor_b32 s3, vcc_lo, -1
	s_or_b32 s1, s3, s1
	s_and_saveexec_b32 s3, s1
	s_xor_b32 s1, exec_lo, s3
                                        ; implicit-def: $vgpr9
; %bb.3:
	v_mov_b32_e32 v9, 0
                                        ; implicit-def: $vgpr4
                                        ; implicit-def: $vgpr2
; %bb.4:
	s_or_saveexec_b32 s4, s1
	v_mov_b32_e32 v10, 1.0
	s_xor_b32 exec_lo, exec_lo, s4
	s_cbranch_execz .LBB257_6
; %bb.5:
	s_mov_b32 s3, 0
	s_lshl_b64 s[6:7], s[2:3], 1
	v_add_co_u32 v4, s1, v4, s6
	v_add_co_ci_u32_e64 v5, null, s7, v5, s1
	v_add_co_u32 v2, s1, v2, s6
	v_add_co_ci_u32_e64 v3, null, s7, v3, s1
	global_load_ushort v4, v[4:5], off
	s_mov_b32 s1, 0x3fb8aa3b
	global_load_ushort v2, v[2:3], off
	s_waitcnt vmcnt(1)
	v_cvt_f32_f16_e32 v3, v4
	v_mul_f32_e32 v5, 0x3fb8aa3b, v3
	v_fma_mix_f32 v9, v4, s1, -v5 op_sel_hi:[1,0,0]
	v_rndne_f32_e32 v10, v5
	s_mov_b32 s1, 0x32a5705f
	v_fma_mix_f32 v4, v4, s1, v9 op_sel_hi:[1,0,0]
	v_sub_f32_e32 v5, v5, v10
	v_cmp_ngt_f32_e64 s1, 0xc2ce8ed0, v3
	s_waitcnt vmcnt(0)
	v_cvt_f32_f16_e32 v9, v2
	v_add_f32_e32 v4, v5, v4
	v_cvt_i32_f32_e32 v5, v10
	v_exp_f32_e32 v4, v4
	v_ldexp_f32 v4, v4, v5
	v_cndmask_b32_e64 v4, 0, v4, s1
	v_cmp_nlt_f32_e64 s1, 0x42b17218, v3
	v_cndmask_b32_e64 v10, 0x7f800000, v4, s1
.LBB257_6:
	s_or_b32 exec_lo, exec_lo, s4
	v_mbcnt_lo_u32_b32 v2, -1, 0
	v_add_f32_e32 v5, 0, v8
	v_add_f32_e32 v11, 0, v9
	v_and_b32_e32 v3, 28, v2
	v_xor_b32_e32 v4, 2, v2
	v_add_nc_u32_e32 v3, 4, v3
	v_cmp_lt_i32_e64 s1, v4, v3
	v_cndmask_b32_e64 v4, v2, v4, s1
	v_lshlrev_b32_e32 v4, 2, v4
	ds_bpermute_b32 v12, v4, v5
	ds_bpermute_b32 v13, v4, v11
	v_xor_b32_e32 v4, 1, v2
	v_cmp_lt_i32_e64 s1, v4, v3
	v_cndmask_b32_e64 v2, v2, v4, s1
	v_lshlrev_b32_e32 v3, 2, v2
	s_waitcnt lgkmcnt(1)
	v_add_f32_e32 v4, v5, v12
	s_waitcnt lgkmcnt(0)
	v_add_f32_e32 v2, v11, v13
	ds_bpermute_b32 v5, v3, v4
	ds_bpermute_b32 v3, v3, v2
	s_and_saveexec_b32 s1, s0
	s_cbranch_execz .LBB257_11
; %bb.7:
	v_add_co_u32 v0, s0, s8, v0
	v_add_co_ci_u32_e64 v1, null, s9, v1, s0
	s_and_saveexec_b32 s1, vcc_lo
	s_cbranch_execz .LBB257_9
; %bb.8:
	v_mul_f32_e32 v11, 0x3fb8aa3b, v7
	v_cmp_ngt_f32_e64 s0, 0xc2ce8ed0, v7
	s_waitcnt lgkmcnt(1)
	v_add_f32_e32 v4, v4, v5
	v_rndne_f32_e32 v12, v11
	v_fma_f32 v13, 0x3fb8aa3b, v7, -v11
	v_sub_f32_e32 v11, v11, v12
	v_fmamk_f32 v13, v7, 0x32a5705f, v13
	v_cvt_i32_f32_e32 v12, v12
	v_add_f32_e32 v11, v11, v13
	v_exp_f32_e32 v11, v11
	v_ldexp_f32 v11, v11, v12
	v_cndmask_b32_e64 v11, 0, v11, s0
	v_cmp_nlt_f32_e64 s0, 0x42b17218, v7
	v_cndmask_b32_e64 v5, 0x7f800000, v11, s0
	v_fma_mixlo_f16 v4, -v4, v5, v8
	global_store_short v[0:1], v4, off
.LBB257_9:
	s_or_b32 exec_lo, exec_lo, s1
	v_cmp_ne_u32_e64 s0, 1, v6
	s_and_b32 s0, s0, vcc_lo
	s_and_b32 exec_lo, exec_lo, s0
	s_cbranch_execz .LBB257_11
; %bb.10:
	s_mov_b32 s3, 0
	s_waitcnt lgkmcnt(0)
	v_add_f32_e32 v2, v2, v3
	s_lshl_b64 s[0:1], s[2:3], 1
	v_add_co_u32 v0, vcc_lo, v0, s0
	v_add_co_ci_u32_e64 v1, null, s1, v1, vcc_lo
	v_fma_mixlo_f16 v2, -v2, v10, v9
	global_store_short v[0:1], v2, off
.LBB257_11:
	s_endpgm
	.section	.rodata,"a",@progbits
	.p2align	6, 0x0
	.amdhsa_kernel _ZN12_GLOBAL__N_121softmax_warp_backwardIN3c104HalfES2_fLi2ELb1ELb0ELi32EEEvPT0_PKT_S7_iiiPKb
		.amdhsa_group_segment_fixed_size 0
		.amdhsa_private_segment_fixed_size 0
		.amdhsa_kernarg_size 304
		.amdhsa_user_sgpr_count 6
		.amdhsa_user_sgpr_private_segment_buffer 1
		.amdhsa_user_sgpr_dispatch_ptr 0
		.amdhsa_user_sgpr_queue_ptr 0
		.amdhsa_user_sgpr_kernarg_segment_ptr 1
		.amdhsa_user_sgpr_dispatch_id 0
		.amdhsa_user_sgpr_flat_scratch_init 0
		.amdhsa_user_sgpr_private_segment_size 0
		.amdhsa_wavefront_size32 1
		.amdhsa_uses_dynamic_stack 0
		.amdhsa_system_sgpr_private_segment_wavefront_offset 0
		.amdhsa_system_sgpr_workgroup_id_x 1
		.amdhsa_system_sgpr_workgroup_id_y 0
		.amdhsa_system_sgpr_workgroup_id_z 0
		.amdhsa_system_sgpr_workgroup_info 0
		.amdhsa_system_vgpr_workitem_id 1
		.amdhsa_next_free_vgpr 14
		.amdhsa_next_free_sgpr 12
		.amdhsa_reserve_vcc 1
		.amdhsa_reserve_flat_scratch 0
		.amdhsa_float_round_mode_32 0
		.amdhsa_float_round_mode_16_64 0
		.amdhsa_float_denorm_mode_32 3
		.amdhsa_float_denorm_mode_16_64 3
		.amdhsa_dx10_clamp 1
		.amdhsa_ieee_mode 1
		.amdhsa_fp16_overflow 0
		.amdhsa_workgroup_processor_mode 1
		.amdhsa_memory_ordered 1
		.amdhsa_forward_progress 1
		.amdhsa_shared_vgpr_count 0
		.amdhsa_exception_fp_ieee_invalid_op 0
		.amdhsa_exception_fp_denorm_src 0
		.amdhsa_exception_fp_ieee_div_zero 0
		.amdhsa_exception_fp_ieee_overflow 0
		.amdhsa_exception_fp_ieee_underflow 0
		.amdhsa_exception_fp_ieee_inexact 0
		.amdhsa_exception_int_div_zero 0
	.end_amdhsa_kernel
	.section	.text._ZN12_GLOBAL__N_121softmax_warp_backwardIN3c104HalfES2_fLi2ELb1ELb0ELi32EEEvPT0_PKT_S7_iiiPKb,"axG",@progbits,_ZN12_GLOBAL__N_121softmax_warp_backwardIN3c104HalfES2_fLi2ELb1ELb0ELi32EEEvPT0_PKT_S7_iiiPKb,comdat
.Lfunc_end257:
	.size	_ZN12_GLOBAL__N_121softmax_warp_backwardIN3c104HalfES2_fLi2ELb1ELb0ELi32EEEvPT0_PKT_S7_iiiPKb, .Lfunc_end257-_ZN12_GLOBAL__N_121softmax_warp_backwardIN3c104HalfES2_fLi2ELb1ELb0ELi32EEEvPT0_PKT_S7_iiiPKb
                                        ; -- End function
	.set _ZN12_GLOBAL__N_121softmax_warp_backwardIN3c104HalfES2_fLi2ELb1ELb0ELi32EEEvPT0_PKT_S7_iiiPKb.num_vgpr, 14
	.set _ZN12_GLOBAL__N_121softmax_warp_backwardIN3c104HalfES2_fLi2ELb1ELb0ELi32EEEvPT0_PKT_S7_iiiPKb.num_agpr, 0
	.set _ZN12_GLOBAL__N_121softmax_warp_backwardIN3c104HalfES2_fLi2ELb1ELb0ELi32EEEvPT0_PKT_S7_iiiPKb.numbered_sgpr, 12
	.set _ZN12_GLOBAL__N_121softmax_warp_backwardIN3c104HalfES2_fLi2ELb1ELb0ELi32EEEvPT0_PKT_S7_iiiPKb.num_named_barrier, 0
	.set _ZN12_GLOBAL__N_121softmax_warp_backwardIN3c104HalfES2_fLi2ELb1ELb0ELi32EEEvPT0_PKT_S7_iiiPKb.private_seg_size, 0
	.set _ZN12_GLOBAL__N_121softmax_warp_backwardIN3c104HalfES2_fLi2ELb1ELb0ELi32EEEvPT0_PKT_S7_iiiPKb.uses_vcc, 1
	.set _ZN12_GLOBAL__N_121softmax_warp_backwardIN3c104HalfES2_fLi2ELb1ELb0ELi32EEEvPT0_PKT_S7_iiiPKb.uses_flat_scratch, 0
	.set _ZN12_GLOBAL__N_121softmax_warp_backwardIN3c104HalfES2_fLi2ELb1ELb0ELi32EEEvPT0_PKT_S7_iiiPKb.has_dyn_sized_stack, 0
	.set _ZN12_GLOBAL__N_121softmax_warp_backwardIN3c104HalfES2_fLi2ELb1ELb0ELi32EEEvPT0_PKT_S7_iiiPKb.has_recursion, 0
	.set _ZN12_GLOBAL__N_121softmax_warp_backwardIN3c104HalfES2_fLi2ELb1ELb0ELi32EEEvPT0_PKT_S7_iiiPKb.has_indirect_call, 0
	.section	.AMDGPU.csdata,"",@progbits
; Kernel info:
; codeLenInByte = 780
; TotalNumSgprs: 14
; NumVgprs: 14
; ScratchSize: 0
; MemoryBound: 0
; FloatMode: 240
; IeeeMode: 1
; LDSByteSize: 0 bytes/workgroup (compile time only)
; SGPRBlocks: 0
; VGPRBlocks: 1
; NumSGPRsForWavesPerEU: 14
; NumVGPRsForWavesPerEU: 14
; Occupancy: 16
; WaveLimiterHint : 0
; COMPUTE_PGM_RSRC2:SCRATCH_EN: 0
; COMPUTE_PGM_RSRC2:USER_SGPR: 6
; COMPUTE_PGM_RSRC2:TRAP_HANDLER: 0
; COMPUTE_PGM_RSRC2:TGID_X_EN: 1
; COMPUTE_PGM_RSRC2:TGID_Y_EN: 0
; COMPUTE_PGM_RSRC2:TGID_Z_EN: 0
; COMPUTE_PGM_RSRC2:TIDIG_COMP_CNT: 1
	.section	.text._ZN12_GLOBAL__N_121softmax_warp_backwardIN3c104HalfES2_fLi3ELb1ELb0ELi64EEEvPT0_PKT_S7_iiiPKb,"axG",@progbits,_ZN12_GLOBAL__N_121softmax_warp_backwardIN3c104HalfES2_fLi3ELb1ELb0ELi64EEEvPT0_PKT_S7_iiiPKb,comdat
	.globl	_ZN12_GLOBAL__N_121softmax_warp_backwardIN3c104HalfES2_fLi3ELb1ELb0ELi64EEEvPT0_PKT_S7_iiiPKb ; -- Begin function _ZN12_GLOBAL__N_121softmax_warp_backwardIN3c104HalfES2_fLi3ELb1ELb0ELi64EEEvPT0_PKT_S7_iiiPKb
	.p2align	8
	.type	_ZN12_GLOBAL__N_121softmax_warp_backwardIN3c104HalfES2_fLi3ELb1ELb0ELi64EEEvPT0_PKT_S7_iiiPKb,@function
_ZN12_GLOBAL__N_121softmax_warp_backwardIN3c104HalfES2_fLi3ELb1ELb0ELi64EEEvPT0_PKT_S7_iiiPKb: ; @_ZN12_GLOBAL__N_121softmax_warp_backwardIN3c104HalfES2_fLi3ELb1ELb0ELi64EEEvPT0_PKT_S7_iiiPKb
; %bb.0:
	s_clause 0x1
	s_load_dword s7, s[4:5], 0x3c
	s_load_dwordx4 s[0:3], s[4:5], 0x18
	v_and_b32_e32 v2, 7, v0
	s_clause 0x1
	s_load_dwordx4 s[8:11], s[4:5], 0x0
	s_load_dwordx2 s[4:5], s[4:5], 0x10
	v_mov_b32_e32 v7, 0
	v_mov_b32_e32 v8, 0
	s_waitcnt lgkmcnt(0)
	s_lshr_b32 s3, s7, 16
	v_cmp_gt_i32_e32 vcc_lo, s2, v2
	s_and_b32 s3, s3, 0xffff
	s_mul_i32 s6, s6, s3
	v_add_lshl_u32 v3, s6, v1, 1
	v_mad_u64_u32 v[0:1], null, v3, s1, v[2:3]
	v_sub_nc_u32_e32 v6, s0, v3
	v_cmp_lt_i32_e64 s0, 0, v6
	v_ashrrev_i32_e32 v1, 31, v0
	s_and_b32 s3, vcc_lo, s0
	v_lshlrev_b64 v[0:1], 1, v[0:1]
	v_add_co_u32 v2, s1, s10, v0
	v_add_co_ci_u32_e64 v3, null, s11, v1, s1
	v_add_co_u32 v4, s1, s4, v0
	v_add_co_ci_u32_e64 v5, null, s5, v1, s1
	s_and_saveexec_b32 s1, s3
	s_cbranch_execz .LBB258_2
; %bb.1:
	global_load_ushort v7, v[2:3], off
	global_load_ushort v9, v[4:5], off
	s_waitcnt vmcnt(1)
	v_cvt_f32_f16_e32 v8, v7
	s_waitcnt vmcnt(0)
	v_cvt_f32_f16_e32 v7, v9
.LBB258_2:
	s_or_b32 exec_lo, exec_lo, s1
	v_cmp_gt_i32_e64 s1, 2, v6
	s_xor_b32 s3, vcc_lo, -1
	s_or_b32 s1, s3, s1
	s_and_saveexec_b32 s3, s1
	s_xor_b32 s1, exec_lo, s3
                                        ; implicit-def: $vgpr9
; %bb.3:
	v_mov_b32_e32 v9, 0
                                        ; implicit-def: $vgpr4
                                        ; implicit-def: $vgpr2
; %bb.4:
	s_or_saveexec_b32 s4, s1
	v_mov_b32_e32 v10, 1.0
	s_xor_b32 exec_lo, exec_lo, s4
	s_cbranch_execz .LBB258_6
; %bb.5:
	s_mov_b32 s3, 0
	s_lshl_b64 s[6:7], s[2:3], 1
	v_add_co_u32 v4, s1, v4, s6
	v_add_co_ci_u32_e64 v5, null, s7, v5, s1
	v_add_co_u32 v2, s1, v2, s6
	v_add_co_ci_u32_e64 v3, null, s7, v3, s1
	global_load_ushort v4, v[4:5], off
	s_mov_b32 s1, 0x3fb8aa3b
	global_load_ushort v2, v[2:3], off
	s_waitcnt vmcnt(1)
	v_cvt_f32_f16_e32 v3, v4
	v_mul_f32_e32 v5, 0x3fb8aa3b, v3
	v_fma_mix_f32 v9, v4, s1, -v5 op_sel_hi:[1,0,0]
	v_rndne_f32_e32 v10, v5
	s_mov_b32 s1, 0x32a5705f
	v_fma_mix_f32 v4, v4, s1, v9 op_sel_hi:[1,0,0]
	v_sub_f32_e32 v5, v5, v10
	v_cmp_ngt_f32_e64 s1, 0xc2ce8ed0, v3
	s_waitcnt vmcnt(0)
	v_cvt_f32_f16_e32 v9, v2
	v_add_f32_e32 v4, v5, v4
	v_cvt_i32_f32_e32 v5, v10
	v_exp_f32_e32 v4, v4
	v_ldexp_f32 v4, v4, v5
	v_cndmask_b32_e64 v4, 0, v4, s1
	v_cmp_nlt_f32_e64 s1, 0x42b17218, v3
	v_cndmask_b32_e64 v10, 0x7f800000, v4, s1
.LBB258_6:
	s_or_b32 exec_lo, exec_lo, s4
	v_mbcnt_lo_u32_b32 v2, -1, 0
	v_add_f32_e32 v5, 0, v8
	v_add_f32_e32 v11, 0, v9
	v_and_b32_e32 v3, 24, v2
	v_xor_b32_e32 v4, 4, v2
	v_xor_b32_e32 v13, 2, v2
	v_add_nc_u32_e32 v3, 8, v3
	v_cmp_lt_i32_e64 s1, v4, v3
	v_cndmask_b32_e64 v4, v2, v4, s1
	v_cmp_lt_i32_e64 s1, v13, v3
	v_lshlrev_b32_e32 v4, 2, v4
	v_cndmask_b32_e64 v13, v2, v13, s1
	ds_bpermute_b32 v12, v4, v5
	ds_bpermute_b32 v4, v4, v11
	v_lshlrev_b32_e32 v13, 2, v13
	s_waitcnt lgkmcnt(1)
	v_add_f32_e32 v5, v5, v12
	s_waitcnt lgkmcnt(0)
	v_add_f32_e32 v11, v11, v4
	ds_bpermute_b32 v4, v13, v5
	ds_bpermute_b32 v12, v13, v11
	v_xor_b32_e32 v13, 1, v2
	v_cmp_lt_i32_e64 s1, v13, v3
	v_cndmask_b32_e64 v2, v2, v13, s1
	v_lshlrev_b32_e32 v3, 2, v2
	s_waitcnt lgkmcnt(1)
	v_add_f32_e32 v4, v5, v4
	s_waitcnt lgkmcnt(0)
	v_add_f32_e32 v2, v11, v12
	ds_bpermute_b32 v5, v3, v4
	ds_bpermute_b32 v3, v3, v2
	s_and_saveexec_b32 s1, s0
	s_cbranch_execz .LBB258_11
; %bb.7:
	v_add_co_u32 v0, s0, s8, v0
	v_add_co_ci_u32_e64 v1, null, s9, v1, s0
	s_and_saveexec_b32 s1, vcc_lo
	s_cbranch_execz .LBB258_9
; %bb.8:
	v_mul_f32_e32 v11, 0x3fb8aa3b, v7
	v_cmp_ngt_f32_e64 s0, 0xc2ce8ed0, v7
	s_waitcnt lgkmcnt(1)
	v_add_f32_e32 v4, v4, v5
	v_rndne_f32_e32 v12, v11
	v_fma_f32 v13, 0x3fb8aa3b, v7, -v11
	v_sub_f32_e32 v11, v11, v12
	v_fmamk_f32 v13, v7, 0x32a5705f, v13
	v_cvt_i32_f32_e32 v12, v12
	v_add_f32_e32 v11, v11, v13
	v_exp_f32_e32 v11, v11
	v_ldexp_f32 v11, v11, v12
	v_cndmask_b32_e64 v11, 0, v11, s0
	v_cmp_nlt_f32_e64 s0, 0x42b17218, v7
	v_cndmask_b32_e64 v5, 0x7f800000, v11, s0
	v_fma_mixlo_f16 v4, -v4, v5, v8
	global_store_short v[0:1], v4, off
.LBB258_9:
	s_or_b32 exec_lo, exec_lo, s1
	v_cmp_ne_u32_e64 s0, 1, v6
	s_and_b32 s0, s0, vcc_lo
	s_and_b32 exec_lo, exec_lo, s0
	s_cbranch_execz .LBB258_11
; %bb.10:
	s_mov_b32 s3, 0
	s_waitcnt lgkmcnt(0)
	v_add_f32_e32 v2, v2, v3
	s_lshl_b64 s[0:1], s[2:3], 1
	v_add_co_u32 v0, vcc_lo, v0, s0
	v_add_co_ci_u32_e64 v1, null, s1, v1, vcc_lo
	v_fma_mixlo_f16 v2, -v2, v10, v9
	global_store_short v[0:1], v2, off
.LBB258_11:
	s_endpgm
	.section	.rodata,"a",@progbits
	.p2align	6, 0x0
	.amdhsa_kernel _ZN12_GLOBAL__N_121softmax_warp_backwardIN3c104HalfES2_fLi3ELb1ELb0ELi64EEEvPT0_PKT_S7_iiiPKb
		.amdhsa_group_segment_fixed_size 0
		.amdhsa_private_segment_fixed_size 0
		.amdhsa_kernarg_size 304
		.amdhsa_user_sgpr_count 6
		.amdhsa_user_sgpr_private_segment_buffer 1
		.amdhsa_user_sgpr_dispatch_ptr 0
		.amdhsa_user_sgpr_queue_ptr 0
		.amdhsa_user_sgpr_kernarg_segment_ptr 1
		.amdhsa_user_sgpr_dispatch_id 0
		.amdhsa_user_sgpr_flat_scratch_init 0
		.amdhsa_user_sgpr_private_segment_size 0
		.amdhsa_wavefront_size32 1
		.amdhsa_uses_dynamic_stack 0
		.amdhsa_system_sgpr_private_segment_wavefront_offset 0
		.amdhsa_system_sgpr_workgroup_id_x 1
		.amdhsa_system_sgpr_workgroup_id_y 0
		.amdhsa_system_sgpr_workgroup_id_z 0
		.amdhsa_system_sgpr_workgroup_info 0
		.amdhsa_system_vgpr_workitem_id 1
		.amdhsa_next_free_vgpr 14
		.amdhsa_next_free_sgpr 12
		.amdhsa_reserve_vcc 1
		.amdhsa_reserve_flat_scratch 0
		.amdhsa_float_round_mode_32 0
		.amdhsa_float_round_mode_16_64 0
		.amdhsa_float_denorm_mode_32 3
		.amdhsa_float_denorm_mode_16_64 3
		.amdhsa_dx10_clamp 1
		.amdhsa_ieee_mode 1
		.amdhsa_fp16_overflow 0
		.amdhsa_workgroup_processor_mode 1
		.amdhsa_memory_ordered 1
		.amdhsa_forward_progress 1
		.amdhsa_shared_vgpr_count 0
		.amdhsa_exception_fp_ieee_invalid_op 0
		.amdhsa_exception_fp_denorm_src 0
		.amdhsa_exception_fp_ieee_div_zero 0
		.amdhsa_exception_fp_ieee_overflow 0
		.amdhsa_exception_fp_ieee_underflow 0
		.amdhsa_exception_fp_ieee_inexact 0
		.amdhsa_exception_int_div_zero 0
	.end_amdhsa_kernel
	.section	.text._ZN12_GLOBAL__N_121softmax_warp_backwardIN3c104HalfES2_fLi3ELb1ELb0ELi64EEEvPT0_PKT_S7_iiiPKb,"axG",@progbits,_ZN12_GLOBAL__N_121softmax_warp_backwardIN3c104HalfES2_fLi3ELb1ELb0ELi64EEEvPT0_PKT_S7_iiiPKb,comdat
.Lfunc_end258:
	.size	_ZN12_GLOBAL__N_121softmax_warp_backwardIN3c104HalfES2_fLi3ELb1ELb0ELi64EEEvPT0_PKT_S7_iiiPKb, .Lfunc_end258-_ZN12_GLOBAL__N_121softmax_warp_backwardIN3c104HalfES2_fLi3ELb1ELb0ELi64EEEvPT0_PKT_S7_iiiPKb
                                        ; -- End function
	.set _ZN12_GLOBAL__N_121softmax_warp_backwardIN3c104HalfES2_fLi3ELb1ELb0ELi64EEEvPT0_PKT_S7_iiiPKb.num_vgpr, 14
	.set _ZN12_GLOBAL__N_121softmax_warp_backwardIN3c104HalfES2_fLi3ELb1ELb0ELi64EEEvPT0_PKT_S7_iiiPKb.num_agpr, 0
	.set _ZN12_GLOBAL__N_121softmax_warp_backwardIN3c104HalfES2_fLi3ELb1ELb0ELi64EEEvPT0_PKT_S7_iiiPKb.numbered_sgpr, 12
	.set _ZN12_GLOBAL__N_121softmax_warp_backwardIN3c104HalfES2_fLi3ELb1ELb0ELi64EEEvPT0_PKT_S7_iiiPKb.num_named_barrier, 0
	.set _ZN12_GLOBAL__N_121softmax_warp_backwardIN3c104HalfES2_fLi3ELb1ELb0ELi64EEEvPT0_PKT_S7_iiiPKb.private_seg_size, 0
	.set _ZN12_GLOBAL__N_121softmax_warp_backwardIN3c104HalfES2_fLi3ELb1ELb0ELi64EEEvPT0_PKT_S7_iiiPKb.uses_vcc, 1
	.set _ZN12_GLOBAL__N_121softmax_warp_backwardIN3c104HalfES2_fLi3ELb1ELb0ELi64EEEvPT0_PKT_S7_iiiPKb.uses_flat_scratch, 0
	.set _ZN12_GLOBAL__N_121softmax_warp_backwardIN3c104HalfES2_fLi3ELb1ELb0ELi64EEEvPT0_PKT_S7_iiiPKb.has_dyn_sized_stack, 0
	.set _ZN12_GLOBAL__N_121softmax_warp_backwardIN3c104HalfES2_fLi3ELb1ELb0ELi64EEEvPT0_PKT_S7_iiiPKb.has_recursion, 0
	.set _ZN12_GLOBAL__N_121softmax_warp_backwardIN3c104HalfES2_fLi3ELb1ELb0ELi64EEEvPT0_PKT_S7_iiiPKb.has_indirect_call, 0
	.section	.AMDGPU.csdata,"",@progbits
; Kernel info:
; codeLenInByte = 836
; TotalNumSgprs: 14
; NumVgprs: 14
; ScratchSize: 0
; MemoryBound: 0
; FloatMode: 240
; IeeeMode: 1
; LDSByteSize: 0 bytes/workgroup (compile time only)
; SGPRBlocks: 0
; VGPRBlocks: 1
; NumSGPRsForWavesPerEU: 14
; NumVGPRsForWavesPerEU: 14
; Occupancy: 16
; WaveLimiterHint : 0
; COMPUTE_PGM_RSRC2:SCRATCH_EN: 0
; COMPUTE_PGM_RSRC2:USER_SGPR: 6
; COMPUTE_PGM_RSRC2:TRAP_HANDLER: 0
; COMPUTE_PGM_RSRC2:TGID_X_EN: 1
; COMPUTE_PGM_RSRC2:TGID_Y_EN: 0
; COMPUTE_PGM_RSRC2:TGID_Z_EN: 0
; COMPUTE_PGM_RSRC2:TIDIG_COMP_CNT: 1
	.section	.text._ZN12_GLOBAL__N_121softmax_warp_backwardIN3c104HalfES2_fLi3ELb1ELb0ELi32EEEvPT0_PKT_S7_iiiPKb,"axG",@progbits,_ZN12_GLOBAL__N_121softmax_warp_backwardIN3c104HalfES2_fLi3ELb1ELb0ELi32EEEvPT0_PKT_S7_iiiPKb,comdat
	.globl	_ZN12_GLOBAL__N_121softmax_warp_backwardIN3c104HalfES2_fLi3ELb1ELb0ELi32EEEvPT0_PKT_S7_iiiPKb ; -- Begin function _ZN12_GLOBAL__N_121softmax_warp_backwardIN3c104HalfES2_fLi3ELb1ELb0ELi32EEEvPT0_PKT_S7_iiiPKb
	.p2align	8
	.type	_ZN12_GLOBAL__N_121softmax_warp_backwardIN3c104HalfES2_fLi3ELb1ELb0ELi32EEEvPT0_PKT_S7_iiiPKb,@function
_ZN12_GLOBAL__N_121softmax_warp_backwardIN3c104HalfES2_fLi3ELb1ELb0ELi32EEEvPT0_PKT_S7_iiiPKb: ; @_ZN12_GLOBAL__N_121softmax_warp_backwardIN3c104HalfES2_fLi3ELb1ELb0ELi32EEEvPT0_PKT_S7_iiiPKb
; %bb.0:
	s_clause 0x1
	s_load_dword s7, s[4:5], 0x3c
	s_load_dwordx4 s[0:3], s[4:5], 0x18
	v_and_b32_e32 v2, 7, v0
	s_clause 0x1
	s_load_dwordx4 s[8:11], s[4:5], 0x0
	s_load_dwordx2 s[4:5], s[4:5], 0x10
	v_mov_b32_e32 v7, 0
	v_mov_b32_e32 v8, 0
	s_waitcnt lgkmcnt(0)
	s_lshr_b32 s3, s7, 16
	v_cmp_gt_i32_e32 vcc_lo, s2, v2
	s_and_b32 s3, s3, 0xffff
	s_mul_i32 s6, s6, s3
	v_add_lshl_u32 v3, s6, v1, 1
	v_mad_u64_u32 v[0:1], null, v3, s1, v[2:3]
	v_sub_nc_u32_e32 v6, s0, v3
	v_cmp_lt_i32_e64 s0, 0, v6
	v_ashrrev_i32_e32 v1, 31, v0
	s_and_b32 s3, vcc_lo, s0
	v_lshlrev_b64 v[0:1], 1, v[0:1]
	v_add_co_u32 v2, s1, s10, v0
	v_add_co_ci_u32_e64 v3, null, s11, v1, s1
	v_add_co_u32 v4, s1, s4, v0
	v_add_co_ci_u32_e64 v5, null, s5, v1, s1
	s_and_saveexec_b32 s1, s3
	s_cbranch_execz .LBB259_2
; %bb.1:
	global_load_ushort v7, v[2:3], off
	global_load_ushort v9, v[4:5], off
	s_waitcnt vmcnt(1)
	v_cvt_f32_f16_e32 v8, v7
	s_waitcnt vmcnt(0)
	v_cvt_f32_f16_e32 v7, v9
.LBB259_2:
	s_or_b32 exec_lo, exec_lo, s1
	v_cmp_gt_i32_e64 s1, 2, v6
	s_xor_b32 s3, vcc_lo, -1
	s_or_b32 s1, s3, s1
	s_and_saveexec_b32 s3, s1
	s_xor_b32 s1, exec_lo, s3
                                        ; implicit-def: $vgpr9
; %bb.3:
	v_mov_b32_e32 v9, 0
                                        ; implicit-def: $vgpr4
                                        ; implicit-def: $vgpr2
; %bb.4:
	s_or_saveexec_b32 s4, s1
	v_mov_b32_e32 v10, 1.0
	s_xor_b32 exec_lo, exec_lo, s4
	s_cbranch_execz .LBB259_6
; %bb.5:
	s_mov_b32 s3, 0
	s_lshl_b64 s[6:7], s[2:3], 1
	v_add_co_u32 v4, s1, v4, s6
	v_add_co_ci_u32_e64 v5, null, s7, v5, s1
	v_add_co_u32 v2, s1, v2, s6
	v_add_co_ci_u32_e64 v3, null, s7, v3, s1
	global_load_ushort v4, v[4:5], off
	s_mov_b32 s1, 0x3fb8aa3b
	global_load_ushort v2, v[2:3], off
	s_waitcnt vmcnt(1)
	v_cvt_f32_f16_e32 v3, v4
	v_mul_f32_e32 v5, 0x3fb8aa3b, v3
	v_fma_mix_f32 v9, v4, s1, -v5 op_sel_hi:[1,0,0]
	v_rndne_f32_e32 v10, v5
	s_mov_b32 s1, 0x32a5705f
	v_fma_mix_f32 v4, v4, s1, v9 op_sel_hi:[1,0,0]
	v_sub_f32_e32 v5, v5, v10
	v_cmp_ngt_f32_e64 s1, 0xc2ce8ed0, v3
	s_waitcnt vmcnt(0)
	v_cvt_f32_f16_e32 v9, v2
	v_add_f32_e32 v4, v5, v4
	v_cvt_i32_f32_e32 v5, v10
	v_exp_f32_e32 v4, v4
	v_ldexp_f32 v4, v4, v5
	v_cndmask_b32_e64 v4, 0, v4, s1
	v_cmp_nlt_f32_e64 s1, 0x42b17218, v3
	v_cndmask_b32_e64 v10, 0x7f800000, v4, s1
.LBB259_6:
	s_or_b32 exec_lo, exec_lo, s4
	v_mbcnt_lo_u32_b32 v2, -1, 0
	v_add_f32_e32 v5, 0, v8
	v_add_f32_e32 v11, 0, v9
	v_and_b32_e32 v3, 24, v2
	v_xor_b32_e32 v4, 4, v2
	v_xor_b32_e32 v13, 2, v2
	v_add_nc_u32_e32 v3, 8, v3
	v_cmp_lt_i32_e64 s1, v4, v3
	v_cndmask_b32_e64 v4, v2, v4, s1
	v_cmp_lt_i32_e64 s1, v13, v3
	v_lshlrev_b32_e32 v4, 2, v4
	v_cndmask_b32_e64 v13, v2, v13, s1
	ds_bpermute_b32 v12, v4, v5
	ds_bpermute_b32 v4, v4, v11
	v_lshlrev_b32_e32 v13, 2, v13
	s_waitcnt lgkmcnt(1)
	v_add_f32_e32 v5, v5, v12
	s_waitcnt lgkmcnt(0)
	v_add_f32_e32 v11, v11, v4
	ds_bpermute_b32 v4, v13, v5
	ds_bpermute_b32 v12, v13, v11
	v_xor_b32_e32 v13, 1, v2
	v_cmp_lt_i32_e64 s1, v13, v3
	v_cndmask_b32_e64 v2, v2, v13, s1
	v_lshlrev_b32_e32 v3, 2, v2
	s_waitcnt lgkmcnt(1)
	v_add_f32_e32 v4, v5, v4
	s_waitcnt lgkmcnt(0)
	v_add_f32_e32 v2, v11, v12
	ds_bpermute_b32 v5, v3, v4
	ds_bpermute_b32 v3, v3, v2
	s_and_saveexec_b32 s1, s0
	s_cbranch_execz .LBB259_11
; %bb.7:
	v_add_co_u32 v0, s0, s8, v0
	v_add_co_ci_u32_e64 v1, null, s9, v1, s0
	s_and_saveexec_b32 s1, vcc_lo
	s_cbranch_execz .LBB259_9
; %bb.8:
	v_mul_f32_e32 v11, 0x3fb8aa3b, v7
	v_cmp_ngt_f32_e64 s0, 0xc2ce8ed0, v7
	s_waitcnt lgkmcnt(1)
	v_add_f32_e32 v4, v4, v5
	v_rndne_f32_e32 v12, v11
	v_fma_f32 v13, 0x3fb8aa3b, v7, -v11
	v_sub_f32_e32 v11, v11, v12
	v_fmamk_f32 v13, v7, 0x32a5705f, v13
	v_cvt_i32_f32_e32 v12, v12
	v_add_f32_e32 v11, v11, v13
	v_exp_f32_e32 v11, v11
	v_ldexp_f32 v11, v11, v12
	v_cndmask_b32_e64 v11, 0, v11, s0
	v_cmp_nlt_f32_e64 s0, 0x42b17218, v7
	v_cndmask_b32_e64 v5, 0x7f800000, v11, s0
	v_fma_mixlo_f16 v4, -v4, v5, v8
	global_store_short v[0:1], v4, off
.LBB259_9:
	s_or_b32 exec_lo, exec_lo, s1
	v_cmp_ne_u32_e64 s0, 1, v6
	s_and_b32 s0, s0, vcc_lo
	s_and_b32 exec_lo, exec_lo, s0
	s_cbranch_execz .LBB259_11
; %bb.10:
	s_mov_b32 s3, 0
	s_waitcnt lgkmcnt(0)
	v_add_f32_e32 v2, v2, v3
	s_lshl_b64 s[0:1], s[2:3], 1
	v_add_co_u32 v0, vcc_lo, v0, s0
	v_add_co_ci_u32_e64 v1, null, s1, v1, vcc_lo
	v_fma_mixlo_f16 v2, -v2, v10, v9
	global_store_short v[0:1], v2, off
.LBB259_11:
	s_endpgm
	.section	.rodata,"a",@progbits
	.p2align	6, 0x0
	.amdhsa_kernel _ZN12_GLOBAL__N_121softmax_warp_backwardIN3c104HalfES2_fLi3ELb1ELb0ELi32EEEvPT0_PKT_S7_iiiPKb
		.amdhsa_group_segment_fixed_size 0
		.amdhsa_private_segment_fixed_size 0
		.amdhsa_kernarg_size 304
		.amdhsa_user_sgpr_count 6
		.amdhsa_user_sgpr_private_segment_buffer 1
		.amdhsa_user_sgpr_dispatch_ptr 0
		.amdhsa_user_sgpr_queue_ptr 0
		.amdhsa_user_sgpr_kernarg_segment_ptr 1
		.amdhsa_user_sgpr_dispatch_id 0
		.amdhsa_user_sgpr_flat_scratch_init 0
		.amdhsa_user_sgpr_private_segment_size 0
		.amdhsa_wavefront_size32 1
		.amdhsa_uses_dynamic_stack 0
		.amdhsa_system_sgpr_private_segment_wavefront_offset 0
		.amdhsa_system_sgpr_workgroup_id_x 1
		.amdhsa_system_sgpr_workgroup_id_y 0
		.amdhsa_system_sgpr_workgroup_id_z 0
		.amdhsa_system_sgpr_workgroup_info 0
		.amdhsa_system_vgpr_workitem_id 1
		.amdhsa_next_free_vgpr 14
		.amdhsa_next_free_sgpr 12
		.amdhsa_reserve_vcc 1
		.amdhsa_reserve_flat_scratch 0
		.amdhsa_float_round_mode_32 0
		.amdhsa_float_round_mode_16_64 0
		.amdhsa_float_denorm_mode_32 3
		.amdhsa_float_denorm_mode_16_64 3
		.amdhsa_dx10_clamp 1
		.amdhsa_ieee_mode 1
		.amdhsa_fp16_overflow 0
		.amdhsa_workgroup_processor_mode 1
		.amdhsa_memory_ordered 1
		.amdhsa_forward_progress 1
		.amdhsa_shared_vgpr_count 0
		.amdhsa_exception_fp_ieee_invalid_op 0
		.amdhsa_exception_fp_denorm_src 0
		.amdhsa_exception_fp_ieee_div_zero 0
		.amdhsa_exception_fp_ieee_overflow 0
		.amdhsa_exception_fp_ieee_underflow 0
		.amdhsa_exception_fp_ieee_inexact 0
		.amdhsa_exception_int_div_zero 0
	.end_amdhsa_kernel
	.section	.text._ZN12_GLOBAL__N_121softmax_warp_backwardIN3c104HalfES2_fLi3ELb1ELb0ELi32EEEvPT0_PKT_S7_iiiPKb,"axG",@progbits,_ZN12_GLOBAL__N_121softmax_warp_backwardIN3c104HalfES2_fLi3ELb1ELb0ELi32EEEvPT0_PKT_S7_iiiPKb,comdat
.Lfunc_end259:
	.size	_ZN12_GLOBAL__N_121softmax_warp_backwardIN3c104HalfES2_fLi3ELb1ELb0ELi32EEEvPT0_PKT_S7_iiiPKb, .Lfunc_end259-_ZN12_GLOBAL__N_121softmax_warp_backwardIN3c104HalfES2_fLi3ELb1ELb0ELi32EEEvPT0_PKT_S7_iiiPKb
                                        ; -- End function
	.set _ZN12_GLOBAL__N_121softmax_warp_backwardIN3c104HalfES2_fLi3ELb1ELb0ELi32EEEvPT0_PKT_S7_iiiPKb.num_vgpr, 14
	.set _ZN12_GLOBAL__N_121softmax_warp_backwardIN3c104HalfES2_fLi3ELb1ELb0ELi32EEEvPT0_PKT_S7_iiiPKb.num_agpr, 0
	.set _ZN12_GLOBAL__N_121softmax_warp_backwardIN3c104HalfES2_fLi3ELb1ELb0ELi32EEEvPT0_PKT_S7_iiiPKb.numbered_sgpr, 12
	.set _ZN12_GLOBAL__N_121softmax_warp_backwardIN3c104HalfES2_fLi3ELb1ELb0ELi32EEEvPT0_PKT_S7_iiiPKb.num_named_barrier, 0
	.set _ZN12_GLOBAL__N_121softmax_warp_backwardIN3c104HalfES2_fLi3ELb1ELb0ELi32EEEvPT0_PKT_S7_iiiPKb.private_seg_size, 0
	.set _ZN12_GLOBAL__N_121softmax_warp_backwardIN3c104HalfES2_fLi3ELb1ELb0ELi32EEEvPT0_PKT_S7_iiiPKb.uses_vcc, 1
	.set _ZN12_GLOBAL__N_121softmax_warp_backwardIN3c104HalfES2_fLi3ELb1ELb0ELi32EEEvPT0_PKT_S7_iiiPKb.uses_flat_scratch, 0
	.set _ZN12_GLOBAL__N_121softmax_warp_backwardIN3c104HalfES2_fLi3ELb1ELb0ELi32EEEvPT0_PKT_S7_iiiPKb.has_dyn_sized_stack, 0
	.set _ZN12_GLOBAL__N_121softmax_warp_backwardIN3c104HalfES2_fLi3ELb1ELb0ELi32EEEvPT0_PKT_S7_iiiPKb.has_recursion, 0
	.set _ZN12_GLOBAL__N_121softmax_warp_backwardIN3c104HalfES2_fLi3ELb1ELb0ELi32EEEvPT0_PKT_S7_iiiPKb.has_indirect_call, 0
	.section	.AMDGPU.csdata,"",@progbits
; Kernel info:
; codeLenInByte = 836
; TotalNumSgprs: 14
; NumVgprs: 14
; ScratchSize: 0
; MemoryBound: 0
; FloatMode: 240
; IeeeMode: 1
; LDSByteSize: 0 bytes/workgroup (compile time only)
; SGPRBlocks: 0
; VGPRBlocks: 1
; NumSGPRsForWavesPerEU: 14
; NumVGPRsForWavesPerEU: 14
; Occupancy: 16
; WaveLimiterHint : 0
; COMPUTE_PGM_RSRC2:SCRATCH_EN: 0
; COMPUTE_PGM_RSRC2:USER_SGPR: 6
; COMPUTE_PGM_RSRC2:TRAP_HANDLER: 0
; COMPUTE_PGM_RSRC2:TGID_X_EN: 1
; COMPUTE_PGM_RSRC2:TGID_Y_EN: 0
; COMPUTE_PGM_RSRC2:TGID_Z_EN: 0
; COMPUTE_PGM_RSRC2:TIDIG_COMP_CNT: 1
	.section	.text._ZN12_GLOBAL__N_121softmax_warp_backwardIN3c104HalfES2_fLi4ELb1ELb0ELi64EEEvPT0_PKT_S7_iiiPKb,"axG",@progbits,_ZN12_GLOBAL__N_121softmax_warp_backwardIN3c104HalfES2_fLi4ELb1ELb0ELi64EEEvPT0_PKT_S7_iiiPKb,comdat
	.globl	_ZN12_GLOBAL__N_121softmax_warp_backwardIN3c104HalfES2_fLi4ELb1ELb0ELi64EEEvPT0_PKT_S7_iiiPKb ; -- Begin function _ZN12_GLOBAL__N_121softmax_warp_backwardIN3c104HalfES2_fLi4ELb1ELb0ELi64EEEvPT0_PKT_S7_iiiPKb
	.p2align	8
	.type	_ZN12_GLOBAL__N_121softmax_warp_backwardIN3c104HalfES2_fLi4ELb1ELb0ELi64EEEvPT0_PKT_S7_iiiPKb,@function
_ZN12_GLOBAL__N_121softmax_warp_backwardIN3c104HalfES2_fLi4ELb1ELb0ELi64EEEvPT0_PKT_S7_iiiPKb: ; @_ZN12_GLOBAL__N_121softmax_warp_backwardIN3c104HalfES2_fLi4ELb1ELb0ELi64EEEvPT0_PKT_S7_iiiPKb
; %bb.0:
	s_clause 0x1
	s_load_dword s7, s[4:5], 0x3c
	s_load_dwordx4 s[0:3], s[4:5], 0x18
	v_and_b32_e32 v2, 15, v0
	s_clause 0x1
	s_load_dwordx4 s[8:11], s[4:5], 0x0
	s_load_dwordx2 s[4:5], s[4:5], 0x10
	v_mov_b32_e32 v7, 0
	v_mov_b32_e32 v8, 0
	s_waitcnt lgkmcnt(0)
	s_lshr_b32 s3, s7, 16
	v_cmp_gt_i32_e32 vcc_lo, s2, v2
	s_and_b32 s3, s3, 0xffff
	s_mul_i32 s6, s6, s3
	v_add_lshl_u32 v3, s6, v1, 1
	v_mad_u64_u32 v[0:1], null, v3, s1, v[2:3]
	v_sub_nc_u32_e32 v6, s0, v3
	v_cmp_lt_i32_e64 s0, 0, v6
	v_ashrrev_i32_e32 v1, 31, v0
	s_and_b32 s3, vcc_lo, s0
	v_lshlrev_b64 v[0:1], 1, v[0:1]
	v_add_co_u32 v2, s1, s10, v0
	v_add_co_ci_u32_e64 v3, null, s11, v1, s1
	v_add_co_u32 v4, s1, s4, v0
	v_add_co_ci_u32_e64 v5, null, s5, v1, s1
	s_and_saveexec_b32 s1, s3
	s_cbranch_execz .LBB260_2
; %bb.1:
	global_load_ushort v7, v[2:3], off
	global_load_ushort v9, v[4:5], off
	s_waitcnt vmcnt(1)
	v_cvt_f32_f16_e32 v8, v7
	s_waitcnt vmcnt(0)
	v_cvt_f32_f16_e32 v7, v9
.LBB260_2:
	s_or_b32 exec_lo, exec_lo, s1
	v_cmp_gt_i32_e64 s1, 2, v6
	s_xor_b32 s3, vcc_lo, -1
	s_or_b32 s1, s3, s1
	s_and_saveexec_b32 s3, s1
	s_xor_b32 s1, exec_lo, s3
                                        ; implicit-def: $vgpr9
; %bb.3:
	v_mov_b32_e32 v9, 0
                                        ; implicit-def: $vgpr4
                                        ; implicit-def: $vgpr2
; %bb.4:
	s_or_saveexec_b32 s4, s1
	v_mov_b32_e32 v10, 1.0
	s_xor_b32 exec_lo, exec_lo, s4
	s_cbranch_execz .LBB260_6
; %bb.5:
	s_mov_b32 s3, 0
	s_lshl_b64 s[6:7], s[2:3], 1
	v_add_co_u32 v4, s1, v4, s6
	v_add_co_ci_u32_e64 v5, null, s7, v5, s1
	v_add_co_u32 v2, s1, v2, s6
	v_add_co_ci_u32_e64 v3, null, s7, v3, s1
	global_load_ushort v4, v[4:5], off
	s_mov_b32 s1, 0x3fb8aa3b
	global_load_ushort v2, v[2:3], off
	s_waitcnt vmcnt(1)
	v_cvt_f32_f16_e32 v3, v4
	v_mul_f32_e32 v5, 0x3fb8aa3b, v3
	v_fma_mix_f32 v9, v4, s1, -v5 op_sel_hi:[1,0,0]
	v_rndne_f32_e32 v10, v5
	s_mov_b32 s1, 0x32a5705f
	v_fma_mix_f32 v4, v4, s1, v9 op_sel_hi:[1,0,0]
	v_sub_f32_e32 v5, v5, v10
	v_cmp_ngt_f32_e64 s1, 0xc2ce8ed0, v3
	s_waitcnt vmcnt(0)
	v_cvt_f32_f16_e32 v9, v2
	v_add_f32_e32 v4, v5, v4
	v_cvt_i32_f32_e32 v5, v10
	v_exp_f32_e32 v4, v4
	v_ldexp_f32 v4, v4, v5
	v_cndmask_b32_e64 v4, 0, v4, s1
	v_cmp_nlt_f32_e64 s1, 0x42b17218, v3
	v_cndmask_b32_e64 v10, 0x7f800000, v4, s1
.LBB260_6:
	s_or_b32 exec_lo, exec_lo, s4
	v_mbcnt_lo_u32_b32 v2, -1, 0
	v_add_f32_e32 v5, 0, v8
	v_add_f32_e32 v11, 0, v9
	v_and_b32_e32 v3, 16, v2
	v_xor_b32_e32 v4, 8, v2
	v_xor_b32_e32 v13, 4, v2
	v_add_nc_u32_e32 v3, 16, v3
	v_cmp_lt_i32_e64 s1, v4, v3
	v_cndmask_b32_e64 v4, v2, v4, s1
	v_cmp_lt_i32_e64 s1, v13, v3
	v_lshlrev_b32_e32 v4, 2, v4
	v_cndmask_b32_e64 v13, v2, v13, s1
	ds_bpermute_b32 v12, v4, v5
	ds_bpermute_b32 v4, v4, v11
	v_lshlrev_b32_e32 v13, 2, v13
	s_waitcnt lgkmcnt(1)
	v_add_f32_e32 v5, v5, v12
	s_waitcnt lgkmcnt(0)
	v_add_f32_e32 v4, v11, v4
	ds_bpermute_b32 v11, v13, v5
	ds_bpermute_b32 v12, v13, v4
	v_xor_b32_e32 v13, 2, v2
	v_cmp_lt_i32_e64 s1, v13, v3
	v_cndmask_b32_e64 v13, v2, v13, s1
	v_lshlrev_b32_e32 v13, 2, v13
	s_waitcnt lgkmcnt(1)
	v_add_f32_e32 v5, v5, v11
	s_waitcnt lgkmcnt(0)
	v_add_f32_e32 v11, v4, v12
	ds_bpermute_b32 v4, v13, v5
	ds_bpermute_b32 v12, v13, v11
	v_xor_b32_e32 v13, 1, v2
	v_cmp_lt_i32_e64 s1, v13, v3
	v_cndmask_b32_e64 v2, v2, v13, s1
	v_lshlrev_b32_e32 v3, 2, v2
	s_waitcnt lgkmcnt(1)
	v_add_f32_e32 v4, v5, v4
	s_waitcnt lgkmcnt(0)
	v_add_f32_e32 v2, v11, v12
	ds_bpermute_b32 v5, v3, v4
	ds_bpermute_b32 v3, v3, v2
	s_and_saveexec_b32 s1, s0
	s_cbranch_execz .LBB260_11
; %bb.7:
	v_add_co_u32 v0, s0, s8, v0
	v_add_co_ci_u32_e64 v1, null, s9, v1, s0
	s_and_saveexec_b32 s1, vcc_lo
	s_cbranch_execz .LBB260_9
; %bb.8:
	v_mul_f32_e32 v11, 0x3fb8aa3b, v7
	v_cmp_ngt_f32_e64 s0, 0xc2ce8ed0, v7
	s_waitcnt lgkmcnt(1)
	v_add_f32_e32 v4, v4, v5
	v_rndne_f32_e32 v12, v11
	v_fma_f32 v13, 0x3fb8aa3b, v7, -v11
	v_sub_f32_e32 v11, v11, v12
	v_fmamk_f32 v13, v7, 0x32a5705f, v13
	v_cvt_i32_f32_e32 v12, v12
	v_add_f32_e32 v11, v11, v13
	v_exp_f32_e32 v11, v11
	v_ldexp_f32 v11, v11, v12
	v_cndmask_b32_e64 v11, 0, v11, s0
	v_cmp_nlt_f32_e64 s0, 0x42b17218, v7
	v_cndmask_b32_e64 v5, 0x7f800000, v11, s0
	v_fma_mixlo_f16 v4, -v4, v5, v8
	global_store_short v[0:1], v4, off
.LBB260_9:
	s_or_b32 exec_lo, exec_lo, s1
	v_cmp_ne_u32_e64 s0, 1, v6
	s_and_b32 s0, s0, vcc_lo
	s_and_b32 exec_lo, exec_lo, s0
	s_cbranch_execz .LBB260_11
; %bb.10:
	s_mov_b32 s3, 0
	s_waitcnt lgkmcnt(0)
	v_add_f32_e32 v2, v2, v3
	s_lshl_b64 s[0:1], s[2:3], 1
	v_add_co_u32 v0, vcc_lo, v0, s0
	v_add_co_ci_u32_e64 v1, null, s1, v1, vcc_lo
	v_fma_mixlo_f16 v2, -v2, v10, v9
	global_store_short v[0:1], v2, off
.LBB260_11:
	s_endpgm
	.section	.rodata,"a",@progbits
	.p2align	6, 0x0
	.amdhsa_kernel _ZN12_GLOBAL__N_121softmax_warp_backwardIN3c104HalfES2_fLi4ELb1ELb0ELi64EEEvPT0_PKT_S7_iiiPKb
		.amdhsa_group_segment_fixed_size 0
		.amdhsa_private_segment_fixed_size 0
		.amdhsa_kernarg_size 304
		.amdhsa_user_sgpr_count 6
		.amdhsa_user_sgpr_private_segment_buffer 1
		.amdhsa_user_sgpr_dispatch_ptr 0
		.amdhsa_user_sgpr_queue_ptr 0
		.amdhsa_user_sgpr_kernarg_segment_ptr 1
		.amdhsa_user_sgpr_dispatch_id 0
		.amdhsa_user_sgpr_flat_scratch_init 0
		.amdhsa_user_sgpr_private_segment_size 0
		.amdhsa_wavefront_size32 1
		.amdhsa_uses_dynamic_stack 0
		.amdhsa_system_sgpr_private_segment_wavefront_offset 0
		.amdhsa_system_sgpr_workgroup_id_x 1
		.amdhsa_system_sgpr_workgroup_id_y 0
		.amdhsa_system_sgpr_workgroup_id_z 0
		.amdhsa_system_sgpr_workgroup_info 0
		.amdhsa_system_vgpr_workitem_id 1
		.amdhsa_next_free_vgpr 14
		.amdhsa_next_free_sgpr 12
		.amdhsa_reserve_vcc 1
		.amdhsa_reserve_flat_scratch 0
		.amdhsa_float_round_mode_32 0
		.amdhsa_float_round_mode_16_64 0
		.amdhsa_float_denorm_mode_32 3
		.amdhsa_float_denorm_mode_16_64 3
		.amdhsa_dx10_clamp 1
		.amdhsa_ieee_mode 1
		.amdhsa_fp16_overflow 0
		.amdhsa_workgroup_processor_mode 1
		.amdhsa_memory_ordered 1
		.amdhsa_forward_progress 1
		.amdhsa_shared_vgpr_count 0
		.amdhsa_exception_fp_ieee_invalid_op 0
		.amdhsa_exception_fp_denorm_src 0
		.amdhsa_exception_fp_ieee_div_zero 0
		.amdhsa_exception_fp_ieee_overflow 0
		.amdhsa_exception_fp_ieee_underflow 0
		.amdhsa_exception_fp_ieee_inexact 0
		.amdhsa_exception_int_div_zero 0
	.end_amdhsa_kernel
	.section	.text._ZN12_GLOBAL__N_121softmax_warp_backwardIN3c104HalfES2_fLi4ELb1ELb0ELi64EEEvPT0_PKT_S7_iiiPKb,"axG",@progbits,_ZN12_GLOBAL__N_121softmax_warp_backwardIN3c104HalfES2_fLi4ELb1ELb0ELi64EEEvPT0_PKT_S7_iiiPKb,comdat
.Lfunc_end260:
	.size	_ZN12_GLOBAL__N_121softmax_warp_backwardIN3c104HalfES2_fLi4ELb1ELb0ELi64EEEvPT0_PKT_S7_iiiPKb, .Lfunc_end260-_ZN12_GLOBAL__N_121softmax_warp_backwardIN3c104HalfES2_fLi4ELb1ELb0ELi64EEEvPT0_PKT_S7_iiiPKb
                                        ; -- End function
	.set _ZN12_GLOBAL__N_121softmax_warp_backwardIN3c104HalfES2_fLi4ELb1ELb0ELi64EEEvPT0_PKT_S7_iiiPKb.num_vgpr, 14
	.set _ZN12_GLOBAL__N_121softmax_warp_backwardIN3c104HalfES2_fLi4ELb1ELb0ELi64EEEvPT0_PKT_S7_iiiPKb.num_agpr, 0
	.set _ZN12_GLOBAL__N_121softmax_warp_backwardIN3c104HalfES2_fLi4ELb1ELb0ELi64EEEvPT0_PKT_S7_iiiPKb.numbered_sgpr, 12
	.set _ZN12_GLOBAL__N_121softmax_warp_backwardIN3c104HalfES2_fLi4ELb1ELb0ELi64EEEvPT0_PKT_S7_iiiPKb.num_named_barrier, 0
	.set _ZN12_GLOBAL__N_121softmax_warp_backwardIN3c104HalfES2_fLi4ELb1ELb0ELi64EEEvPT0_PKT_S7_iiiPKb.private_seg_size, 0
	.set _ZN12_GLOBAL__N_121softmax_warp_backwardIN3c104HalfES2_fLi4ELb1ELb0ELi64EEEvPT0_PKT_S7_iiiPKb.uses_vcc, 1
	.set _ZN12_GLOBAL__N_121softmax_warp_backwardIN3c104HalfES2_fLi4ELb1ELb0ELi64EEEvPT0_PKT_S7_iiiPKb.uses_flat_scratch, 0
	.set _ZN12_GLOBAL__N_121softmax_warp_backwardIN3c104HalfES2_fLi4ELb1ELb0ELi64EEEvPT0_PKT_S7_iiiPKb.has_dyn_sized_stack, 0
	.set _ZN12_GLOBAL__N_121softmax_warp_backwardIN3c104HalfES2_fLi4ELb1ELb0ELi64EEEvPT0_PKT_S7_iiiPKb.has_recursion, 0
	.set _ZN12_GLOBAL__N_121softmax_warp_backwardIN3c104HalfES2_fLi4ELb1ELb0ELi64EEEvPT0_PKT_S7_iiiPKb.has_indirect_call, 0
	.section	.AMDGPU.csdata,"",@progbits
; Kernel info:
; codeLenInByte = 892
; TotalNumSgprs: 14
; NumVgprs: 14
; ScratchSize: 0
; MemoryBound: 0
; FloatMode: 240
; IeeeMode: 1
; LDSByteSize: 0 bytes/workgroup (compile time only)
; SGPRBlocks: 0
; VGPRBlocks: 1
; NumSGPRsForWavesPerEU: 14
; NumVGPRsForWavesPerEU: 14
; Occupancy: 16
; WaveLimiterHint : 0
; COMPUTE_PGM_RSRC2:SCRATCH_EN: 0
; COMPUTE_PGM_RSRC2:USER_SGPR: 6
; COMPUTE_PGM_RSRC2:TRAP_HANDLER: 0
; COMPUTE_PGM_RSRC2:TGID_X_EN: 1
; COMPUTE_PGM_RSRC2:TGID_Y_EN: 0
; COMPUTE_PGM_RSRC2:TGID_Z_EN: 0
; COMPUTE_PGM_RSRC2:TIDIG_COMP_CNT: 1
	.section	.text._ZN12_GLOBAL__N_121softmax_warp_backwardIN3c104HalfES2_fLi4ELb1ELb0ELi32EEEvPT0_PKT_S7_iiiPKb,"axG",@progbits,_ZN12_GLOBAL__N_121softmax_warp_backwardIN3c104HalfES2_fLi4ELb1ELb0ELi32EEEvPT0_PKT_S7_iiiPKb,comdat
	.globl	_ZN12_GLOBAL__N_121softmax_warp_backwardIN3c104HalfES2_fLi4ELb1ELb0ELi32EEEvPT0_PKT_S7_iiiPKb ; -- Begin function _ZN12_GLOBAL__N_121softmax_warp_backwardIN3c104HalfES2_fLi4ELb1ELb0ELi32EEEvPT0_PKT_S7_iiiPKb
	.p2align	8
	.type	_ZN12_GLOBAL__N_121softmax_warp_backwardIN3c104HalfES2_fLi4ELb1ELb0ELi32EEEvPT0_PKT_S7_iiiPKb,@function
_ZN12_GLOBAL__N_121softmax_warp_backwardIN3c104HalfES2_fLi4ELb1ELb0ELi32EEEvPT0_PKT_S7_iiiPKb: ; @_ZN12_GLOBAL__N_121softmax_warp_backwardIN3c104HalfES2_fLi4ELb1ELb0ELi32EEEvPT0_PKT_S7_iiiPKb
; %bb.0:
	s_clause 0x1
	s_load_dword s7, s[4:5], 0x3c
	s_load_dwordx4 s[0:3], s[4:5], 0x18
	v_and_b32_e32 v2, 15, v0
	s_clause 0x1
	s_load_dwordx4 s[8:11], s[4:5], 0x0
	s_load_dwordx2 s[4:5], s[4:5], 0x10
	v_mov_b32_e32 v7, 0
	v_mov_b32_e32 v8, 0
	s_waitcnt lgkmcnt(0)
	s_lshr_b32 s3, s7, 16
	v_cmp_gt_i32_e32 vcc_lo, s2, v2
	s_and_b32 s3, s3, 0xffff
	s_mul_i32 s6, s6, s3
	v_add_lshl_u32 v3, s6, v1, 1
	v_mad_u64_u32 v[0:1], null, v3, s1, v[2:3]
	v_sub_nc_u32_e32 v6, s0, v3
	v_cmp_lt_i32_e64 s0, 0, v6
	v_ashrrev_i32_e32 v1, 31, v0
	s_and_b32 s3, vcc_lo, s0
	v_lshlrev_b64 v[0:1], 1, v[0:1]
	v_add_co_u32 v2, s1, s10, v0
	v_add_co_ci_u32_e64 v3, null, s11, v1, s1
	v_add_co_u32 v4, s1, s4, v0
	v_add_co_ci_u32_e64 v5, null, s5, v1, s1
	s_and_saveexec_b32 s1, s3
	s_cbranch_execz .LBB261_2
; %bb.1:
	global_load_ushort v7, v[2:3], off
	global_load_ushort v9, v[4:5], off
	s_waitcnt vmcnt(1)
	v_cvt_f32_f16_e32 v8, v7
	s_waitcnt vmcnt(0)
	v_cvt_f32_f16_e32 v7, v9
.LBB261_2:
	s_or_b32 exec_lo, exec_lo, s1
	v_cmp_gt_i32_e64 s1, 2, v6
	s_xor_b32 s3, vcc_lo, -1
	s_or_b32 s1, s3, s1
	s_and_saveexec_b32 s3, s1
	s_xor_b32 s1, exec_lo, s3
                                        ; implicit-def: $vgpr9
; %bb.3:
	v_mov_b32_e32 v9, 0
                                        ; implicit-def: $vgpr4
                                        ; implicit-def: $vgpr2
; %bb.4:
	s_or_saveexec_b32 s4, s1
	v_mov_b32_e32 v10, 1.0
	s_xor_b32 exec_lo, exec_lo, s4
	s_cbranch_execz .LBB261_6
; %bb.5:
	s_mov_b32 s3, 0
	s_lshl_b64 s[6:7], s[2:3], 1
	v_add_co_u32 v4, s1, v4, s6
	v_add_co_ci_u32_e64 v5, null, s7, v5, s1
	v_add_co_u32 v2, s1, v2, s6
	v_add_co_ci_u32_e64 v3, null, s7, v3, s1
	global_load_ushort v4, v[4:5], off
	s_mov_b32 s1, 0x3fb8aa3b
	global_load_ushort v2, v[2:3], off
	s_waitcnt vmcnt(1)
	v_cvt_f32_f16_e32 v3, v4
	v_mul_f32_e32 v5, 0x3fb8aa3b, v3
	v_fma_mix_f32 v9, v4, s1, -v5 op_sel_hi:[1,0,0]
	v_rndne_f32_e32 v10, v5
	s_mov_b32 s1, 0x32a5705f
	v_fma_mix_f32 v4, v4, s1, v9 op_sel_hi:[1,0,0]
	v_sub_f32_e32 v5, v5, v10
	v_cmp_ngt_f32_e64 s1, 0xc2ce8ed0, v3
	s_waitcnt vmcnt(0)
	v_cvt_f32_f16_e32 v9, v2
	v_add_f32_e32 v4, v5, v4
	v_cvt_i32_f32_e32 v5, v10
	v_exp_f32_e32 v4, v4
	v_ldexp_f32 v4, v4, v5
	v_cndmask_b32_e64 v4, 0, v4, s1
	v_cmp_nlt_f32_e64 s1, 0x42b17218, v3
	v_cndmask_b32_e64 v10, 0x7f800000, v4, s1
.LBB261_6:
	s_or_b32 exec_lo, exec_lo, s4
	v_mbcnt_lo_u32_b32 v2, -1, 0
	v_add_f32_e32 v5, 0, v8
	v_add_f32_e32 v11, 0, v9
	v_and_b32_e32 v3, 16, v2
	v_xor_b32_e32 v4, 8, v2
	v_xor_b32_e32 v13, 4, v2
	v_add_nc_u32_e32 v3, 16, v3
	v_cmp_lt_i32_e64 s1, v4, v3
	v_cndmask_b32_e64 v4, v2, v4, s1
	v_cmp_lt_i32_e64 s1, v13, v3
	v_lshlrev_b32_e32 v4, 2, v4
	v_cndmask_b32_e64 v13, v2, v13, s1
	ds_bpermute_b32 v12, v4, v5
	ds_bpermute_b32 v4, v4, v11
	v_lshlrev_b32_e32 v13, 2, v13
	s_waitcnt lgkmcnt(1)
	v_add_f32_e32 v5, v5, v12
	s_waitcnt lgkmcnt(0)
	v_add_f32_e32 v4, v11, v4
	ds_bpermute_b32 v11, v13, v5
	ds_bpermute_b32 v12, v13, v4
	v_xor_b32_e32 v13, 2, v2
	v_cmp_lt_i32_e64 s1, v13, v3
	v_cndmask_b32_e64 v13, v2, v13, s1
	v_lshlrev_b32_e32 v13, 2, v13
	s_waitcnt lgkmcnt(1)
	v_add_f32_e32 v5, v5, v11
	s_waitcnt lgkmcnt(0)
	v_add_f32_e32 v11, v4, v12
	ds_bpermute_b32 v4, v13, v5
	ds_bpermute_b32 v12, v13, v11
	v_xor_b32_e32 v13, 1, v2
	v_cmp_lt_i32_e64 s1, v13, v3
	v_cndmask_b32_e64 v2, v2, v13, s1
	v_lshlrev_b32_e32 v3, 2, v2
	s_waitcnt lgkmcnt(1)
	v_add_f32_e32 v4, v5, v4
	s_waitcnt lgkmcnt(0)
	v_add_f32_e32 v2, v11, v12
	ds_bpermute_b32 v5, v3, v4
	ds_bpermute_b32 v3, v3, v2
	s_and_saveexec_b32 s1, s0
	s_cbranch_execz .LBB261_11
; %bb.7:
	v_add_co_u32 v0, s0, s8, v0
	v_add_co_ci_u32_e64 v1, null, s9, v1, s0
	s_and_saveexec_b32 s1, vcc_lo
	s_cbranch_execz .LBB261_9
; %bb.8:
	v_mul_f32_e32 v11, 0x3fb8aa3b, v7
	v_cmp_ngt_f32_e64 s0, 0xc2ce8ed0, v7
	s_waitcnt lgkmcnt(1)
	v_add_f32_e32 v4, v4, v5
	v_rndne_f32_e32 v12, v11
	v_fma_f32 v13, 0x3fb8aa3b, v7, -v11
	v_sub_f32_e32 v11, v11, v12
	v_fmamk_f32 v13, v7, 0x32a5705f, v13
	v_cvt_i32_f32_e32 v12, v12
	v_add_f32_e32 v11, v11, v13
	v_exp_f32_e32 v11, v11
	v_ldexp_f32 v11, v11, v12
	v_cndmask_b32_e64 v11, 0, v11, s0
	v_cmp_nlt_f32_e64 s0, 0x42b17218, v7
	v_cndmask_b32_e64 v5, 0x7f800000, v11, s0
	v_fma_mixlo_f16 v4, -v4, v5, v8
	global_store_short v[0:1], v4, off
.LBB261_9:
	s_or_b32 exec_lo, exec_lo, s1
	v_cmp_ne_u32_e64 s0, 1, v6
	s_and_b32 s0, s0, vcc_lo
	s_and_b32 exec_lo, exec_lo, s0
	s_cbranch_execz .LBB261_11
; %bb.10:
	s_mov_b32 s3, 0
	s_waitcnt lgkmcnt(0)
	v_add_f32_e32 v2, v2, v3
	s_lshl_b64 s[0:1], s[2:3], 1
	v_add_co_u32 v0, vcc_lo, v0, s0
	v_add_co_ci_u32_e64 v1, null, s1, v1, vcc_lo
	v_fma_mixlo_f16 v2, -v2, v10, v9
	global_store_short v[0:1], v2, off
.LBB261_11:
	s_endpgm
	.section	.rodata,"a",@progbits
	.p2align	6, 0x0
	.amdhsa_kernel _ZN12_GLOBAL__N_121softmax_warp_backwardIN3c104HalfES2_fLi4ELb1ELb0ELi32EEEvPT0_PKT_S7_iiiPKb
		.amdhsa_group_segment_fixed_size 0
		.amdhsa_private_segment_fixed_size 0
		.amdhsa_kernarg_size 304
		.amdhsa_user_sgpr_count 6
		.amdhsa_user_sgpr_private_segment_buffer 1
		.amdhsa_user_sgpr_dispatch_ptr 0
		.amdhsa_user_sgpr_queue_ptr 0
		.amdhsa_user_sgpr_kernarg_segment_ptr 1
		.amdhsa_user_sgpr_dispatch_id 0
		.amdhsa_user_sgpr_flat_scratch_init 0
		.amdhsa_user_sgpr_private_segment_size 0
		.amdhsa_wavefront_size32 1
		.amdhsa_uses_dynamic_stack 0
		.amdhsa_system_sgpr_private_segment_wavefront_offset 0
		.amdhsa_system_sgpr_workgroup_id_x 1
		.amdhsa_system_sgpr_workgroup_id_y 0
		.amdhsa_system_sgpr_workgroup_id_z 0
		.amdhsa_system_sgpr_workgroup_info 0
		.amdhsa_system_vgpr_workitem_id 1
		.amdhsa_next_free_vgpr 14
		.amdhsa_next_free_sgpr 12
		.amdhsa_reserve_vcc 1
		.amdhsa_reserve_flat_scratch 0
		.amdhsa_float_round_mode_32 0
		.amdhsa_float_round_mode_16_64 0
		.amdhsa_float_denorm_mode_32 3
		.amdhsa_float_denorm_mode_16_64 3
		.amdhsa_dx10_clamp 1
		.amdhsa_ieee_mode 1
		.amdhsa_fp16_overflow 0
		.amdhsa_workgroup_processor_mode 1
		.amdhsa_memory_ordered 1
		.amdhsa_forward_progress 1
		.amdhsa_shared_vgpr_count 0
		.amdhsa_exception_fp_ieee_invalid_op 0
		.amdhsa_exception_fp_denorm_src 0
		.amdhsa_exception_fp_ieee_div_zero 0
		.amdhsa_exception_fp_ieee_overflow 0
		.amdhsa_exception_fp_ieee_underflow 0
		.amdhsa_exception_fp_ieee_inexact 0
		.amdhsa_exception_int_div_zero 0
	.end_amdhsa_kernel
	.section	.text._ZN12_GLOBAL__N_121softmax_warp_backwardIN3c104HalfES2_fLi4ELb1ELb0ELi32EEEvPT0_PKT_S7_iiiPKb,"axG",@progbits,_ZN12_GLOBAL__N_121softmax_warp_backwardIN3c104HalfES2_fLi4ELb1ELb0ELi32EEEvPT0_PKT_S7_iiiPKb,comdat
.Lfunc_end261:
	.size	_ZN12_GLOBAL__N_121softmax_warp_backwardIN3c104HalfES2_fLi4ELb1ELb0ELi32EEEvPT0_PKT_S7_iiiPKb, .Lfunc_end261-_ZN12_GLOBAL__N_121softmax_warp_backwardIN3c104HalfES2_fLi4ELb1ELb0ELi32EEEvPT0_PKT_S7_iiiPKb
                                        ; -- End function
	.set _ZN12_GLOBAL__N_121softmax_warp_backwardIN3c104HalfES2_fLi4ELb1ELb0ELi32EEEvPT0_PKT_S7_iiiPKb.num_vgpr, 14
	.set _ZN12_GLOBAL__N_121softmax_warp_backwardIN3c104HalfES2_fLi4ELb1ELb0ELi32EEEvPT0_PKT_S7_iiiPKb.num_agpr, 0
	.set _ZN12_GLOBAL__N_121softmax_warp_backwardIN3c104HalfES2_fLi4ELb1ELb0ELi32EEEvPT0_PKT_S7_iiiPKb.numbered_sgpr, 12
	.set _ZN12_GLOBAL__N_121softmax_warp_backwardIN3c104HalfES2_fLi4ELb1ELb0ELi32EEEvPT0_PKT_S7_iiiPKb.num_named_barrier, 0
	.set _ZN12_GLOBAL__N_121softmax_warp_backwardIN3c104HalfES2_fLi4ELb1ELb0ELi32EEEvPT0_PKT_S7_iiiPKb.private_seg_size, 0
	.set _ZN12_GLOBAL__N_121softmax_warp_backwardIN3c104HalfES2_fLi4ELb1ELb0ELi32EEEvPT0_PKT_S7_iiiPKb.uses_vcc, 1
	.set _ZN12_GLOBAL__N_121softmax_warp_backwardIN3c104HalfES2_fLi4ELb1ELb0ELi32EEEvPT0_PKT_S7_iiiPKb.uses_flat_scratch, 0
	.set _ZN12_GLOBAL__N_121softmax_warp_backwardIN3c104HalfES2_fLi4ELb1ELb0ELi32EEEvPT0_PKT_S7_iiiPKb.has_dyn_sized_stack, 0
	.set _ZN12_GLOBAL__N_121softmax_warp_backwardIN3c104HalfES2_fLi4ELb1ELb0ELi32EEEvPT0_PKT_S7_iiiPKb.has_recursion, 0
	.set _ZN12_GLOBAL__N_121softmax_warp_backwardIN3c104HalfES2_fLi4ELb1ELb0ELi32EEEvPT0_PKT_S7_iiiPKb.has_indirect_call, 0
	.section	.AMDGPU.csdata,"",@progbits
; Kernel info:
; codeLenInByte = 892
; TotalNumSgprs: 14
; NumVgprs: 14
; ScratchSize: 0
; MemoryBound: 0
; FloatMode: 240
; IeeeMode: 1
; LDSByteSize: 0 bytes/workgroup (compile time only)
; SGPRBlocks: 0
; VGPRBlocks: 1
; NumSGPRsForWavesPerEU: 14
; NumVGPRsForWavesPerEU: 14
; Occupancy: 16
; WaveLimiterHint : 0
; COMPUTE_PGM_RSRC2:SCRATCH_EN: 0
; COMPUTE_PGM_RSRC2:USER_SGPR: 6
; COMPUTE_PGM_RSRC2:TRAP_HANDLER: 0
; COMPUTE_PGM_RSRC2:TGID_X_EN: 1
; COMPUTE_PGM_RSRC2:TGID_Y_EN: 0
; COMPUTE_PGM_RSRC2:TGID_Z_EN: 0
; COMPUTE_PGM_RSRC2:TIDIG_COMP_CNT: 1
	.section	.text._ZN12_GLOBAL__N_121softmax_warp_backwardIN3c104HalfES2_fLi5ELb1ELb0ELi64EEEvPT0_PKT_S7_iiiPKb,"axG",@progbits,_ZN12_GLOBAL__N_121softmax_warp_backwardIN3c104HalfES2_fLi5ELb1ELb0ELi64EEEvPT0_PKT_S7_iiiPKb,comdat
	.globl	_ZN12_GLOBAL__N_121softmax_warp_backwardIN3c104HalfES2_fLi5ELb1ELb0ELi64EEEvPT0_PKT_S7_iiiPKb ; -- Begin function _ZN12_GLOBAL__N_121softmax_warp_backwardIN3c104HalfES2_fLi5ELb1ELb0ELi64EEEvPT0_PKT_S7_iiiPKb
	.p2align	8
	.type	_ZN12_GLOBAL__N_121softmax_warp_backwardIN3c104HalfES2_fLi5ELb1ELb0ELi64EEEvPT0_PKT_S7_iiiPKb,@function
_ZN12_GLOBAL__N_121softmax_warp_backwardIN3c104HalfES2_fLi5ELb1ELb0ELi64EEEvPT0_PKT_S7_iiiPKb: ; @_ZN12_GLOBAL__N_121softmax_warp_backwardIN3c104HalfES2_fLi5ELb1ELb0ELi64EEEvPT0_PKT_S7_iiiPKb
; %bb.0:
	s_clause 0x1
	s_load_dword s7, s[4:5], 0x3c
	s_load_dwordx4 s[0:3], s[4:5], 0x18
	v_and_b32_e32 v2, 31, v0
	s_clause 0x1
	s_load_dwordx4 s[8:11], s[4:5], 0x0
	s_load_dwordx2 s[4:5], s[4:5], 0x10
	v_mov_b32_e32 v7, 0
	v_mov_b32_e32 v8, 0
	s_waitcnt lgkmcnt(0)
	s_lshr_b32 s3, s7, 16
	v_cmp_gt_i32_e32 vcc_lo, s2, v2
	s_and_b32 s3, s3, 0xffff
	s_mul_i32 s6, s6, s3
	v_add_lshl_u32 v3, s6, v1, 1
	v_mad_u64_u32 v[0:1], null, v3, s1, v[2:3]
	v_sub_nc_u32_e32 v6, s0, v3
	v_cmp_lt_i32_e64 s0, 0, v6
	v_ashrrev_i32_e32 v1, 31, v0
	s_and_b32 s3, vcc_lo, s0
	v_lshlrev_b64 v[0:1], 1, v[0:1]
	v_add_co_u32 v2, s1, s10, v0
	v_add_co_ci_u32_e64 v3, null, s11, v1, s1
	v_add_co_u32 v4, s1, s4, v0
	v_add_co_ci_u32_e64 v5, null, s5, v1, s1
	s_and_saveexec_b32 s1, s3
	s_cbranch_execz .LBB262_2
; %bb.1:
	global_load_ushort v7, v[2:3], off
	global_load_ushort v9, v[4:5], off
	s_waitcnt vmcnt(1)
	v_cvt_f32_f16_e32 v8, v7
	s_waitcnt vmcnt(0)
	v_cvt_f32_f16_e32 v7, v9
.LBB262_2:
	s_or_b32 exec_lo, exec_lo, s1
	v_cmp_gt_i32_e64 s1, 2, v6
	s_xor_b32 s3, vcc_lo, -1
	s_or_b32 s1, s3, s1
	s_and_saveexec_b32 s3, s1
	s_xor_b32 s1, exec_lo, s3
                                        ; implicit-def: $vgpr9
; %bb.3:
	v_mov_b32_e32 v9, 0
                                        ; implicit-def: $vgpr4
                                        ; implicit-def: $vgpr2
; %bb.4:
	s_or_saveexec_b32 s4, s1
	v_mov_b32_e32 v10, 1.0
	s_xor_b32 exec_lo, exec_lo, s4
	s_cbranch_execz .LBB262_6
; %bb.5:
	s_mov_b32 s3, 0
	s_lshl_b64 s[6:7], s[2:3], 1
	v_add_co_u32 v4, s1, v4, s6
	v_add_co_ci_u32_e64 v5, null, s7, v5, s1
	v_add_co_u32 v2, s1, v2, s6
	v_add_co_ci_u32_e64 v3, null, s7, v3, s1
	global_load_ushort v4, v[4:5], off
	s_mov_b32 s1, 0x3fb8aa3b
	global_load_ushort v2, v[2:3], off
	s_waitcnt vmcnt(1)
	v_cvt_f32_f16_e32 v3, v4
	v_mul_f32_e32 v5, 0x3fb8aa3b, v3
	v_fma_mix_f32 v9, v4, s1, -v5 op_sel_hi:[1,0,0]
	v_rndne_f32_e32 v10, v5
	s_mov_b32 s1, 0x32a5705f
	v_fma_mix_f32 v4, v4, s1, v9 op_sel_hi:[1,0,0]
	v_sub_f32_e32 v5, v5, v10
	v_cmp_ngt_f32_e64 s1, 0xc2ce8ed0, v3
	s_waitcnt vmcnt(0)
	v_cvt_f32_f16_e32 v9, v2
	v_add_f32_e32 v4, v5, v4
	v_cvt_i32_f32_e32 v5, v10
	v_exp_f32_e32 v4, v4
	v_ldexp_f32 v4, v4, v5
	v_cndmask_b32_e64 v4, 0, v4, s1
	v_cmp_nlt_f32_e64 s1, 0x42b17218, v3
	v_cndmask_b32_e64 v10, 0x7f800000, v4, s1
.LBB262_6:
	s_or_b32 exec_lo, exec_lo, s4
	v_mbcnt_lo_u32_b32 v2, -1, 0
	v_add_f32_e32 v4, 0, v8
	v_add_f32_e32 v5, 0, v9
	v_xor_b32_e32 v3, 16, v2
	v_xor_b32_e32 v12, 8, v2
	v_cmp_gt_i32_e64 s1, 32, v3
	v_cndmask_b32_e64 v3, v2, v3, s1
	v_cmp_gt_i32_e64 s1, 32, v12
	v_lshlrev_b32_e32 v3, 2, v3
	v_cndmask_b32_e64 v12, v2, v12, s1
	ds_bpermute_b32 v11, v3, v4
	ds_bpermute_b32 v3, v3, v5
	v_lshlrev_b32_e32 v12, 2, v12
	s_waitcnt lgkmcnt(1)
	v_add_f32_e32 v4, v4, v11
	s_waitcnt lgkmcnt(0)
	v_add_f32_e32 v3, v5, v3
	ds_bpermute_b32 v5, v12, v4
	ds_bpermute_b32 v11, v12, v3
	v_xor_b32_e32 v12, 4, v2
	v_cmp_gt_i32_e64 s1, 32, v12
	v_cndmask_b32_e64 v12, v2, v12, s1
	v_lshlrev_b32_e32 v12, 2, v12
	s_waitcnt lgkmcnt(1)
	v_add_f32_e32 v4, v4, v5
	s_waitcnt lgkmcnt(0)
	v_add_f32_e32 v3, v3, v11
	ds_bpermute_b32 v5, v12, v4
	ds_bpermute_b32 v11, v12, v3
	v_xor_b32_e32 v12, 2, v2
	v_cmp_gt_i32_e64 s1, 32, v12
	v_cndmask_b32_e64 v12, v2, v12, s1
	;; [unrolled: 10-line block ×3, first 2 shown]
	v_lshlrev_b32_e32 v12, 2, v2
	s_waitcnt lgkmcnt(1)
	v_add_f32_e32 v4, v4, v5
	s_waitcnt lgkmcnt(0)
	v_add_f32_e32 v2, v3, v11
	ds_bpermute_b32 v5, v12, v4
	ds_bpermute_b32 v3, v12, v2
	s_and_saveexec_b32 s1, s0
	s_cbranch_execz .LBB262_11
; %bb.7:
	v_add_co_u32 v0, s0, s8, v0
	v_add_co_ci_u32_e64 v1, null, s9, v1, s0
	s_and_saveexec_b32 s1, vcc_lo
	s_cbranch_execz .LBB262_9
; %bb.8:
	v_mul_f32_e32 v11, 0x3fb8aa3b, v7
	v_cmp_ngt_f32_e64 s0, 0xc2ce8ed0, v7
	s_waitcnt lgkmcnt(1)
	v_add_f32_e32 v4, v4, v5
	v_rndne_f32_e32 v12, v11
	v_fma_f32 v13, 0x3fb8aa3b, v7, -v11
	v_sub_f32_e32 v11, v11, v12
	v_fmamk_f32 v13, v7, 0x32a5705f, v13
	v_cvt_i32_f32_e32 v12, v12
	v_add_f32_e32 v11, v11, v13
	v_exp_f32_e32 v11, v11
	v_ldexp_f32 v11, v11, v12
	v_cndmask_b32_e64 v11, 0, v11, s0
	v_cmp_nlt_f32_e64 s0, 0x42b17218, v7
	v_cndmask_b32_e64 v5, 0x7f800000, v11, s0
	v_fma_mixlo_f16 v4, -v4, v5, v8
	global_store_short v[0:1], v4, off
.LBB262_9:
	s_or_b32 exec_lo, exec_lo, s1
	v_cmp_ne_u32_e64 s0, 1, v6
	s_and_b32 s0, s0, vcc_lo
	s_and_b32 exec_lo, exec_lo, s0
	s_cbranch_execz .LBB262_11
; %bb.10:
	s_mov_b32 s3, 0
	s_waitcnt lgkmcnt(0)
	v_add_f32_e32 v2, v2, v3
	s_lshl_b64 s[0:1], s[2:3], 1
	v_add_co_u32 v0, vcc_lo, v0, s0
	v_add_co_ci_u32_e64 v1, null, s1, v1, vcc_lo
	v_fma_mixlo_f16 v2, -v2, v10, v9
	global_store_short v[0:1], v2, off
.LBB262_11:
	s_endpgm
	.section	.rodata,"a",@progbits
	.p2align	6, 0x0
	.amdhsa_kernel _ZN12_GLOBAL__N_121softmax_warp_backwardIN3c104HalfES2_fLi5ELb1ELb0ELi64EEEvPT0_PKT_S7_iiiPKb
		.amdhsa_group_segment_fixed_size 0
		.amdhsa_private_segment_fixed_size 0
		.amdhsa_kernarg_size 304
		.amdhsa_user_sgpr_count 6
		.amdhsa_user_sgpr_private_segment_buffer 1
		.amdhsa_user_sgpr_dispatch_ptr 0
		.amdhsa_user_sgpr_queue_ptr 0
		.amdhsa_user_sgpr_kernarg_segment_ptr 1
		.amdhsa_user_sgpr_dispatch_id 0
		.amdhsa_user_sgpr_flat_scratch_init 0
		.amdhsa_user_sgpr_private_segment_size 0
		.amdhsa_wavefront_size32 1
		.amdhsa_uses_dynamic_stack 0
		.amdhsa_system_sgpr_private_segment_wavefront_offset 0
		.amdhsa_system_sgpr_workgroup_id_x 1
		.amdhsa_system_sgpr_workgroup_id_y 0
		.amdhsa_system_sgpr_workgroup_id_z 0
		.amdhsa_system_sgpr_workgroup_info 0
		.amdhsa_system_vgpr_workitem_id 1
		.amdhsa_next_free_vgpr 14
		.amdhsa_next_free_sgpr 12
		.amdhsa_reserve_vcc 1
		.amdhsa_reserve_flat_scratch 0
		.amdhsa_float_round_mode_32 0
		.amdhsa_float_round_mode_16_64 0
		.amdhsa_float_denorm_mode_32 3
		.amdhsa_float_denorm_mode_16_64 3
		.amdhsa_dx10_clamp 1
		.amdhsa_ieee_mode 1
		.amdhsa_fp16_overflow 0
		.amdhsa_workgroup_processor_mode 1
		.amdhsa_memory_ordered 1
		.amdhsa_forward_progress 1
		.amdhsa_shared_vgpr_count 0
		.amdhsa_exception_fp_ieee_invalid_op 0
		.amdhsa_exception_fp_denorm_src 0
		.amdhsa_exception_fp_ieee_div_zero 0
		.amdhsa_exception_fp_ieee_overflow 0
		.amdhsa_exception_fp_ieee_underflow 0
		.amdhsa_exception_fp_ieee_inexact 0
		.amdhsa_exception_int_div_zero 0
	.end_amdhsa_kernel
	.section	.text._ZN12_GLOBAL__N_121softmax_warp_backwardIN3c104HalfES2_fLi5ELb1ELb0ELi64EEEvPT0_PKT_S7_iiiPKb,"axG",@progbits,_ZN12_GLOBAL__N_121softmax_warp_backwardIN3c104HalfES2_fLi5ELb1ELb0ELi64EEEvPT0_PKT_S7_iiiPKb,comdat
.Lfunc_end262:
	.size	_ZN12_GLOBAL__N_121softmax_warp_backwardIN3c104HalfES2_fLi5ELb1ELb0ELi64EEEvPT0_PKT_S7_iiiPKb, .Lfunc_end262-_ZN12_GLOBAL__N_121softmax_warp_backwardIN3c104HalfES2_fLi5ELb1ELb0ELi64EEEvPT0_PKT_S7_iiiPKb
                                        ; -- End function
	.set _ZN12_GLOBAL__N_121softmax_warp_backwardIN3c104HalfES2_fLi5ELb1ELb0ELi64EEEvPT0_PKT_S7_iiiPKb.num_vgpr, 14
	.set _ZN12_GLOBAL__N_121softmax_warp_backwardIN3c104HalfES2_fLi5ELb1ELb0ELi64EEEvPT0_PKT_S7_iiiPKb.num_agpr, 0
	.set _ZN12_GLOBAL__N_121softmax_warp_backwardIN3c104HalfES2_fLi5ELb1ELb0ELi64EEEvPT0_PKT_S7_iiiPKb.numbered_sgpr, 12
	.set _ZN12_GLOBAL__N_121softmax_warp_backwardIN3c104HalfES2_fLi5ELb1ELb0ELi64EEEvPT0_PKT_S7_iiiPKb.num_named_barrier, 0
	.set _ZN12_GLOBAL__N_121softmax_warp_backwardIN3c104HalfES2_fLi5ELb1ELb0ELi64EEEvPT0_PKT_S7_iiiPKb.private_seg_size, 0
	.set _ZN12_GLOBAL__N_121softmax_warp_backwardIN3c104HalfES2_fLi5ELb1ELb0ELi64EEEvPT0_PKT_S7_iiiPKb.uses_vcc, 1
	.set _ZN12_GLOBAL__N_121softmax_warp_backwardIN3c104HalfES2_fLi5ELb1ELb0ELi64EEEvPT0_PKT_S7_iiiPKb.uses_flat_scratch, 0
	.set _ZN12_GLOBAL__N_121softmax_warp_backwardIN3c104HalfES2_fLi5ELb1ELb0ELi64EEEvPT0_PKT_S7_iiiPKb.has_dyn_sized_stack, 0
	.set _ZN12_GLOBAL__N_121softmax_warp_backwardIN3c104HalfES2_fLi5ELb1ELb0ELi64EEEvPT0_PKT_S7_iiiPKb.has_recursion, 0
	.set _ZN12_GLOBAL__N_121softmax_warp_backwardIN3c104HalfES2_fLi5ELb1ELb0ELi64EEEvPT0_PKT_S7_iiiPKb.has_indirect_call, 0
	.section	.AMDGPU.csdata,"",@progbits
; Kernel info:
; codeLenInByte = 940
; TotalNumSgprs: 14
; NumVgprs: 14
; ScratchSize: 0
; MemoryBound: 0
; FloatMode: 240
; IeeeMode: 1
; LDSByteSize: 0 bytes/workgroup (compile time only)
; SGPRBlocks: 0
; VGPRBlocks: 1
; NumSGPRsForWavesPerEU: 14
; NumVGPRsForWavesPerEU: 14
; Occupancy: 16
; WaveLimiterHint : 0
; COMPUTE_PGM_RSRC2:SCRATCH_EN: 0
; COMPUTE_PGM_RSRC2:USER_SGPR: 6
; COMPUTE_PGM_RSRC2:TRAP_HANDLER: 0
; COMPUTE_PGM_RSRC2:TGID_X_EN: 1
; COMPUTE_PGM_RSRC2:TGID_Y_EN: 0
; COMPUTE_PGM_RSRC2:TGID_Z_EN: 0
; COMPUTE_PGM_RSRC2:TIDIG_COMP_CNT: 1
	.section	.text._ZN12_GLOBAL__N_121softmax_warp_backwardIN3c104HalfES2_fLi5ELb1ELb0ELi32EEEvPT0_PKT_S7_iiiPKb,"axG",@progbits,_ZN12_GLOBAL__N_121softmax_warp_backwardIN3c104HalfES2_fLi5ELb1ELb0ELi32EEEvPT0_PKT_S7_iiiPKb,comdat
	.globl	_ZN12_GLOBAL__N_121softmax_warp_backwardIN3c104HalfES2_fLi5ELb1ELb0ELi32EEEvPT0_PKT_S7_iiiPKb ; -- Begin function _ZN12_GLOBAL__N_121softmax_warp_backwardIN3c104HalfES2_fLi5ELb1ELb0ELi32EEEvPT0_PKT_S7_iiiPKb
	.p2align	8
	.type	_ZN12_GLOBAL__N_121softmax_warp_backwardIN3c104HalfES2_fLi5ELb1ELb0ELi32EEEvPT0_PKT_S7_iiiPKb,@function
_ZN12_GLOBAL__N_121softmax_warp_backwardIN3c104HalfES2_fLi5ELb1ELb0ELi32EEEvPT0_PKT_S7_iiiPKb: ; @_ZN12_GLOBAL__N_121softmax_warp_backwardIN3c104HalfES2_fLi5ELb1ELb0ELi32EEEvPT0_PKT_S7_iiiPKb
; %bb.0:
	s_clause 0x1
	s_load_dword s7, s[4:5], 0x3c
	s_load_dwordx4 s[0:3], s[4:5], 0x18
	v_and_b32_e32 v2, 31, v0
	s_clause 0x1
	s_load_dwordx4 s[8:11], s[4:5], 0x0
	s_load_dwordx2 s[4:5], s[4:5], 0x10
	v_mov_b32_e32 v7, 0
	v_mov_b32_e32 v8, 0
	s_waitcnt lgkmcnt(0)
	s_lshr_b32 s3, s7, 16
	v_cmp_gt_i32_e32 vcc_lo, s2, v2
	s_and_b32 s3, s3, 0xffff
	s_mul_i32 s6, s6, s3
	v_add_lshl_u32 v3, s6, v1, 1
	v_mad_u64_u32 v[0:1], null, v3, s1, v[2:3]
	v_sub_nc_u32_e32 v6, s0, v3
	v_cmp_lt_i32_e64 s0, 0, v6
	v_ashrrev_i32_e32 v1, 31, v0
	s_and_b32 s3, vcc_lo, s0
	v_lshlrev_b64 v[0:1], 1, v[0:1]
	v_add_co_u32 v2, s1, s10, v0
	v_add_co_ci_u32_e64 v3, null, s11, v1, s1
	v_add_co_u32 v4, s1, s4, v0
	v_add_co_ci_u32_e64 v5, null, s5, v1, s1
	s_and_saveexec_b32 s1, s3
	s_cbranch_execz .LBB263_2
; %bb.1:
	global_load_ushort v7, v[2:3], off
	global_load_ushort v9, v[4:5], off
	s_waitcnt vmcnt(1)
	v_cvt_f32_f16_e32 v8, v7
	s_waitcnt vmcnt(0)
	v_cvt_f32_f16_e32 v7, v9
.LBB263_2:
	s_or_b32 exec_lo, exec_lo, s1
	v_cmp_gt_i32_e64 s1, 2, v6
	s_xor_b32 s3, vcc_lo, -1
	s_or_b32 s1, s3, s1
	s_and_saveexec_b32 s3, s1
	s_xor_b32 s1, exec_lo, s3
                                        ; implicit-def: $vgpr9
; %bb.3:
	v_mov_b32_e32 v9, 0
                                        ; implicit-def: $vgpr4
                                        ; implicit-def: $vgpr2
; %bb.4:
	s_or_saveexec_b32 s4, s1
	v_mov_b32_e32 v10, 1.0
	s_xor_b32 exec_lo, exec_lo, s4
	s_cbranch_execz .LBB263_6
; %bb.5:
	s_mov_b32 s3, 0
	s_lshl_b64 s[6:7], s[2:3], 1
	v_add_co_u32 v4, s1, v4, s6
	v_add_co_ci_u32_e64 v5, null, s7, v5, s1
	v_add_co_u32 v2, s1, v2, s6
	v_add_co_ci_u32_e64 v3, null, s7, v3, s1
	global_load_ushort v4, v[4:5], off
	s_mov_b32 s1, 0x3fb8aa3b
	global_load_ushort v2, v[2:3], off
	s_waitcnt vmcnt(1)
	v_cvt_f32_f16_e32 v3, v4
	v_mul_f32_e32 v5, 0x3fb8aa3b, v3
	v_fma_mix_f32 v9, v4, s1, -v5 op_sel_hi:[1,0,0]
	v_rndne_f32_e32 v10, v5
	s_mov_b32 s1, 0x32a5705f
	v_fma_mix_f32 v4, v4, s1, v9 op_sel_hi:[1,0,0]
	v_sub_f32_e32 v5, v5, v10
	v_cmp_ngt_f32_e64 s1, 0xc2ce8ed0, v3
	s_waitcnt vmcnt(0)
	v_cvt_f32_f16_e32 v9, v2
	v_add_f32_e32 v4, v5, v4
	v_cvt_i32_f32_e32 v5, v10
	v_exp_f32_e32 v4, v4
	v_ldexp_f32 v4, v4, v5
	v_cndmask_b32_e64 v4, 0, v4, s1
	v_cmp_nlt_f32_e64 s1, 0x42b17218, v3
	v_cndmask_b32_e64 v10, 0x7f800000, v4, s1
.LBB263_6:
	s_or_b32 exec_lo, exec_lo, s4
	v_mbcnt_lo_u32_b32 v2, -1, 0
	v_add_f32_e32 v4, 0, v8
	v_add_f32_e32 v5, 0, v9
	v_xor_b32_e32 v3, 16, v2
	v_xor_b32_e32 v12, 8, v2
	v_cmp_gt_i32_e64 s1, 32, v3
	v_cndmask_b32_e64 v3, v2, v3, s1
	v_cmp_gt_i32_e64 s1, 32, v12
	v_lshlrev_b32_e32 v3, 2, v3
	v_cndmask_b32_e64 v12, v2, v12, s1
	ds_bpermute_b32 v11, v3, v4
	ds_bpermute_b32 v3, v3, v5
	v_lshlrev_b32_e32 v12, 2, v12
	s_waitcnt lgkmcnt(1)
	v_add_f32_e32 v4, v4, v11
	s_waitcnt lgkmcnt(0)
	v_add_f32_e32 v3, v5, v3
	ds_bpermute_b32 v5, v12, v4
	ds_bpermute_b32 v11, v12, v3
	v_xor_b32_e32 v12, 4, v2
	v_cmp_gt_i32_e64 s1, 32, v12
	v_cndmask_b32_e64 v12, v2, v12, s1
	v_lshlrev_b32_e32 v12, 2, v12
	s_waitcnt lgkmcnt(1)
	v_add_f32_e32 v4, v4, v5
	s_waitcnt lgkmcnt(0)
	v_add_f32_e32 v3, v3, v11
	ds_bpermute_b32 v5, v12, v4
	ds_bpermute_b32 v11, v12, v3
	v_xor_b32_e32 v12, 2, v2
	v_cmp_gt_i32_e64 s1, 32, v12
	v_cndmask_b32_e64 v12, v2, v12, s1
	;; [unrolled: 10-line block ×3, first 2 shown]
	v_lshlrev_b32_e32 v12, 2, v2
	s_waitcnt lgkmcnt(1)
	v_add_f32_e32 v4, v4, v5
	s_waitcnt lgkmcnt(0)
	v_add_f32_e32 v2, v3, v11
	ds_bpermute_b32 v5, v12, v4
	ds_bpermute_b32 v3, v12, v2
	s_and_saveexec_b32 s1, s0
	s_cbranch_execz .LBB263_11
; %bb.7:
	v_add_co_u32 v0, s0, s8, v0
	v_add_co_ci_u32_e64 v1, null, s9, v1, s0
	s_and_saveexec_b32 s1, vcc_lo
	s_cbranch_execz .LBB263_9
; %bb.8:
	v_mul_f32_e32 v11, 0x3fb8aa3b, v7
	v_cmp_ngt_f32_e64 s0, 0xc2ce8ed0, v7
	s_waitcnt lgkmcnt(1)
	v_add_f32_e32 v4, v4, v5
	v_rndne_f32_e32 v12, v11
	v_fma_f32 v13, 0x3fb8aa3b, v7, -v11
	v_sub_f32_e32 v11, v11, v12
	v_fmamk_f32 v13, v7, 0x32a5705f, v13
	v_cvt_i32_f32_e32 v12, v12
	v_add_f32_e32 v11, v11, v13
	v_exp_f32_e32 v11, v11
	v_ldexp_f32 v11, v11, v12
	v_cndmask_b32_e64 v11, 0, v11, s0
	v_cmp_nlt_f32_e64 s0, 0x42b17218, v7
	v_cndmask_b32_e64 v5, 0x7f800000, v11, s0
	v_fma_mixlo_f16 v4, -v4, v5, v8
	global_store_short v[0:1], v4, off
.LBB263_9:
	s_or_b32 exec_lo, exec_lo, s1
	v_cmp_ne_u32_e64 s0, 1, v6
	s_and_b32 s0, s0, vcc_lo
	s_and_b32 exec_lo, exec_lo, s0
	s_cbranch_execz .LBB263_11
; %bb.10:
	s_mov_b32 s3, 0
	s_waitcnt lgkmcnt(0)
	v_add_f32_e32 v2, v2, v3
	s_lshl_b64 s[0:1], s[2:3], 1
	v_add_co_u32 v0, vcc_lo, v0, s0
	v_add_co_ci_u32_e64 v1, null, s1, v1, vcc_lo
	v_fma_mixlo_f16 v2, -v2, v10, v9
	global_store_short v[0:1], v2, off
.LBB263_11:
	s_endpgm
	.section	.rodata,"a",@progbits
	.p2align	6, 0x0
	.amdhsa_kernel _ZN12_GLOBAL__N_121softmax_warp_backwardIN3c104HalfES2_fLi5ELb1ELb0ELi32EEEvPT0_PKT_S7_iiiPKb
		.amdhsa_group_segment_fixed_size 0
		.amdhsa_private_segment_fixed_size 0
		.amdhsa_kernarg_size 304
		.amdhsa_user_sgpr_count 6
		.amdhsa_user_sgpr_private_segment_buffer 1
		.amdhsa_user_sgpr_dispatch_ptr 0
		.amdhsa_user_sgpr_queue_ptr 0
		.amdhsa_user_sgpr_kernarg_segment_ptr 1
		.amdhsa_user_sgpr_dispatch_id 0
		.amdhsa_user_sgpr_flat_scratch_init 0
		.amdhsa_user_sgpr_private_segment_size 0
		.amdhsa_wavefront_size32 1
		.amdhsa_uses_dynamic_stack 0
		.amdhsa_system_sgpr_private_segment_wavefront_offset 0
		.amdhsa_system_sgpr_workgroup_id_x 1
		.amdhsa_system_sgpr_workgroup_id_y 0
		.amdhsa_system_sgpr_workgroup_id_z 0
		.amdhsa_system_sgpr_workgroup_info 0
		.amdhsa_system_vgpr_workitem_id 1
		.amdhsa_next_free_vgpr 14
		.amdhsa_next_free_sgpr 12
		.amdhsa_reserve_vcc 1
		.amdhsa_reserve_flat_scratch 0
		.amdhsa_float_round_mode_32 0
		.amdhsa_float_round_mode_16_64 0
		.amdhsa_float_denorm_mode_32 3
		.amdhsa_float_denorm_mode_16_64 3
		.amdhsa_dx10_clamp 1
		.amdhsa_ieee_mode 1
		.amdhsa_fp16_overflow 0
		.amdhsa_workgroup_processor_mode 1
		.amdhsa_memory_ordered 1
		.amdhsa_forward_progress 1
		.amdhsa_shared_vgpr_count 0
		.amdhsa_exception_fp_ieee_invalid_op 0
		.amdhsa_exception_fp_denorm_src 0
		.amdhsa_exception_fp_ieee_div_zero 0
		.amdhsa_exception_fp_ieee_overflow 0
		.amdhsa_exception_fp_ieee_underflow 0
		.amdhsa_exception_fp_ieee_inexact 0
		.amdhsa_exception_int_div_zero 0
	.end_amdhsa_kernel
	.section	.text._ZN12_GLOBAL__N_121softmax_warp_backwardIN3c104HalfES2_fLi5ELb1ELb0ELi32EEEvPT0_PKT_S7_iiiPKb,"axG",@progbits,_ZN12_GLOBAL__N_121softmax_warp_backwardIN3c104HalfES2_fLi5ELb1ELb0ELi32EEEvPT0_PKT_S7_iiiPKb,comdat
.Lfunc_end263:
	.size	_ZN12_GLOBAL__N_121softmax_warp_backwardIN3c104HalfES2_fLi5ELb1ELb0ELi32EEEvPT0_PKT_S7_iiiPKb, .Lfunc_end263-_ZN12_GLOBAL__N_121softmax_warp_backwardIN3c104HalfES2_fLi5ELb1ELb0ELi32EEEvPT0_PKT_S7_iiiPKb
                                        ; -- End function
	.set _ZN12_GLOBAL__N_121softmax_warp_backwardIN3c104HalfES2_fLi5ELb1ELb0ELi32EEEvPT0_PKT_S7_iiiPKb.num_vgpr, 14
	.set _ZN12_GLOBAL__N_121softmax_warp_backwardIN3c104HalfES2_fLi5ELb1ELb0ELi32EEEvPT0_PKT_S7_iiiPKb.num_agpr, 0
	.set _ZN12_GLOBAL__N_121softmax_warp_backwardIN3c104HalfES2_fLi5ELb1ELb0ELi32EEEvPT0_PKT_S7_iiiPKb.numbered_sgpr, 12
	.set _ZN12_GLOBAL__N_121softmax_warp_backwardIN3c104HalfES2_fLi5ELb1ELb0ELi32EEEvPT0_PKT_S7_iiiPKb.num_named_barrier, 0
	.set _ZN12_GLOBAL__N_121softmax_warp_backwardIN3c104HalfES2_fLi5ELb1ELb0ELi32EEEvPT0_PKT_S7_iiiPKb.private_seg_size, 0
	.set _ZN12_GLOBAL__N_121softmax_warp_backwardIN3c104HalfES2_fLi5ELb1ELb0ELi32EEEvPT0_PKT_S7_iiiPKb.uses_vcc, 1
	.set _ZN12_GLOBAL__N_121softmax_warp_backwardIN3c104HalfES2_fLi5ELb1ELb0ELi32EEEvPT0_PKT_S7_iiiPKb.uses_flat_scratch, 0
	.set _ZN12_GLOBAL__N_121softmax_warp_backwardIN3c104HalfES2_fLi5ELb1ELb0ELi32EEEvPT0_PKT_S7_iiiPKb.has_dyn_sized_stack, 0
	.set _ZN12_GLOBAL__N_121softmax_warp_backwardIN3c104HalfES2_fLi5ELb1ELb0ELi32EEEvPT0_PKT_S7_iiiPKb.has_recursion, 0
	.set _ZN12_GLOBAL__N_121softmax_warp_backwardIN3c104HalfES2_fLi5ELb1ELb0ELi32EEEvPT0_PKT_S7_iiiPKb.has_indirect_call, 0
	.section	.AMDGPU.csdata,"",@progbits
; Kernel info:
; codeLenInByte = 940
; TotalNumSgprs: 14
; NumVgprs: 14
; ScratchSize: 0
; MemoryBound: 0
; FloatMode: 240
; IeeeMode: 1
; LDSByteSize: 0 bytes/workgroup (compile time only)
; SGPRBlocks: 0
; VGPRBlocks: 1
; NumSGPRsForWavesPerEU: 14
; NumVGPRsForWavesPerEU: 14
; Occupancy: 16
; WaveLimiterHint : 0
; COMPUTE_PGM_RSRC2:SCRATCH_EN: 0
; COMPUTE_PGM_RSRC2:USER_SGPR: 6
; COMPUTE_PGM_RSRC2:TRAP_HANDLER: 0
; COMPUTE_PGM_RSRC2:TGID_X_EN: 1
; COMPUTE_PGM_RSRC2:TGID_Y_EN: 0
; COMPUTE_PGM_RSRC2:TGID_Z_EN: 0
; COMPUTE_PGM_RSRC2:TIDIG_COMP_CNT: 1
	.section	.text._ZN12_GLOBAL__N_121softmax_warp_backwardIN3c104HalfES2_fLi6ELb1ELb0ELi64EEEvPT0_PKT_S7_iiiPKb,"axG",@progbits,_ZN12_GLOBAL__N_121softmax_warp_backwardIN3c104HalfES2_fLi6ELb1ELb0ELi64EEEvPT0_PKT_S7_iiiPKb,comdat
	.globl	_ZN12_GLOBAL__N_121softmax_warp_backwardIN3c104HalfES2_fLi6ELb1ELb0ELi64EEEvPT0_PKT_S7_iiiPKb ; -- Begin function _ZN12_GLOBAL__N_121softmax_warp_backwardIN3c104HalfES2_fLi6ELb1ELb0ELi64EEEvPT0_PKT_S7_iiiPKb
	.p2align	8
	.type	_ZN12_GLOBAL__N_121softmax_warp_backwardIN3c104HalfES2_fLi6ELb1ELb0ELi64EEEvPT0_PKT_S7_iiiPKb,@function
_ZN12_GLOBAL__N_121softmax_warp_backwardIN3c104HalfES2_fLi6ELb1ELb0ELi64EEEvPT0_PKT_S7_iiiPKb: ; @_ZN12_GLOBAL__N_121softmax_warp_backwardIN3c104HalfES2_fLi6ELb1ELb0ELi64EEEvPT0_PKT_S7_iiiPKb
; %bb.0:
	s_clause 0x1
	s_load_dword s7, s[4:5], 0x3c
	s_load_dwordx4 s[0:3], s[4:5], 0x18
	v_and_b32_e32 v2, 63, v0
	s_clause 0x1
	s_load_dwordx4 s[8:11], s[4:5], 0x0
	s_load_dwordx2 s[4:5], s[4:5], 0x10
	v_mov_b32_e32 v7, 0
	v_mov_b32_e32 v8, 0
	s_waitcnt lgkmcnt(0)
	s_lshr_b32 s3, s7, 16
	v_cmp_gt_i32_e32 vcc_lo, s2, v2
	s_and_b32 s3, s3, 0xffff
	s_mul_i32 s6, s6, s3
	v_add_lshl_u32 v3, s6, v1, 1
	v_mad_u64_u32 v[0:1], null, v3, s1, v[2:3]
	v_sub_nc_u32_e32 v6, s0, v3
	v_cmp_lt_i32_e64 s0, 0, v6
	v_ashrrev_i32_e32 v1, 31, v0
	s_and_b32 s3, vcc_lo, s0
	v_lshlrev_b64 v[0:1], 1, v[0:1]
	v_add_co_u32 v2, s1, s10, v0
	v_add_co_ci_u32_e64 v3, null, s11, v1, s1
	v_add_co_u32 v4, s1, s4, v0
	v_add_co_ci_u32_e64 v5, null, s5, v1, s1
	s_and_saveexec_b32 s1, s3
	s_cbranch_execz .LBB264_2
; %bb.1:
	global_load_ushort v7, v[2:3], off
	global_load_ushort v9, v[4:5], off
	s_waitcnt vmcnt(1)
	v_cvt_f32_f16_e32 v8, v7
	s_waitcnt vmcnt(0)
	v_cvt_f32_f16_e32 v7, v9
.LBB264_2:
	s_or_b32 exec_lo, exec_lo, s1
	v_cmp_gt_i32_e64 s1, 2, v6
	s_xor_b32 s3, vcc_lo, -1
	s_or_b32 s1, s3, s1
	s_and_saveexec_b32 s3, s1
	s_xor_b32 s1, exec_lo, s3
                                        ; implicit-def: $vgpr9
; %bb.3:
	v_mov_b32_e32 v9, 0
                                        ; implicit-def: $vgpr4
                                        ; implicit-def: $vgpr2
; %bb.4:
	s_or_saveexec_b32 s4, s1
	v_mov_b32_e32 v10, 1.0
	s_xor_b32 exec_lo, exec_lo, s4
	s_cbranch_execz .LBB264_6
; %bb.5:
	s_mov_b32 s3, 0
	s_lshl_b64 s[6:7], s[2:3], 1
	v_add_co_u32 v4, s1, v4, s6
	v_add_co_ci_u32_e64 v5, null, s7, v5, s1
	v_add_co_u32 v2, s1, v2, s6
	v_add_co_ci_u32_e64 v3, null, s7, v3, s1
	global_load_ushort v4, v[4:5], off
	s_mov_b32 s1, 0x3fb8aa3b
	global_load_ushort v2, v[2:3], off
	s_waitcnt vmcnt(1)
	v_cvt_f32_f16_e32 v3, v4
	v_mul_f32_e32 v5, 0x3fb8aa3b, v3
	v_fma_mix_f32 v9, v4, s1, -v5 op_sel_hi:[1,0,0]
	v_rndne_f32_e32 v10, v5
	s_mov_b32 s1, 0x32a5705f
	v_fma_mix_f32 v4, v4, s1, v9 op_sel_hi:[1,0,0]
	v_sub_f32_e32 v5, v5, v10
	v_cmp_ngt_f32_e64 s1, 0xc2ce8ed0, v3
	s_waitcnt vmcnt(0)
	v_cvt_f32_f16_e32 v9, v2
	v_add_f32_e32 v4, v5, v4
	v_cvt_i32_f32_e32 v5, v10
	v_exp_f32_e32 v4, v4
	v_ldexp_f32 v4, v4, v5
	v_cndmask_b32_e64 v4, 0, v4, s1
	v_cmp_nlt_f32_e64 s1, 0x42b17218, v3
	v_cndmask_b32_e64 v10, 0x7f800000, v4, s1
.LBB264_6:
	s_or_b32 exec_lo, exec_lo, s4
	v_mbcnt_lo_u32_b32 v2, -1, 0
	v_add_f32_e32 v4, 0, v8
	v_add_f32_e32 v5, 0, v9
	v_or_b32_e32 v3, 32, v2
	v_xor_b32_e32 v12, 16, v2
	v_cmp_gt_i32_e64 s1, 64, v3
	v_cndmask_b32_e64 v3, v2, v3, s1
	v_cmp_gt_i32_e64 s1, 64, v12
	v_lshlrev_b32_e32 v3, 2, v3
	v_cndmask_b32_e64 v12, v2, v12, s1
	ds_bpermute_b32 v11, v3, v4
	ds_bpermute_b32 v3, v3, v5
	v_lshlrev_b32_e32 v12, 2, v12
	s_waitcnt lgkmcnt(1)
	v_add_f32_e32 v4, v4, v11
	s_waitcnt lgkmcnt(0)
	v_add_f32_e32 v3, v5, v3
	ds_bpermute_b32 v5, v12, v4
	ds_bpermute_b32 v11, v12, v3
	v_xor_b32_e32 v12, 8, v2
	v_cmp_gt_i32_e64 s1, 64, v12
	v_cndmask_b32_e64 v12, v2, v12, s1
	v_lshlrev_b32_e32 v12, 2, v12
	s_waitcnt lgkmcnt(1)
	v_add_f32_e32 v4, v4, v5
	s_waitcnt lgkmcnt(0)
	v_add_f32_e32 v3, v3, v11
	ds_bpermute_b32 v5, v12, v4
	ds_bpermute_b32 v11, v12, v3
	v_xor_b32_e32 v12, 4, v2
	v_cmp_gt_i32_e64 s1, 64, v12
	v_cndmask_b32_e64 v12, v2, v12, s1
	;; [unrolled: 10-line block ×4, first 2 shown]
	v_lshlrev_b32_e32 v12, 2, v2
	s_waitcnt lgkmcnt(1)
	v_add_f32_e32 v4, v4, v5
	s_waitcnt lgkmcnt(0)
	v_add_f32_e32 v2, v3, v11
	ds_bpermute_b32 v5, v12, v4
	ds_bpermute_b32 v3, v12, v2
	s_and_saveexec_b32 s1, s0
	s_cbranch_execz .LBB264_11
; %bb.7:
	v_add_co_u32 v0, s0, s8, v0
	v_add_co_ci_u32_e64 v1, null, s9, v1, s0
	s_and_saveexec_b32 s1, vcc_lo
	s_cbranch_execz .LBB264_9
; %bb.8:
	v_mul_f32_e32 v11, 0x3fb8aa3b, v7
	v_cmp_ngt_f32_e64 s0, 0xc2ce8ed0, v7
	s_waitcnt lgkmcnt(1)
	v_add_f32_e32 v4, v4, v5
	v_rndne_f32_e32 v12, v11
	v_fma_f32 v13, 0x3fb8aa3b, v7, -v11
	v_sub_f32_e32 v11, v11, v12
	v_fmamk_f32 v13, v7, 0x32a5705f, v13
	v_cvt_i32_f32_e32 v12, v12
	v_add_f32_e32 v11, v11, v13
	v_exp_f32_e32 v11, v11
	v_ldexp_f32 v11, v11, v12
	v_cndmask_b32_e64 v11, 0, v11, s0
	v_cmp_nlt_f32_e64 s0, 0x42b17218, v7
	v_cndmask_b32_e64 v5, 0x7f800000, v11, s0
	v_fma_mixlo_f16 v4, -v4, v5, v8
	global_store_short v[0:1], v4, off
.LBB264_9:
	s_or_b32 exec_lo, exec_lo, s1
	v_cmp_ne_u32_e64 s0, 1, v6
	s_and_b32 s0, s0, vcc_lo
	s_and_b32 exec_lo, exec_lo, s0
	s_cbranch_execz .LBB264_11
; %bb.10:
	s_mov_b32 s3, 0
	s_waitcnt lgkmcnt(0)
	v_add_f32_e32 v2, v2, v3
	s_lshl_b64 s[0:1], s[2:3], 1
	v_add_co_u32 v0, vcc_lo, v0, s0
	v_add_co_ci_u32_e64 v1, null, s1, v1, vcc_lo
	v_fma_mixlo_f16 v2, -v2, v10, v9
	global_store_short v[0:1], v2, off
.LBB264_11:
	s_endpgm
	.section	.rodata,"a",@progbits
	.p2align	6, 0x0
	.amdhsa_kernel _ZN12_GLOBAL__N_121softmax_warp_backwardIN3c104HalfES2_fLi6ELb1ELb0ELi64EEEvPT0_PKT_S7_iiiPKb
		.amdhsa_group_segment_fixed_size 0
		.amdhsa_private_segment_fixed_size 0
		.amdhsa_kernarg_size 304
		.amdhsa_user_sgpr_count 6
		.amdhsa_user_sgpr_private_segment_buffer 1
		.amdhsa_user_sgpr_dispatch_ptr 0
		.amdhsa_user_sgpr_queue_ptr 0
		.amdhsa_user_sgpr_kernarg_segment_ptr 1
		.amdhsa_user_sgpr_dispatch_id 0
		.amdhsa_user_sgpr_flat_scratch_init 0
		.amdhsa_user_sgpr_private_segment_size 0
		.amdhsa_wavefront_size32 1
		.amdhsa_uses_dynamic_stack 0
		.amdhsa_system_sgpr_private_segment_wavefront_offset 0
		.amdhsa_system_sgpr_workgroup_id_x 1
		.amdhsa_system_sgpr_workgroup_id_y 0
		.amdhsa_system_sgpr_workgroup_id_z 0
		.amdhsa_system_sgpr_workgroup_info 0
		.amdhsa_system_vgpr_workitem_id 1
		.amdhsa_next_free_vgpr 14
		.amdhsa_next_free_sgpr 12
		.amdhsa_reserve_vcc 1
		.amdhsa_reserve_flat_scratch 0
		.amdhsa_float_round_mode_32 0
		.amdhsa_float_round_mode_16_64 0
		.amdhsa_float_denorm_mode_32 3
		.amdhsa_float_denorm_mode_16_64 3
		.amdhsa_dx10_clamp 1
		.amdhsa_ieee_mode 1
		.amdhsa_fp16_overflow 0
		.amdhsa_workgroup_processor_mode 1
		.amdhsa_memory_ordered 1
		.amdhsa_forward_progress 1
		.amdhsa_shared_vgpr_count 0
		.amdhsa_exception_fp_ieee_invalid_op 0
		.amdhsa_exception_fp_denorm_src 0
		.amdhsa_exception_fp_ieee_div_zero 0
		.amdhsa_exception_fp_ieee_overflow 0
		.amdhsa_exception_fp_ieee_underflow 0
		.amdhsa_exception_fp_ieee_inexact 0
		.amdhsa_exception_int_div_zero 0
	.end_amdhsa_kernel
	.section	.text._ZN12_GLOBAL__N_121softmax_warp_backwardIN3c104HalfES2_fLi6ELb1ELb0ELi64EEEvPT0_PKT_S7_iiiPKb,"axG",@progbits,_ZN12_GLOBAL__N_121softmax_warp_backwardIN3c104HalfES2_fLi6ELb1ELb0ELi64EEEvPT0_PKT_S7_iiiPKb,comdat
.Lfunc_end264:
	.size	_ZN12_GLOBAL__N_121softmax_warp_backwardIN3c104HalfES2_fLi6ELb1ELb0ELi64EEEvPT0_PKT_S7_iiiPKb, .Lfunc_end264-_ZN12_GLOBAL__N_121softmax_warp_backwardIN3c104HalfES2_fLi6ELb1ELb0ELi64EEEvPT0_PKT_S7_iiiPKb
                                        ; -- End function
	.set _ZN12_GLOBAL__N_121softmax_warp_backwardIN3c104HalfES2_fLi6ELb1ELb0ELi64EEEvPT0_PKT_S7_iiiPKb.num_vgpr, 14
	.set _ZN12_GLOBAL__N_121softmax_warp_backwardIN3c104HalfES2_fLi6ELb1ELb0ELi64EEEvPT0_PKT_S7_iiiPKb.num_agpr, 0
	.set _ZN12_GLOBAL__N_121softmax_warp_backwardIN3c104HalfES2_fLi6ELb1ELb0ELi64EEEvPT0_PKT_S7_iiiPKb.numbered_sgpr, 12
	.set _ZN12_GLOBAL__N_121softmax_warp_backwardIN3c104HalfES2_fLi6ELb1ELb0ELi64EEEvPT0_PKT_S7_iiiPKb.num_named_barrier, 0
	.set _ZN12_GLOBAL__N_121softmax_warp_backwardIN3c104HalfES2_fLi6ELb1ELb0ELi64EEEvPT0_PKT_S7_iiiPKb.private_seg_size, 0
	.set _ZN12_GLOBAL__N_121softmax_warp_backwardIN3c104HalfES2_fLi6ELb1ELb0ELi64EEEvPT0_PKT_S7_iiiPKb.uses_vcc, 1
	.set _ZN12_GLOBAL__N_121softmax_warp_backwardIN3c104HalfES2_fLi6ELb1ELb0ELi64EEEvPT0_PKT_S7_iiiPKb.uses_flat_scratch, 0
	.set _ZN12_GLOBAL__N_121softmax_warp_backwardIN3c104HalfES2_fLi6ELb1ELb0ELi64EEEvPT0_PKT_S7_iiiPKb.has_dyn_sized_stack, 0
	.set _ZN12_GLOBAL__N_121softmax_warp_backwardIN3c104HalfES2_fLi6ELb1ELb0ELi64EEEvPT0_PKT_S7_iiiPKb.has_recursion, 0
	.set _ZN12_GLOBAL__N_121softmax_warp_backwardIN3c104HalfES2_fLi6ELb1ELb0ELi64EEEvPT0_PKT_S7_iiiPKb.has_indirect_call, 0
	.section	.AMDGPU.csdata,"",@progbits
; Kernel info:
; codeLenInByte = 996
; TotalNumSgprs: 14
; NumVgprs: 14
; ScratchSize: 0
; MemoryBound: 0
; FloatMode: 240
; IeeeMode: 1
; LDSByteSize: 0 bytes/workgroup (compile time only)
; SGPRBlocks: 0
; VGPRBlocks: 1
; NumSGPRsForWavesPerEU: 14
; NumVGPRsForWavesPerEU: 14
; Occupancy: 16
; WaveLimiterHint : 0
; COMPUTE_PGM_RSRC2:SCRATCH_EN: 0
; COMPUTE_PGM_RSRC2:USER_SGPR: 6
; COMPUTE_PGM_RSRC2:TRAP_HANDLER: 0
; COMPUTE_PGM_RSRC2:TGID_X_EN: 1
; COMPUTE_PGM_RSRC2:TGID_Y_EN: 0
; COMPUTE_PGM_RSRC2:TGID_Z_EN: 0
; COMPUTE_PGM_RSRC2:TIDIG_COMP_CNT: 1
	.section	.text._ZN12_GLOBAL__N_121softmax_warp_backwardIN3c104HalfES2_fLi6ELb1ELb0ELi32EEEvPT0_PKT_S7_iiiPKb,"axG",@progbits,_ZN12_GLOBAL__N_121softmax_warp_backwardIN3c104HalfES2_fLi6ELb1ELb0ELi32EEEvPT0_PKT_S7_iiiPKb,comdat
	.globl	_ZN12_GLOBAL__N_121softmax_warp_backwardIN3c104HalfES2_fLi6ELb1ELb0ELi32EEEvPT0_PKT_S7_iiiPKb ; -- Begin function _ZN12_GLOBAL__N_121softmax_warp_backwardIN3c104HalfES2_fLi6ELb1ELb0ELi32EEEvPT0_PKT_S7_iiiPKb
	.p2align	8
	.type	_ZN12_GLOBAL__N_121softmax_warp_backwardIN3c104HalfES2_fLi6ELb1ELb0ELi32EEEvPT0_PKT_S7_iiiPKb,@function
_ZN12_GLOBAL__N_121softmax_warp_backwardIN3c104HalfES2_fLi6ELb1ELb0ELi32EEEvPT0_PKT_S7_iiiPKb: ; @_ZN12_GLOBAL__N_121softmax_warp_backwardIN3c104HalfES2_fLi6ELb1ELb0ELi32EEEvPT0_PKT_S7_iiiPKb
; %bb.0:
	s_clause 0x1
	s_load_dword s0, s[4:5], 0x3c
	s_load_dwordx4 s[8:11], s[4:5], 0x18
	v_and_b32_e32 v6, 31, v0
	s_clause 0x1
	s_load_dwordx4 s[12:15], s[4:5], 0x0
	s_load_dwordx2 s[2:3], s[4:5], 0x10
	v_mov_b32_e32 v8, 1.0
	v_mov_b32_e32 v9, 0
	v_mov_b32_e32 v10, 0
	v_mov_b32_e32 v11, 1.0
	s_waitcnt lgkmcnt(0)
	s_lshr_b32 s0, s0, 16
	v_cmp_gt_i32_e32 vcc_lo, s10, v6
	s_and_b32 s0, s0, 0xffff
	s_mul_i32 s6, s6, s0
	v_add_lshl_u32 v2, s6, v1, 1
	v_mad_u64_u32 v[0:1], null, v2, s9, v[6:7]
	v_sub_nc_u32_e32 v7, s8, v2
	v_cmp_lt_i32_e64 s1, 0, v7
	v_ashrrev_i32_e32 v1, 31, v0
	v_lshlrev_b64 v[0:1], 1, v[0:1]
	v_add_co_u32 v2, s0, s14, v0
	v_add_co_ci_u32_e64 v3, null, s15, v1, s0
	v_add_co_u32 v4, s0, s2, v0
	v_add_co_ci_u32_e64 v5, null, s3, v1, s0
	s_and_b32 s0, s1, vcc_lo
	s_and_saveexec_b32 s2, s0
	s_cbranch_execz .LBB265_2
; %bb.1:
	global_load_ushort v10, v[4:5], off
	global_load_ushort v11, v[2:3], off
	s_mov_b32 s0, 0x3fb8aa3b
	s_waitcnt vmcnt(1)
	v_cvt_f32_f16_e32 v12, v10
	v_mul_f32_e32 v13, 0x3fb8aa3b, v12
	v_rndne_f32_e32 v14, v13
	v_fma_mix_f32 v15, v10, s0, -v13 op_sel_hi:[1,0,0]
	s_mov_b32 s0, 0x32a5705f
	v_sub_f32_e32 v13, v13, v14
	v_fma_mix_f32 v10, v10, s0, v15 op_sel_hi:[1,0,0]
	v_cmp_ngt_f32_e64 s0, 0xc2ce8ed0, v12
	v_add_f32_e32 v10, v13, v10
	v_cvt_i32_f32_e32 v13, v14
	v_exp_f32_e32 v10, v10
	v_ldexp_f32 v10, v10, v13
	v_cndmask_b32_e64 v13, 0, v10, s0
	v_cmp_nlt_f32_e64 s0, 0x42b17218, v12
	s_waitcnt vmcnt(0)
	v_cvt_f32_f16_e32 v10, v11
	v_cndmask_b32_e64 v11, 0x7f800000, v13, s0
.LBB265_2:
	s_or_b32 exec_lo, exec_lo, s2
	v_or_b32_e32 v6, 32, v6
	v_cmp_gt_i32_e64 s0, s10, v6
	s_and_b32 s2, s1, s0
	s_and_saveexec_b32 s3, s2
	s_cbranch_execz .LBB265_4
; %bb.3:
	global_load_ushort v6, v[4:5], off offset:64
	global_load_ushort v8, v[2:3], off offset:64
	s_mov_b32 s2, 0x3fb8aa3b
	s_waitcnt vmcnt(1)
	v_cvt_f32_f16_e32 v12, v6
	v_mul_f32_e32 v9, 0x3fb8aa3b, v12
	v_rndne_f32_e32 v13, v9
	v_fma_mix_f32 v14, v6, s2, -v9 op_sel_hi:[1,0,0]
	s_mov_b32 s2, 0x32a5705f
	v_sub_f32_e32 v9, v9, v13
	v_fma_mix_f32 v6, v6, s2, v14 op_sel_hi:[1,0,0]
	v_cmp_ngt_f32_e64 s2, 0xc2ce8ed0, v12
	v_add_f32_e32 v6, v9, v6
	v_cvt_i32_f32_e32 v9, v13
	v_exp_f32_e32 v6, v6
	v_ldexp_f32 v6, v6, v9
	s_waitcnt vmcnt(0)
	v_cvt_f32_f16_e32 v9, v8
	v_cndmask_b32_e64 v6, 0, v6, s2
	v_cmp_nlt_f32_e64 s2, 0x42b17218, v12
	v_cndmask_b32_e64 v8, 0x7f800000, v6, s2
.LBB265_4:
	s_or_b32 exec_lo, exec_lo, s3
	v_cmp_lt_i32_e64 s2, 1, v7
	v_mov_b32_e32 v12, 1.0
	v_mov_b32_e32 v6, 0
	v_mov_b32_e32 v13, 0
	v_mov_b32_e32 v14, 1.0
	s_and_b32 s3, s2, vcc_lo
	s_and_saveexec_b32 s4, s3
	s_cbranch_execz .LBB265_6
; %bb.5:
	s_mov_b32 s11, 0
	s_lshl_b64 s[6:7], s[10:11], 1
	v_add_co_u32 v13, s3, v4, s6
	v_add_co_ci_u32_e64 v14, null, s7, v5, s3
	global_load_ushort v15, v[13:14], off
	v_add_co_u32 v13, s3, v2, s6
	v_add_co_ci_u32_e64 v14, null, s7, v3, s3
	s_mov_b32 s3, 0x3fb8aa3b
	global_load_ushort v13, v[13:14], off
	s_waitcnt vmcnt(1)
	v_cvt_f32_f16_e32 v14, v15
	v_mul_f32_e32 v16, 0x3fb8aa3b, v14
	s_waitcnt vmcnt(0)
	v_cvt_f32_f16_e32 v13, v13
	v_fma_mix_f32 v17, v15, s3, -v16 op_sel_hi:[1,0,0]
	v_rndne_f32_e32 v18, v16
	s_mov_b32 s3, 0x32a5705f
	v_fma_mix_f32 v15, v15, s3, v17 op_sel_hi:[1,0,0]
	v_sub_f32_e32 v16, v16, v18
	v_cmp_ngt_f32_e64 s3, 0xc2ce8ed0, v14
	v_add_f32_e32 v15, v16, v15
	v_cvt_i32_f32_e32 v16, v18
	v_exp_f32_e32 v15, v15
	v_ldexp_f32 v15, v15, v16
	v_cndmask_b32_e64 v15, 0, v15, s3
	v_cmp_nlt_f32_e64 s3, 0x42b17218, v14
	v_cndmask_b32_e64 v14, 0x7f800000, v15, s3
.LBB265_6:
	s_or_b32 exec_lo, exec_lo, s4
	s_and_b32 s2, s2, s0
	s_and_saveexec_b32 s3, s2
	s_cbranch_execz .LBB265_8
; %bb.7:
	s_mov_b32 s11, 0
	s_lshl_b64 s[4:5], s[10:11], 1
	v_add_co_u32 v4, s2, v4, s4
	v_add_co_ci_u32_e64 v5, null, s5, v5, s2
	v_add_co_u32 v2, s2, v2, s4
	v_add_co_ci_u32_e64 v3, null, s5, v3, s2
	global_load_ushort v4, v[4:5], off offset:64
	s_mov_b32 s2, 0x3fb8aa3b
	global_load_ushort v2, v[2:3], off offset:64
	s_waitcnt vmcnt(1)
	v_cvt_f32_f16_e32 v3, v4
	v_mul_f32_e32 v5, 0x3fb8aa3b, v3
	v_fma_mix_f32 v6, v4, s2, -v5 op_sel_hi:[1,0,0]
	v_rndne_f32_e32 v12, v5
	s_mov_b32 s2, 0x32a5705f
	v_fma_mix_f32 v4, v4, s2, v6 op_sel_hi:[1,0,0]
	v_sub_f32_e32 v5, v5, v12
	v_cmp_ngt_f32_e64 s2, 0xc2ce8ed0, v3
	s_waitcnt vmcnt(0)
	v_cvt_f32_f16_e32 v6, v2
	v_add_f32_e32 v4, v5, v4
	v_cvt_i32_f32_e32 v5, v12
	v_exp_f32_e32 v4, v4
	v_ldexp_f32 v4, v4, v5
	v_cndmask_b32_e64 v4, 0, v4, s2
	v_cmp_nlt_f32_e64 s2, 0x42b17218, v3
	v_cndmask_b32_e64 v12, 0x7f800000, v4, s2
.LBB265_8:
	s_or_b32 exec_lo, exec_lo, s3
	v_mbcnt_lo_u32_b32 v2, -1, 0
	v_add_f32_e32 v4, 0, v10
	v_add_f32_e32 v5, 0, v13
	v_xor_b32_e32 v3, 16, v2
	v_add_f32_e32 v4, v4, v9
	v_add_f32_e32 v5, v5, v6
	v_xor_b32_e32 v16, 8, v2
	v_cmp_gt_i32_e64 s2, 32, v3
	v_cndmask_b32_e64 v3, v2, v3, s2
	v_cmp_gt_i32_e64 s2, 32, v16
	v_lshlrev_b32_e32 v3, 2, v3
	v_cndmask_b32_e64 v16, v2, v16, s2
	ds_bpermute_b32 v15, v3, v4
	ds_bpermute_b32 v3, v3, v5
	v_lshlrev_b32_e32 v16, 2, v16
	s_waitcnt lgkmcnt(1)
	v_add_f32_e32 v4, v4, v15
	s_waitcnt lgkmcnt(0)
	v_add_f32_e32 v3, v5, v3
	ds_bpermute_b32 v5, v16, v4
	ds_bpermute_b32 v15, v16, v3
	v_xor_b32_e32 v16, 4, v2
	v_cmp_gt_i32_e64 s2, 32, v16
	v_cndmask_b32_e64 v16, v2, v16, s2
	v_lshlrev_b32_e32 v16, 2, v16
	s_waitcnt lgkmcnt(1)
	v_add_f32_e32 v4, v4, v5
	s_waitcnt lgkmcnt(0)
	v_add_f32_e32 v3, v3, v15
	ds_bpermute_b32 v5, v16, v4
	ds_bpermute_b32 v15, v16, v3
	v_xor_b32_e32 v16, 2, v2
	v_cmp_gt_i32_e64 s2, 32, v16
	v_cndmask_b32_e64 v16, v2, v16, s2
	v_lshlrev_b32_e32 v16, 2, v16
	s_waitcnt lgkmcnt(1)
	v_add_f32_e32 v4, v4, v5
	s_waitcnt lgkmcnt(0)
	v_add_f32_e32 v3, v3, v15
	ds_bpermute_b32 v5, v16, v4
	ds_bpermute_b32 v15, v16, v3
	v_xor_b32_e32 v16, 1, v2
	v_cmp_gt_i32_e64 s2, 32, v16
	v_cndmask_b32_e64 v2, v2, v16, s2
	v_lshlrev_b32_e32 v16, 2, v2
	s_waitcnt lgkmcnt(1)
	v_add_f32_e32 v4, v4, v5
	s_waitcnt lgkmcnt(0)
	v_add_f32_e32 v2, v3, v15
	ds_bpermute_b32 v5, v16, v4
	ds_bpermute_b32 v3, v16, v2
	s_and_saveexec_b32 s2, s1
	s_cbranch_execz .LBB265_12
; %bb.9:
	v_add_co_u32 v0, s1, s12, v0
	v_add_co_ci_u32_e64 v1, null, s13, v1, s1
	s_waitcnt lgkmcnt(1)
	v_add_f32_e32 v4, v4, v5
	s_and_saveexec_b32 s1, vcc_lo
	s_cbranch_execnz .LBB265_13
; %bb.10:
	s_or_b32 exec_lo, exec_lo, s1
	s_and_saveexec_b32 s1, s0
	s_cbranch_execnz .LBB265_14
.LBB265_11:
	s_or_b32 exec_lo, exec_lo, s1
	v_cmp_ne_u32_e64 s1, 1, v7
	s_and_b32 exec_lo, exec_lo, s1
	s_cbranch_execnz .LBB265_15
.LBB265_12:
	s_endpgm
.LBB265_13:
	v_fma_mixlo_f16 v5, -v4, v11, v10
	global_store_short v[0:1], v5, off
	s_or_b32 exec_lo, exec_lo, s1
	s_and_saveexec_b32 s1, s0
	s_cbranch_execz .LBB265_11
.LBB265_14:
	v_fma_mixlo_f16 v4, -v4, v8, v9
	global_store_short v[0:1], v4, off offset:64
	s_or_b32 exec_lo, exec_lo, s1
	v_cmp_ne_u32_e64 s1, 1, v7
	s_and_b32 exec_lo, exec_lo, s1
	s_cbranch_execz .LBB265_12
.LBB265_15:
	s_waitcnt lgkmcnt(0)
	v_add_f32_e32 v2, v2, v3
	s_and_saveexec_b32 s1, vcc_lo
	s_cbranch_execz .LBB265_17
; %bb.16:
	s_mov_b32 s11, 0
	v_fma_mixlo_f16 v5, -v2, v14, v13
	s_lshl_b64 s[2:3], s[10:11], 1
	v_add_co_u32 v3, vcc_lo, v0, s2
	v_add_co_ci_u32_e64 v4, null, s3, v1, vcc_lo
	global_store_short v[3:4], v5, off
.LBB265_17:
	s_or_b32 exec_lo, exec_lo, s1
	s_and_b32 exec_lo, exec_lo, s0
	s_cbranch_execz .LBB265_12
; %bb.18:
	s_mov_b32 s11, 0
	v_fma_mixlo_f16 v2, -v2, v12, v6
	s_lshl_b64 s[0:1], s[10:11], 1
	v_add_co_u32 v0, vcc_lo, v0, s0
	v_add_co_ci_u32_e64 v1, null, s1, v1, vcc_lo
	global_store_short v[0:1], v2, off offset:64
	s_endpgm
	.section	.rodata,"a",@progbits
	.p2align	6, 0x0
	.amdhsa_kernel _ZN12_GLOBAL__N_121softmax_warp_backwardIN3c104HalfES2_fLi6ELb1ELb0ELi32EEEvPT0_PKT_S7_iiiPKb
		.amdhsa_group_segment_fixed_size 0
		.amdhsa_private_segment_fixed_size 0
		.amdhsa_kernarg_size 304
		.amdhsa_user_sgpr_count 6
		.amdhsa_user_sgpr_private_segment_buffer 1
		.amdhsa_user_sgpr_dispatch_ptr 0
		.amdhsa_user_sgpr_queue_ptr 0
		.amdhsa_user_sgpr_kernarg_segment_ptr 1
		.amdhsa_user_sgpr_dispatch_id 0
		.amdhsa_user_sgpr_flat_scratch_init 0
		.amdhsa_user_sgpr_private_segment_size 0
		.amdhsa_wavefront_size32 1
		.amdhsa_uses_dynamic_stack 0
		.amdhsa_system_sgpr_private_segment_wavefront_offset 0
		.amdhsa_system_sgpr_workgroup_id_x 1
		.amdhsa_system_sgpr_workgroup_id_y 0
		.amdhsa_system_sgpr_workgroup_id_z 0
		.amdhsa_system_sgpr_workgroup_info 0
		.amdhsa_system_vgpr_workitem_id 1
		.amdhsa_next_free_vgpr 19
		.amdhsa_next_free_sgpr 16
		.amdhsa_reserve_vcc 1
		.amdhsa_reserve_flat_scratch 0
		.amdhsa_float_round_mode_32 0
		.amdhsa_float_round_mode_16_64 0
		.amdhsa_float_denorm_mode_32 3
		.amdhsa_float_denorm_mode_16_64 3
		.amdhsa_dx10_clamp 1
		.amdhsa_ieee_mode 1
		.amdhsa_fp16_overflow 0
		.amdhsa_workgroup_processor_mode 1
		.amdhsa_memory_ordered 1
		.amdhsa_forward_progress 1
		.amdhsa_shared_vgpr_count 0
		.amdhsa_exception_fp_ieee_invalid_op 0
		.amdhsa_exception_fp_denorm_src 0
		.amdhsa_exception_fp_ieee_div_zero 0
		.amdhsa_exception_fp_ieee_overflow 0
		.amdhsa_exception_fp_ieee_underflow 0
		.amdhsa_exception_fp_ieee_inexact 0
		.amdhsa_exception_int_div_zero 0
	.end_amdhsa_kernel
	.section	.text._ZN12_GLOBAL__N_121softmax_warp_backwardIN3c104HalfES2_fLi6ELb1ELb0ELi32EEEvPT0_PKT_S7_iiiPKb,"axG",@progbits,_ZN12_GLOBAL__N_121softmax_warp_backwardIN3c104HalfES2_fLi6ELb1ELb0ELi32EEEvPT0_PKT_S7_iiiPKb,comdat
.Lfunc_end265:
	.size	_ZN12_GLOBAL__N_121softmax_warp_backwardIN3c104HalfES2_fLi6ELb1ELb0ELi32EEEvPT0_PKT_S7_iiiPKb, .Lfunc_end265-_ZN12_GLOBAL__N_121softmax_warp_backwardIN3c104HalfES2_fLi6ELb1ELb0ELi32EEEvPT0_PKT_S7_iiiPKb
                                        ; -- End function
	.set _ZN12_GLOBAL__N_121softmax_warp_backwardIN3c104HalfES2_fLi6ELb1ELb0ELi32EEEvPT0_PKT_S7_iiiPKb.num_vgpr, 19
	.set _ZN12_GLOBAL__N_121softmax_warp_backwardIN3c104HalfES2_fLi6ELb1ELb0ELi32EEEvPT0_PKT_S7_iiiPKb.num_agpr, 0
	.set _ZN12_GLOBAL__N_121softmax_warp_backwardIN3c104HalfES2_fLi6ELb1ELb0ELi32EEEvPT0_PKT_S7_iiiPKb.numbered_sgpr, 16
	.set _ZN12_GLOBAL__N_121softmax_warp_backwardIN3c104HalfES2_fLi6ELb1ELb0ELi32EEEvPT0_PKT_S7_iiiPKb.num_named_barrier, 0
	.set _ZN12_GLOBAL__N_121softmax_warp_backwardIN3c104HalfES2_fLi6ELb1ELb0ELi32EEEvPT0_PKT_S7_iiiPKb.private_seg_size, 0
	.set _ZN12_GLOBAL__N_121softmax_warp_backwardIN3c104HalfES2_fLi6ELb1ELb0ELi32EEEvPT0_PKT_S7_iiiPKb.uses_vcc, 1
	.set _ZN12_GLOBAL__N_121softmax_warp_backwardIN3c104HalfES2_fLi6ELb1ELb0ELi32EEEvPT0_PKT_S7_iiiPKb.uses_flat_scratch, 0
	.set _ZN12_GLOBAL__N_121softmax_warp_backwardIN3c104HalfES2_fLi6ELb1ELb0ELi32EEEvPT0_PKT_S7_iiiPKb.has_dyn_sized_stack, 0
	.set _ZN12_GLOBAL__N_121softmax_warp_backwardIN3c104HalfES2_fLi6ELb1ELb0ELi32EEEvPT0_PKT_S7_iiiPKb.has_recursion, 0
	.set _ZN12_GLOBAL__N_121softmax_warp_backwardIN3c104HalfES2_fLi6ELb1ELb0ELi32EEEvPT0_PKT_S7_iiiPKb.has_indirect_call, 0
	.section	.AMDGPU.csdata,"",@progbits
; Kernel info:
; codeLenInByte = 1452
; TotalNumSgprs: 18
; NumVgprs: 19
; ScratchSize: 0
; MemoryBound: 0
; FloatMode: 240
; IeeeMode: 1
; LDSByteSize: 0 bytes/workgroup (compile time only)
; SGPRBlocks: 0
; VGPRBlocks: 2
; NumSGPRsForWavesPerEU: 18
; NumVGPRsForWavesPerEU: 19
; Occupancy: 16
; WaveLimiterHint : 0
; COMPUTE_PGM_RSRC2:SCRATCH_EN: 0
; COMPUTE_PGM_RSRC2:USER_SGPR: 6
; COMPUTE_PGM_RSRC2:TRAP_HANDLER: 0
; COMPUTE_PGM_RSRC2:TGID_X_EN: 1
; COMPUTE_PGM_RSRC2:TGID_Y_EN: 0
; COMPUTE_PGM_RSRC2:TGID_Z_EN: 0
; COMPUTE_PGM_RSRC2:TIDIG_COMP_CNT: 1
	.section	.text._ZN12_GLOBAL__N_121softmax_warp_backwardIN3c104HalfES2_fLi7ELb1ELb0ELi64EEEvPT0_PKT_S7_iiiPKb,"axG",@progbits,_ZN12_GLOBAL__N_121softmax_warp_backwardIN3c104HalfES2_fLi7ELb1ELb0ELi64EEEvPT0_PKT_S7_iiiPKb,comdat
	.globl	_ZN12_GLOBAL__N_121softmax_warp_backwardIN3c104HalfES2_fLi7ELb1ELb0ELi64EEEvPT0_PKT_S7_iiiPKb ; -- Begin function _ZN12_GLOBAL__N_121softmax_warp_backwardIN3c104HalfES2_fLi7ELb1ELb0ELi64EEEvPT0_PKT_S7_iiiPKb
	.p2align	8
	.type	_ZN12_GLOBAL__N_121softmax_warp_backwardIN3c104HalfES2_fLi7ELb1ELb0ELi64EEEvPT0_PKT_S7_iiiPKb,@function
_ZN12_GLOBAL__N_121softmax_warp_backwardIN3c104HalfES2_fLi7ELb1ELb0ELi64EEEvPT0_PKT_S7_iiiPKb: ; @_ZN12_GLOBAL__N_121softmax_warp_backwardIN3c104HalfES2_fLi7ELb1ELb0ELi64EEEvPT0_PKT_S7_iiiPKb
; %bb.0:
	s_clause 0x1
	s_load_dword s0, s[4:5], 0x3c
	s_load_dwordx4 s[8:11], s[4:5], 0x18
	v_and_b32_e32 v6, 63, v0
	s_clause 0x1
	s_load_dwordx4 s[12:15], s[4:5], 0x0
	s_load_dwordx2 s[2:3], s[4:5], 0x10
	v_mov_b32_e32 v8, 1.0
	v_mov_b32_e32 v9, 0
	v_mov_b32_e32 v10, 0
	v_mov_b32_e32 v11, 1.0
	s_waitcnt lgkmcnt(0)
	s_lshr_b32 s0, s0, 16
	v_cmp_gt_i32_e32 vcc_lo, s10, v6
	s_and_b32 s0, s0, 0xffff
	s_mul_i32 s6, s6, s0
	v_add_lshl_u32 v2, s6, v1, 1
	v_mad_u64_u32 v[0:1], null, v2, s9, v[6:7]
	v_sub_nc_u32_e32 v7, s8, v2
	v_cmp_lt_i32_e64 s1, 0, v7
	v_ashrrev_i32_e32 v1, 31, v0
	v_lshlrev_b64 v[0:1], 1, v[0:1]
	v_add_co_u32 v2, s0, s14, v0
	v_add_co_ci_u32_e64 v3, null, s15, v1, s0
	v_add_co_u32 v4, s0, s2, v0
	v_add_co_ci_u32_e64 v5, null, s3, v1, s0
	s_and_b32 s0, s1, vcc_lo
	s_and_saveexec_b32 s2, s0
	s_cbranch_execz .LBB266_2
; %bb.1:
	global_load_ushort v10, v[4:5], off
	global_load_ushort v11, v[2:3], off
	s_mov_b32 s0, 0x3fb8aa3b
	s_waitcnt vmcnt(1)
	v_cvt_f32_f16_e32 v12, v10
	v_mul_f32_e32 v13, 0x3fb8aa3b, v12
	v_rndne_f32_e32 v14, v13
	v_fma_mix_f32 v15, v10, s0, -v13 op_sel_hi:[1,0,0]
	s_mov_b32 s0, 0x32a5705f
	v_sub_f32_e32 v13, v13, v14
	v_fma_mix_f32 v10, v10, s0, v15 op_sel_hi:[1,0,0]
	v_cmp_ngt_f32_e64 s0, 0xc2ce8ed0, v12
	v_add_f32_e32 v10, v13, v10
	v_cvt_i32_f32_e32 v13, v14
	v_exp_f32_e32 v10, v10
	v_ldexp_f32 v10, v10, v13
	v_cndmask_b32_e64 v13, 0, v10, s0
	v_cmp_nlt_f32_e64 s0, 0x42b17218, v12
	s_waitcnt vmcnt(0)
	v_cvt_f32_f16_e32 v10, v11
	v_cndmask_b32_e64 v11, 0x7f800000, v13, s0
.LBB266_2:
	s_or_b32 exec_lo, exec_lo, s2
	v_or_b32_e32 v6, 64, v6
	v_cmp_gt_i32_e64 s0, s10, v6
	s_and_b32 s2, s1, s0
	s_and_saveexec_b32 s3, s2
	s_cbranch_execz .LBB266_4
; %bb.3:
	global_load_ushort v6, v[4:5], off offset:128
	global_load_ushort v8, v[2:3], off offset:128
	s_mov_b32 s2, 0x3fb8aa3b
	s_waitcnt vmcnt(1)
	v_cvt_f32_f16_e32 v12, v6
	v_mul_f32_e32 v9, 0x3fb8aa3b, v12
	v_rndne_f32_e32 v13, v9
	v_fma_mix_f32 v14, v6, s2, -v9 op_sel_hi:[1,0,0]
	s_mov_b32 s2, 0x32a5705f
	v_sub_f32_e32 v9, v9, v13
	v_fma_mix_f32 v6, v6, s2, v14 op_sel_hi:[1,0,0]
	v_cmp_ngt_f32_e64 s2, 0xc2ce8ed0, v12
	v_add_f32_e32 v6, v9, v6
	v_cvt_i32_f32_e32 v9, v13
	v_exp_f32_e32 v6, v6
	v_ldexp_f32 v6, v6, v9
	s_waitcnt vmcnt(0)
	v_cvt_f32_f16_e32 v9, v8
	v_cndmask_b32_e64 v6, 0, v6, s2
	v_cmp_nlt_f32_e64 s2, 0x42b17218, v12
	v_cndmask_b32_e64 v8, 0x7f800000, v6, s2
.LBB266_4:
	s_or_b32 exec_lo, exec_lo, s3
	v_cmp_lt_i32_e64 s2, 1, v7
	v_mov_b32_e32 v12, 1.0
	v_mov_b32_e32 v6, 0
	v_mov_b32_e32 v13, 0
	v_mov_b32_e32 v14, 1.0
	s_and_b32 s3, s2, vcc_lo
	s_and_saveexec_b32 s4, s3
	s_cbranch_execz .LBB266_6
; %bb.5:
	s_mov_b32 s11, 0
	s_lshl_b64 s[6:7], s[10:11], 1
	v_add_co_u32 v13, s3, v4, s6
	v_add_co_ci_u32_e64 v14, null, s7, v5, s3
	global_load_ushort v15, v[13:14], off
	v_add_co_u32 v13, s3, v2, s6
	v_add_co_ci_u32_e64 v14, null, s7, v3, s3
	s_mov_b32 s3, 0x3fb8aa3b
	global_load_ushort v13, v[13:14], off
	s_waitcnt vmcnt(1)
	v_cvt_f32_f16_e32 v14, v15
	v_mul_f32_e32 v16, 0x3fb8aa3b, v14
	s_waitcnt vmcnt(0)
	v_cvt_f32_f16_e32 v13, v13
	v_fma_mix_f32 v17, v15, s3, -v16 op_sel_hi:[1,0,0]
	v_rndne_f32_e32 v18, v16
	s_mov_b32 s3, 0x32a5705f
	v_fma_mix_f32 v15, v15, s3, v17 op_sel_hi:[1,0,0]
	v_sub_f32_e32 v16, v16, v18
	v_cmp_ngt_f32_e64 s3, 0xc2ce8ed0, v14
	v_add_f32_e32 v15, v16, v15
	v_cvt_i32_f32_e32 v16, v18
	v_exp_f32_e32 v15, v15
	v_ldexp_f32 v15, v15, v16
	v_cndmask_b32_e64 v15, 0, v15, s3
	v_cmp_nlt_f32_e64 s3, 0x42b17218, v14
	v_cndmask_b32_e64 v14, 0x7f800000, v15, s3
.LBB266_6:
	s_or_b32 exec_lo, exec_lo, s4
	s_and_b32 s2, s2, s0
	s_and_saveexec_b32 s3, s2
	s_cbranch_execz .LBB266_8
; %bb.7:
	s_mov_b32 s11, 0
	s_lshl_b64 s[4:5], s[10:11], 1
	v_add_co_u32 v4, s2, v4, s4
	v_add_co_ci_u32_e64 v5, null, s5, v5, s2
	v_add_co_u32 v2, s2, v2, s4
	v_add_co_ci_u32_e64 v3, null, s5, v3, s2
	global_load_ushort v4, v[4:5], off offset:128
	s_mov_b32 s2, 0x3fb8aa3b
	global_load_ushort v2, v[2:3], off offset:128
	s_waitcnt vmcnt(1)
	v_cvt_f32_f16_e32 v3, v4
	v_mul_f32_e32 v5, 0x3fb8aa3b, v3
	v_fma_mix_f32 v6, v4, s2, -v5 op_sel_hi:[1,0,0]
	v_rndne_f32_e32 v12, v5
	s_mov_b32 s2, 0x32a5705f
	v_fma_mix_f32 v4, v4, s2, v6 op_sel_hi:[1,0,0]
	v_sub_f32_e32 v5, v5, v12
	v_cmp_ngt_f32_e64 s2, 0xc2ce8ed0, v3
	s_waitcnt vmcnt(0)
	v_cvt_f32_f16_e32 v6, v2
	v_add_f32_e32 v4, v5, v4
	v_cvt_i32_f32_e32 v5, v12
	v_exp_f32_e32 v4, v4
	v_ldexp_f32 v4, v4, v5
	v_cndmask_b32_e64 v4, 0, v4, s2
	v_cmp_nlt_f32_e64 s2, 0x42b17218, v3
	v_cndmask_b32_e64 v12, 0x7f800000, v4, s2
.LBB266_8:
	s_or_b32 exec_lo, exec_lo, s3
	v_mbcnt_lo_u32_b32 v2, -1, 0
	v_add_f32_e32 v4, 0, v10
	v_add_f32_e32 v5, 0, v13
	v_or_b32_e32 v3, 32, v2
	v_add_f32_e32 v4, v4, v9
	v_add_f32_e32 v5, v5, v6
	v_xor_b32_e32 v16, 16, v2
	v_cmp_gt_i32_e64 s2, 64, v3
	v_cndmask_b32_e64 v3, v2, v3, s2
	v_cmp_gt_i32_e64 s2, 64, v16
	v_lshlrev_b32_e32 v3, 2, v3
	v_cndmask_b32_e64 v16, v2, v16, s2
	ds_bpermute_b32 v15, v3, v4
	ds_bpermute_b32 v3, v3, v5
	v_lshlrev_b32_e32 v16, 2, v16
	s_waitcnt lgkmcnt(1)
	v_add_f32_e32 v4, v4, v15
	s_waitcnt lgkmcnt(0)
	v_add_f32_e32 v3, v5, v3
	ds_bpermute_b32 v5, v16, v4
	ds_bpermute_b32 v15, v16, v3
	v_xor_b32_e32 v16, 8, v2
	v_cmp_gt_i32_e64 s2, 64, v16
	v_cndmask_b32_e64 v16, v2, v16, s2
	v_lshlrev_b32_e32 v16, 2, v16
	s_waitcnt lgkmcnt(1)
	v_add_f32_e32 v4, v4, v5
	s_waitcnt lgkmcnt(0)
	v_add_f32_e32 v3, v3, v15
	ds_bpermute_b32 v5, v16, v4
	ds_bpermute_b32 v15, v16, v3
	v_xor_b32_e32 v16, 4, v2
	v_cmp_gt_i32_e64 s2, 64, v16
	v_cndmask_b32_e64 v16, v2, v16, s2
	;; [unrolled: 10-line block ×4, first 2 shown]
	v_lshlrev_b32_e32 v16, 2, v2
	s_waitcnt lgkmcnt(1)
	v_add_f32_e32 v4, v4, v5
	s_waitcnt lgkmcnt(0)
	v_add_f32_e32 v2, v3, v15
	ds_bpermute_b32 v5, v16, v4
	ds_bpermute_b32 v3, v16, v2
	s_and_saveexec_b32 s2, s1
	s_cbranch_execz .LBB266_12
; %bb.9:
	v_add_co_u32 v0, s1, s12, v0
	v_add_co_ci_u32_e64 v1, null, s13, v1, s1
	s_waitcnt lgkmcnt(1)
	v_add_f32_e32 v4, v4, v5
	s_and_saveexec_b32 s1, vcc_lo
	s_cbranch_execnz .LBB266_13
; %bb.10:
	s_or_b32 exec_lo, exec_lo, s1
	s_and_saveexec_b32 s1, s0
	s_cbranch_execnz .LBB266_14
.LBB266_11:
	s_or_b32 exec_lo, exec_lo, s1
	v_cmp_ne_u32_e64 s1, 1, v7
	s_and_b32 exec_lo, exec_lo, s1
	s_cbranch_execnz .LBB266_15
.LBB266_12:
	s_endpgm
.LBB266_13:
	v_fma_mixlo_f16 v5, -v4, v11, v10
	global_store_short v[0:1], v5, off
	s_or_b32 exec_lo, exec_lo, s1
	s_and_saveexec_b32 s1, s0
	s_cbranch_execz .LBB266_11
.LBB266_14:
	v_fma_mixlo_f16 v4, -v4, v8, v9
	global_store_short v[0:1], v4, off offset:128
	s_or_b32 exec_lo, exec_lo, s1
	v_cmp_ne_u32_e64 s1, 1, v7
	s_and_b32 exec_lo, exec_lo, s1
	s_cbranch_execz .LBB266_12
.LBB266_15:
	s_waitcnt lgkmcnt(0)
	v_add_f32_e32 v2, v2, v3
	s_and_saveexec_b32 s1, vcc_lo
	s_cbranch_execz .LBB266_17
; %bb.16:
	s_mov_b32 s11, 0
	v_fma_mixlo_f16 v5, -v2, v14, v13
	s_lshl_b64 s[2:3], s[10:11], 1
	v_add_co_u32 v3, vcc_lo, v0, s2
	v_add_co_ci_u32_e64 v4, null, s3, v1, vcc_lo
	global_store_short v[3:4], v5, off
.LBB266_17:
	s_or_b32 exec_lo, exec_lo, s1
	s_and_b32 exec_lo, exec_lo, s0
	s_cbranch_execz .LBB266_12
; %bb.18:
	s_mov_b32 s11, 0
	v_fma_mixlo_f16 v2, -v2, v12, v6
	s_lshl_b64 s[0:1], s[10:11], 1
	v_add_co_u32 v0, vcc_lo, v0, s0
	v_add_co_ci_u32_e64 v1, null, s1, v1, vcc_lo
	global_store_short v[0:1], v2, off offset:128
	s_endpgm
	.section	.rodata,"a",@progbits
	.p2align	6, 0x0
	.amdhsa_kernel _ZN12_GLOBAL__N_121softmax_warp_backwardIN3c104HalfES2_fLi7ELb1ELb0ELi64EEEvPT0_PKT_S7_iiiPKb
		.amdhsa_group_segment_fixed_size 0
		.amdhsa_private_segment_fixed_size 0
		.amdhsa_kernarg_size 304
		.amdhsa_user_sgpr_count 6
		.amdhsa_user_sgpr_private_segment_buffer 1
		.amdhsa_user_sgpr_dispatch_ptr 0
		.amdhsa_user_sgpr_queue_ptr 0
		.amdhsa_user_sgpr_kernarg_segment_ptr 1
		.amdhsa_user_sgpr_dispatch_id 0
		.amdhsa_user_sgpr_flat_scratch_init 0
		.amdhsa_user_sgpr_private_segment_size 0
		.amdhsa_wavefront_size32 1
		.amdhsa_uses_dynamic_stack 0
		.amdhsa_system_sgpr_private_segment_wavefront_offset 0
		.amdhsa_system_sgpr_workgroup_id_x 1
		.amdhsa_system_sgpr_workgroup_id_y 0
		.amdhsa_system_sgpr_workgroup_id_z 0
		.amdhsa_system_sgpr_workgroup_info 0
		.amdhsa_system_vgpr_workitem_id 1
		.amdhsa_next_free_vgpr 19
		.amdhsa_next_free_sgpr 16
		.amdhsa_reserve_vcc 1
		.amdhsa_reserve_flat_scratch 0
		.amdhsa_float_round_mode_32 0
		.amdhsa_float_round_mode_16_64 0
		.amdhsa_float_denorm_mode_32 3
		.amdhsa_float_denorm_mode_16_64 3
		.amdhsa_dx10_clamp 1
		.amdhsa_ieee_mode 1
		.amdhsa_fp16_overflow 0
		.amdhsa_workgroup_processor_mode 1
		.amdhsa_memory_ordered 1
		.amdhsa_forward_progress 1
		.amdhsa_shared_vgpr_count 0
		.amdhsa_exception_fp_ieee_invalid_op 0
		.amdhsa_exception_fp_denorm_src 0
		.amdhsa_exception_fp_ieee_div_zero 0
		.amdhsa_exception_fp_ieee_overflow 0
		.amdhsa_exception_fp_ieee_underflow 0
		.amdhsa_exception_fp_ieee_inexact 0
		.amdhsa_exception_int_div_zero 0
	.end_amdhsa_kernel
	.section	.text._ZN12_GLOBAL__N_121softmax_warp_backwardIN3c104HalfES2_fLi7ELb1ELb0ELi64EEEvPT0_PKT_S7_iiiPKb,"axG",@progbits,_ZN12_GLOBAL__N_121softmax_warp_backwardIN3c104HalfES2_fLi7ELb1ELb0ELi64EEEvPT0_PKT_S7_iiiPKb,comdat
.Lfunc_end266:
	.size	_ZN12_GLOBAL__N_121softmax_warp_backwardIN3c104HalfES2_fLi7ELb1ELb0ELi64EEEvPT0_PKT_S7_iiiPKb, .Lfunc_end266-_ZN12_GLOBAL__N_121softmax_warp_backwardIN3c104HalfES2_fLi7ELb1ELb0ELi64EEEvPT0_PKT_S7_iiiPKb
                                        ; -- End function
	.set _ZN12_GLOBAL__N_121softmax_warp_backwardIN3c104HalfES2_fLi7ELb1ELb0ELi64EEEvPT0_PKT_S7_iiiPKb.num_vgpr, 19
	.set _ZN12_GLOBAL__N_121softmax_warp_backwardIN3c104HalfES2_fLi7ELb1ELb0ELi64EEEvPT0_PKT_S7_iiiPKb.num_agpr, 0
	.set _ZN12_GLOBAL__N_121softmax_warp_backwardIN3c104HalfES2_fLi7ELb1ELb0ELi64EEEvPT0_PKT_S7_iiiPKb.numbered_sgpr, 16
	.set _ZN12_GLOBAL__N_121softmax_warp_backwardIN3c104HalfES2_fLi7ELb1ELb0ELi64EEEvPT0_PKT_S7_iiiPKb.num_named_barrier, 0
	.set _ZN12_GLOBAL__N_121softmax_warp_backwardIN3c104HalfES2_fLi7ELb1ELb0ELi64EEEvPT0_PKT_S7_iiiPKb.private_seg_size, 0
	.set _ZN12_GLOBAL__N_121softmax_warp_backwardIN3c104HalfES2_fLi7ELb1ELb0ELi64EEEvPT0_PKT_S7_iiiPKb.uses_vcc, 1
	.set _ZN12_GLOBAL__N_121softmax_warp_backwardIN3c104HalfES2_fLi7ELb1ELb0ELi64EEEvPT0_PKT_S7_iiiPKb.uses_flat_scratch, 0
	.set _ZN12_GLOBAL__N_121softmax_warp_backwardIN3c104HalfES2_fLi7ELb1ELb0ELi64EEEvPT0_PKT_S7_iiiPKb.has_dyn_sized_stack, 0
	.set _ZN12_GLOBAL__N_121softmax_warp_backwardIN3c104HalfES2_fLi7ELb1ELb0ELi64EEEvPT0_PKT_S7_iiiPKb.has_recursion, 0
	.set _ZN12_GLOBAL__N_121softmax_warp_backwardIN3c104HalfES2_fLi7ELb1ELb0ELi64EEEvPT0_PKT_S7_iiiPKb.has_indirect_call, 0
	.section	.AMDGPU.csdata,"",@progbits
; Kernel info:
; codeLenInByte = 1508
; TotalNumSgprs: 18
; NumVgprs: 19
; ScratchSize: 0
; MemoryBound: 0
; FloatMode: 240
; IeeeMode: 1
; LDSByteSize: 0 bytes/workgroup (compile time only)
; SGPRBlocks: 0
; VGPRBlocks: 2
; NumSGPRsForWavesPerEU: 18
; NumVGPRsForWavesPerEU: 19
; Occupancy: 16
; WaveLimiterHint : 0
; COMPUTE_PGM_RSRC2:SCRATCH_EN: 0
; COMPUTE_PGM_RSRC2:USER_SGPR: 6
; COMPUTE_PGM_RSRC2:TRAP_HANDLER: 0
; COMPUTE_PGM_RSRC2:TGID_X_EN: 1
; COMPUTE_PGM_RSRC2:TGID_Y_EN: 0
; COMPUTE_PGM_RSRC2:TGID_Z_EN: 0
; COMPUTE_PGM_RSRC2:TIDIG_COMP_CNT: 1
	.section	.text._ZN12_GLOBAL__N_121softmax_warp_backwardIN3c104HalfES2_fLi7ELb1ELb0ELi32EEEvPT0_PKT_S7_iiiPKb,"axG",@progbits,_ZN12_GLOBAL__N_121softmax_warp_backwardIN3c104HalfES2_fLi7ELb1ELb0ELi32EEEvPT0_PKT_S7_iiiPKb,comdat
	.globl	_ZN12_GLOBAL__N_121softmax_warp_backwardIN3c104HalfES2_fLi7ELb1ELb0ELi32EEEvPT0_PKT_S7_iiiPKb ; -- Begin function _ZN12_GLOBAL__N_121softmax_warp_backwardIN3c104HalfES2_fLi7ELb1ELb0ELi32EEEvPT0_PKT_S7_iiiPKb
	.p2align	8
	.type	_ZN12_GLOBAL__N_121softmax_warp_backwardIN3c104HalfES2_fLi7ELb1ELb0ELi32EEEvPT0_PKT_S7_iiiPKb,@function
_ZN12_GLOBAL__N_121softmax_warp_backwardIN3c104HalfES2_fLi7ELb1ELb0ELi32EEEvPT0_PKT_S7_iiiPKb: ; @_ZN12_GLOBAL__N_121softmax_warp_backwardIN3c104HalfES2_fLi7ELb1ELb0ELi32EEEvPT0_PKT_S7_iiiPKb
; %bb.0:
	s_clause 0x1
	s_load_dword s0, s[4:5], 0x3c
	s_load_dwordx4 s[8:11], s[4:5], 0x18
	v_and_b32_e32 v6, 31, v0
	s_clause 0x1
	s_load_dwordx4 s[12:15], s[4:5], 0x0
	s_load_dwordx2 s[4:5], s[4:5], 0x10
	v_mov_b32_e32 v8, 1.0
	v_mov_b32_e32 v9, 0
	v_mov_b32_e32 v10, 0
	v_mov_b32_e32 v11, 1.0
	s_waitcnt lgkmcnt(0)
	s_lshr_b32 s0, s0, 16
	v_cmp_gt_i32_e32 vcc_lo, s10, v6
	s_and_b32 s0, s0, 0xffff
	s_mul_i32 s6, s6, s0
	v_add_lshl_u32 v2, s6, v1, 1
	v_mad_u64_u32 v[0:1], null, v2, s9, v[6:7]
	v_sub_nc_u32_e32 v7, s8, v2
	v_cmp_lt_i32_e64 s2, 0, v7
	v_ashrrev_i32_e32 v1, 31, v0
	v_lshlrev_b64 v[0:1], 1, v[0:1]
	v_add_co_u32 v2, s0, s14, v0
	v_add_co_ci_u32_e64 v3, null, s15, v1, s0
	v_add_co_u32 v4, s0, s4, v0
	v_add_co_ci_u32_e64 v5, null, s5, v1, s0
	s_and_b32 s0, s2, vcc_lo
	s_and_saveexec_b32 s1, s0
	s_cbranch_execz .LBB267_2
; %bb.1:
	global_load_ushort v10, v[4:5], off
	global_load_ushort v11, v[2:3], off
	s_mov_b32 s0, 0x3fb8aa3b
	s_waitcnt vmcnt(1)
	v_cvt_f32_f16_e32 v12, v10
	v_mul_f32_e32 v13, 0x3fb8aa3b, v12
	v_rndne_f32_e32 v14, v13
	v_fma_mix_f32 v15, v10, s0, -v13 op_sel_hi:[1,0,0]
	s_mov_b32 s0, 0x32a5705f
	v_sub_f32_e32 v13, v13, v14
	v_fma_mix_f32 v10, v10, s0, v15 op_sel_hi:[1,0,0]
	v_cmp_ngt_f32_e64 s0, 0xc2ce8ed0, v12
	v_add_f32_e32 v10, v13, v10
	v_cvt_i32_f32_e32 v13, v14
	v_exp_f32_e32 v10, v10
	v_ldexp_f32 v10, v10, v13
	v_cndmask_b32_e64 v13, 0, v10, s0
	v_cmp_nlt_f32_e64 s0, 0x42b17218, v12
	s_waitcnt vmcnt(0)
	v_cvt_f32_f16_e32 v10, v11
	v_cndmask_b32_e64 v11, 0x7f800000, v13, s0
.LBB267_2:
	s_or_b32 exec_lo, exec_lo, s1
	v_or_b32_e32 v12, 32, v6
	v_cmp_gt_i32_e64 s0, s10, v12
	s_and_b32 s1, s2, s0
	s_and_saveexec_b32 s3, s1
	s_cbranch_execz .LBB267_4
; %bb.3:
	global_load_ushort v8, v[4:5], off offset:64
	global_load_ushort v9, v[2:3], off offset:64
	s_mov_b32 s1, 0x3fb8aa3b
	s_waitcnt vmcnt(1)
	v_cvt_f32_f16_e32 v12, v8
	s_waitcnt vmcnt(0)
	v_cvt_f32_f16_e32 v9, v9
	v_mul_f32_e32 v13, 0x3fb8aa3b, v12
	v_rndne_f32_e32 v14, v13
	v_fma_mix_f32 v15, v8, s1, -v13 op_sel_hi:[1,0,0]
	s_mov_b32 s1, 0x32a5705f
	v_sub_f32_e32 v13, v13, v14
	v_fma_mix_f32 v8, v8, s1, v15 op_sel_hi:[1,0,0]
	v_cmp_ngt_f32_e64 s1, 0xc2ce8ed0, v12
	v_add_f32_e32 v8, v13, v8
	v_cvt_i32_f32_e32 v13, v14
	v_exp_f32_e32 v8, v8
	v_ldexp_f32 v8, v8, v13
	v_cndmask_b32_e64 v8, 0, v8, s1
	v_cmp_nlt_f32_e64 s1, 0x42b17218, v12
	v_cndmask_b32_e64 v8, 0x7f800000, v8, s1
.LBB267_4:
	s_or_b32 exec_lo, exec_lo, s3
	v_or_b32_e32 v12, 64, v6
	v_mov_b32_e32 v13, 1.0
	v_mov_b32_e32 v14, 0
	v_mov_b32_e32 v15, 1.0
	v_cmp_gt_i32_e64 s1, s10, v12
	v_mov_b32_e32 v12, 0
	s_and_b32 s3, s2, s1
	s_and_saveexec_b32 s4, s3
	s_cbranch_execz .LBB267_6
; %bb.5:
	global_load_ushort v14, v[4:5], off offset:128
	global_load_ushort v15, v[2:3], off offset:128
	s_mov_b32 s3, 0x3fb8aa3b
	s_waitcnt vmcnt(1)
	v_cvt_f32_f16_e32 v16, v14
	v_mul_f32_e32 v17, 0x3fb8aa3b, v16
	v_rndne_f32_e32 v18, v17
	v_fma_mix_f32 v19, v14, s3, -v17 op_sel_hi:[1,0,0]
	s_mov_b32 s3, 0x32a5705f
	v_sub_f32_e32 v17, v17, v18
	v_fma_mix_f32 v14, v14, s3, v19 op_sel_hi:[1,0,0]
	v_cmp_ngt_f32_e64 s3, 0xc2ce8ed0, v16
	v_add_f32_e32 v14, v17, v14
	v_cvt_i32_f32_e32 v17, v18
	v_exp_f32_e32 v14, v14
	v_ldexp_f32 v14, v14, v17
	v_cndmask_b32_e64 v17, 0, v14, s3
	v_cmp_nlt_f32_e64 s3, 0x42b17218, v16
	s_waitcnt vmcnt(0)
	v_cvt_f32_f16_e32 v14, v15
	v_cndmask_b32_e64 v15, 0x7f800000, v17, s3
.LBB267_6:
	s_or_b32 exec_lo, exec_lo, s4
	v_or_b32_e32 v6, 0x60, v6
	v_cmp_gt_i32_e64 s3, s10, v6
	s_and_b32 s4, s2, s3
	s_and_saveexec_b32 s5, s4
	s_cbranch_execz .LBB267_8
; %bb.7:
	global_load_ushort v6, v[4:5], off offset:192
	global_load_ushort v12, v[2:3], off offset:192
	s_mov_b32 s4, 0x3fb8aa3b
	s_waitcnt vmcnt(1)
	v_cvt_f32_f16_e32 v13, v6
	s_waitcnt vmcnt(0)
	v_cvt_f32_f16_e32 v12, v12
	v_mul_f32_e32 v16, 0x3fb8aa3b, v13
	v_rndne_f32_e32 v17, v16
	v_fma_mix_f32 v18, v6, s4, -v16 op_sel_hi:[1,0,0]
	s_mov_b32 s4, 0x32a5705f
	v_sub_f32_e32 v16, v16, v17
	v_fma_mix_f32 v6, v6, s4, v18 op_sel_hi:[1,0,0]
	v_cmp_ngt_f32_e64 s4, 0xc2ce8ed0, v13
	v_add_f32_e32 v6, v16, v6
	v_cvt_i32_f32_e32 v16, v17
	v_exp_f32_e32 v6, v6
	v_ldexp_f32 v6, v6, v16
	v_cndmask_b32_e64 v6, 0, v6, s4
	v_cmp_nlt_f32_e64 s4, 0x42b17218, v13
	v_cndmask_b32_e64 v13, 0x7f800000, v6, s4
.LBB267_8:
	s_or_b32 exec_lo, exec_lo, s5
	v_cmp_lt_i32_e64 s4, 1, v7
	v_mov_b32_e32 v16, 1.0
	v_mov_b32_e32 v6, 0
	v_mov_b32_e32 v17, 0
	v_mov_b32_e32 v18, 1.0
	s_and_b32 s5, s4, vcc_lo
	s_and_saveexec_b32 s6, s5
	s_cbranch_execz .LBB267_10
; %bb.9:
	s_mov_b32 s11, 0
	s_lshl_b64 s[8:9], s[10:11], 1
	v_add_co_u32 v17, s5, v4, s8
	v_add_co_ci_u32_e64 v18, null, s9, v5, s5
	global_load_ushort v19, v[17:18], off
	v_add_co_u32 v17, s5, v2, s8
	v_add_co_ci_u32_e64 v18, null, s9, v3, s5
	s_mov_b32 s5, 0x3fb8aa3b
	global_load_ushort v17, v[17:18], off
	s_waitcnt vmcnt(1)
	v_cvt_f32_f16_e32 v18, v19
	v_mul_f32_e32 v20, 0x3fb8aa3b, v18
	s_waitcnt vmcnt(0)
	v_cvt_f32_f16_e32 v17, v17
	v_fma_mix_f32 v21, v19, s5, -v20 op_sel_hi:[1,0,0]
	v_rndne_f32_e32 v22, v20
	s_mov_b32 s5, 0x32a5705f
	v_fma_mix_f32 v19, v19, s5, v21 op_sel_hi:[1,0,0]
	v_sub_f32_e32 v20, v20, v22
	v_cmp_ngt_f32_e64 s5, 0xc2ce8ed0, v18
	v_add_f32_e32 v19, v20, v19
	v_cvt_i32_f32_e32 v20, v22
	v_exp_f32_e32 v19, v19
	v_ldexp_f32 v19, v19, v20
	v_cndmask_b32_e64 v19, 0, v19, s5
	v_cmp_nlt_f32_e64 s5, 0x42b17218, v18
	v_cndmask_b32_e64 v18, 0x7f800000, v19, s5
.LBB267_10:
	s_or_b32 exec_lo, exec_lo, s6
	s_and_b32 s5, s4, s0
	s_and_saveexec_b32 s6, s5
	s_cbranch_execz .LBB267_12
; %bb.11:
	s_mov_b32 s11, 0
	s_lshl_b64 s[8:9], s[10:11], 1
	v_add_co_u32 v19, s5, v4, s8
	v_add_co_ci_u32_e64 v20, null, s9, v5, s5
	global_load_ushort v6, v[19:20], off offset:64
	v_add_co_u32 v19, s5, v2, s8
	v_add_co_ci_u32_e64 v20, null, s9, v3, s5
	s_mov_b32 s5, 0x3fb8aa3b
	global_load_ushort v16, v[19:20], off offset:64
	s_waitcnt vmcnt(1)
	v_cvt_f32_f16_e32 v19, v6
	v_mul_f32_e32 v20, 0x3fb8aa3b, v19
	v_fma_mix_f32 v21, v6, s5, -v20 op_sel_hi:[1,0,0]
	v_rndne_f32_e32 v22, v20
	s_mov_b32 s5, 0x32a5705f
	v_fma_mix_f32 v6, v6, s5, v21 op_sel_hi:[1,0,0]
	v_sub_f32_e32 v20, v20, v22
	v_cmp_ngt_f32_e64 s5, 0xc2ce8ed0, v19
	v_add_f32_e32 v6, v20, v6
	v_cvt_i32_f32_e32 v20, v22
	v_exp_f32_e32 v6, v6
	v_ldexp_f32 v6, v6, v20
	v_cndmask_b32_e64 v20, 0, v6, s5
	v_cmp_nlt_f32_e64 s5, 0x42b17218, v19
	s_waitcnt vmcnt(0)
	v_cvt_f32_f16_e32 v6, v16
	v_cndmask_b32_e64 v16, 0x7f800000, v20, s5
.LBB267_12:
	s_or_b32 exec_lo, exec_lo, s6
	v_mov_b32_e32 v20, 1.0
	v_mov_b32_e32 v19, 0
	v_mov_b32_e32 v21, 0
	v_mov_b32_e32 v22, 1.0
	s_and_b32 s5, s4, s1
	s_and_saveexec_b32 s6, s5
	s_cbranch_execz .LBB267_14
; %bb.13:
	s_mov_b32 s11, 0
	s_lshl_b64 s[8:9], s[10:11], 1
	v_add_co_u32 v21, s5, v4, s8
	v_add_co_ci_u32_e64 v22, null, s9, v5, s5
	global_load_ushort v23, v[21:22], off offset:128
	v_add_co_u32 v21, s5, v2, s8
	v_add_co_ci_u32_e64 v22, null, s9, v3, s5
	s_mov_b32 s5, 0x3fb8aa3b
	global_load_ushort v21, v[21:22], off offset:128
	s_waitcnt vmcnt(1)
	v_cvt_f32_f16_e32 v22, v23
	v_mul_f32_e32 v24, 0x3fb8aa3b, v22
	s_waitcnt vmcnt(0)
	v_cvt_f32_f16_e32 v21, v21
	v_fma_mix_f32 v25, v23, s5, -v24 op_sel_hi:[1,0,0]
	v_rndne_f32_e32 v26, v24
	s_mov_b32 s5, 0x32a5705f
	v_fma_mix_f32 v23, v23, s5, v25 op_sel_hi:[1,0,0]
	v_sub_f32_e32 v24, v24, v26
	v_cmp_ngt_f32_e64 s5, 0xc2ce8ed0, v22
	v_add_f32_e32 v23, v24, v23
	v_cvt_i32_f32_e32 v24, v26
	v_exp_f32_e32 v23, v23
	v_ldexp_f32 v23, v23, v24
	v_cndmask_b32_e64 v23, 0, v23, s5
	v_cmp_nlt_f32_e64 s5, 0x42b17218, v22
	v_cndmask_b32_e64 v22, 0x7f800000, v23, s5
.LBB267_14:
	s_or_b32 exec_lo, exec_lo, s6
	s_and_b32 s4, s4, s3
	s_and_saveexec_b32 s5, s4
	s_cbranch_execz .LBB267_16
; %bb.15:
	s_mov_b32 s11, 0
	s_lshl_b64 s[6:7], s[10:11], 1
	v_add_co_u32 v4, s4, v4, s6
	v_add_co_ci_u32_e64 v5, null, s7, v5, s4
	v_add_co_u32 v2, s4, v2, s6
	v_add_co_ci_u32_e64 v3, null, s7, v3, s4
	global_load_ushort v4, v[4:5], off offset:192
	s_mov_b32 s4, 0x3fb8aa3b
	global_load_ushort v2, v[2:3], off offset:192
	s_waitcnt vmcnt(1)
	v_cvt_f32_f16_e32 v3, v4
	v_mul_f32_e32 v5, 0x3fb8aa3b, v3
	v_fma_mix_f32 v19, v4, s4, -v5 op_sel_hi:[1,0,0]
	v_rndne_f32_e32 v20, v5
	s_mov_b32 s4, 0x32a5705f
	v_fma_mix_f32 v4, v4, s4, v19 op_sel_hi:[1,0,0]
	v_sub_f32_e32 v5, v5, v20
	v_cmp_ngt_f32_e64 s4, 0xc2ce8ed0, v3
	s_waitcnt vmcnt(0)
	v_cvt_f32_f16_e32 v19, v2
	v_add_f32_e32 v4, v5, v4
	v_cvt_i32_f32_e32 v5, v20
	v_exp_f32_e32 v4, v4
	v_ldexp_f32 v4, v4, v5
	v_cndmask_b32_e64 v4, 0, v4, s4
	v_cmp_nlt_f32_e64 s4, 0x42b17218, v3
	v_cndmask_b32_e64 v20, 0x7f800000, v4, s4
.LBB267_16:
	s_or_b32 exec_lo, exec_lo, s5
	v_mbcnt_lo_u32_b32 v3, -1, 0
	v_add_f32_e32 v2, 0, v10
	v_add_f32_e32 v4, 0, v17
	v_xor_b32_e32 v5, 16, v3
	v_add_f32_e32 v2, v2, v9
	v_add_f32_e32 v4, v4, v6
	v_xor_b32_e32 v24, 8, v3
	v_cmp_gt_i32_e64 s4, 32, v5
	v_add_f32_e32 v2, v2, v14
	v_add_f32_e32 v4, v4, v21
	v_cndmask_b32_e64 v5, v3, v5, s4
	v_add_f32_e32 v2, v2, v12
	v_add_f32_e32 v4, v4, v19
	v_cmp_gt_i32_e64 s4, 32, v24
	v_lshlrev_b32_e32 v5, 2, v5
	v_cndmask_b32_e64 v24, v3, v24, s4
	ds_bpermute_b32 v23, v5, v2
	ds_bpermute_b32 v5, v5, v4
	v_lshlrev_b32_e32 v24, 2, v24
	s_waitcnt lgkmcnt(1)
	v_add_f32_e32 v2, v2, v23
	s_waitcnt lgkmcnt(0)
	v_add_f32_e32 v4, v4, v5
	ds_bpermute_b32 v5, v24, v2
	ds_bpermute_b32 v23, v24, v4
	v_xor_b32_e32 v24, 4, v3
	v_cmp_gt_i32_e64 s4, 32, v24
	v_cndmask_b32_e64 v24, v3, v24, s4
	v_lshlrev_b32_e32 v24, 2, v24
	s_waitcnt lgkmcnt(1)
	v_add_f32_e32 v2, v2, v5
	s_waitcnt lgkmcnt(0)
	v_add_f32_e32 v4, v4, v23
	ds_bpermute_b32 v5, v24, v2
	ds_bpermute_b32 v23, v24, v4
	v_xor_b32_e32 v24, 2, v3
	v_cmp_gt_i32_e64 s4, 32, v24
	v_cndmask_b32_e64 v24, v3, v24, s4
	;; [unrolled: 10-line block ×3, first 2 shown]
	v_lshlrev_b32_e32 v3, 2, v3
	s_waitcnt lgkmcnt(1)
	v_add_f32_e32 v4, v2, v4
	s_waitcnt lgkmcnt(0)
	v_add_f32_e32 v2, v5, v23
	ds_bpermute_b32 v5, v3, v4
	ds_bpermute_b32 v3, v3, v2
	s_and_saveexec_b32 s4, s2
	s_cbranch_execz .LBB267_22
; %bb.17:
	v_add_co_u32 v0, s2, s12, v0
	v_add_co_ci_u32_e64 v1, null, s13, v1, s2
	s_waitcnt lgkmcnt(1)
	v_add_f32_e32 v4, v4, v5
	s_and_saveexec_b32 s2, vcc_lo
	s_cbranch_execnz .LBB267_23
; %bb.18:
	s_or_b32 exec_lo, exec_lo, s2
	s_and_saveexec_b32 s2, s0
	s_cbranch_execnz .LBB267_24
.LBB267_19:
	s_or_b32 exec_lo, exec_lo, s2
	s_and_saveexec_b32 s2, s1
	s_cbranch_execnz .LBB267_25
.LBB267_20:
	s_or_b32 exec_lo, exec_lo, s2
	s_and_saveexec_b32 s2, s3
	s_cbranch_execnz .LBB267_26
.LBB267_21:
	s_or_b32 exec_lo, exec_lo, s2
	v_cmp_ne_u32_e64 s2, 1, v7
	s_and_b32 exec_lo, exec_lo, s2
	s_cbranch_execnz .LBB267_27
.LBB267_22:
	s_endpgm
.LBB267_23:
	v_fma_mixlo_f16 v5, -v4, v11, v10
	global_store_short v[0:1], v5, off
	s_or_b32 exec_lo, exec_lo, s2
	s_and_saveexec_b32 s2, s0
	s_cbranch_execz .LBB267_19
.LBB267_24:
	v_fma_mixlo_f16 v5, -v4, v8, v9
	global_store_short v[0:1], v5, off offset:64
	s_or_b32 exec_lo, exec_lo, s2
	s_and_saveexec_b32 s2, s1
	s_cbranch_execz .LBB267_20
.LBB267_25:
	v_fma_mixlo_f16 v5, -v4, v15, v14
	global_store_short v[0:1], v5, off offset:128
	s_or_b32 exec_lo, exec_lo, s2
	s_and_saveexec_b32 s2, s3
	s_cbranch_execz .LBB267_21
.LBB267_26:
	v_fma_mixlo_f16 v4, -v4, v13, v12
	global_store_short v[0:1], v4, off offset:192
	s_or_b32 exec_lo, exec_lo, s2
	v_cmp_ne_u32_e64 s2, 1, v7
	s_and_b32 exec_lo, exec_lo, s2
	s_cbranch_execz .LBB267_22
.LBB267_27:
	s_waitcnt lgkmcnt(0)
	v_add_f32_e32 v2, v2, v3
	s_and_saveexec_b32 s2, vcc_lo
	s_cbranch_execnz .LBB267_31
; %bb.28:
	s_or_b32 exec_lo, exec_lo, s2
	s_and_saveexec_b32 s2, s0
	s_cbranch_execnz .LBB267_32
.LBB267_29:
	s_or_b32 exec_lo, exec_lo, s2
	s_and_saveexec_b32 s0, s1
	s_cbranch_execnz .LBB267_33
.LBB267_30:
	s_or_b32 exec_lo, exec_lo, s0
	s_and_b32 exec_lo, exec_lo, s3
	s_cbranch_execz .LBB267_22
	s_branch .LBB267_34
.LBB267_31:
	s_mov_b32 s11, 0
	v_fma_mixlo_f16 v5, -v2, v18, v17
	s_lshl_b64 s[4:5], s[10:11], 1
	v_add_co_u32 v3, vcc_lo, v0, s4
	v_add_co_ci_u32_e64 v4, null, s5, v1, vcc_lo
	global_store_short v[3:4], v5, off
	s_or_b32 exec_lo, exec_lo, s2
	s_and_saveexec_b32 s2, s0
	s_cbranch_execz .LBB267_29
.LBB267_32:
	s_mov_b32 s11, 0
	v_fma_mixlo_f16 v5, -v2, v16, v6
	s_lshl_b64 s[4:5], s[10:11], 1
	v_add_co_u32 v3, vcc_lo, v0, s4
	v_add_co_ci_u32_e64 v4, null, s5, v1, vcc_lo
	global_store_short v[3:4], v5, off offset:64
	s_or_b32 exec_lo, exec_lo, s2
	s_and_saveexec_b32 s0, s1
	s_cbranch_execz .LBB267_30
.LBB267_33:
	s_mov_b32 s11, 0
	v_fma_mixlo_f16 v5, -v2, v22, v21
	s_lshl_b64 s[4:5], s[10:11], 1
	v_add_co_u32 v3, vcc_lo, v0, s4
	v_add_co_ci_u32_e64 v4, null, s5, v1, vcc_lo
	global_store_short v[3:4], v5, off offset:128
	s_or_b32 exec_lo, exec_lo, s0
	s_and_b32 exec_lo, exec_lo, s3
	s_cbranch_execz .LBB267_22
.LBB267_34:
	s_mov_b32 s11, 0
	v_fma_mixlo_f16 v2, -v2, v20, v19
	s_lshl_b64 s[0:1], s[10:11], 1
	v_add_co_u32 v0, vcc_lo, v0, s0
	v_add_co_ci_u32_e64 v1, null, s1, v1, vcc_lo
	global_store_short v[0:1], v2, off offset:192
	s_endpgm
	.section	.rodata,"a",@progbits
	.p2align	6, 0x0
	.amdhsa_kernel _ZN12_GLOBAL__N_121softmax_warp_backwardIN3c104HalfES2_fLi7ELb1ELb0ELi32EEEvPT0_PKT_S7_iiiPKb
		.amdhsa_group_segment_fixed_size 0
		.amdhsa_private_segment_fixed_size 0
		.amdhsa_kernarg_size 304
		.amdhsa_user_sgpr_count 6
		.amdhsa_user_sgpr_private_segment_buffer 1
		.amdhsa_user_sgpr_dispatch_ptr 0
		.amdhsa_user_sgpr_queue_ptr 0
		.amdhsa_user_sgpr_kernarg_segment_ptr 1
		.amdhsa_user_sgpr_dispatch_id 0
		.amdhsa_user_sgpr_flat_scratch_init 0
		.amdhsa_user_sgpr_private_segment_size 0
		.amdhsa_wavefront_size32 1
		.amdhsa_uses_dynamic_stack 0
		.amdhsa_system_sgpr_private_segment_wavefront_offset 0
		.amdhsa_system_sgpr_workgroup_id_x 1
		.amdhsa_system_sgpr_workgroup_id_y 0
		.amdhsa_system_sgpr_workgroup_id_z 0
		.amdhsa_system_sgpr_workgroup_info 0
		.amdhsa_system_vgpr_workitem_id 1
		.amdhsa_next_free_vgpr 27
		.amdhsa_next_free_sgpr 16
		.amdhsa_reserve_vcc 1
		.amdhsa_reserve_flat_scratch 0
		.amdhsa_float_round_mode_32 0
		.amdhsa_float_round_mode_16_64 0
		.amdhsa_float_denorm_mode_32 3
		.amdhsa_float_denorm_mode_16_64 3
		.amdhsa_dx10_clamp 1
		.amdhsa_ieee_mode 1
		.amdhsa_fp16_overflow 0
		.amdhsa_workgroup_processor_mode 1
		.amdhsa_memory_ordered 1
		.amdhsa_forward_progress 1
		.amdhsa_shared_vgpr_count 0
		.amdhsa_exception_fp_ieee_invalid_op 0
		.amdhsa_exception_fp_denorm_src 0
		.amdhsa_exception_fp_ieee_div_zero 0
		.amdhsa_exception_fp_ieee_overflow 0
		.amdhsa_exception_fp_ieee_underflow 0
		.amdhsa_exception_fp_ieee_inexact 0
		.amdhsa_exception_int_div_zero 0
	.end_amdhsa_kernel
	.section	.text._ZN12_GLOBAL__N_121softmax_warp_backwardIN3c104HalfES2_fLi7ELb1ELb0ELi32EEEvPT0_PKT_S7_iiiPKb,"axG",@progbits,_ZN12_GLOBAL__N_121softmax_warp_backwardIN3c104HalfES2_fLi7ELb1ELb0ELi32EEEvPT0_PKT_S7_iiiPKb,comdat
.Lfunc_end267:
	.size	_ZN12_GLOBAL__N_121softmax_warp_backwardIN3c104HalfES2_fLi7ELb1ELb0ELi32EEEvPT0_PKT_S7_iiiPKb, .Lfunc_end267-_ZN12_GLOBAL__N_121softmax_warp_backwardIN3c104HalfES2_fLi7ELb1ELb0ELi32EEEvPT0_PKT_S7_iiiPKb
                                        ; -- End function
	.set _ZN12_GLOBAL__N_121softmax_warp_backwardIN3c104HalfES2_fLi7ELb1ELb0ELi32EEEvPT0_PKT_S7_iiiPKb.num_vgpr, 27
	.set _ZN12_GLOBAL__N_121softmax_warp_backwardIN3c104HalfES2_fLi7ELb1ELb0ELi32EEEvPT0_PKT_S7_iiiPKb.num_agpr, 0
	.set _ZN12_GLOBAL__N_121softmax_warp_backwardIN3c104HalfES2_fLi7ELb1ELb0ELi32EEEvPT0_PKT_S7_iiiPKb.numbered_sgpr, 16
	.set _ZN12_GLOBAL__N_121softmax_warp_backwardIN3c104HalfES2_fLi7ELb1ELb0ELi32EEEvPT0_PKT_S7_iiiPKb.num_named_barrier, 0
	.set _ZN12_GLOBAL__N_121softmax_warp_backwardIN3c104HalfES2_fLi7ELb1ELb0ELi32EEEvPT0_PKT_S7_iiiPKb.private_seg_size, 0
	.set _ZN12_GLOBAL__N_121softmax_warp_backwardIN3c104HalfES2_fLi7ELb1ELb0ELi32EEEvPT0_PKT_S7_iiiPKb.uses_vcc, 1
	.set _ZN12_GLOBAL__N_121softmax_warp_backwardIN3c104HalfES2_fLi7ELb1ELb0ELi32EEEvPT0_PKT_S7_iiiPKb.uses_flat_scratch, 0
	.set _ZN12_GLOBAL__N_121softmax_warp_backwardIN3c104HalfES2_fLi7ELb1ELb0ELi32EEEvPT0_PKT_S7_iiiPKb.has_dyn_sized_stack, 0
	.set _ZN12_GLOBAL__N_121softmax_warp_backwardIN3c104HalfES2_fLi7ELb1ELb0ELi32EEEvPT0_PKT_S7_iiiPKb.has_recursion, 0
	.set _ZN12_GLOBAL__N_121softmax_warp_backwardIN3c104HalfES2_fLi7ELb1ELb0ELi32EEEvPT0_PKT_S7_iiiPKb.has_indirect_call, 0
	.section	.AMDGPU.csdata,"",@progbits
; Kernel info:
; codeLenInByte = 2472
; TotalNumSgprs: 18
; NumVgprs: 27
; ScratchSize: 0
; MemoryBound: 0
; FloatMode: 240
; IeeeMode: 1
; LDSByteSize: 0 bytes/workgroup (compile time only)
; SGPRBlocks: 0
; VGPRBlocks: 3
; NumSGPRsForWavesPerEU: 18
; NumVGPRsForWavesPerEU: 27
; Occupancy: 16
; WaveLimiterHint : 0
; COMPUTE_PGM_RSRC2:SCRATCH_EN: 0
; COMPUTE_PGM_RSRC2:USER_SGPR: 6
; COMPUTE_PGM_RSRC2:TRAP_HANDLER: 0
; COMPUTE_PGM_RSRC2:TGID_X_EN: 1
; COMPUTE_PGM_RSRC2:TGID_Y_EN: 0
; COMPUTE_PGM_RSRC2:TGID_Z_EN: 0
; COMPUTE_PGM_RSRC2:TIDIG_COMP_CNT: 1
	.section	.text._ZN12_GLOBAL__N_121softmax_warp_backwardIN3c104HalfES2_fLi8ELb1ELb0ELi64EEEvPT0_PKT_S7_iiiPKb,"axG",@progbits,_ZN12_GLOBAL__N_121softmax_warp_backwardIN3c104HalfES2_fLi8ELb1ELb0ELi64EEEvPT0_PKT_S7_iiiPKb,comdat
	.globl	_ZN12_GLOBAL__N_121softmax_warp_backwardIN3c104HalfES2_fLi8ELb1ELb0ELi64EEEvPT0_PKT_S7_iiiPKb ; -- Begin function _ZN12_GLOBAL__N_121softmax_warp_backwardIN3c104HalfES2_fLi8ELb1ELb0ELi64EEEvPT0_PKT_S7_iiiPKb
	.p2align	8
	.type	_ZN12_GLOBAL__N_121softmax_warp_backwardIN3c104HalfES2_fLi8ELb1ELb0ELi64EEEvPT0_PKT_S7_iiiPKb,@function
_ZN12_GLOBAL__N_121softmax_warp_backwardIN3c104HalfES2_fLi8ELb1ELb0ELi64EEEvPT0_PKT_S7_iiiPKb: ; @_ZN12_GLOBAL__N_121softmax_warp_backwardIN3c104HalfES2_fLi8ELb1ELb0ELi64EEEvPT0_PKT_S7_iiiPKb
; %bb.0:
	s_clause 0x1
	s_load_dword s0, s[4:5], 0x3c
	s_load_dwordx4 s[12:15], s[4:5], 0x18
	v_and_b32_e32 v6, 63, v0
	s_clause 0x1
	s_load_dwordx4 s[8:11], s[4:5], 0x0
	s_load_dwordx2 s[4:5], s[4:5], 0x10
	v_mov_b32_e32 v8, 0
	s_waitcnt lgkmcnt(0)
	s_lshr_b32 s0, s0, 16
	v_cmp_gt_i32_e32 vcc_lo, s14, v6
	v_mad_u64_u32 v[1:2], null, s6, s0, v[1:2]
	v_mad_u64_u32 v[2:3], null, v1, s13, v[6:7]
	v_sub_nc_u32_e32 v9, s12, v1
	v_mov_b32_e32 v7, 0
	v_cmp_lt_i32_e64 s3, 0, v9
	v_ashrrev_i32_e32 v3, 31, v2
	s_and_b32 s1, s3, vcc_lo
	v_lshlrev_b64 v[0:1], 1, v[2:3]
	v_add_co_u32 v2, s0, s10, v0
	v_add_co_ci_u32_e64 v3, null, s11, v1, s0
	v_add_co_u32 v4, s0, s4, v0
	v_add_co_ci_u32_e64 v5, null, s5, v1, s0
	s_and_saveexec_b32 s0, s1
	s_cbranch_execz .LBB268_2
; %bb.1:
	global_load_ushort v7, v[2:3], off
	global_load_ushort v10, v[4:5], off
	s_waitcnt vmcnt(1)
	v_cvt_f32_f16_e32 v8, v7
	s_waitcnt vmcnt(0)
	v_cvt_f32_f16_e32 v7, v10
.LBB268_2:
	s_or_b32 exec_lo, exec_lo, s0
	v_or_b32_e32 v10, 64, v6
	v_cmp_gt_i32_e64 s0, s14, v10
	s_and_b32 s1, s3, s0
	s_xor_b32 s1, s1, -1
	s_and_saveexec_b32 s2, s1
	s_xor_b32 s1, exec_lo, s2
                                        ; implicit-def: $vgpr11
                                        ; implicit-def: $vgpr12
                                        ; implicit-def: $vgpr10
; %bb.3:
	s_mov_b32 s2, 0
                                        ; implicit-def: $vgpr11
                                        ; implicit-def: $vgpr10
	v_mov_b32_e32 v12, s2
; %bb.4:
	s_or_saveexec_b32 s2, s1
	v_mov_b32_e32 v13, 1.0
	s_xor_b32 exec_lo, exec_lo, s2
	s_cbranch_execz .LBB268_6
; %bb.5:
	global_load_ushort v12, v[4:5], off offset:128
	global_load_ushort v13, v[2:3], off offset:128
	s_mov_b32 s1, 0x3fb8aa3b
	s_waitcnt vmcnt(1)
	v_cvt_f32_f16_e32 v14, v12
	v_mul_f32_e32 v15, 0x3fb8aa3b, v14
	v_rndne_f32_e32 v16, v15
	v_fma_mix_f32 v17, v12, s1, -v15 op_sel_hi:[1,0,0]
	s_mov_b32 s1, 0x32a5705f
	v_sub_f32_e32 v15, v15, v16
	v_fma_mix_f32 v12, v12, s1, v17 op_sel_hi:[1,0,0]
	v_cmp_ngt_f32_e64 s1, 0xc2ce8ed0, v14
	v_add_f32_e32 v12, v15, v12
	v_cvt_i32_f32_e32 v15, v16
	v_exp_f32_e32 v12, v12
	v_ldexp_f32 v12, v12, v15
	v_cndmask_b32_e64 v15, 0, v12, s1
	v_cmp_nlt_f32_e64 s1, 0x42b17218, v14
	s_waitcnt vmcnt(0)
	v_cvt_f32_f16_e32 v12, v13
	v_cndmask_b32_e64 v13, 0x7f800000, v15, s1
.LBB268_6:
	s_or_b32 exec_lo, exec_lo, s2
	v_or_b32_e32 v14, 0x80, v6
	v_cmp_gt_i32_e64 s1, s14, v14
	s_and_b32 s2, s3, s1
	s_xor_b32 s2, s2, -1
	s_and_saveexec_b32 s4, s2
	s_xor_b32 s2, exec_lo, s4
; %bb.7:
	s_mov_b32 s4, 0
	v_mov_b32_e32 v11, s4
; %bb.8:
	s_or_saveexec_b32 s4, s2
	v_mov_b32_e32 v14, 1.0
	s_xor_b32 exec_lo, exec_lo, s4
	s_cbranch_execz .LBB268_10
; %bb.9:
	global_load_ushort v11, v[4:5], off offset:256
	global_load_ushort v14, v[2:3], off offset:256
	s_mov_b32 s2, 0x3fb8aa3b
	s_waitcnt vmcnt(1)
	v_cvt_f32_f16_e32 v15, v11
	v_mul_f32_e32 v16, 0x3fb8aa3b, v15
	v_rndne_f32_e32 v17, v16
	v_fma_mix_f32 v18, v11, s2, -v16 op_sel_hi:[1,0,0]
	s_mov_b32 s2, 0x32a5705f
	v_sub_f32_e32 v16, v16, v17
	v_fma_mix_f32 v11, v11, s2, v18 op_sel_hi:[1,0,0]
	v_cmp_ngt_f32_e64 s2, 0xc2ce8ed0, v15
	v_add_f32_e32 v11, v16, v11
	v_cvt_i32_f32_e32 v16, v17
	v_exp_f32_e32 v11, v11
	v_ldexp_f32 v11, v11, v16
	v_cndmask_b32_e64 v16, 0, v11, s2
	v_cmp_nlt_f32_e64 s2, 0x42b17218, v15
	s_waitcnt vmcnt(0)
	v_cvt_f32_f16_e32 v11, v14
	v_cndmask_b32_e64 v14, 0x7f800000, v16, s2
.LBB268_10:
	s_or_b32 exec_lo, exec_lo, s4
	v_or_b32_e32 v6, 0xc0, v6
	v_cmp_gt_i32_e64 s2, s14, v6
	s_and_b32 s3, s3, s2
	s_xor_b32 s3, s3, -1
	s_and_saveexec_b32 s4, s3
	s_xor_b32 s3, exec_lo, s4
; %bb.11:
	s_mov_b32 s4, 0
                                        ; implicit-def: $vgpr2_vgpr3
                                        ; implicit-def: $vgpr4_vgpr5
	v_mov_b32_e32 v10, s4
; %bb.12:
	s_or_saveexec_b32 s4, s3
	v_mov_b32_e32 v6, 1.0
	s_xor_b32 exec_lo, exec_lo, s4
	s_cbranch_execz .LBB268_14
; %bb.13:
	global_load_ushort v4, v[4:5], off offset:384
	global_load_ushort v2, v[2:3], off offset:384
	s_mov_b32 s3, 0x3fb8aa3b
	s_waitcnt vmcnt(1)
	v_cvt_f32_f16_e32 v3, v4
	v_mul_f32_e32 v5, 0x3fb8aa3b, v3
	v_rndne_f32_e32 v6, v5
	v_fma_mix_f32 v10, v4, s3, -v5 op_sel_hi:[1,0,0]
	s_mov_b32 s3, 0x32a5705f
	v_sub_f32_e32 v5, v5, v6
	v_fma_mix_f32 v4, v4, s3, v10 op_sel_hi:[1,0,0]
	v_cmp_ngt_f32_e64 s3, 0xc2ce8ed0, v3
	s_waitcnt vmcnt(0)
	v_cvt_f32_f16_e32 v10, v2
	v_add_f32_e32 v4, v5, v4
	v_cvt_i32_f32_e32 v5, v6
	v_exp_f32_e32 v4, v4
	v_ldexp_f32 v4, v4, v5
	v_cndmask_b32_e64 v4, 0, v4, s3
	v_cmp_nlt_f32_e64 s3, 0x42b17218, v3
	v_cndmask_b32_e64 v6, 0x7f800000, v4, s3
.LBB268_14:
	s_or_b32 exec_lo, exec_lo, s4
	v_mbcnt_lo_u32_b32 v3, -1, 0
	v_add_f32_e32 v2, 0, v8
	s_mov_b32 s4, exec_lo
	v_or_b32_e32 v4, 32, v3
	v_add_f32_e32 v2, v2, v12
	v_xor_b32_e32 v5, 16, v3
	v_cmp_gt_i32_e64 s3, 64, v4
	v_add_f32_e32 v2, v2, v11
	v_cndmask_b32_e64 v4, v3, v4, s3
	v_add_f32_e32 v2, v2, v10
	v_cmp_gt_i32_e64 s3, 64, v5
	v_lshlrev_b32_e32 v4, 2, v4
	v_cndmask_b32_e64 v5, v3, v5, s3
	ds_bpermute_b32 v4, v4, v2
	v_lshlrev_b32_e32 v5, 2, v5
	s_waitcnt lgkmcnt(0)
	v_add_f32_e32 v2, v2, v4
	ds_bpermute_b32 v4, v5, v2
	v_xor_b32_e32 v5, 8, v3
	v_cmp_gt_i32_e64 s3, 64, v5
	v_cndmask_b32_e64 v5, v3, v5, s3
	v_lshlrev_b32_e32 v5, 2, v5
	s_waitcnt lgkmcnt(0)
	v_add_f32_e32 v2, v2, v4
	ds_bpermute_b32 v4, v5, v2
	v_xor_b32_e32 v5, 4, v3
	v_cmp_gt_i32_e64 s3, 64, v5
	v_cndmask_b32_e64 v5, v3, v5, s3
	;; [unrolled: 7-line block ×4, first 2 shown]
	v_lshlrev_b32_e32 v3, 2, v3
	s_waitcnt lgkmcnt(0)
	v_add_f32_e32 v2, v2, v4
	ds_bpermute_b32 v3, v3, v2
	v_cmpx_lt_i32_e32 0, v9
	s_cbranch_execz .LBB268_20
; %bb.15:
	v_add_co_u32 v0, s3, s8, v0
	v_add_co_ci_u32_e64 v1, null, s9, v1, s3
	s_waitcnt lgkmcnt(0)
	v_add_f32_e32 v2, v2, v3
	s_and_saveexec_b32 s3, vcc_lo
	s_cbranch_execnz .LBB268_21
; %bb.16:
	s_or_b32 exec_lo, exec_lo, s3
	s_and_saveexec_b32 s3, s0
	s_cbranch_execnz .LBB268_22
.LBB268_17:
	s_or_b32 exec_lo, exec_lo, s3
	s_and_saveexec_b32 s0, s1
	s_cbranch_execnz .LBB268_23
.LBB268_18:
	s_or_b32 exec_lo, exec_lo, s0
	s_and_b32 exec_lo, exec_lo, s2
	s_cbranch_execz .LBB268_20
.LBB268_19:
	v_fma_mixlo_f16 v2, -v2, v6, v10
	global_store_short v[0:1], v2, off offset:384
.LBB268_20:
	s_endpgm
.LBB268_21:
	v_mul_f32_e32 v3, 0x3fb8aa3b, v7
	v_cmp_ngt_f32_e32 vcc_lo, 0xc2ce8ed0, v7
	v_rndne_f32_e32 v4, v3
	v_fma_f32 v5, 0x3fb8aa3b, v7, -v3
	v_sub_f32_e32 v3, v3, v4
	v_fmamk_f32 v5, v7, 0x32a5705f, v5
	v_cvt_i32_f32_e32 v4, v4
	v_add_f32_e32 v3, v3, v5
	v_exp_f32_e32 v3, v3
	v_ldexp_f32 v3, v3, v4
	v_cndmask_b32_e32 v3, 0, v3, vcc_lo
	v_cmp_nlt_f32_e32 vcc_lo, 0x42b17218, v7
	v_cndmask_b32_e32 v3, 0x7f800000, v3, vcc_lo
	v_fma_mixlo_f16 v3, -v2, v3, v8
	global_store_short v[0:1], v3, off
	s_or_b32 exec_lo, exec_lo, s3
	s_and_saveexec_b32 s3, s0
	s_cbranch_execz .LBB268_17
.LBB268_22:
	v_fma_mixlo_f16 v3, -v2, v13, v12
	global_store_short v[0:1], v3, off offset:128
	s_or_b32 exec_lo, exec_lo, s3
	s_and_saveexec_b32 s0, s1
	s_cbranch_execz .LBB268_18
.LBB268_23:
	v_fma_mixlo_f16 v3, -v2, v14, v11
	global_store_short v[0:1], v3, off offset:256
	s_or_b32 exec_lo, exec_lo, s0
	s_and_b32 exec_lo, exec_lo, s2
	s_cbranch_execnz .LBB268_19
	s_branch .LBB268_20
	.section	.rodata,"a",@progbits
	.p2align	6, 0x0
	.amdhsa_kernel _ZN12_GLOBAL__N_121softmax_warp_backwardIN3c104HalfES2_fLi8ELb1ELb0ELi64EEEvPT0_PKT_S7_iiiPKb
		.amdhsa_group_segment_fixed_size 0
		.amdhsa_private_segment_fixed_size 0
		.amdhsa_kernarg_size 304
		.amdhsa_user_sgpr_count 6
		.amdhsa_user_sgpr_private_segment_buffer 1
		.amdhsa_user_sgpr_dispatch_ptr 0
		.amdhsa_user_sgpr_queue_ptr 0
		.amdhsa_user_sgpr_kernarg_segment_ptr 1
		.amdhsa_user_sgpr_dispatch_id 0
		.amdhsa_user_sgpr_flat_scratch_init 0
		.amdhsa_user_sgpr_private_segment_size 0
		.amdhsa_wavefront_size32 1
		.amdhsa_uses_dynamic_stack 0
		.amdhsa_system_sgpr_private_segment_wavefront_offset 0
		.amdhsa_system_sgpr_workgroup_id_x 1
		.amdhsa_system_sgpr_workgroup_id_y 0
		.amdhsa_system_sgpr_workgroup_id_z 0
		.amdhsa_system_sgpr_workgroup_info 0
		.amdhsa_system_vgpr_workitem_id 1
		.amdhsa_next_free_vgpr 19
		.amdhsa_next_free_sgpr 16
		.amdhsa_reserve_vcc 1
		.amdhsa_reserve_flat_scratch 0
		.amdhsa_float_round_mode_32 0
		.amdhsa_float_round_mode_16_64 0
		.amdhsa_float_denorm_mode_32 3
		.amdhsa_float_denorm_mode_16_64 3
		.amdhsa_dx10_clamp 1
		.amdhsa_ieee_mode 1
		.amdhsa_fp16_overflow 0
		.amdhsa_workgroup_processor_mode 1
		.amdhsa_memory_ordered 1
		.amdhsa_forward_progress 1
		.amdhsa_shared_vgpr_count 0
		.amdhsa_exception_fp_ieee_invalid_op 0
		.amdhsa_exception_fp_denorm_src 0
		.amdhsa_exception_fp_ieee_div_zero 0
		.amdhsa_exception_fp_ieee_overflow 0
		.amdhsa_exception_fp_ieee_underflow 0
		.amdhsa_exception_fp_ieee_inexact 0
		.amdhsa_exception_int_div_zero 0
	.end_amdhsa_kernel
	.section	.text._ZN12_GLOBAL__N_121softmax_warp_backwardIN3c104HalfES2_fLi8ELb1ELb0ELi64EEEvPT0_PKT_S7_iiiPKb,"axG",@progbits,_ZN12_GLOBAL__N_121softmax_warp_backwardIN3c104HalfES2_fLi8ELb1ELb0ELi64EEEvPT0_PKT_S7_iiiPKb,comdat
.Lfunc_end268:
	.size	_ZN12_GLOBAL__N_121softmax_warp_backwardIN3c104HalfES2_fLi8ELb1ELb0ELi64EEEvPT0_PKT_S7_iiiPKb, .Lfunc_end268-_ZN12_GLOBAL__N_121softmax_warp_backwardIN3c104HalfES2_fLi8ELb1ELb0ELi64EEEvPT0_PKT_S7_iiiPKb
                                        ; -- End function
	.set _ZN12_GLOBAL__N_121softmax_warp_backwardIN3c104HalfES2_fLi8ELb1ELb0ELi64EEEvPT0_PKT_S7_iiiPKb.num_vgpr, 19
	.set _ZN12_GLOBAL__N_121softmax_warp_backwardIN3c104HalfES2_fLi8ELb1ELb0ELi64EEEvPT0_PKT_S7_iiiPKb.num_agpr, 0
	.set _ZN12_GLOBAL__N_121softmax_warp_backwardIN3c104HalfES2_fLi8ELb1ELb0ELi64EEEvPT0_PKT_S7_iiiPKb.numbered_sgpr, 16
	.set _ZN12_GLOBAL__N_121softmax_warp_backwardIN3c104HalfES2_fLi8ELb1ELb0ELi64EEEvPT0_PKT_S7_iiiPKb.num_named_barrier, 0
	.set _ZN12_GLOBAL__N_121softmax_warp_backwardIN3c104HalfES2_fLi8ELb1ELb0ELi64EEEvPT0_PKT_S7_iiiPKb.private_seg_size, 0
	.set _ZN12_GLOBAL__N_121softmax_warp_backwardIN3c104HalfES2_fLi8ELb1ELb0ELi64EEEvPT0_PKT_S7_iiiPKb.uses_vcc, 1
	.set _ZN12_GLOBAL__N_121softmax_warp_backwardIN3c104HalfES2_fLi8ELb1ELb0ELi64EEEvPT0_PKT_S7_iiiPKb.uses_flat_scratch, 0
	.set _ZN12_GLOBAL__N_121softmax_warp_backwardIN3c104HalfES2_fLi8ELb1ELb0ELi64EEEvPT0_PKT_S7_iiiPKb.has_dyn_sized_stack, 0
	.set _ZN12_GLOBAL__N_121softmax_warp_backwardIN3c104HalfES2_fLi8ELb1ELb0ELi64EEEvPT0_PKT_S7_iiiPKb.has_recursion, 0
	.set _ZN12_GLOBAL__N_121softmax_warp_backwardIN3c104HalfES2_fLi8ELb1ELb0ELi64EEEvPT0_PKT_S7_iiiPKb.has_indirect_call, 0
	.section	.AMDGPU.csdata,"",@progbits
; Kernel info:
; codeLenInByte = 1320
; TotalNumSgprs: 18
; NumVgprs: 19
; ScratchSize: 0
; MemoryBound: 0
; FloatMode: 240
; IeeeMode: 1
; LDSByteSize: 0 bytes/workgroup (compile time only)
; SGPRBlocks: 0
; VGPRBlocks: 2
; NumSGPRsForWavesPerEU: 18
; NumVGPRsForWavesPerEU: 19
; Occupancy: 16
; WaveLimiterHint : 0
; COMPUTE_PGM_RSRC2:SCRATCH_EN: 0
; COMPUTE_PGM_RSRC2:USER_SGPR: 6
; COMPUTE_PGM_RSRC2:TRAP_HANDLER: 0
; COMPUTE_PGM_RSRC2:TGID_X_EN: 1
; COMPUTE_PGM_RSRC2:TGID_Y_EN: 0
; COMPUTE_PGM_RSRC2:TGID_Z_EN: 0
; COMPUTE_PGM_RSRC2:TIDIG_COMP_CNT: 1
	.section	.text._ZN12_GLOBAL__N_121softmax_warp_backwardIN3c104HalfES2_fLi8ELb1ELb0ELi32EEEvPT0_PKT_S7_iiiPKb,"axG",@progbits,_ZN12_GLOBAL__N_121softmax_warp_backwardIN3c104HalfES2_fLi8ELb1ELb0ELi32EEEvPT0_PKT_S7_iiiPKb,comdat
	.globl	_ZN12_GLOBAL__N_121softmax_warp_backwardIN3c104HalfES2_fLi8ELb1ELb0ELi32EEEvPT0_PKT_S7_iiiPKb ; -- Begin function _ZN12_GLOBAL__N_121softmax_warp_backwardIN3c104HalfES2_fLi8ELb1ELb0ELi32EEEvPT0_PKT_S7_iiiPKb
	.p2align	8
	.type	_ZN12_GLOBAL__N_121softmax_warp_backwardIN3c104HalfES2_fLi8ELb1ELb0ELi32EEEvPT0_PKT_S7_iiiPKb,@function
_ZN12_GLOBAL__N_121softmax_warp_backwardIN3c104HalfES2_fLi8ELb1ELb0ELi32EEEvPT0_PKT_S7_iiiPKb: ; @_ZN12_GLOBAL__N_121softmax_warp_backwardIN3c104HalfES2_fLi8ELb1ELb0ELi32EEEvPT0_PKT_S7_iiiPKb
; %bb.0:
	s_clause 0x1
	s_load_dword s0, s[4:5], 0x3c
	s_load_dwordx4 s[12:15], s[4:5], 0x18
	v_and_b32_e32 v6, 31, v0
	s_clause 0x1
	s_load_dwordx4 s[8:11], s[4:5], 0x0
	s_load_dwordx2 s[4:5], s[4:5], 0x10
	v_mov_b32_e32 v8, 0
	v_mov_b32_e32 v10, 0
	s_waitcnt lgkmcnt(0)
	s_lshr_b32 s0, s0, 16
	v_cmp_gt_i32_e32 vcc_lo, s14, v6
	v_mad_u64_u32 v[1:2], null, s6, s0, v[1:2]
	v_mad_u64_u32 v[2:3], null, v1, s13, v[6:7]
	v_sub_nc_u32_e32 v11, s12, v1
	v_cmp_lt_i32_e64 s3, 0, v11
	v_ashrrev_i32_e32 v3, 31, v2
	s_and_b32 s1, s3, vcc_lo
	v_lshlrev_b64 v[0:1], 1, v[2:3]
	v_add_co_u32 v2, s0, s10, v0
	v_add_co_ci_u32_e64 v3, null, s11, v1, s0
	v_add_co_u32 v4, s0, s4, v0
	v_add_co_ci_u32_e64 v5, null, s5, v1, s0
	s_and_saveexec_b32 s0, s1
	s_cbranch_execz .LBB269_2
; %bb.1:
	global_load_ushort v7, v[2:3], off
	global_load_ushort v8, v[4:5], off
	s_waitcnt vmcnt(1)
	v_cvt_f32_f16_e32 v10, v7
	s_waitcnt vmcnt(0)
	v_cvt_f32_f16_e32 v8, v8
.LBB269_2:
	s_or_b32 exec_lo, exec_lo, s0
	v_or_b32_e32 v7, 32, v6
	v_cmp_gt_i32_e64 s0, s14, v7
	s_and_b32 s1, s3, s0
	s_xor_b32 s1, s1, -1
	s_and_saveexec_b32 s2, s1
	s_xor_b32 s1, exec_lo, s2
                                        ; implicit-def: $vgpr7
                                        ; implicit-def: $vgpr12
                                        ; implicit-def: $vgpr13
                                        ; implicit-def: $vgpr14
                                        ; implicit-def: $vgpr15
                                        ; implicit-def: $vgpr16
                                        ; implicit-def: $vgpr9
; %bb.3:
	s_mov_b32 s2, 0
                                        ; implicit-def: $vgpr7
                                        ; implicit-def: $vgpr12
                                        ; implicit-def: $vgpr13
                                        ; implicit-def: $vgpr14
                                        ; implicit-def: $vgpr15
                                        ; implicit-def: $vgpr9
	v_mov_b32_e32 v16, s2
; %bb.4:
	s_or_saveexec_b32 s2, s1
	v_mov_b32_e32 v17, 1.0
	s_xor_b32 exec_lo, exec_lo, s2
	s_cbranch_execz .LBB269_6
; %bb.5:
	global_load_ushort v16, v[4:5], off offset:64
	global_load_ushort v17, v[2:3], off offset:64
	s_mov_b32 s1, 0x3fb8aa3b
	s_waitcnt vmcnt(1)
	v_cvt_f32_f16_e32 v18, v16
	v_mul_f32_e32 v19, 0x3fb8aa3b, v18
	v_rndne_f32_e32 v20, v19
	v_fma_mix_f32 v21, v16, s1, -v19 op_sel_hi:[1,0,0]
	s_mov_b32 s1, 0x32a5705f
	v_sub_f32_e32 v19, v19, v20
	v_fma_mix_f32 v16, v16, s1, v21 op_sel_hi:[1,0,0]
	v_cmp_ngt_f32_e64 s1, 0xc2ce8ed0, v18
	v_add_f32_e32 v16, v19, v16
	v_cvt_i32_f32_e32 v19, v20
	v_exp_f32_e32 v16, v16
	v_ldexp_f32 v16, v16, v19
	v_cndmask_b32_e64 v19, 0, v16, s1
	v_cmp_nlt_f32_e64 s1, 0x42b17218, v18
	s_waitcnt vmcnt(0)
	v_cvt_f32_f16_e32 v16, v17
	v_cndmask_b32_e64 v17, 0x7f800000, v19, s1
.LBB269_6:
	s_or_b32 exec_lo, exec_lo, s2
	v_or_b32_e32 v18, 64, v6
	v_cmp_gt_i32_e64 s1, s14, v18
	s_and_b32 s2, s3, s1
	s_xor_b32 s2, s2, -1
	s_and_saveexec_b32 s4, s2
	s_xor_b32 s2, exec_lo, s4
; %bb.7:
	s_mov_b32 s4, 0
	v_mov_b32_e32 v15, s4
; %bb.8:
	s_or_saveexec_b32 s4, s2
	v_mov_b32_e32 v18, 1.0
	s_xor_b32 exec_lo, exec_lo, s4
	s_cbranch_execz .LBB269_10
; %bb.9:
	global_load_ushort v15, v[4:5], off offset:128
	global_load_ushort v18, v[2:3], off offset:128
	s_mov_b32 s2, 0x3fb8aa3b
	s_waitcnt vmcnt(1)
	v_cvt_f32_f16_e32 v19, v15
	v_mul_f32_e32 v20, 0x3fb8aa3b, v19
	v_rndne_f32_e32 v21, v20
	v_fma_mix_f32 v22, v15, s2, -v20 op_sel_hi:[1,0,0]
	s_mov_b32 s2, 0x32a5705f
	v_sub_f32_e32 v20, v20, v21
	v_fma_mix_f32 v15, v15, s2, v22 op_sel_hi:[1,0,0]
	v_cmp_ngt_f32_e64 s2, 0xc2ce8ed0, v19
	v_add_f32_e32 v15, v20, v15
	v_cvt_i32_f32_e32 v20, v21
	v_exp_f32_e32 v15, v15
	v_ldexp_f32 v15, v15, v20
	v_cndmask_b32_e64 v20, 0, v15, s2
	v_cmp_nlt_f32_e64 s2, 0x42b17218, v19
	s_waitcnt vmcnt(0)
	v_cvt_f32_f16_e32 v15, v18
	v_cndmask_b32_e64 v18, 0x7f800000, v20, s2
.LBB269_10:
	s_or_b32 exec_lo, exec_lo, s4
	v_or_b32_e32 v19, 0x60, v6
	v_cmp_gt_i32_e64 s2, s14, v19
	s_and_b32 s4, s3, s2
	s_xor_b32 s4, s4, -1
	s_and_saveexec_b32 s5, s4
	s_xor_b32 s4, exec_lo, s5
; %bb.11:
	s_mov_b32 s5, 0
	;; [unrolled: 38-line block ×6, first 2 shown]
                                        ; implicit-def: $vgpr2_vgpr3
                                        ; implicit-def: $vgpr4_vgpr5
	v_mov_b32_e32 v9, s10
; %bb.28:
	s_or_saveexec_b32 s10, s3
	v_mov_b32_e32 v6, 1.0
	s_xor_b32 exec_lo, exec_lo, s10
	s_cbranch_execz .LBB269_30
; %bb.29:
	global_load_ushort v4, v[4:5], off offset:448
	global_load_ushort v2, v[2:3], off offset:448
	s_mov_b32 s3, 0x3fb8aa3b
	s_waitcnt vmcnt(1)
	v_cvt_f32_f16_e32 v3, v4
	v_mul_f32_e32 v5, 0x3fb8aa3b, v3
	v_rndne_f32_e32 v6, v5
	v_fma_mix_f32 v9, v4, s3, -v5 op_sel_hi:[1,0,0]
	s_mov_b32 s3, 0x32a5705f
	v_sub_f32_e32 v5, v5, v6
	v_fma_mix_f32 v4, v4, s3, v9 op_sel_hi:[1,0,0]
	v_cmp_ngt_f32_e64 s3, 0xc2ce8ed0, v3
	s_waitcnt vmcnt(0)
	v_cvt_f32_f16_e32 v9, v2
	v_add_f32_e32 v4, v5, v4
	v_cvt_i32_f32_e32 v5, v6
	v_exp_f32_e32 v4, v4
	v_ldexp_f32 v4, v4, v5
	v_cndmask_b32_e64 v4, 0, v4, s3
	v_cmp_nlt_f32_e64 s3, 0x42b17218, v3
	v_cndmask_b32_e64 v6, 0x7f800000, v4, s3
.LBB269_30:
	s_or_b32 exec_lo, exec_lo, s10
	v_add_f32_e32 v2, 0, v10
	v_mbcnt_lo_u32_b32 v3, -1, 0
	s_mov_b32 s10, exec_lo
	v_add_f32_e32 v2, v2, v16
	v_xor_b32_e32 v4, 16, v3
	v_xor_b32_e32 v5, 8, v3
	v_add_f32_e32 v2, v2, v15
	v_cmp_gt_i32_e64 s3, 32, v4
	v_add_f32_e32 v2, v2, v14
	v_cndmask_b32_e64 v4, v3, v4, s3
	v_cmp_gt_i32_e64 s3, 32, v5
	v_add_f32_e32 v2, v2, v13
	v_lshlrev_b32_e32 v4, 2, v4
	v_cndmask_b32_e64 v5, v3, v5, s3
	v_add_f32_e32 v2, v2, v12
	v_lshlrev_b32_e32 v5, 2, v5
	v_add_f32_e32 v2, v2, v7
	v_add_f32_e32 v2, v2, v9
	ds_bpermute_b32 v4, v4, v2
	s_waitcnt lgkmcnt(0)
	v_add_f32_e32 v2, v2, v4
	ds_bpermute_b32 v4, v5, v2
	v_xor_b32_e32 v5, 4, v3
	v_cmp_gt_i32_e64 s3, 32, v5
	v_cndmask_b32_e64 v5, v3, v5, s3
	v_lshlrev_b32_e32 v5, 2, v5
	s_waitcnt lgkmcnt(0)
	v_add_f32_e32 v2, v2, v4
	ds_bpermute_b32 v4, v5, v2
	v_xor_b32_e32 v5, 2, v3
	v_cmp_gt_i32_e64 s3, 32, v5
	v_cndmask_b32_e64 v5, v3, v5, s3
	v_lshlrev_b32_e32 v5, 2, v5
	;; [unrolled: 7-line block ×3, first 2 shown]
	s_waitcnt lgkmcnt(0)
	v_add_f32_e32 v2, v2, v4
	ds_bpermute_b32 v3, v3, v2
	v_cmpx_lt_i32_e32 0, v11
	s_cbranch_execz .LBB269_40
; %bb.31:
	v_add_co_u32 v0, s3, s8, v0
	v_add_co_ci_u32_e64 v1, null, s9, v1, s3
	s_waitcnt lgkmcnt(0)
	v_add_f32_e32 v2, v2, v3
	s_and_saveexec_b32 s3, vcc_lo
	s_cbranch_execnz .LBB269_41
; %bb.32:
	s_or_b32 exec_lo, exec_lo, s3
	s_and_saveexec_b32 s3, s0
	s_cbranch_execnz .LBB269_42
.LBB269_33:
	s_or_b32 exec_lo, exec_lo, s3
	s_and_saveexec_b32 s0, s1
	s_cbranch_execnz .LBB269_43
.LBB269_34:
	s_or_b32 exec_lo, exec_lo, s0
	s_and_saveexec_b32 s0, s2
	s_cbranch_execnz .LBB269_44
.LBB269_35:
	s_or_b32 exec_lo, exec_lo, s0
	s_and_saveexec_b32 s0, s4
	s_cbranch_execnz .LBB269_45
.LBB269_36:
	s_or_b32 exec_lo, exec_lo, s0
	s_and_saveexec_b32 s0, s5
	s_cbranch_execnz .LBB269_46
.LBB269_37:
	s_or_b32 exec_lo, exec_lo, s0
	s_and_saveexec_b32 s0, s6
	s_cbranch_execnz .LBB269_47
.LBB269_38:
	s_or_b32 exec_lo, exec_lo, s0
	s_and_b32 exec_lo, exec_lo, s7
	s_cbranch_execz .LBB269_40
.LBB269_39:
	v_fma_mixlo_f16 v2, -v2, v6, v9
	global_store_short v[0:1], v2, off offset:448
.LBB269_40:
	s_endpgm
.LBB269_41:
	v_mul_f32_e32 v3, 0x3fb8aa3b, v8
	v_cmp_ngt_f32_e32 vcc_lo, 0xc2ce8ed0, v8
	v_rndne_f32_e32 v4, v3
	v_fma_f32 v5, 0x3fb8aa3b, v8, -v3
	v_sub_f32_e32 v3, v3, v4
	v_fmamk_f32 v5, v8, 0x32a5705f, v5
	v_cvt_i32_f32_e32 v4, v4
	v_add_f32_e32 v3, v3, v5
	v_exp_f32_e32 v3, v3
	v_ldexp_f32 v3, v3, v4
	v_cndmask_b32_e32 v3, 0, v3, vcc_lo
	v_cmp_nlt_f32_e32 vcc_lo, 0x42b17218, v8
	v_cndmask_b32_e32 v3, 0x7f800000, v3, vcc_lo
	v_fma_mixlo_f16 v3, -v2, v3, v10
	global_store_short v[0:1], v3, off
	s_or_b32 exec_lo, exec_lo, s3
	s_and_saveexec_b32 s3, s0
	s_cbranch_execz .LBB269_33
.LBB269_42:
	v_fma_mixlo_f16 v3, -v2, v17, v16
	global_store_short v[0:1], v3, off offset:64
	s_or_b32 exec_lo, exec_lo, s3
	s_and_saveexec_b32 s0, s1
	s_cbranch_execz .LBB269_34
.LBB269_43:
	v_fma_mixlo_f16 v3, -v2, v18, v15
	global_store_short v[0:1], v3, off offset:128
	s_or_b32 exec_lo, exec_lo, s0
	s_and_saveexec_b32 s0, s2
	s_cbranch_execz .LBB269_35
.LBB269_44:
	v_fma_mixlo_f16 v3, -v2, v19, v14
	global_store_short v[0:1], v3, off offset:192
	s_or_b32 exec_lo, exec_lo, s0
	s_and_saveexec_b32 s0, s4
	s_cbranch_execz .LBB269_36
.LBB269_45:
	v_fma_mixlo_f16 v3, -v2, v20, v13
	global_store_short v[0:1], v3, off offset:256
	s_or_b32 exec_lo, exec_lo, s0
	s_and_saveexec_b32 s0, s5
	s_cbranch_execz .LBB269_37
.LBB269_46:
	v_fma_mixlo_f16 v3, -v2, v21, v12
	global_store_short v[0:1], v3, off offset:320
	s_or_b32 exec_lo, exec_lo, s0
	s_and_saveexec_b32 s0, s6
	s_cbranch_execz .LBB269_38
.LBB269_47:
	v_fma_mixlo_f16 v3, -v2, v22, v7
	global_store_short v[0:1], v3, off offset:384
	s_or_b32 exec_lo, exec_lo, s0
	s_and_b32 exec_lo, exec_lo, s7
	s_cbranch_execnz .LBB269_39
	s_branch .LBB269_40
	.section	.rodata,"a",@progbits
	.p2align	6, 0x0
	.amdhsa_kernel _ZN12_GLOBAL__N_121softmax_warp_backwardIN3c104HalfES2_fLi8ELb1ELb0ELi32EEEvPT0_PKT_S7_iiiPKb
		.amdhsa_group_segment_fixed_size 0
		.amdhsa_private_segment_fixed_size 0
		.amdhsa_kernarg_size 304
		.amdhsa_user_sgpr_count 6
		.amdhsa_user_sgpr_private_segment_buffer 1
		.amdhsa_user_sgpr_dispatch_ptr 0
		.amdhsa_user_sgpr_queue_ptr 0
		.amdhsa_user_sgpr_kernarg_segment_ptr 1
		.amdhsa_user_sgpr_dispatch_id 0
		.amdhsa_user_sgpr_flat_scratch_init 0
		.amdhsa_user_sgpr_private_segment_size 0
		.amdhsa_wavefront_size32 1
		.amdhsa_uses_dynamic_stack 0
		.amdhsa_system_sgpr_private_segment_wavefront_offset 0
		.amdhsa_system_sgpr_workgroup_id_x 1
		.amdhsa_system_sgpr_workgroup_id_y 0
		.amdhsa_system_sgpr_workgroup_id_z 0
		.amdhsa_system_sgpr_workgroup_info 0
		.amdhsa_system_vgpr_workitem_id 1
		.amdhsa_next_free_vgpr 27
		.amdhsa_next_free_sgpr 16
		.amdhsa_reserve_vcc 1
		.amdhsa_reserve_flat_scratch 0
		.amdhsa_float_round_mode_32 0
		.amdhsa_float_round_mode_16_64 0
		.amdhsa_float_denorm_mode_32 3
		.amdhsa_float_denorm_mode_16_64 3
		.amdhsa_dx10_clamp 1
		.amdhsa_ieee_mode 1
		.amdhsa_fp16_overflow 0
		.amdhsa_workgroup_processor_mode 1
		.amdhsa_memory_ordered 1
		.amdhsa_forward_progress 1
		.amdhsa_shared_vgpr_count 0
		.amdhsa_exception_fp_ieee_invalid_op 0
		.amdhsa_exception_fp_denorm_src 0
		.amdhsa_exception_fp_ieee_div_zero 0
		.amdhsa_exception_fp_ieee_overflow 0
		.amdhsa_exception_fp_ieee_underflow 0
		.amdhsa_exception_fp_ieee_inexact 0
		.amdhsa_exception_int_div_zero 0
	.end_amdhsa_kernel
	.section	.text._ZN12_GLOBAL__N_121softmax_warp_backwardIN3c104HalfES2_fLi8ELb1ELb0ELi32EEEvPT0_PKT_S7_iiiPKb,"axG",@progbits,_ZN12_GLOBAL__N_121softmax_warp_backwardIN3c104HalfES2_fLi8ELb1ELb0ELi32EEEvPT0_PKT_S7_iiiPKb,comdat
.Lfunc_end269:
	.size	_ZN12_GLOBAL__N_121softmax_warp_backwardIN3c104HalfES2_fLi8ELb1ELb0ELi32EEEvPT0_PKT_S7_iiiPKb, .Lfunc_end269-_ZN12_GLOBAL__N_121softmax_warp_backwardIN3c104HalfES2_fLi8ELb1ELb0ELi32EEEvPT0_PKT_S7_iiiPKb
                                        ; -- End function
	.set _ZN12_GLOBAL__N_121softmax_warp_backwardIN3c104HalfES2_fLi8ELb1ELb0ELi32EEEvPT0_PKT_S7_iiiPKb.num_vgpr, 27
	.set _ZN12_GLOBAL__N_121softmax_warp_backwardIN3c104HalfES2_fLi8ELb1ELb0ELi32EEEvPT0_PKT_S7_iiiPKb.num_agpr, 0
	.set _ZN12_GLOBAL__N_121softmax_warp_backwardIN3c104HalfES2_fLi8ELb1ELb0ELi32EEEvPT0_PKT_S7_iiiPKb.numbered_sgpr, 16
	.set _ZN12_GLOBAL__N_121softmax_warp_backwardIN3c104HalfES2_fLi8ELb1ELb0ELi32EEEvPT0_PKT_S7_iiiPKb.num_named_barrier, 0
	.set _ZN12_GLOBAL__N_121softmax_warp_backwardIN3c104HalfES2_fLi8ELb1ELb0ELi32EEEvPT0_PKT_S7_iiiPKb.private_seg_size, 0
	.set _ZN12_GLOBAL__N_121softmax_warp_backwardIN3c104HalfES2_fLi8ELb1ELb0ELi32EEEvPT0_PKT_S7_iiiPKb.uses_vcc, 1
	.set _ZN12_GLOBAL__N_121softmax_warp_backwardIN3c104HalfES2_fLi8ELb1ELb0ELi32EEEvPT0_PKT_S7_iiiPKb.uses_flat_scratch, 0
	.set _ZN12_GLOBAL__N_121softmax_warp_backwardIN3c104HalfES2_fLi8ELb1ELb0ELi32EEEvPT0_PKT_S7_iiiPKb.has_dyn_sized_stack, 0
	.set _ZN12_GLOBAL__N_121softmax_warp_backwardIN3c104HalfES2_fLi8ELb1ELb0ELi32EEEvPT0_PKT_S7_iiiPKb.has_recursion, 0
	.set _ZN12_GLOBAL__N_121softmax_warp_backwardIN3c104HalfES2_fLi8ELb1ELb0ELi32EEEvPT0_PKT_S7_iiiPKb.has_indirect_call, 0
	.section	.AMDGPU.csdata,"",@progbits
; Kernel info:
; codeLenInByte = 2268
; TotalNumSgprs: 18
; NumVgprs: 27
; ScratchSize: 0
; MemoryBound: 0
; FloatMode: 240
; IeeeMode: 1
; LDSByteSize: 0 bytes/workgroup (compile time only)
; SGPRBlocks: 0
; VGPRBlocks: 3
; NumSGPRsForWavesPerEU: 18
; NumVGPRsForWavesPerEU: 27
; Occupancy: 16
; WaveLimiterHint : 0
; COMPUTE_PGM_RSRC2:SCRATCH_EN: 0
; COMPUTE_PGM_RSRC2:USER_SGPR: 6
; COMPUTE_PGM_RSRC2:TRAP_HANDLER: 0
; COMPUTE_PGM_RSRC2:TGID_X_EN: 1
; COMPUTE_PGM_RSRC2:TGID_Y_EN: 0
; COMPUTE_PGM_RSRC2:TGID_Z_EN: 0
; COMPUTE_PGM_RSRC2:TIDIG_COMP_CNT: 1
	.section	.text._ZN12_GLOBAL__N_121softmax_warp_backwardIN3c104HalfES2_fLi9ELb1ELb0ELi64EEEvPT0_PKT_S7_iiiPKb,"axG",@progbits,_ZN12_GLOBAL__N_121softmax_warp_backwardIN3c104HalfES2_fLi9ELb1ELb0ELi64EEEvPT0_PKT_S7_iiiPKb,comdat
	.globl	_ZN12_GLOBAL__N_121softmax_warp_backwardIN3c104HalfES2_fLi9ELb1ELb0ELi64EEEvPT0_PKT_S7_iiiPKb ; -- Begin function _ZN12_GLOBAL__N_121softmax_warp_backwardIN3c104HalfES2_fLi9ELb1ELb0ELi64EEEvPT0_PKT_S7_iiiPKb
	.p2align	8
	.type	_ZN12_GLOBAL__N_121softmax_warp_backwardIN3c104HalfES2_fLi9ELb1ELb0ELi64EEEvPT0_PKT_S7_iiiPKb,@function
_ZN12_GLOBAL__N_121softmax_warp_backwardIN3c104HalfES2_fLi9ELb1ELb0ELi64EEEvPT0_PKT_S7_iiiPKb: ; @_ZN12_GLOBAL__N_121softmax_warp_backwardIN3c104HalfES2_fLi9ELb1ELb0ELi64EEEvPT0_PKT_S7_iiiPKb
; %bb.0:
	s_clause 0x1
	s_load_dword s0, s[4:5], 0x3c
	s_load_dwordx4 s[12:15], s[4:5], 0x18
	v_and_b32_e32 v6, 63, v0
	s_clause 0x1
	s_load_dwordx4 s[8:11], s[4:5], 0x0
	s_load_dwordx2 s[4:5], s[4:5], 0x10
	v_mov_b32_e32 v8, 0
	v_mov_b32_e32 v10, 0
	s_waitcnt lgkmcnt(0)
	s_lshr_b32 s0, s0, 16
	v_cmp_gt_i32_e32 vcc_lo, s14, v6
	v_mad_u64_u32 v[1:2], null, s6, s0, v[1:2]
	v_mad_u64_u32 v[2:3], null, v1, s13, v[6:7]
	v_sub_nc_u32_e32 v11, s12, v1
	v_cmp_lt_i32_e64 s3, 0, v11
	v_ashrrev_i32_e32 v3, 31, v2
	s_and_b32 s1, s3, vcc_lo
	v_lshlrev_b64 v[0:1], 1, v[2:3]
	v_add_co_u32 v2, s0, s10, v0
	v_add_co_ci_u32_e64 v3, null, s11, v1, s0
	v_add_co_u32 v4, s0, s4, v0
	v_add_co_ci_u32_e64 v5, null, s5, v1, s0
	s_and_saveexec_b32 s0, s1
	s_cbranch_execz .LBB270_2
; %bb.1:
	global_load_ushort v7, v[2:3], off
	global_load_ushort v8, v[4:5], off
	s_waitcnt vmcnt(1)
	v_cvt_f32_f16_e32 v10, v7
	s_waitcnt vmcnt(0)
	v_cvt_f32_f16_e32 v8, v8
.LBB270_2:
	s_or_b32 exec_lo, exec_lo, s0
	v_or_b32_e32 v7, 64, v6
	v_cmp_gt_i32_e64 s0, s14, v7
	s_and_b32 s1, s3, s0
	s_xor_b32 s1, s1, -1
	s_and_saveexec_b32 s2, s1
	s_xor_b32 s1, exec_lo, s2
                                        ; implicit-def: $vgpr7
                                        ; implicit-def: $vgpr12
                                        ; implicit-def: $vgpr13
                                        ; implicit-def: $vgpr14
                                        ; implicit-def: $vgpr15
                                        ; implicit-def: $vgpr16
                                        ; implicit-def: $vgpr9
; %bb.3:
	s_mov_b32 s2, 0
                                        ; implicit-def: $vgpr7
                                        ; implicit-def: $vgpr12
                                        ; implicit-def: $vgpr13
                                        ; implicit-def: $vgpr14
                                        ; implicit-def: $vgpr15
                                        ; implicit-def: $vgpr9
	v_mov_b32_e32 v16, s2
; %bb.4:
	s_or_saveexec_b32 s2, s1
	v_mov_b32_e32 v17, 1.0
	s_xor_b32 exec_lo, exec_lo, s2
	s_cbranch_execz .LBB270_6
; %bb.5:
	global_load_ushort v16, v[4:5], off offset:128
	global_load_ushort v17, v[2:3], off offset:128
	s_mov_b32 s1, 0x3fb8aa3b
	s_waitcnt vmcnt(1)
	v_cvt_f32_f16_e32 v18, v16
	v_mul_f32_e32 v19, 0x3fb8aa3b, v18
	v_rndne_f32_e32 v20, v19
	v_fma_mix_f32 v21, v16, s1, -v19 op_sel_hi:[1,0,0]
	s_mov_b32 s1, 0x32a5705f
	v_sub_f32_e32 v19, v19, v20
	v_fma_mix_f32 v16, v16, s1, v21 op_sel_hi:[1,0,0]
	v_cmp_ngt_f32_e64 s1, 0xc2ce8ed0, v18
	v_add_f32_e32 v16, v19, v16
	v_cvt_i32_f32_e32 v19, v20
	v_exp_f32_e32 v16, v16
	v_ldexp_f32 v16, v16, v19
	v_cndmask_b32_e64 v19, 0, v16, s1
	v_cmp_nlt_f32_e64 s1, 0x42b17218, v18
	s_waitcnt vmcnt(0)
	v_cvt_f32_f16_e32 v16, v17
	v_cndmask_b32_e64 v17, 0x7f800000, v19, s1
.LBB270_6:
	s_or_b32 exec_lo, exec_lo, s2
	v_or_b32_e32 v18, 0x80, v6
	v_cmp_gt_i32_e64 s1, s14, v18
	s_and_b32 s2, s3, s1
	s_xor_b32 s2, s2, -1
	s_and_saveexec_b32 s4, s2
	s_xor_b32 s2, exec_lo, s4
; %bb.7:
	s_mov_b32 s4, 0
	v_mov_b32_e32 v15, s4
; %bb.8:
	s_or_saveexec_b32 s4, s2
	v_mov_b32_e32 v18, 1.0
	s_xor_b32 exec_lo, exec_lo, s4
	s_cbranch_execz .LBB270_10
; %bb.9:
	global_load_ushort v15, v[4:5], off offset:256
	global_load_ushort v18, v[2:3], off offset:256
	s_mov_b32 s2, 0x3fb8aa3b
	s_waitcnt vmcnt(1)
	v_cvt_f32_f16_e32 v19, v15
	v_mul_f32_e32 v20, 0x3fb8aa3b, v19
	v_rndne_f32_e32 v21, v20
	v_fma_mix_f32 v22, v15, s2, -v20 op_sel_hi:[1,0,0]
	s_mov_b32 s2, 0x32a5705f
	v_sub_f32_e32 v20, v20, v21
	v_fma_mix_f32 v15, v15, s2, v22 op_sel_hi:[1,0,0]
	v_cmp_ngt_f32_e64 s2, 0xc2ce8ed0, v19
	v_add_f32_e32 v15, v20, v15
	v_cvt_i32_f32_e32 v20, v21
	v_exp_f32_e32 v15, v15
	v_ldexp_f32 v15, v15, v20
	v_cndmask_b32_e64 v20, 0, v15, s2
	v_cmp_nlt_f32_e64 s2, 0x42b17218, v19
	s_waitcnt vmcnt(0)
	v_cvt_f32_f16_e32 v15, v18
	v_cndmask_b32_e64 v18, 0x7f800000, v20, s2
.LBB270_10:
	s_or_b32 exec_lo, exec_lo, s4
	v_or_b32_e32 v19, 0xc0, v6
	v_cmp_gt_i32_e64 s2, s14, v19
	s_and_b32 s4, s3, s2
	s_xor_b32 s4, s4, -1
	s_and_saveexec_b32 s5, s4
	s_xor_b32 s4, exec_lo, s5
; %bb.11:
	s_mov_b32 s5, 0
	v_mov_b32_e32 v14, s5
; %bb.12:
	s_or_saveexec_b32 s5, s4
	v_mov_b32_e32 v19, 1.0
	s_xor_b32 exec_lo, exec_lo, s5
	s_cbranch_execz .LBB270_14
; %bb.13:
	global_load_ushort v14, v[4:5], off offset:384
	global_load_ushort v19, v[2:3], off offset:384
	s_mov_b32 s4, 0x3fb8aa3b
	s_waitcnt vmcnt(1)
	v_cvt_f32_f16_e32 v20, v14
	v_mul_f32_e32 v21, 0x3fb8aa3b, v20
	v_rndne_f32_e32 v22, v21
	v_fma_mix_f32 v23, v14, s4, -v21 op_sel_hi:[1,0,0]
	s_mov_b32 s4, 0x32a5705f
	v_sub_f32_e32 v21, v21, v22
	v_fma_mix_f32 v14, v14, s4, v23 op_sel_hi:[1,0,0]
	v_cmp_ngt_f32_e64 s4, 0xc2ce8ed0, v20
	v_add_f32_e32 v14, v21, v14
	v_cvt_i32_f32_e32 v21, v22
	v_exp_f32_e32 v14, v14
	v_ldexp_f32 v14, v14, v21
	v_cndmask_b32_e64 v21, 0, v14, s4
	v_cmp_nlt_f32_e64 s4, 0x42b17218, v20
	s_waitcnt vmcnt(0)
	v_cvt_f32_f16_e32 v14, v19
	v_cndmask_b32_e64 v19, 0x7f800000, v21, s4
.LBB270_14:
	s_or_b32 exec_lo, exec_lo, s5
	v_or_b32_e32 v20, 0x100, v6
	v_cmp_gt_i32_e64 s4, s14, v20
	s_and_b32 s5, s3, s4
	s_xor_b32 s5, s5, -1
	s_and_saveexec_b32 s6, s5
	s_xor_b32 s5, exec_lo, s6
; %bb.15:
	s_mov_b32 s6, 0
	v_mov_b32_e32 v13, s6
; %bb.16:
	s_or_saveexec_b32 s6, s5
	v_mov_b32_e32 v20, 1.0
	s_xor_b32 exec_lo, exec_lo, s6
	s_cbranch_execz .LBB270_18
; %bb.17:
	global_load_ushort v13, v[4:5], off offset:512
	global_load_ushort v20, v[2:3], off offset:512
	s_mov_b32 s5, 0x3fb8aa3b
	s_waitcnt vmcnt(1)
	v_cvt_f32_f16_e32 v21, v13
	v_mul_f32_e32 v22, 0x3fb8aa3b, v21
	v_rndne_f32_e32 v23, v22
	v_fma_mix_f32 v24, v13, s5, -v22 op_sel_hi:[1,0,0]
	s_mov_b32 s5, 0x32a5705f
	v_sub_f32_e32 v22, v22, v23
	v_fma_mix_f32 v13, v13, s5, v24 op_sel_hi:[1,0,0]
	v_cmp_ngt_f32_e64 s5, 0xc2ce8ed0, v21
	v_add_f32_e32 v13, v22, v13
	v_cvt_i32_f32_e32 v22, v23
	v_exp_f32_e32 v13, v13
	v_ldexp_f32 v13, v13, v22
	v_cndmask_b32_e64 v22, 0, v13, s5
	v_cmp_nlt_f32_e64 s5, 0x42b17218, v21
	s_waitcnt vmcnt(0)
	v_cvt_f32_f16_e32 v13, v20
	v_cndmask_b32_e64 v20, 0x7f800000, v22, s5
.LBB270_18:
	s_or_b32 exec_lo, exec_lo, s6
	v_or_b32_e32 v21, 0x140, v6
	v_cmp_gt_i32_e64 s5, s14, v21
	s_and_b32 s6, s3, s5
	s_xor_b32 s6, s6, -1
	s_and_saveexec_b32 s7, s6
	s_xor_b32 s6, exec_lo, s7
; %bb.19:
	s_mov_b32 s7, 0
	v_mov_b32_e32 v12, s7
; %bb.20:
	s_or_saveexec_b32 s7, s6
	v_mov_b32_e32 v21, 1.0
	s_xor_b32 exec_lo, exec_lo, s7
	s_cbranch_execz .LBB270_22
; %bb.21:
	global_load_ushort v12, v[4:5], off offset:640
	global_load_ushort v21, v[2:3], off offset:640
	s_mov_b32 s6, 0x3fb8aa3b
	s_waitcnt vmcnt(1)
	v_cvt_f32_f16_e32 v22, v12
	v_mul_f32_e32 v23, 0x3fb8aa3b, v22
	v_rndne_f32_e32 v24, v23
	v_fma_mix_f32 v25, v12, s6, -v23 op_sel_hi:[1,0,0]
	s_mov_b32 s6, 0x32a5705f
	v_sub_f32_e32 v23, v23, v24
	v_fma_mix_f32 v12, v12, s6, v25 op_sel_hi:[1,0,0]
	v_cmp_ngt_f32_e64 s6, 0xc2ce8ed0, v22
	v_add_f32_e32 v12, v23, v12
	v_cvt_i32_f32_e32 v23, v24
	v_exp_f32_e32 v12, v12
	v_ldexp_f32 v12, v12, v23
	v_cndmask_b32_e64 v23, 0, v12, s6
	v_cmp_nlt_f32_e64 s6, 0x42b17218, v22
	s_waitcnt vmcnt(0)
	v_cvt_f32_f16_e32 v12, v21
	v_cndmask_b32_e64 v21, 0x7f800000, v23, s6
.LBB270_22:
	s_or_b32 exec_lo, exec_lo, s7
	v_or_b32_e32 v22, 0x180, v6
	v_cmp_gt_i32_e64 s6, s14, v22
	s_and_b32 s7, s3, s6
	s_xor_b32 s7, s7, -1
	s_and_saveexec_b32 s10, s7
	s_xor_b32 s7, exec_lo, s10
; %bb.23:
	s_mov_b32 s10, 0
	v_mov_b32_e32 v7, s10
; %bb.24:
	s_or_saveexec_b32 s10, s7
	v_mov_b32_e32 v22, 1.0
	s_xor_b32 exec_lo, exec_lo, s10
	s_cbranch_execz .LBB270_26
; %bb.25:
	global_load_ushort v7, v[4:5], off offset:768
	global_load_ushort v22, v[2:3], off offset:768
	s_mov_b32 s7, 0x3fb8aa3b
	s_waitcnt vmcnt(1)
	v_cvt_f32_f16_e32 v23, v7
	v_mul_f32_e32 v24, 0x3fb8aa3b, v23
	v_rndne_f32_e32 v25, v24
	v_fma_mix_f32 v26, v7, s7, -v24 op_sel_hi:[1,0,0]
	s_mov_b32 s7, 0x32a5705f
	v_sub_f32_e32 v24, v24, v25
	v_fma_mix_f32 v7, v7, s7, v26 op_sel_hi:[1,0,0]
	v_cmp_ngt_f32_e64 s7, 0xc2ce8ed0, v23
	v_add_f32_e32 v7, v24, v7
	v_cvt_i32_f32_e32 v24, v25
	v_exp_f32_e32 v7, v7
	v_ldexp_f32 v7, v7, v24
	v_cndmask_b32_e64 v24, 0, v7, s7
	v_cmp_nlt_f32_e64 s7, 0x42b17218, v23
	s_waitcnt vmcnt(0)
	v_cvt_f32_f16_e32 v7, v22
	v_cndmask_b32_e64 v22, 0x7f800000, v24, s7
.LBB270_26:
	s_or_b32 exec_lo, exec_lo, s10
	v_or_b32_e32 v6, 0x1c0, v6
	v_cmp_gt_i32_e64 s7, s14, v6
	s_and_b32 s3, s3, s7
	s_xor_b32 s3, s3, -1
	s_and_saveexec_b32 s10, s3
	s_xor_b32 s3, exec_lo, s10
; %bb.27:
	s_mov_b32 s10, 0
                                        ; implicit-def: $vgpr2_vgpr3
                                        ; implicit-def: $vgpr4_vgpr5
	v_mov_b32_e32 v9, s10
; %bb.28:
	s_or_saveexec_b32 s10, s3
	v_mov_b32_e32 v6, 1.0
	s_xor_b32 exec_lo, exec_lo, s10
	s_cbranch_execz .LBB270_30
; %bb.29:
	global_load_ushort v4, v[4:5], off offset:896
	global_load_ushort v2, v[2:3], off offset:896
	s_mov_b32 s3, 0x3fb8aa3b
	s_waitcnt vmcnt(1)
	v_cvt_f32_f16_e32 v3, v4
	v_mul_f32_e32 v5, 0x3fb8aa3b, v3
	v_rndne_f32_e32 v6, v5
	v_fma_mix_f32 v9, v4, s3, -v5 op_sel_hi:[1,0,0]
	s_mov_b32 s3, 0x32a5705f
	v_sub_f32_e32 v5, v5, v6
	v_fma_mix_f32 v4, v4, s3, v9 op_sel_hi:[1,0,0]
	v_cmp_ngt_f32_e64 s3, 0xc2ce8ed0, v3
	s_waitcnt vmcnt(0)
	v_cvt_f32_f16_e32 v9, v2
	v_add_f32_e32 v4, v5, v4
	v_cvt_i32_f32_e32 v5, v6
	v_exp_f32_e32 v4, v4
	v_ldexp_f32 v4, v4, v5
	v_cndmask_b32_e64 v4, 0, v4, s3
	v_cmp_nlt_f32_e64 s3, 0x42b17218, v3
	v_cndmask_b32_e64 v6, 0x7f800000, v4, s3
.LBB270_30:
	s_or_b32 exec_lo, exec_lo, s10
	v_add_f32_e32 v2, 0, v10
	v_mbcnt_lo_u32_b32 v3, -1, 0
	s_mov_b32 s10, exec_lo
	v_add_f32_e32 v2, v2, v16
	v_or_b32_e32 v4, 32, v3
	v_xor_b32_e32 v5, 16, v3
	v_add_f32_e32 v2, v2, v15
	v_cmp_gt_i32_e64 s3, 64, v4
	v_add_f32_e32 v2, v2, v14
	v_cndmask_b32_e64 v4, v3, v4, s3
	v_cmp_gt_i32_e64 s3, 64, v5
	v_add_f32_e32 v2, v2, v13
	v_lshlrev_b32_e32 v4, 2, v4
	v_cndmask_b32_e64 v5, v3, v5, s3
	v_add_f32_e32 v2, v2, v12
	v_lshlrev_b32_e32 v5, 2, v5
	v_add_f32_e32 v2, v2, v7
	v_add_f32_e32 v2, v2, v9
	ds_bpermute_b32 v4, v4, v2
	s_waitcnt lgkmcnt(0)
	v_add_f32_e32 v2, v2, v4
	ds_bpermute_b32 v4, v5, v2
	v_xor_b32_e32 v5, 8, v3
	v_cmp_gt_i32_e64 s3, 64, v5
	v_cndmask_b32_e64 v5, v3, v5, s3
	v_lshlrev_b32_e32 v5, 2, v5
	s_waitcnt lgkmcnt(0)
	v_add_f32_e32 v2, v2, v4
	ds_bpermute_b32 v4, v5, v2
	v_xor_b32_e32 v5, 4, v3
	v_cmp_gt_i32_e64 s3, 64, v5
	v_cndmask_b32_e64 v5, v3, v5, s3
	v_lshlrev_b32_e32 v5, 2, v5
	;; [unrolled: 7-line block ×4, first 2 shown]
	s_waitcnt lgkmcnt(0)
	v_add_f32_e32 v2, v2, v4
	ds_bpermute_b32 v3, v3, v2
	v_cmpx_lt_i32_e32 0, v11
	s_cbranch_execz .LBB270_40
; %bb.31:
	v_add_co_u32 v0, s3, s8, v0
	v_add_co_ci_u32_e64 v1, null, s9, v1, s3
	s_waitcnt lgkmcnt(0)
	v_add_f32_e32 v2, v2, v3
	s_and_saveexec_b32 s3, vcc_lo
	s_cbranch_execnz .LBB270_41
; %bb.32:
	s_or_b32 exec_lo, exec_lo, s3
	s_and_saveexec_b32 s3, s0
	s_cbranch_execnz .LBB270_42
.LBB270_33:
	s_or_b32 exec_lo, exec_lo, s3
	s_and_saveexec_b32 s0, s1
	s_cbranch_execnz .LBB270_43
.LBB270_34:
	s_or_b32 exec_lo, exec_lo, s0
	s_and_saveexec_b32 s0, s2
	s_cbranch_execnz .LBB270_44
.LBB270_35:
	s_or_b32 exec_lo, exec_lo, s0
	s_and_saveexec_b32 s0, s4
	s_cbranch_execnz .LBB270_45
.LBB270_36:
	s_or_b32 exec_lo, exec_lo, s0
	s_and_saveexec_b32 s0, s5
	s_cbranch_execnz .LBB270_46
.LBB270_37:
	s_or_b32 exec_lo, exec_lo, s0
	s_and_saveexec_b32 s0, s6
	s_cbranch_execnz .LBB270_47
.LBB270_38:
	s_or_b32 exec_lo, exec_lo, s0
	s_and_b32 exec_lo, exec_lo, s7
	s_cbranch_execz .LBB270_40
.LBB270_39:
	v_fma_mixlo_f16 v2, -v2, v6, v9
	global_store_short v[0:1], v2, off offset:896
.LBB270_40:
	s_endpgm
.LBB270_41:
	v_mul_f32_e32 v3, 0x3fb8aa3b, v8
	v_cmp_ngt_f32_e32 vcc_lo, 0xc2ce8ed0, v8
	v_rndne_f32_e32 v4, v3
	v_fma_f32 v5, 0x3fb8aa3b, v8, -v3
	v_sub_f32_e32 v3, v3, v4
	v_fmamk_f32 v5, v8, 0x32a5705f, v5
	v_cvt_i32_f32_e32 v4, v4
	v_add_f32_e32 v3, v3, v5
	v_exp_f32_e32 v3, v3
	v_ldexp_f32 v3, v3, v4
	v_cndmask_b32_e32 v3, 0, v3, vcc_lo
	v_cmp_nlt_f32_e32 vcc_lo, 0x42b17218, v8
	v_cndmask_b32_e32 v3, 0x7f800000, v3, vcc_lo
	v_fma_mixlo_f16 v3, -v2, v3, v10
	global_store_short v[0:1], v3, off
	s_or_b32 exec_lo, exec_lo, s3
	s_and_saveexec_b32 s3, s0
	s_cbranch_execz .LBB270_33
.LBB270_42:
	v_fma_mixlo_f16 v3, -v2, v17, v16
	global_store_short v[0:1], v3, off offset:128
	s_or_b32 exec_lo, exec_lo, s3
	s_and_saveexec_b32 s0, s1
	s_cbranch_execz .LBB270_34
.LBB270_43:
	v_fma_mixlo_f16 v3, -v2, v18, v15
	global_store_short v[0:1], v3, off offset:256
	s_or_b32 exec_lo, exec_lo, s0
	s_and_saveexec_b32 s0, s2
	s_cbranch_execz .LBB270_35
.LBB270_44:
	v_fma_mixlo_f16 v3, -v2, v19, v14
	global_store_short v[0:1], v3, off offset:384
	s_or_b32 exec_lo, exec_lo, s0
	s_and_saveexec_b32 s0, s4
	s_cbranch_execz .LBB270_36
.LBB270_45:
	v_fma_mixlo_f16 v3, -v2, v20, v13
	global_store_short v[0:1], v3, off offset:512
	s_or_b32 exec_lo, exec_lo, s0
	s_and_saveexec_b32 s0, s5
	s_cbranch_execz .LBB270_37
.LBB270_46:
	v_fma_mixlo_f16 v3, -v2, v21, v12
	global_store_short v[0:1], v3, off offset:640
	s_or_b32 exec_lo, exec_lo, s0
	s_and_saveexec_b32 s0, s6
	s_cbranch_execz .LBB270_38
.LBB270_47:
	v_fma_mixlo_f16 v3, -v2, v22, v7
	global_store_short v[0:1], v3, off offset:768
	s_or_b32 exec_lo, exec_lo, s0
	s_and_b32 exec_lo, exec_lo, s7
	s_cbranch_execnz .LBB270_39
	s_branch .LBB270_40
	.section	.rodata,"a",@progbits
	.p2align	6, 0x0
	.amdhsa_kernel _ZN12_GLOBAL__N_121softmax_warp_backwardIN3c104HalfES2_fLi9ELb1ELb0ELi64EEEvPT0_PKT_S7_iiiPKb
		.amdhsa_group_segment_fixed_size 0
		.amdhsa_private_segment_fixed_size 0
		.amdhsa_kernarg_size 304
		.amdhsa_user_sgpr_count 6
		.amdhsa_user_sgpr_private_segment_buffer 1
		.amdhsa_user_sgpr_dispatch_ptr 0
		.amdhsa_user_sgpr_queue_ptr 0
		.amdhsa_user_sgpr_kernarg_segment_ptr 1
		.amdhsa_user_sgpr_dispatch_id 0
		.amdhsa_user_sgpr_flat_scratch_init 0
		.amdhsa_user_sgpr_private_segment_size 0
		.amdhsa_wavefront_size32 1
		.amdhsa_uses_dynamic_stack 0
		.amdhsa_system_sgpr_private_segment_wavefront_offset 0
		.amdhsa_system_sgpr_workgroup_id_x 1
		.amdhsa_system_sgpr_workgroup_id_y 0
		.amdhsa_system_sgpr_workgroup_id_z 0
		.amdhsa_system_sgpr_workgroup_info 0
		.amdhsa_system_vgpr_workitem_id 1
		.amdhsa_next_free_vgpr 27
		.amdhsa_next_free_sgpr 16
		.amdhsa_reserve_vcc 1
		.amdhsa_reserve_flat_scratch 0
		.amdhsa_float_round_mode_32 0
		.amdhsa_float_round_mode_16_64 0
		.amdhsa_float_denorm_mode_32 3
		.amdhsa_float_denorm_mode_16_64 3
		.amdhsa_dx10_clamp 1
		.amdhsa_ieee_mode 1
		.amdhsa_fp16_overflow 0
		.amdhsa_workgroup_processor_mode 1
		.amdhsa_memory_ordered 1
		.amdhsa_forward_progress 1
		.amdhsa_shared_vgpr_count 0
		.amdhsa_exception_fp_ieee_invalid_op 0
		.amdhsa_exception_fp_denorm_src 0
		.amdhsa_exception_fp_ieee_div_zero 0
		.amdhsa_exception_fp_ieee_overflow 0
		.amdhsa_exception_fp_ieee_underflow 0
		.amdhsa_exception_fp_ieee_inexact 0
		.amdhsa_exception_int_div_zero 0
	.end_amdhsa_kernel
	.section	.text._ZN12_GLOBAL__N_121softmax_warp_backwardIN3c104HalfES2_fLi9ELb1ELb0ELi64EEEvPT0_PKT_S7_iiiPKb,"axG",@progbits,_ZN12_GLOBAL__N_121softmax_warp_backwardIN3c104HalfES2_fLi9ELb1ELb0ELi64EEEvPT0_PKT_S7_iiiPKb,comdat
.Lfunc_end270:
	.size	_ZN12_GLOBAL__N_121softmax_warp_backwardIN3c104HalfES2_fLi9ELb1ELb0ELi64EEEvPT0_PKT_S7_iiiPKb, .Lfunc_end270-_ZN12_GLOBAL__N_121softmax_warp_backwardIN3c104HalfES2_fLi9ELb1ELb0ELi64EEEvPT0_PKT_S7_iiiPKb
                                        ; -- End function
	.set _ZN12_GLOBAL__N_121softmax_warp_backwardIN3c104HalfES2_fLi9ELb1ELb0ELi64EEEvPT0_PKT_S7_iiiPKb.num_vgpr, 27
	.set _ZN12_GLOBAL__N_121softmax_warp_backwardIN3c104HalfES2_fLi9ELb1ELb0ELi64EEEvPT0_PKT_S7_iiiPKb.num_agpr, 0
	.set _ZN12_GLOBAL__N_121softmax_warp_backwardIN3c104HalfES2_fLi9ELb1ELb0ELi64EEEvPT0_PKT_S7_iiiPKb.numbered_sgpr, 16
	.set _ZN12_GLOBAL__N_121softmax_warp_backwardIN3c104HalfES2_fLi9ELb1ELb0ELi64EEEvPT0_PKT_S7_iiiPKb.num_named_barrier, 0
	.set _ZN12_GLOBAL__N_121softmax_warp_backwardIN3c104HalfES2_fLi9ELb1ELb0ELi64EEEvPT0_PKT_S7_iiiPKb.private_seg_size, 0
	.set _ZN12_GLOBAL__N_121softmax_warp_backwardIN3c104HalfES2_fLi9ELb1ELb0ELi64EEEvPT0_PKT_S7_iiiPKb.uses_vcc, 1
	.set _ZN12_GLOBAL__N_121softmax_warp_backwardIN3c104HalfES2_fLi9ELb1ELb0ELi64EEEvPT0_PKT_S7_iiiPKb.uses_flat_scratch, 0
	.set _ZN12_GLOBAL__N_121softmax_warp_backwardIN3c104HalfES2_fLi9ELb1ELb0ELi64EEEvPT0_PKT_S7_iiiPKb.has_dyn_sized_stack, 0
	.set _ZN12_GLOBAL__N_121softmax_warp_backwardIN3c104HalfES2_fLi9ELb1ELb0ELi64EEEvPT0_PKT_S7_iiiPKb.has_recursion, 0
	.set _ZN12_GLOBAL__N_121softmax_warp_backwardIN3c104HalfES2_fLi9ELb1ELb0ELi64EEEvPT0_PKT_S7_iiiPKb.has_indirect_call, 0
	.section	.AMDGPU.csdata,"",@progbits
; Kernel info:
; codeLenInByte = 2312
; TotalNumSgprs: 18
; NumVgprs: 27
; ScratchSize: 0
; MemoryBound: 0
; FloatMode: 240
; IeeeMode: 1
; LDSByteSize: 0 bytes/workgroup (compile time only)
; SGPRBlocks: 0
; VGPRBlocks: 3
; NumSGPRsForWavesPerEU: 18
; NumVGPRsForWavesPerEU: 27
; Occupancy: 16
; WaveLimiterHint : 0
; COMPUTE_PGM_RSRC2:SCRATCH_EN: 0
; COMPUTE_PGM_RSRC2:USER_SGPR: 6
; COMPUTE_PGM_RSRC2:TRAP_HANDLER: 0
; COMPUTE_PGM_RSRC2:TGID_X_EN: 1
; COMPUTE_PGM_RSRC2:TGID_Y_EN: 0
; COMPUTE_PGM_RSRC2:TGID_Z_EN: 0
; COMPUTE_PGM_RSRC2:TIDIG_COMP_CNT: 1
	.section	.text._ZN12_GLOBAL__N_121softmax_warp_backwardIN3c104HalfES2_fLi9ELb1ELb0ELi32EEEvPT0_PKT_S7_iiiPKb,"axG",@progbits,_ZN12_GLOBAL__N_121softmax_warp_backwardIN3c104HalfES2_fLi9ELb1ELb0ELi32EEEvPT0_PKT_S7_iiiPKb,comdat
	.globl	_ZN12_GLOBAL__N_121softmax_warp_backwardIN3c104HalfES2_fLi9ELb1ELb0ELi32EEEvPT0_PKT_S7_iiiPKb ; -- Begin function _ZN12_GLOBAL__N_121softmax_warp_backwardIN3c104HalfES2_fLi9ELb1ELb0ELi32EEEvPT0_PKT_S7_iiiPKb
	.p2align	8
	.type	_ZN12_GLOBAL__N_121softmax_warp_backwardIN3c104HalfES2_fLi9ELb1ELb0ELi32EEEvPT0_PKT_S7_iiiPKb,@function
_ZN12_GLOBAL__N_121softmax_warp_backwardIN3c104HalfES2_fLi9ELb1ELb0ELi32EEEvPT0_PKT_S7_iiiPKb: ; @_ZN12_GLOBAL__N_121softmax_warp_backwardIN3c104HalfES2_fLi9ELb1ELb0ELi32EEEvPT0_PKT_S7_iiiPKb
; %bb.0:
	s_clause 0x1
	s_load_dword s0, s[4:5], 0x3c
	s_load_dwordx4 s[20:23], s[4:5], 0x18
	v_and_b32_e32 v6, 31, v0
	s_clause 0x1
	s_load_dwordx4 s[16:19], s[4:5], 0x0
	s_load_dwordx2 s[4:5], s[4:5], 0x10
	v_mov_b32_e32 v15, 0
	v_mov_b32_e32 v17, 0
	s_waitcnt lgkmcnt(0)
	s_lshr_b32 s0, s0, 16
	v_cmp_gt_i32_e32 vcc_lo, s22, v6
	v_mad_u64_u32 v[1:2], null, s6, s0, v[1:2]
	v_mad_u64_u32 v[2:3], null, v1, s21, v[6:7]
	v_sub_nc_u32_e32 v18, s20, v1
	v_cmp_lt_i32_e64 s2, 0, v18
	v_ashrrev_i32_e32 v3, 31, v2
	s_and_b32 s1, s2, vcc_lo
	v_lshlrev_b64 v[0:1], 1, v[2:3]
	v_add_co_u32 v2, s0, s18, v0
	v_add_co_ci_u32_e64 v3, null, s19, v1, s0
	v_add_co_u32 v4, s0, s4, v0
	v_add_co_ci_u32_e64 v5, null, s5, v1, s0
	s_and_saveexec_b32 s0, s1
	s_cbranch_execz .LBB271_2
; %bb.1:
	global_load_ushort v7, v[2:3], off
	global_load_ushort v8, v[4:5], off
	s_waitcnt vmcnt(1)
	v_cvt_f32_f16_e32 v17, v7
	s_waitcnt vmcnt(0)
	v_cvt_f32_f16_e32 v15, v8
.LBB271_2:
	s_or_b32 exec_lo, exec_lo, s0
	v_or_b32_e32 v7, 32, v6
	v_cmp_gt_i32_e64 s0, s22, v7
	s_and_b32 s1, s2, s0
	s_xor_b32 s1, s1, -1
	s_and_saveexec_b32 s3, s1
	s_xor_b32 s1, exec_lo, s3
                                        ; implicit-def: $vgpr7
                                        ; implicit-def: $vgpr8
                                        ; implicit-def: $vgpr10
                                        ; implicit-def: $vgpr11
                                        ; implicit-def: $vgpr12
                                        ; implicit-def: $vgpr13
                                        ; implicit-def: $vgpr14
                                        ; implicit-def: $vgpr16
                                        ; implicit-def: $vgpr19
                                        ; implicit-def: $vgpr20
                                        ; implicit-def: $vgpr21
                                        ; implicit-def: $vgpr22
                                        ; implicit-def: $vgpr24
                                        ; implicit-def: $vgpr23
                                        ; implicit-def: $vgpr9
; %bb.3:
	s_mov_b32 s3, 0
                                        ; implicit-def: $vgpr7
                                        ; implicit-def: $vgpr8
                                        ; implicit-def: $vgpr10
                                        ; implicit-def: $vgpr11
                                        ; implicit-def: $vgpr12
                                        ; implicit-def: $vgpr13
                                        ; implicit-def: $vgpr14
                                        ; implicit-def: $vgpr16
                                        ; implicit-def: $vgpr19
                                        ; implicit-def: $vgpr20
                                        ; implicit-def: $vgpr21
                                        ; implicit-def: $vgpr22
                                        ; implicit-def: $vgpr24
                                        ; implicit-def: $vgpr9
	v_mov_b32_e32 v23, s3
; %bb.4:
	s_or_saveexec_b32 s3, s1
	v_mov_b32_e32 v25, 1.0
	s_xor_b32 exec_lo, exec_lo, s3
	s_cbranch_execz .LBB271_6
; %bb.5:
	global_load_ushort v23, v[4:5], off offset:64
	global_load_ushort v25, v[2:3], off offset:64
	s_mov_b32 s1, 0x3fb8aa3b
	s_waitcnt vmcnt(1)
	v_cvt_f32_f16_e32 v26, v23
	v_mul_f32_e32 v27, 0x3fb8aa3b, v26
	v_rndne_f32_e32 v28, v27
	v_fma_mix_f32 v29, v23, s1, -v27 op_sel_hi:[1,0,0]
	s_mov_b32 s1, 0x32a5705f
	v_sub_f32_e32 v27, v27, v28
	v_fma_mix_f32 v23, v23, s1, v29 op_sel_hi:[1,0,0]
	v_cmp_ngt_f32_e64 s1, 0xc2ce8ed0, v26
	v_add_f32_e32 v23, v27, v23
	v_cvt_i32_f32_e32 v27, v28
	v_exp_f32_e32 v23, v23
	v_ldexp_f32 v23, v23, v27
	v_cndmask_b32_e64 v27, 0, v23, s1
	v_cmp_nlt_f32_e64 s1, 0x42b17218, v26
	s_waitcnt vmcnt(0)
	v_cvt_f32_f16_e32 v23, v25
	v_cndmask_b32_e64 v25, 0x7f800000, v27, s1
.LBB271_6:
	s_or_b32 exec_lo, exec_lo, s3
	v_or_b32_e32 v26, 64, v6
	v_cmp_gt_i32_e64 s1, s22, v26
	s_and_b32 s3, s2, s1
	s_xor_b32 s3, s3, -1
	s_and_saveexec_b32 s4, s3
	s_xor_b32 s3, exec_lo, s4
; %bb.7:
	s_mov_b32 s4, 0
	v_mov_b32_e32 v24, s4
; %bb.8:
	s_or_saveexec_b32 s4, s3
	v_mov_b32_e32 v26, 1.0
	s_xor_b32 exec_lo, exec_lo, s4
	s_cbranch_execz .LBB271_10
; %bb.9:
	global_load_ushort v24, v[4:5], off offset:128
	global_load_ushort v26, v[2:3], off offset:128
	s_mov_b32 s3, 0x3fb8aa3b
	s_waitcnt vmcnt(1)
	v_cvt_f32_f16_e32 v27, v24
	v_mul_f32_e32 v28, 0x3fb8aa3b, v27
	v_rndne_f32_e32 v29, v28
	v_fma_mix_f32 v30, v24, s3, -v28 op_sel_hi:[1,0,0]
	s_mov_b32 s3, 0x32a5705f
	v_sub_f32_e32 v28, v28, v29
	v_fma_mix_f32 v24, v24, s3, v30 op_sel_hi:[1,0,0]
	v_cmp_ngt_f32_e64 s3, 0xc2ce8ed0, v27
	v_add_f32_e32 v24, v28, v24
	v_cvt_i32_f32_e32 v28, v29
	v_exp_f32_e32 v24, v24
	v_ldexp_f32 v24, v24, v28
	v_cndmask_b32_e64 v28, 0, v24, s3
	v_cmp_nlt_f32_e64 s3, 0x42b17218, v27
	s_waitcnt vmcnt(0)
	v_cvt_f32_f16_e32 v24, v26
	v_cndmask_b32_e64 v26, 0x7f800000, v28, s3
.LBB271_10:
	s_or_b32 exec_lo, exec_lo, s4
	v_or_b32_e32 v27, 0x60, v6
	v_cmp_gt_i32_e64 s3, s22, v27
	s_and_b32 s4, s2, s3
	s_xor_b32 s4, s4, -1
	s_and_saveexec_b32 s5, s4
	s_xor_b32 s4, exec_lo, s5
; %bb.11:
	s_mov_b32 s5, 0
	v_mov_b32_e32 v22, s5
; %bb.12:
	s_or_saveexec_b32 s5, s4
	v_mov_b32_e32 v27, 1.0
	s_xor_b32 exec_lo, exec_lo, s5
	s_cbranch_execz .LBB271_14
; %bb.13:
	global_load_ushort v22, v[4:5], off offset:192
	global_load_ushort v27, v[2:3], off offset:192
	s_mov_b32 s4, 0x3fb8aa3b
	s_waitcnt vmcnt(1)
	v_cvt_f32_f16_e32 v28, v22
	v_mul_f32_e32 v29, 0x3fb8aa3b, v28
	v_rndne_f32_e32 v30, v29
	v_fma_mix_f32 v31, v22, s4, -v29 op_sel_hi:[1,0,0]
	s_mov_b32 s4, 0x32a5705f
	v_sub_f32_e32 v29, v29, v30
	v_fma_mix_f32 v22, v22, s4, v31 op_sel_hi:[1,0,0]
	v_cmp_ngt_f32_e64 s4, 0xc2ce8ed0, v28
	v_add_f32_e32 v22, v29, v22
	v_cvt_i32_f32_e32 v29, v30
	v_exp_f32_e32 v22, v22
	v_ldexp_f32 v22, v22, v29
	v_cndmask_b32_e64 v29, 0, v22, s4
	v_cmp_nlt_f32_e64 s4, 0x42b17218, v28
	s_waitcnt vmcnt(0)
	v_cvt_f32_f16_e32 v22, v27
	v_cndmask_b32_e64 v27, 0x7f800000, v29, s4
.LBB271_14:
	s_or_b32 exec_lo, exec_lo, s5
	v_or_b32_e32 v28, 0x80, v6
	v_cmp_gt_i32_e64 s4, s22, v28
	s_and_b32 s5, s2, s4
	s_xor_b32 s5, s5, -1
	s_and_saveexec_b32 s6, s5
	s_xor_b32 s5, exec_lo, s6
; %bb.15:
	s_mov_b32 s6, 0
	v_mov_b32_e32 v21, s6
; %bb.16:
	s_or_saveexec_b32 s6, s5
	v_mov_b32_e32 v28, 1.0
	s_xor_b32 exec_lo, exec_lo, s6
	s_cbranch_execz .LBB271_18
; %bb.17:
	global_load_ushort v21, v[4:5], off offset:256
	global_load_ushort v28, v[2:3], off offset:256
	s_mov_b32 s5, 0x3fb8aa3b
	s_waitcnt vmcnt(1)
	v_cvt_f32_f16_e32 v29, v21
	v_mul_f32_e32 v30, 0x3fb8aa3b, v29
	v_rndne_f32_e32 v31, v30
	v_fma_mix_f32 v32, v21, s5, -v30 op_sel_hi:[1,0,0]
	s_mov_b32 s5, 0x32a5705f
	v_sub_f32_e32 v30, v30, v31
	v_fma_mix_f32 v21, v21, s5, v32 op_sel_hi:[1,0,0]
	v_cmp_ngt_f32_e64 s5, 0xc2ce8ed0, v29
	v_add_f32_e32 v21, v30, v21
	v_cvt_i32_f32_e32 v30, v31
	v_exp_f32_e32 v21, v21
	v_ldexp_f32 v21, v21, v30
	v_cndmask_b32_e64 v30, 0, v21, s5
	v_cmp_nlt_f32_e64 s5, 0x42b17218, v29
	s_waitcnt vmcnt(0)
	v_cvt_f32_f16_e32 v21, v28
	v_cndmask_b32_e64 v28, 0x7f800000, v30, s5
.LBB271_18:
	s_or_b32 exec_lo, exec_lo, s6
	v_or_b32_e32 v29, 0xa0, v6
	v_cmp_gt_i32_e64 s5, s22, v29
	s_and_b32 s6, s2, s5
	s_xor_b32 s6, s6, -1
	s_and_saveexec_b32 s7, s6
	s_xor_b32 s6, exec_lo, s7
; %bb.19:
	s_mov_b32 s7, 0
	v_mov_b32_e32 v20, s7
; %bb.20:
	s_or_saveexec_b32 s7, s6
	v_mov_b32_e32 v29, 1.0
	s_xor_b32 exec_lo, exec_lo, s7
	s_cbranch_execz .LBB271_22
; %bb.21:
	global_load_ushort v20, v[4:5], off offset:320
	global_load_ushort v29, v[2:3], off offset:320
	s_mov_b32 s6, 0x3fb8aa3b
	s_waitcnt vmcnt(1)
	v_cvt_f32_f16_e32 v30, v20
	v_mul_f32_e32 v31, 0x3fb8aa3b, v30
	v_rndne_f32_e32 v32, v31
	v_fma_mix_f32 v33, v20, s6, -v31 op_sel_hi:[1,0,0]
	s_mov_b32 s6, 0x32a5705f
	v_sub_f32_e32 v31, v31, v32
	v_fma_mix_f32 v20, v20, s6, v33 op_sel_hi:[1,0,0]
	v_cmp_ngt_f32_e64 s6, 0xc2ce8ed0, v30
	v_add_f32_e32 v20, v31, v20
	v_cvt_i32_f32_e32 v31, v32
	v_exp_f32_e32 v20, v20
	v_ldexp_f32 v20, v20, v31
	v_cndmask_b32_e64 v31, 0, v20, s6
	v_cmp_nlt_f32_e64 s6, 0x42b17218, v30
	s_waitcnt vmcnt(0)
	v_cvt_f32_f16_e32 v20, v29
	v_cndmask_b32_e64 v29, 0x7f800000, v31, s6
.LBB271_22:
	s_or_b32 exec_lo, exec_lo, s7
	v_or_b32_e32 v30, 0xc0, v6
	v_cmp_gt_i32_e64 s6, s22, v30
	s_and_b32 s7, s2, s6
	s_xor_b32 s7, s7, -1
	s_and_saveexec_b32 s8, s7
	s_xor_b32 s7, exec_lo, s8
; %bb.23:
	s_mov_b32 s8, 0
	v_mov_b32_e32 v19, s8
; %bb.24:
	s_or_saveexec_b32 s8, s7
	v_mov_b32_e32 v30, 1.0
	s_xor_b32 exec_lo, exec_lo, s8
	s_cbranch_execz .LBB271_26
; %bb.25:
	global_load_ushort v19, v[4:5], off offset:384
	global_load_ushort v30, v[2:3], off offset:384
	s_mov_b32 s7, 0x3fb8aa3b
	s_waitcnt vmcnt(1)
	v_cvt_f32_f16_e32 v31, v19
	v_mul_f32_e32 v32, 0x3fb8aa3b, v31
	v_rndne_f32_e32 v33, v32
	v_fma_mix_f32 v34, v19, s7, -v32 op_sel_hi:[1,0,0]
	s_mov_b32 s7, 0x32a5705f
	v_sub_f32_e32 v32, v32, v33
	v_fma_mix_f32 v19, v19, s7, v34 op_sel_hi:[1,0,0]
	v_cmp_ngt_f32_e64 s7, 0xc2ce8ed0, v31
	v_add_f32_e32 v19, v32, v19
	v_cvt_i32_f32_e32 v32, v33
	v_exp_f32_e32 v19, v19
	v_ldexp_f32 v19, v19, v32
	v_cndmask_b32_e64 v32, 0, v19, s7
	v_cmp_nlt_f32_e64 s7, 0x42b17218, v31
	s_waitcnt vmcnt(0)
	v_cvt_f32_f16_e32 v19, v30
	v_cndmask_b32_e64 v30, 0x7f800000, v32, s7
.LBB271_26:
	s_or_b32 exec_lo, exec_lo, s8
	v_or_b32_e32 v31, 0xe0, v6
	v_cmp_gt_i32_e64 s7, s22, v31
	s_and_b32 s8, s2, s7
	s_xor_b32 s8, s8, -1
	s_and_saveexec_b32 s9, s8
	s_xor_b32 s8, exec_lo, s9
; %bb.27:
	s_mov_b32 s9, 0
	v_mov_b32_e32 v16, s9
; %bb.28:
	s_or_saveexec_b32 s9, s8
	v_mov_b32_e32 v31, 1.0
	s_xor_b32 exec_lo, exec_lo, s9
	s_cbranch_execz .LBB271_30
; %bb.29:
	global_load_ushort v16, v[4:5], off offset:448
	global_load_ushort v31, v[2:3], off offset:448
	s_mov_b32 s8, 0x3fb8aa3b
	s_waitcnt vmcnt(1)
	v_cvt_f32_f16_e32 v32, v16
	v_mul_f32_e32 v33, 0x3fb8aa3b, v32
	v_rndne_f32_e32 v34, v33
	v_fma_mix_f32 v35, v16, s8, -v33 op_sel_hi:[1,0,0]
	s_mov_b32 s8, 0x32a5705f
	v_sub_f32_e32 v33, v33, v34
	v_fma_mix_f32 v16, v16, s8, v35 op_sel_hi:[1,0,0]
	v_cmp_ngt_f32_e64 s8, 0xc2ce8ed0, v32
	v_add_f32_e32 v16, v33, v16
	v_cvt_i32_f32_e32 v33, v34
	v_exp_f32_e32 v16, v16
	v_ldexp_f32 v16, v16, v33
	v_cndmask_b32_e64 v33, 0, v16, s8
	v_cmp_nlt_f32_e64 s8, 0x42b17218, v32
	s_waitcnt vmcnt(0)
	v_cvt_f32_f16_e32 v16, v31
	v_cndmask_b32_e64 v31, 0x7f800000, v33, s8
.LBB271_30:
	s_or_b32 exec_lo, exec_lo, s9
	v_or_b32_e32 v32, 0x100, v6
	v_cmp_gt_i32_e64 s8, s22, v32
	s_and_b32 s9, s2, s8
	s_xor_b32 s9, s9, -1
	s_and_saveexec_b32 s10, s9
	s_xor_b32 s9, exec_lo, s10
; %bb.31:
	s_mov_b32 s10, 0
	v_mov_b32_e32 v14, s10
; %bb.32:
	s_or_saveexec_b32 s10, s9
	v_mov_b32_e32 v32, 1.0
	s_xor_b32 exec_lo, exec_lo, s10
	s_cbranch_execz .LBB271_34
; %bb.33:
	global_load_ushort v14, v[4:5], off offset:512
	global_load_ushort v32, v[2:3], off offset:512
	s_mov_b32 s9, 0x3fb8aa3b
	s_waitcnt vmcnt(1)
	v_cvt_f32_f16_e32 v33, v14
	v_mul_f32_e32 v34, 0x3fb8aa3b, v33
	v_rndne_f32_e32 v35, v34
	v_fma_mix_f32 v36, v14, s9, -v34 op_sel_hi:[1,0,0]
	s_mov_b32 s9, 0x32a5705f
	v_sub_f32_e32 v34, v34, v35
	v_fma_mix_f32 v14, v14, s9, v36 op_sel_hi:[1,0,0]
	v_cmp_ngt_f32_e64 s9, 0xc2ce8ed0, v33
	v_add_f32_e32 v14, v34, v14
	v_cvt_i32_f32_e32 v34, v35
	v_exp_f32_e32 v14, v14
	v_ldexp_f32 v14, v14, v34
	v_cndmask_b32_e64 v34, 0, v14, s9
	v_cmp_nlt_f32_e64 s9, 0x42b17218, v33
	s_waitcnt vmcnt(0)
	v_cvt_f32_f16_e32 v14, v32
	v_cndmask_b32_e64 v32, 0x7f800000, v34, s9
.LBB271_34:
	s_or_b32 exec_lo, exec_lo, s10
	v_or_b32_e32 v33, 0x120, v6
	v_cmp_gt_i32_e64 s9, s22, v33
	s_and_b32 s10, s2, s9
	s_xor_b32 s10, s10, -1
	s_and_saveexec_b32 s11, s10
	s_xor_b32 s10, exec_lo, s11
; %bb.35:
	s_mov_b32 s11, 0
	v_mov_b32_e32 v13, s11
; %bb.36:
	s_or_saveexec_b32 s11, s10
	v_mov_b32_e32 v33, 1.0
	s_xor_b32 exec_lo, exec_lo, s11
	s_cbranch_execz .LBB271_38
; %bb.37:
	global_load_ushort v13, v[4:5], off offset:576
	global_load_ushort v33, v[2:3], off offset:576
	s_mov_b32 s10, 0x3fb8aa3b
	s_waitcnt vmcnt(1)
	v_cvt_f32_f16_e32 v34, v13
	v_mul_f32_e32 v35, 0x3fb8aa3b, v34
	v_rndne_f32_e32 v36, v35
	v_fma_mix_f32 v37, v13, s10, -v35 op_sel_hi:[1,0,0]
	s_mov_b32 s10, 0x32a5705f
	v_sub_f32_e32 v35, v35, v36
	v_fma_mix_f32 v13, v13, s10, v37 op_sel_hi:[1,0,0]
	v_cmp_ngt_f32_e64 s10, 0xc2ce8ed0, v34
	v_add_f32_e32 v13, v35, v13
	v_cvt_i32_f32_e32 v35, v36
	v_exp_f32_e32 v13, v13
	v_ldexp_f32 v13, v13, v35
	v_cndmask_b32_e64 v35, 0, v13, s10
	v_cmp_nlt_f32_e64 s10, 0x42b17218, v34
	s_waitcnt vmcnt(0)
	v_cvt_f32_f16_e32 v13, v33
	v_cndmask_b32_e64 v33, 0x7f800000, v35, s10
.LBB271_38:
	s_or_b32 exec_lo, exec_lo, s11
	v_or_b32_e32 v34, 0x140, v6
	v_cmp_gt_i32_e64 s10, s22, v34
	s_and_b32 s11, s2, s10
	s_xor_b32 s11, s11, -1
	s_and_saveexec_b32 s12, s11
	s_xor_b32 s11, exec_lo, s12
; %bb.39:
	s_mov_b32 s12, 0
	v_mov_b32_e32 v12, s12
; %bb.40:
	s_or_saveexec_b32 s12, s11
	v_mov_b32_e32 v34, 1.0
	s_xor_b32 exec_lo, exec_lo, s12
	s_cbranch_execz .LBB271_42
; %bb.41:
	global_load_ushort v12, v[4:5], off offset:640
	global_load_ushort v34, v[2:3], off offset:640
	s_mov_b32 s11, 0x3fb8aa3b
	s_waitcnt vmcnt(1)
	v_cvt_f32_f16_e32 v35, v12
	v_mul_f32_e32 v36, 0x3fb8aa3b, v35
	v_rndne_f32_e32 v37, v36
	v_fma_mix_f32 v38, v12, s11, -v36 op_sel_hi:[1,0,0]
	s_mov_b32 s11, 0x32a5705f
	v_sub_f32_e32 v36, v36, v37
	v_fma_mix_f32 v12, v12, s11, v38 op_sel_hi:[1,0,0]
	v_cmp_ngt_f32_e64 s11, 0xc2ce8ed0, v35
	v_add_f32_e32 v12, v36, v12
	v_cvt_i32_f32_e32 v36, v37
	v_exp_f32_e32 v12, v12
	v_ldexp_f32 v12, v12, v36
	v_cndmask_b32_e64 v36, 0, v12, s11
	v_cmp_nlt_f32_e64 s11, 0x42b17218, v35
	s_waitcnt vmcnt(0)
	v_cvt_f32_f16_e32 v12, v34
	v_cndmask_b32_e64 v34, 0x7f800000, v36, s11
.LBB271_42:
	s_or_b32 exec_lo, exec_lo, s12
	v_or_b32_e32 v35, 0x160, v6
	v_cmp_gt_i32_e64 s11, s22, v35
	s_and_b32 s12, s2, s11
	s_xor_b32 s12, s12, -1
	s_and_saveexec_b32 s13, s12
	s_xor_b32 s12, exec_lo, s13
; %bb.43:
	s_mov_b32 s13, 0
	v_mov_b32_e32 v11, s13
; %bb.44:
	s_or_saveexec_b32 s13, s12
	v_mov_b32_e32 v35, 1.0
	s_xor_b32 exec_lo, exec_lo, s13
	s_cbranch_execz .LBB271_46
; %bb.45:
	global_load_ushort v11, v[4:5], off offset:704
	global_load_ushort v35, v[2:3], off offset:704
	s_mov_b32 s12, 0x3fb8aa3b
	s_waitcnt vmcnt(1)
	v_cvt_f32_f16_e32 v36, v11
	v_mul_f32_e32 v37, 0x3fb8aa3b, v36
	v_rndne_f32_e32 v38, v37
	v_fma_mix_f32 v39, v11, s12, -v37 op_sel_hi:[1,0,0]
	s_mov_b32 s12, 0x32a5705f
	v_sub_f32_e32 v37, v37, v38
	v_fma_mix_f32 v11, v11, s12, v39 op_sel_hi:[1,0,0]
	v_cmp_ngt_f32_e64 s12, 0xc2ce8ed0, v36
	v_add_f32_e32 v11, v37, v11
	v_cvt_i32_f32_e32 v37, v38
	v_exp_f32_e32 v11, v11
	v_ldexp_f32 v11, v11, v37
	v_cndmask_b32_e64 v37, 0, v11, s12
	v_cmp_nlt_f32_e64 s12, 0x42b17218, v36
	s_waitcnt vmcnt(0)
	v_cvt_f32_f16_e32 v11, v35
	v_cndmask_b32_e64 v35, 0x7f800000, v37, s12
.LBB271_46:
	s_or_b32 exec_lo, exec_lo, s13
	v_or_b32_e32 v36, 0x180, v6
	v_cmp_gt_i32_e64 s12, s22, v36
	s_and_b32 s13, s2, s12
	s_xor_b32 s13, s13, -1
	s_and_saveexec_b32 s14, s13
	s_xor_b32 s13, exec_lo, s14
; %bb.47:
	s_mov_b32 s14, 0
	v_mov_b32_e32 v10, s14
; %bb.48:
	s_or_saveexec_b32 s14, s13
	v_mov_b32_e32 v36, 1.0
	s_xor_b32 exec_lo, exec_lo, s14
	s_cbranch_execz .LBB271_50
; %bb.49:
	global_load_ushort v10, v[4:5], off offset:768
	global_load_ushort v36, v[2:3], off offset:768
	s_mov_b32 s13, 0x3fb8aa3b
	s_waitcnt vmcnt(1)
	v_cvt_f32_f16_e32 v37, v10
	v_mul_f32_e32 v38, 0x3fb8aa3b, v37
	v_rndne_f32_e32 v39, v38
	v_fma_mix_f32 v40, v10, s13, -v38 op_sel_hi:[1,0,0]
	s_mov_b32 s13, 0x32a5705f
	v_sub_f32_e32 v38, v38, v39
	v_fma_mix_f32 v10, v10, s13, v40 op_sel_hi:[1,0,0]
	v_cmp_ngt_f32_e64 s13, 0xc2ce8ed0, v37
	v_add_f32_e32 v10, v38, v10
	v_cvt_i32_f32_e32 v38, v39
	v_exp_f32_e32 v10, v10
	v_ldexp_f32 v10, v10, v38
	v_cndmask_b32_e64 v38, 0, v10, s13
	v_cmp_nlt_f32_e64 s13, 0x42b17218, v37
	s_waitcnt vmcnt(0)
	v_cvt_f32_f16_e32 v10, v36
	v_cndmask_b32_e64 v36, 0x7f800000, v38, s13
.LBB271_50:
	s_or_b32 exec_lo, exec_lo, s14
	v_or_b32_e32 v37, 0x1a0, v6
	v_cmp_gt_i32_e64 s13, s22, v37
	s_and_b32 s14, s2, s13
	s_xor_b32 s14, s14, -1
	s_and_saveexec_b32 s15, s14
	s_xor_b32 s14, exec_lo, s15
; %bb.51:
	s_mov_b32 s15, 0
	v_mov_b32_e32 v8, s15
; %bb.52:
	s_or_saveexec_b32 s15, s14
	v_mov_b32_e32 v37, 1.0
	s_xor_b32 exec_lo, exec_lo, s15
	s_cbranch_execz .LBB271_54
; %bb.53:
	global_load_ushort v8, v[4:5], off offset:832
	global_load_ushort v37, v[2:3], off offset:832
	s_mov_b32 s14, 0x3fb8aa3b
	s_waitcnt vmcnt(1)
	v_cvt_f32_f16_e32 v38, v8
	v_mul_f32_e32 v39, 0x3fb8aa3b, v38
	v_rndne_f32_e32 v40, v39
	v_fma_mix_f32 v41, v8, s14, -v39 op_sel_hi:[1,0,0]
	s_mov_b32 s14, 0x32a5705f
	v_sub_f32_e32 v39, v39, v40
	v_fma_mix_f32 v8, v8, s14, v41 op_sel_hi:[1,0,0]
	v_cmp_ngt_f32_e64 s14, 0xc2ce8ed0, v38
	v_add_f32_e32 v8, v39, v8
	v_cvt_i32_f32_e32 v39, v40
	v_exp_f32_e32 v8, v8
	v_ldexp_f32 v8, v8, v39
	v_cndmask_b32_e64 v39, 0, v8, s14
	v_cmp_nlt_f32_e64 s14, 0x42b17218, v38
	s_waitcnt vmcnt(0)
	v_cvt_f32_f16_e32 v8, v37
	v_cndmask_b32_e64 v37, 0x7f800000, v39, s14
.LBB271_54:
	s_or_b32 exec_lo, exec_lo, s15
	v_or_b32_e32 v38, 0x1c0, v6
	v_cmp_gt_i32_e64 s14, s22, v38
	s_and_b32 s15, s2, s14
	s_xor_b32 s15, s15, -1
	s_and_saveexec_b32 s18, s15
	s_xor_b32 s15, exec_lo, s18
; %bb.55:
	s_mov_b32 s18, 0
	v_mov_b32_e32 v7, s18
; %bb.56:
	s_or_saveexec_b32 s18, s15
	v_mov_b32_e32 v38, 1.0
	s_xor_b32 exec_lo, exec_lo, s18
	s_cbranch_execz .LBB271_58
; %bb.57:
	global_load_ushort v7, v[4:5], off offset:896
	global_load_ushort v38, v[2:3], off offset:896
	s_mov_b32 s15, 0x3fb8aa3b
	s_waitcnt vmcnt(1)
	v_cvt_f32_f16_e32 v39, v7
	v_mul_f32_e32 v40, 0x3fb8aa3b, v39
	v_rndne_f32_e32 v41, v40
	v_fma_mix_f32 v42, v7, s15, -v40 op_sel_hi:[1,0,0]
	s_mov_b32 s15, 0x32a5705f
	v_sub_f32_e32 v40, v40, v41
	v_fma_mix_f32 v7, v7, s15, v42 op_sel_hi:[1,0,0]
	v_cmp_ngt_f32_e64 s15, 0xc2ce8ed0, v39
	v_add_f32_e32 v7, v40, v7
	v_cvt_i32_f32_e32 v40, v41
	v_exp_f32_e32 v7, v7
	v_ldexp_f32 v7, v7, v40
	v_cndmask_b32_e64 v40, 0, v7, s15
	v_cmp_nlt_f32_e64 s15, 0x42b17218, v39
	s_waitcnt vmcnt(0)
	v_cvt_f32_f16_e32 v7, v38
	v_cndmask_b32_e64 v38, 0x7f800000, v40, s15
.LBB271_58:
	s_or_b32 exec_lo, exec_lo, s18
	v_or_b32_e32 v6, 0x1e0, v6
	v_cmp_gt_i32_e64 s15, s22, v6
	s_and_b32 s2, s2, s15
	s_xor_b32 s2, s2, -1
	s_and_saveexec_b32 s18, s2
	s_xor_b32 s2, exec_lo, s18
; %bb.59:
	s_mov_b32 s18, 0
                                        ; implicit-def: $vgpr2_vgpr3
                                        ; implicit-def: $vgpr4_vgpr5
	v_mov_b32_e32 v9, s18
; %bb.60:
	s_or_saveexec_b32 s18, s2
	v_mov_b32_e32 v6, 1.0
	s_xor_b32 exec_lo, exec_lo, s18
	s_cbranch_execz .LBB271_62
; %bb.61:
	global_load_ushort v4, v[4:5], off offset:960
	global_load_ushort v2, v[2:3], off offset:960
	s_mov_b32 s2, 0x3fb8aa3b
	s_waitcnt vmcnt(1)
	v_cvt_f32_f16_e32 v3, v4
	v_mul_f32_e32 v5, 0x3fb8aa3b, v3
	v_rndne_f32_e32 v6, v5
	v_fma_mix_f32 v9, v4, s2, -v5 op_sel_hi:[1,0,0]
	s_mov_b32 s2, 0x32a5705f
	v_sub_f32_e32 v5, v5, v6
	v_fma_mix_f32 v4, v4, s2, v9 op_sel_hi:[1,0,0]
	v_cmp_ngt_f32_e64 s2, 0xc2ce8ed0, v3
	s_waitcnt vmcnt(0)
	v_cvt_f32_f16_e32 v9, v2
	v_add_f32_e32 v4, v5, v4
	v_cvt_i32_f32_e32 v5, v6
	v_exp_f32_e32 v4, v4
	v_ldexp_f32 v4, v4, v5
	v_cndmask_b32_e64 v4, 0, v4, s2
	v_cmp_nlt_f32_e64 s2, 0x42b17218, v3
	v_cndmask_b32_e64 v6, 0x7f800000, v4, s2
.LBB271_62:
	s_or_b32 exec_lo, exec_lo, s18
	v_add_f32_e32 v2, 0, v17
	v_mbcnt_lo_u32_b32 v3, -1, 0
	s_mov_b32 s18, exec_lo
	v_add_f32_e32 v2, v2, v23
	v_xor_b32_e32 v4, 16, v3
	v_xor_b32_e32 v5, 8, v3
	v_add_f32_e32 v2, v2, v24
	v_cmp_gt_i32_e64 s2, 32, v4
	v_add_f32_e32 v2, v2, v22
	v_cndmask_b32_e64 v4, v3, v4, s2
	v_cmp_gt_i32_e64 s2, 32, v5
	v_add_f32_e32 v2, v2, v21
	v_lshlrev_b32_e32 v4, 2, v4
	v_cndmask_b32_e64 v5, v3, v5, s2
	v_add_f32_e32 v2, v2, v20
	v_lshlrev_b32_e32 v5, 2, v5
	v_add_f32_e32 v2, v2, v19
	v_add_f32_e32 v2, v2, v16
	;; [unrolled: 1-line block ×10, first 2 shown]
	ds_bpermute_b32 v4, v4, v2
	s_waitcnt lgkmcnt(0)
	v_add_f32_e32 v2, v2, v4
	ds_bpermute_b32 v4, v5, v2
	v_xor_b32_e32 v5, 4, v3
	v_cmp_gt_i32_e64 s2, 32, v5
	v_cndmask_b32_e64 v5, v3, v5, s2
	v_lshlrev_b32_e32 v5, 2, v5
	s_waitcnt lgkmcnt(0)
	v_add_f32_e32 v2, v2, v4
	ds_bpermute_b32 v4, v5, v2
	v_xor_b32_e32 v5, 2, v3
	v_cmp_gt_i32_e64 s2, 32, v5
	v_cndmask_b32_e64 v5, v3, v5, s2
	v_lshlrev_b32_e32 v5, 2, v5
	;; [unrolled: 7-line block ×3, first 2 shown]
	s_waitcnt lgkmcnt(0)
	v_add_f32_e32 v2, v2, v4
	ds_bpermute_b32 v3, v3, v2
	v_cmpx_lt_i32_e32 0, v18
	s_cbranch_execz .LBB271_80
; %bb.63:
	v_add_co_u32 v0, s2, s16, v0
	v_add_co_ci_u32_e64 v1, null, s17, v1, s2
	s_waitcnt lgkmcnt(0)
	v_add_f32_e32 v2, v2, v3
	s_and_saveexec_b32 s2, vcc_lo
	s_cbranch_execnz .LBB271_81
; %bb.64:
	s_or_b32 exec_lo, exec_lo, s2
	s_and_saveexec_b32 s2, s0
	s_cbranch_execnz .LBB271_82
.LBB271_65:
	s_or_b32 exec_lo, exec_lo, s2
	s_and_saveexec_b32 s0, s1
	s_cbranch_execnz .LBB271_83
.LBB271_66:
	s_or_b32 exec_lo, exec_lo, s0
	s_and_saveexec_b32 s0, s3
	s_cbranch_execnz .LBB271_84
.LBB271_67:
	s_or_b32 exec_lo, exec_lo, s0
	s_and_saveexec_b32 s0, s4
	s_cbranch_execnz .LBB271_85
.LBB271_68:
	s_or_b32 exec_lo, exec_lo, s0
	s_and_saveexec_b32 s0, s5
	s_cbranch_execnz .LBB271_86
.LBB271_69:
	s_or_b32 exec_lo, exec_lo, s0
	s_and_saveexec_b32 s0, s6
	s_cbranch_execnz .LBB271_87
.LBB271_70:
	s_or_b32 exec_lo, exec_lo, s0
	s_and_saveexec_b32 s0, s7
	s_cbranch_execnz .LBB271_88
.LBB271_71:
	s_or_b32 exec_lo, exec_lo, s0
	s_and_saveexec_b32 s0, s8
	s_cbranch_execnz .LBB271_89
.LBB271_72:
	s_or_b32 exec_lo, exec_lo, s0
	s_and_saveexec_b32 s0, s9
	s_cbranch_execnz .LBB271_90
.LBB271_73:
	s_or_b32 exec_lo, exec_lo, s0
	s_and_saveexec_b32 s0, s10
	s_cbranch_execnz .LBB271_91
.LBB271_74:
	s_or_b32 exec_lo, exec_lo, s0
	s_and_saveexec_b32 s0, s11
	s_cbranch_execnz .LBB271_92
.LBB271_75:
	s_or_b32 exec_lo, exec_lo, s0
	s_and_saveexec_b32 s0, s12
	s_cbranch_execnz .LBB271_93
.LBB271_76:
	s_or_b32 exec_lo, exec_lo, s0
	s_and_saveexec_b32 s0, s13
	s_cbranch_execnz .LBB271_94
.LBB271_77:
	s_or_b32 exec_lo, exec_lo, s0
	s_and_saveexec_b32 s0, s14
	s_cbranch_execnz .LBB271_95
.LBB271_78:
	s_or_b32 exec_lo, exec_lo, s0
	s_and_b32 exec_lo, exec_lo, s15
	s_cbranch_execz .LBB271_80
.LBB271_79:
	v_fma_mixlo_f16 v2, -v2, v6, v9
	global_store_short v[0:1], v2, off offset:960
.LBB271_80:
	s_endpgm
.LBB271_81:
	v_mul_f32_e32 v3, 0x3fb8aa3b, v15
	v_cmp_ngt_f32_e32 vcc_lo, 0xc2ce8ed0, v15
	v_rndne_f32_e32 v4, v3
	v_fma_f32 v5, 0x3fb8aa3b, v15, -v3
	v_sub_f32_e32 v3, v3, v4
	v_fmamk_f32 v5, v15, 0x32a5705f, v5
	v_cvt_i32_f32_e32 v4, v4
	v_add_f32_e32 v3, v3, v5
	v_exp_f32_e32 v3, v3
	v_ldexp_f32 v3, v3, v4
	v_cndmask_b32_e32 v3, 0, v3, vcc_lo
	v_cmp_nlt_f32_e32 vcc_lo, 0x42b17218, v15
	v_cndmask_b32_e32 v3, 0x7f800000, v3, vcc_lo
	v_fma_mixlo_f16 v3, -v2, v3, v17
	global_store_short v[0:1], v3, off
	s_or_b32 exec_lo, exec_lo, s2
	s_and_saveexec_b32 s2, s0
	s_cbranch_execz .LBB271_65
.LBB271_82:
	v_fma_mixlo_f16 v3, -v2, v25, v23
	global_store_short v[0:1], v3, off offset:64
	s_or_b32 exec_lo, exec_lo, s2
	s_and_saveexec_b32 s0, s1
	s_cbranch_execz .LBB271_66
.LBB271_83:
	v_fma_mixlo_f16 v3, -v2, v26, v24
	global_store_short v[0:1], v3, off offset:128
	s_or_b32 exec_lo, exec_lo, s0
	s_and_saveexec_b32 s0, s3
	s_cbranch_execz .LBB271_67
.LBB271_84:
	v_fma_mixlo_f16 v3, -v2, v27, v22
	global_store_short v[0:1], v3, off offset:192
	s_or_b32 exec_lo, exec_lo, s0
	s_and_saveexec_b32 s0, s4
	s_cbranch_execz .LBB271_68
.LBB271_85:
	v_fma_mixlo_f16 v3, -v2, v28, v21
	global_store_short v[0:1], v3, off offset:256
	s_or_b32 exec_lo, exec_lo, s0
	s_and_saveexec_b32 s0, s5
	s_cbranch_execz .LBB271_69
.LBB271_86:
	v_fma_mixlo_f16 v3, -v2, v29, v20
	global_store_short v[0:1], v3, off offset:320
	s_or_b32 exec_lo, exec_lo, s0
	s_and_saveexec_b32 s0, s6
	s_cbranch_execz .LBB271_70
.LBB271_87:
	v_fma_mixlo_f16 v3, -v2, v30, v19
	global_store_short v[0:1], v3, off offset:384
	s_or_b32 exec_lo, exec_lo, s0
	s_and_saveexec_b32 s0, s7
	s_cbranch_execz .LBB271_71
.LBB271_88:
	v_fma_mixlo_f16 v3, -v2, v31, v16
	global_store_short v[0:1], v3, off offset:448
	s_or_b32 exec_lo, exec_lo, s0
	s_and_saveexec_b32 s0, s8
	s_cbranch_execz .LBB271_72
.LBB271_89:
	v_fma_mixlo_f16 v3, -v2, v32, v14
	global_store_short v[0:1], v3, off offset:512
	s_or_b32 exec_lo, exec_lo, s0
	s_and_saveexec_b32 s0, s9
	s_cbranch_execz .LBB271_73
.LBB271_90:
	v_fma_mixlo_f16 v3, -v2, v33, v13
	global_store_short v[0:1], v3, off offset:576
	s_or_b32 exec_lo, exec_lo, s0
	s_and_saveexec_b32 s0, s10
	s_cbranch_execz .LBB271_74
.LBB271_91:
	v_fma_mixlo_f16 v3, -v2, v34, v12
	global_store_short v[0:1], v3, off offset:640
	s_or_b32 exec_lo, exec_lo, s0
	s_and_saveexec_b32 s0, s11
	s_cbranch_execz .LBB271_75
.LBB271_92:
	v_fma_mixlo_f16 v3, -v2, v35, v11
	global_store_short v[0:1], v3, off offset:704
	s_or_b32 exec_lo, exec_lo, s0
	s_and_saveexec_b32 s0, s12
	s_cbranch_execz .LBB271_76
.LBB271_93:
	v_fma_mixlo_f16 v3, -v2, v36, v10
	global_store_short v[0:1], v3, off offset:768
	s_or_b32 exec_lo, exec_lo, s0
	s_and_saveexec_b32 s0, s13
	s_cbranch_execz .LBB271_77
.LBB271_94:
	v_fma_mixlo_f16 v3, -v2, v37, v8
	global_store_short v[0:1], v3, off offset:832
	s_or_b32 exec_lo, exec_lo, s0
	s_and_saveexec_b32 s0, s14
	s_cbranch_execz .LBB271_78
.LBB271_95:
	v_fma_mixlo_f16 v3, -v2, v38, v7
	global_store_short v[0:1], v3, off offset:896
	s_or_b32 exec_lo, exec_lo, s0
	s_and_b32 exec_lo, exec_lo, s15
	s_cbranch_execnz .LBB271_79
	s_branch .LBB271_80
	.section	.rodata,"a",@progbits
	.p2align	6, 0x0
	.amdhsa_kernel _ZN12_GLOBAL__N_121softmax_warp_backwardIN3c104HalfES2_fLi9ELb1ELb0ELi32EEEvPT0_PKT_S7_iiiPKb
		.amdhsa_group_segment_fixed_size 0
		.amdhsa_private_segment_fixed_size 0
		.amdhsa_kernarg_size 304
		.amdhsa_user_sgpr_count 6
		.amdhsa_user_sgpr_private_segment_buffer 1
		.amdhsa_user_sgpr_dispatch_ptr 0
		.amdhsa_user_sgpr_queue_ptr 0
		.amdhsa_user_sgpr_kernarg_segment_ptr 1
		.amdhsa_user_sgpr_dispatch_id 0
		.amdhsa_user_sgpr_flat_scratch_init 0
		.amdhsa_user_sgpr_private_segment_size 0
		.amdhsa_wavefront_size32 1
		.amdhsa_uses_dynamic_stack 0
		.amdhsa_system_sgpr_private_segment_wavefront_offset 0
		.amdhsa_system_sgpr_workgroup_id_x 1
		.amdhsa_system_sgpr_workgroup_id_y 0
		.amdhsa_system_sgpr_workgroup_id_z 0
		.amdhsa_system_sgpr_workgroup_info 0
		.amdhsa_system_vgpr_workitem_id 1
		.amdhsa_next_free_vgpr 43
		.amdhsa_next_free_sgpr 24
		.amdhsa_reserve_vcc 1
		.amdhsa_reserve_flat_scratch 0
		.amdhsa_float_round_mode_32 0
		.amdhsa_float_round_mode_16_64 0
		.amdhsa_float_denorm_mode_32 3
		.amdhsa_float_denorm_mode_16_64 3
		.amdhsa_dx10_clamp 1
		.amdhsa_ieee_mode 1
		.amdhsa_fp16_overflow 0
		.amdhsa_workgroup_processor_mode 1
		.amdhsa_memory_ordered 1
		.amdhsa_forward_progress 1
		.amdhsa_shared_vgpr_count 0
		.amdhsa_exception_fp_ieee_invalid_op 0
		.amdhsa_exception_fp_denorm_src 0
		.amdhsa_exception_fp_ieee_div_zero 0
		.amdhsa_exception_fp_ieee_overflow 0
		.amdhsa_exception_fp_ieee_underflow 0
		.amdhsa_exception_fp_ieee_inexact 0
		.amdhsa_exception_int_div_zero 0
	.end_amdhsa_kernel
	.section	.text._ZN12_GLOBAL__N_121softmax_warp_backwardIN3c104HalfES2_fLi9ELb1ELb0ELi32EEEvPT0_PKT_S7_iiiPKb,"axG",@progbits,_ZN12_GLOBAL__N_121softmax_warp_backwardIN3c104HalfES2_fLi9ELb1ELb0ELi32EEEvPT0_PKT_S7_iiiPKb,comdat
.Lfunc_end271:
	.size	_ZN12_GLOBAL__N_121softmax_warp_backwardIN3c104HalfES2_fLi9ELb1ELb0ELi32EEEvPT0_PKT_S7_iiiPKb, .Lfunc_end271-_ZN12_GLOBAL__N_121softmax_warp_backwardIN3c104HalfES2_fLi9ELb1ELb0ELi32EEEvPT0_PKT_S7_iiiPKb
                                        ; -- End function
	.set _ZN12_GLOBAL__N_121softmax_warp_backwardIN3c104HalfES2_fLi9ELb1ELb0ELi32EEEvPT0_PKT_S7_iiiPKb.num_vgpr, 43
	.set _ZN12_GLOBAL__N_121softmax_warp_backwardIN3c104HalfES2_fLi9ELb1ELb0ELi32EEEvPT0_PKT_S7_iiiPKb.num_agpr, 0
	.set _ZN12_GLOBAL__N_121softmax_warp_backwardIN3c104HalfES2_fLi9ELb1ELb0ELi32EEEvPT0_PKT_S7_iiiPKb.numbered_sgpr, 24
	.set _ZN12_GLOBAL__N_121softmax_warp_backwardIN3c104HalfES2_fLi9ELb1ELb0ELi32EEEvPT0_PKT_S7_iiiPKb.num_named_barrier, 0
	.set _ZN12_GLOBAL__N_121softmax_warp_backwardIN3c104HalfES2_fLi9ELb1ELb0ELi32EEEvPT0_PKT_S7_iiiPKb.private_seg_size, 0
	.set _ZN12_GLOBAL__N_121softmax_warp_backwardIN3c104HalfES2_fLi9ELb1ELb0ELi32EEEvPT0_PKT_S7_iiiPKb.uses_vcc, 1
	.set _ZN12_GLOBAL__N_121softmax_warp_backwardIN3c104HalfES2_fLi9ELb1ELb0ELi32EEEvPT0_PKT_S7_iiiPKb.uses_flat_scratch, 0
	.set _ZN12_GLOBAL__N_121softmax_warp_backwardIN3c104HalfES2_fLi9ELb1ELb0ELi32EEEvPT0_PKT_S7_iiiPKb.has_dyn_sized_stack, 0
	.set _ZN12_GLOBAL__N_121softmax_warp_backwardIN3c104HalfES2_fLi9ELb1ELb0ELi32EEEvPT0_PKT_S7_iiiPKb.has_recursion, 0
	.set _ZN12_GLOBAL__N_121softmax_warp_backwardIN3c104HalfES2_fLi9ELb1ELb0ELi32EEEvPT0_PKT_S7_iiiPKb.has_indirect_call, 0
	.section	.AMDGPU.csdata,"",@progbits
; Kernel info:
; codeLenInByte = 4252
; TotalNumSgprs: 26
; NumVgprs: 43
; ScratchSize: 0
; MemoryBound: 0
; FloatMode: 240
; IeeeMode: 1
; LDSByteSize: 0 bytes/workgroup (compile time only)
; SGPRBlocks: 0
; VGPRBlocks: 5
; NumSGPRsForWavesPerEU: 26
; NumVGPRsForWavesPerEU: 43
; Occupancy: 16
; WaveLimiterHint : 0
; COMPUTE_PGM_RSRC2:SCRATCH_EN: 0
; COMPUTE_PGM_RSRC2:USER_SGPR: 6
; COMPUTE_PGM_RSRC2:TRAP_HANDLER: 0
; COMPUTE_PGM_RSRC2:TGID_X_EN: 1
; COMPUTE_PGM_RSRC2:TGID_Y_EN: 0
; COMPUTE_PGM_RSRC2:TGID_Z_EN: 0
; COMPUTE_PGM_RSRC2:TIDIG_COMP_CNT: 1
	.section	.text._ZN12_GLOBAL__N_121softmax_warp_backwardIN3c104HalfES2_fLi10ELb1ELb0ELi64EEEvPT0_PKT_S7_iiiPKb,"axG",@progbits,_ZN12_GLOBAL__N_121softmax_warp_backwardIN3c104HalfES2_fLi10ELb1ELb0ELi64EEEvPT0_PKT_S7_iiiPKb,comdat
	.globl	_ZN12_GLOBAL__N_121softmax_warp_backwardIN3c104HalfES2_fLi10ELb1ELb0ELi64EEEvPT0_PKT_S7_iiiPKb ; -- Begin function _ZN12_GLOBAL__N_121softmax_warp_backwardIN3c104HalfES2_fLi10ELb1ELb0ELi64EEEvPT0_PKT_S7_iiiPKb
	.p2align	8
	.type	_ZN12_GLOBAL__N_121softmax_warp_backwardIN3c104HalfES2_fLi10ELb1ELb0ELi64EEEvPT0_PKT_S7_iiiPKb,@function
_ZN12_GLOBAL__N_121softmax_warp_backwardIN3c104HalfES2_fLi10ELb1ELb0ELi64EEEvPT0_PKT_S7_iiiPKb: ; @_ZN12_GLOBAL__N_121softmax_warp_backwardIN3c104HalfES2_fLi10ELb1ELb0ELi64EEEvPT0_PKT_S7_iiiPKb
; %bb.0:
	s_clause 0x1
	s_load_dword s0, s[4:5], 0x3c
	s_load_dwordx4 s[20:23], s[4:5], 0x18
	v_and_b32_e32 v7, 63, v0
	s_clause 0x1
	s_load_dwordx4 s[16:19], s[4:5], 0x0
	s_load_dwordx2 s[4:5], s[4:5], 0x10
	v_mov_b32_e32 v16, 0
	v_mov_b32_e32 v18, 0
	s_waitcnt lgkmcnt(0)
	s_lshr_b32 s0, s0, 16
	v_cmp_gt_i32_e32 vcc_lo, s22, v7
	v_mad_u64_u32 v[1:2], null, s6, s0, v[1:2]
	v_mad_u64_u32 v[2:3], null, v1, s21, v[7:8]
	v_sub_nc_u32_e32 v19, s20, v1
	v_cmp_lt_i32_e64 s3, 0, v19
	v_ashrrev_i32_e32 v3, 31, v2
	s_and_b32 s1, s3, vcc_lo
	v_lshlrev_b64 v[1:2], 1, v[2:3]
	v_add_co_u32 v3, s0, s18, v1
	v_add_co_ci_u32_e64 v4, null, s19, v2, s0
	v_add_co_u32 v5, s0, s4, v1
	v_add_co_ci_u32_e64 v6, null, s5, v2, s0
	s_and_saveexec_b32 s0, s1
	s_cbranch_execz .LBB272_2
; %bb.1:
	global_load_ushort v8, v[3:4], off
	global_load_ushort v9, v[5:6], off
	s_waitcnt vmcnt(1)
	v_cvt_f32_f16_e32 v18, v8
	s_waitcnt vmcnt(0)
	v_cvt_f32_f16_e32 v16, v9
.LBB272_2:
	s_or_b32 exec_lo, exec_lo, s0
	v_or_b32_e32 v8, 64, v7
	v_cmp_gt_i32_e64 s0, s22, v8
	s_and_b32 s1, s3, s0
	s_xor_b32 s1, s1, -1
	s_and_saveexec_b32 s2, s1
	s_xor_b32 s1, exec_lo, s2
                                        ; implicit-def: $vgpr8
                                        ; implicit-def: $vgpr9
                                        ; implicit-def: $vgpr11
                                        ; implicit-def: $vgpr12
                                        ; implicit-def: $vgpr13
                                        ; implicit-def: $vgpr14
                                        ; implicit-def: $vgpr15
                                        ; implicit-def: $vgpr17
                                        ; implicit-def: $vgpr20
                                        ; implicit-def: $vgpr21
                                        ; implicit-def: $vgpr22
                                        ; implicit-def: $vgpr23
                                        ; implicit-def: $vgpr25
                                        ; implicit-def: $vgpr24
                                        ; implicit-def: $vgpr10
; %bb.3:
	s_mov_b32 s2, 0
                                        ; implicit-def: $vgpr8
                                        ; implicit-def: $vgpr9
                                        ; implicit-def: $vgpr11
                                        ; implicit-def: $vgpr12
                                        ; implicit-def: $vgpr13
                                        ; implicit-def: $vgpr14
                                        ; implicit-def: $vgpr15
                                        ; implicit-def: $vgpr17
                                        ; implicit-def: $vgpr20
                                        ; implicit-def: $vgpr21
                                        ; implicit-def: $vgpr22
                                        ; implicit-def: $vgpr23
                                        ; implicit-def: $vgpr25
                                        ; implicit-def: $vgpr10
	v_mov_b32_e32 v24, s2
; %bb.4:
	s_or_saveexec_b32 s2, s1
	v_mov_b32_e32 v26, 1.0
	s_xor_b32 exec_lo, exec_lo, s2
	s_cbranch_execz .LBB272_6
; %bb.5:
	global_load_ushort v24, v[5:6], off offset:128
	global_load_ushort v26, v[3:4], off offset:128
	s_mov_b32 s1, 0x3fb8aa3b
	s_waitcnt vmcnt(1)
	v_cvt_f32_f16_e32 v27, v24
	v_mul_f32_e32 v28, 0x3fb8aa3b, v27
	v_rndne_f32_e32 v29, v28
	v_fma_mix_f32 v30, v24, s1, -v28 op_sel_hi:[1,0,0]
	s_mov_b32 s1, 0x32a5705f
	v_sub_f32_e32 v28, v28, v29
	v_fma_mix_f32 v24, v24, s1, v30 op_sel_hi:[1,0,0]
	v_cmp_ngt_f32_e64 s1, 0xc2ce8ed0, v27
	v_add_f32_e32 v24, v28, v24
	v_cvt_i32_f32_e32 v28, v29
	v_exp_f32_e32 v24, v24
	v_ldexp_f32 v24, v24, v28
	v_cndmask_b32_e64 v28, 0, v24, s1
	v_cmp_nlt_f32_e64 s1, 0x42b17218, v27
	s_waitcnt vmcnt(0)
	v_cvt_f32_f16_e32 v24, v26
	v_cndmask_b32_e64 v26, 0x7f800000, v28, s1
.LBB272_6:
	s_or_b32 exec_lo, exec_lo, s2
	v_or_b32_e32 v27, 0x80, v7
	v_cmp_gt_i32_e64 s1, s22, v27
	s_and_b32 s2, s3, s1
	s_xor_b32 s2, s2, -1
	s_and_saveexec_b32 s4, s2
	s_xor_b32 s2, exec_lo, s4
; %bb.7:
	s_mov_b32 s4, 0
	v_mov_b32_e32 v25, s4
; %bb.8:
	s_or_saveexec_b32 s4, s2
	v_mov_b32_e32 v27, 1.0
	s_xor_b32 exec_lo, exec_lo, s4
	s_cbranch_execz .LBB272_10
; %bb.9:
	global_load_ushort v25, v[5:6], off offset:256
	global_load_ushort v27, v[3:4], off offset:256
	s_mov_b32 s2, 0x3fb8aa3b
	s_waitcnt vmcnt(1)
	v_cvt_f32_f16_e32 v28, v25
	v_mul_f32_e32 v29, 0x3fb8aa3b, v28
	v_rndne_f32_e32 v30, v29
	v_fma_mix_f32 v31, v25, s2, -v29 op_sel_hi:[1,0,0]
	s_mov_b32 s2, 0x32a5705f
	v_sub_f32_e32 v29, v29, v30
	v_fma_mix_f32 v25, v25, s2, v31 op_sel_hi:[1,0,0]
	v_cmp_ngt_f32_e64 s2, 0xc2ce8ed0, v28
	v_add_f32_e32 v25, v29, v25
	v_cvt_i32_f32_e32 v29, v30
	v_exp_f32_e32 v25, v25
	v_ldexp_f32 v25, v25, v29
	v_cndmask_b32_e64 v29, 0, v25, s2
	v_cmp_nlt_f32_e64 s2, 0x42b17218, v28
	s_waitcnt vmcnt(0)
	v_cvt_f32_f16_e32 v25, v27
	v_cndmask_b32_e64 v27, 0x7f800000, v29, s2
.LBB272_10:
	s_or_b32 exec_lo, exec_lo, s4
	v_or_b32_e32 v28, 0xc0, v7
	v_cmp_gt_i32_e64 s2, s22, v28
	s_and_b32 s4, s3, s2
	s_xor_b32 s4, s4, -1
	s_and_saveexec_b32 s5, s4
	s_xor_b32 s4, exec_lo, s5
; %bb.11:
	s_mov_b32 s5, 0
	;; [unrolled: 38-line block ×13, first 2 shown]
	v_mov_b32_e32 v8, s18
; %bb.56:
	s_or_saveexec_b32 s18, s15
	v_mov_b32_e32 v7, 1.0
	s_xor_b32 exec_lo, exec_lo, s18
	s_cbranch_execz .LBB272_58
; %bb.57:
	global_load_ushort v7, v[5:6], off offset:1792
	global_load_ushort v8, v[3:4], off offset:1792
	s_mov_b32 s15, 0x3fb8aa3b
	s_waitcnt vmcnt(1)
	v_cvt_f32_f16_e32 v39, v7
	s_waitcnt vmcnt(0)
	v_cvt_f32_f16_e32 v8, v8
	v_mul_f32_e32 v40, 0x3fb8aa3b, v39
	v_rndne_f32_e32 v41, v40
	v_fma_mix_f32 v42, v7, s15, -v40 op_sel_hi:[1,0,0]
	s_mov_b32 s15, 0x32a5705f
	v_sub_f32_e32 v40, v40, v41
	v_fma_mix_f32 v7, v7, s15, v42 op_sel_hi:[1,0,0]
	v_cmp_ngt_f32_e64 s15, 0xc2ce8ed0, v39
	v_add_f32_e32 v7, v40, v7
	v_cvt_i32_f32_e32 v40, v41
	v_exp_f32_e32 v7, v7
	v_ldexp_f32 v7, v7, v40
	v_cndmask_b32_e64 v7, 0, v7, s15
	v_cmp_nlt_f32_e64 s15, 0x42b17218, v39
	v_cndmask_b32_e64 v7, 0x7f800000, v7, s15
.LBB272_58:
	s_or_b32 exec_lo, exec_lo, s18
	v_or_b32_e32 v0, 0x3c0, v0
	v_cmp_gt_i32_e64 s15, s22, v0
	s_and_b32 s3, s3, s15
	s_xor_b32 s3, s3, -1
	s_and_saveexec_b32 s18, s3
	s_xor_b32 s3, exec_lo, s18
; %bb.59:
	s_mov_b32 s18, 0
                                        ; implicit-def: $vgpr3_vgpr4
                                        ; implicit-def: $vgpr5_vgpr6
	v_mov_b32_e32 v10, s18
; %bb.60:
	s_or_saveexec_b32 s18, s3
	v_mov_b32_e32 v39, 1.0
	s_xor_b32 exec_lo, exec_lo, s18
	s_cbranch_execz .LBB272_62
; %bb.61:
	global_load_ushort v0, v[5:6], off offset:1920
	global_load_ushort v3, v[3:4], off offset:1920
	s_mov_b32 s3, 0x3fb8aa3b
	s_waitcnt vmcnt(1)
	v_cvt_f32_f16_e32 v4, v0
	v_mul_f32_e32 v5, 0x3fb8aa3b, v4
	v_rndne_f32_e32 v6, v5
	v_fma_mix_f32 v10, v0, s3, -v5 op_sel_hi:[1,0,0]
	s_mov_b32 s3, 0x32a5705f
	v_sub_f32_e32 v5, v5, v6
	v_fma_mix_f32 v0, v0, s3, v10 op_sel_hi:[1,0,0]
	v_cmp_ngt_f32_e64 s3, 0xc2ce8ed0, v4
	s_waitcnt vmcnt(0)
	v_cvt_f32_f16_e32 v10, v3
	v_add_f32_e32 v0, v5, v0
	v_cvt_i32_f32_e32 v5, v6
	v_exp_f32_e32 v0, v0
	v_ldexp_f32 v0, v0, v5
	v_cndmask_b32_e64 v0, 0, v0, s3
	v_cmp_nlt_f32_e64 s3, 0x42b17218, v4
	v_cndmask_b32_e64 v39, 0x7f800000, v0, s3
.LBB272_62:
	s_or_b32 exec_lo, exec_lo, s18
	v_add_f32_e32 v0, 0, v18
	v_mbcnt_lo_u32_b32 v3, -1, 0
	s_mov_b32 s18, exec_lo
	v_add_f32_e32 v0, v0, v24
	v_or_b32_e32 v4, 32, v3
	v_xor_b32_e32 v5, 16, v3
	v_add_f32_e32 v0, v0, v25
	v_cmp_gt_i32_e64 s3, 64, v4
	v_add_f32_e32 v0, v0, v23
	v_cndmask_b32_e64 v4, v3, v4, s3
	v_cmp_gt_i32_e64 s3, 64, v5
	v_add_f32_e32 v0, v0, v22
	v_lshlrev_b32_e32 v4, 2, v4
	v_cndmask_b32_e64 v5, v3, v5, s3
	v_add_f32_e32 v0, v0, v21
	v_lshlrev_b32_e32 v5, 2, v5
	v_add_f32_e32 v0, v0, v20
	v_add_f32_e32 v0, v0, v17
	;; [unrolled: 1-line block ×10, first 2 shown]
	ds_bpermute_b32 v4, v4, v0
	s_waitcnt lgkmcnt(0)
	v_add_f32_e32 v0, v0, v4
	ds_bpermute_b32 v4, v5, v0
	v_xor_b32_e32 v5, 8, v3
	v_cmp_gt_i32_e64 s3, 64, v5
	v_cndmask_b32_e64 v5, v3, v5, s3
	v_lshlrev_b32_e32 v5, 2, v5
	s_waitcnt lgkmcnt(0)
	v_add_f32_e32 v0, v0, v4
	ds_bpermute_b32 v4, v5, v0
	v_xor_b32_e32 v5, 4, v3
	v_cmp_gt_i32_e64 s3, 64, v5
	v_cndmask_b32_e64 v5, v3, v5, s3
	v_lshlrev_b32_e32 v5, 2, v5
	;; [unrolled: 7-line block ×3, first 2 shown]
	s_waitcnt lgkmcnt(0)
	v_add_f32_e32 v0, v0, v4
	ds_bpermute_b32 v4, v5, v0
	v_xor_b32_e32 v5, 1, v3
	v_cmp_gt_i32_e64 s3, 64, v5
	v_cndmask_b32_e64 v5, v3, v5, s3
	s_waitcnt lgkmcnt(0)
	v_add_f32_e32 v3, v0, v4
	v_lshlrev_b32_e32 v0, 2, v5
	ds_bpermute_b32 v4, v0, v3
	v_cmpx_lt_i32_e32 0, v19
	s_cbranch_execz .LBB272_80
; %bb.63:
	v_add_co_u32 v0, s3, s16, v1
	v_add_co_ci_u32_e64 v1, null, s17, v2, s3
	s_waitcnt lgkmcnt(0)
	v_add_f32_e32 v2, v3, v4
	s_and_saveexec_b32 s3, vcc_lo
	s_cbranch_execnz .LBB272_81
; %bb.64:
	s_or_b32 exec_lo, exec_lo, s3
	s_and_saveexec_b32 s3, s0
	s_cbranch_execnz .LBB272_82
.LBB272_65:
	s_or_b32 exec_lo, exec_lo, s3
	s_and_saveexec_b32 s0, s1
	s_cbranch_execnz .LBB272_83
.LBB272_66:
	s_or_b32 exec_lo, exec_lo, s0
	s_and_saveexec_b32 s0, s2
	s_cbranch_execnz .LBB272_84
.LBB272_67:
	s_or_b32 exec_lo, exec_lo, s0
	s_and_saveexec_b32 s0, s4
	s_cbranch_execnz .LBB272_85
.LBB272_68:
	s_or_b32 exec_lo, exec_lo, s0
	s_and_saveexec_b32 s0, s5
	s_cbranch_execnz .LBB272_86
.LBB272_69:
	s_or_b32 exec_lo, exec_lo, s0
	s_and_saveexec_b32 s0, s6
	s_cbranch_execnz .LBB272_87
.LBB272_70:
	s_or_b32 exec_lo, exec_lo, s0
	s_and_saveexec_b32 s0, s7
	s_cbranch_execnz .LBB272_88
.LBB272_71:
	s_or_b32 exec_lo, exec_lo, s0
	s_and_saveexec_b32 s0, s8
	s_cbranch_execnz .LBB272_89
.LBB272_72:
	s_or_b32 exec_lo, exec_lo, s0
	s_and_saveexec_b32 s0, s9
	s_cbranch_execnz .LBB272_90
.LBB272_73:
	s_or_b32 exec_lo, exec_lo, s0
	s_and_saveexec_b32 s0, s10
	s_cbranch_execnz .LBB272_91
.LBB272_74:
	s_or_b32 exec_lo, exec_lo, s0
	s_and_saveexec_b32 s0, s11
	s_cbranch_execnz .LBB272_92
.LBB272_75:
	s_or_b32 exec_lo, exec_lo, s0
	s_and_saveexec_b32 s0, s12
	s_cbranch_execnz .LBB272_93
.LBB272_76:
	s_or_b32 exec_lo, exec_lo, s0
	s_and_saveexec_b32 s0, s13
	s_cbranch_execnz .LBB272_94
.LBB272_77:
	s_or_b32 exec_lo, exec_lo, s0
	s_and_saveexec_b32 s0, s14
	s_cbranch_execnz .LBB272_95
.LBB272_78:
	s_or_b32 exec_lo, exec_lo, s0
	s_and_b32 exec_lo, exec_lo, s15
	s_cbranch_execz .LBB272_80
.LBB272_79:
	v_fma_mixlo_f16 v2, -v2, v39, v10
	global_store_short v[0:1], v2, off offset:1920
.LBB272_80:
	s_endpgm
.LBB272_81:
	v_mul_f32_e32 v3, 0x3fb8aa3b, v16
	v_cmp_ngt_f32_e32 vcc_lo, 0xc2ce8ed0, v16
	v_rndne_f32_e32 v4, v3
	v_fma_f32 v5, 0x3fb8aa3b, v16, -v3
	v_sub_f32_e32 v3, v3, v4
	v_fmamk_f32 v5, v16, 0x32a5705f, v5
	v_cvt_i32_f32_e32 v4, v4
	v_add_f32_e32 v3, v3, v5
	v_exp_f32_e32 v3, v3
	v_ldexp_f32 v3, v3, v4
	v_cndmask_b32_e32 v3, 0, v3, vcc_lo
	v_cmp_nlt_f32_e32 vcc_lo, 0x42b17218, v16
	v_cndmask_b32_e32 v3, 0x7f800000, v3, vcc_lo
	v_fma_mixlo_f16 v3, -v2, v3, v18
	global_store_short v[0:1], v3, off
	s_or_b32 exec_lo, exec_lo, s3
	s_and_saveexec_b32 s3, s0
	s_cbranch_execz .LBB272_65
.LBB272_82:
	v_fma_mixlo_f16 v3, -v2, v26, v24
	global_store_short v[0:1], v3, off offset:128
	s_or_b32 exec_lo, exec_lo, s3
	s_and_saveexec_b32 s0, s1
	s_cbranch_execz .LBB272_66
.LBB272_83:
	v_fma_mixlo_f16 v3, -v2, v27, v25
	global_store_short v[0:1], v3, off offset:256
	s_or_b32 exec_lo, exec_lo, s0
	s_and_saveexec_b32 s0, s2
	s_cbranch_execz .LBB272_67
.LBB272_84:
	v_fma_mixlo_f16 v3, -v2, v28, v23
	global_store_short v[0:1], v3, off offset:384
	s_or_b32 exec_lo, exec_lo, s0
	s_and_saveexec_b32 s0, s4
	s_cbranch_execz .LBB272_68
.LBB272_85:
	v_fma_mixlo_f16 v3, -v2, v29, v22
	global_store_short v[0:1], v3, off offset:512
	s_or_b32 exec_lo, exec_lo, s0
	s_and_saveexec_b32 s0, s5
	s_cbranch_execz .LBB272_69
.LBB272_86:
	v_fma_mixlo_f16 v3, -v2, v30, v21
	global_store_short v[0:1], v3, off offset:640
	s_or_b32 exec_lo, exec_lo, s0
	s_and_saveexec_b32 s0, s6
	s_cbranch_execz .LBB272_70
.LBB272_87:
	v_fma_mixlo_f16 v3, -v2, v31, v20
	global_store_short v[0:1], v3, off offset:768
	s_or_b32 exec_lo, exec_lo, s0
	s_and_saveexec_b32 s0, s7
	s_cbranch_execz .LBB272_71
.LBB272_88:
	v_fma_mixlo_f16 v3, -v2, v32, v17
	global_store_short v[0:1], v3, off offset:896
	s_or_b32 exec_lo, exec_lo, s0
	s_and_saveexec_b32 s0, s8
	s_cbranch_execz .LBB272_72
.LBB272_89:
	v_fma_mixlo_f16 v3, -v2, v33, v15
	global_store_short v[0:1], v3, off offset:1024
	s_or_b32 exec_lo, exec_lo, s0
	s_and_saveexec_b32 s0, s9
	s_cbranch_execz .LBB272_73
.LBB272_90:
	v_fma_mixlo_f16 v3, -v2, v34, v14
	global_store_short v[0:1], v3, off offset:1152
	s_or_b32 exec_lo, exec_lo, s0
	s_and_saveexec_b32 s0, s10
	s_cbranch_execz .LBB272_74
.LBB272_91:
	v_fma_mixlo_f16 v3, -v2, v35, v13
	global_store_short v[0:1], v3, off offset:1280
	s_or_b32 exec_lo, exec_lo, s0
	s_and_saveexec_b32 s0, s11
	s_cbranch_execz .LBB272_75
.LBB272_92:
	v_fma_mixlo_f16 v3, -v2, v36, v12
	global_store_short v[0:1], v3, off offset:1408
	s_or_b32 exec_lo, exec_lo, s0
	s_and_saveexec_b32 s0, s12
	s_cbranch_execz .LBB272_76
.LBB272_93:
	v_fma_mixlo_f16 v3, -v2, v37, v11
	global_store_short v[0:1], v3, off offset:1536
	s_or_b32 exec_lo, exec_lo, s0
	s_and_saveexec_b32 s0, s13
	s_cbranch_execz .LBB272_77
.LBB272_94:
	v_fma_mixlo_f16 v3, -v2, v38, v9
	global_store_short v[0:1], v3, off offset:1664
	s_or_b32 exec_lo, exec_lo, s0
	s_and_saveexec_b32 s0, s14
	s_cbranch_execz .LBB272_78
.LBB272_95:
	v_fma_mixlo_f16 v3, -v2, v7, v8
	global_store_short v[0:1], v3, off offset:1792
	s_or_b32 exec_lo, exec_lo, s0
	s_and_b32 exec_lo, exec_lo, s15
	s_cbranch_execnz .LBB272_79
	s_branch .LBB272_80
	.section	.rodata,"a",@progbits
	.p2align	6, 0x0
	.amdhsa_kernel _ZN12_GLOBAL__N_121softmax_warp_backwardIN3c104HalfES2_fLi10ELb1ELb0ELi64EEEvPT0_PKT_S7_iiiPKb
		.amdhsa_group_segment_fixed_size 0
		.amdhsa_private_segment_fixed_size 0
		.amdhsa_kernarg_size 304
		.amdhsa_user_sgpr_count 6
		.amdhsa_user_sgpr_private_segment_buffer 1
		.amdhsa_user_sgpr_dispatch_ptr 0
		.amdhsa_user_sgpr_queue_ptr 0
		.amdhsa_user_sgpr_kernarg_segment_ptr 1
		.amdhsa_user_sgpr_dispatch_id 0
		.amdhsa_user_sgpr_flat_scratch_init 0
		.amdhsa_user_sgpr_private_segment_size 0
		.amdhsa_wavefront_size32 1
		.amdhsa_uses_dynamic_stack 0
		.amdhsa_system_sgpr_private_segment_wavefront_offset 0
		.amdhsa_system_sgpr_workgroup_id_x 1
		.amdhsa_system_sgpr_workgroup_id_y 0
		.amdhsa_system_sgpr_workgroup_id_z 0
		.amdhsa_system_sgpr_workgroup_info 0
		.amdhsa_system_vgpr_workitem_id 1
		.amdhsa_next_free_vgpr 43
		.amdhsa_next_free_sgpr 24
		.amdhsa_reserve_vcc 1
		.amdhsa_reserve_flat_scratch 0
		.amdhsa_float_round_mode_32 0
		.amdhsa_float_round_mode_16_64 0
		.amdhsa_float_denorm_mode_32 3
		.amdhsa_float_denorm_mode_16_64 3
		.amdhsa_dx10_clamp 1
		.amdhsa_ieee_mode 1
		.amdhsa_fp16_overflow 0
		.amdhsa_workgroup_processor_mode 1
		.amdhsa_memory_ordered 1
		.amdhsa_forward_progress 1
		.amdhsa_shared_vgpr_count 0
		.amdhsa_exception_fp_ieee_invalid_op 0
		.amdhsa_exception_fp_denorm_src 0
		.amdhsa_exception_fp_ieee_div_zero 0
		.amdhsa_exception_fp_ieee_overflow 0
		.amdhsa_exception_fp_ieee_underflow 0
		.amdhsa_exception_fp_ieee_inexact 0
		.amdhsa_exception_int_div_zero 0
	.end_amdhsa_kernel
	.section	.text._ZN12_GLOBAL__N_121softmax_warp_backwardIN3c104HalfES2_fLi10ELb1ELb0ELi64EEEvPT0_PKT_S7_iiiPKb,"axG",@progbits,_ZN12_GLOBAL__N_121softmax_warp_backwardIN3c104HalfES2_fLi10ELb1ELb0ELi64EEEvPT0_PKT_S7_iiiPKb,comdat
.Lfunc_end272:
	.size	_ZN12_GLOBAL__N_121softmax_warp_backwardIN3c104HalfES2_fLi10ELb1ELb0ELi64EEEvPT0_PKT_S7_iiiPKb, .Lfunc_end272-_ZN12_GLOBAL__N_121softmax_warp_backwardIN3c104HalfES2_fLi10ELb1ELb0ELi64EEEvPT0_PKT_S7_iiiPKb
                                        ; -- End function
	.set _ZN12_GLOBAL__N_121softmax_warp_backwardIN3c104HalfES2_fLi10ELb1ELb0ELi64EEEvPT0_PKT_S7_iiiPKb.num_vgpr, 43
	.set _ZN12_GLOBAL__N_121softmax_warp_backwardIN3c104HalfES2_fLi10ELb1ELb0ELi64EEEvPT0_PKT_S7_iiiPKb.num_agpr, 0
	.set _ZN12_GLOBAL__N_121softmax_warp_backwardIN3c104HalfES2_fLi10ELb1ELb0ELi64EEEvPT0_PKT_S7_iiiPKb.numbered_sgpr, 24
	.set _ZN12_GLOBAL__N_121softmax_warp_backwardIN3c104HalfES2_fLi10ELb1ELb0ELi64EEEvPT0_PKT_S7_iiiPKb.num_named_barrier, 0
	.set _ZN12_GLOBAL__N_121softmax_warp_backwardIN3c104HalfES2_fLi10ELb1ELb0ELi64EEEvPT0_PKT_S7_iiiPKb.private_seg_size, 0
	.set _ZN12_GLOBAL__N_121softmax_warp_backwardIN3c104HalfES2_fLi10ELb1ELb0ELi64EEEvPT0_PKT_S7_iiiPKb.uses_vcc, 1
	.set _ZN12_GLOBAL__N_121softmax_warp_backwardIN3c104HalfES2_fLi10ELb1ELb0ELi64EEEvPT0_PKT_S7_iiiPKb.uses_flat_scratch, 0
	.set _ZN12_GLOBAL__N_121softmax_warp_backwardIN3c104HalfES2_fLi10ELb1ELb0ELi64EEEvPT0_PKT_S7_iiiPKb.has_dyn_sized_stack, 0
	.set _ZN12_GLOBAL__N_121softmax_warp_backwardIN3c104HalfES2_fLi10ELb1ELb0ELi64EEEvPT0_PKT_S7_iiiPKb.has_recursion, 0
	.set _ZN12_GLOBAL__N_121softmax_warp_backwardIN3c104HalfES2_fLi10ELb1ELb0ELi64EEEvPT0_PKT_S7_iiiPKb.has_indirect_call, 0
	.section	.AMDGPU.csdata,"",@progbits
; Kernel info:
; codeLenInByte = 4296
; TotalNumSgprs: 26
; NumVgprs: 43
; ScratchSize: 0
; MemoryBound: 0
; FloatMode: 240
; IeeeMode: 1
; LDSByteSize: 0 bytes/workgroup (compile time only)
; SGPRBlocks: 0
; VGPRBlocks: 5
; NumSGPRsForWavesPerEU: 26
; NumVGPRsForWavesPerEU: 43
; Occupancy: 16
; WaveLimiterHint : 0
; COMPUTE_PGM_RSRC2:SCRATCH_EN: 0
; COMPUTE_PGM_RSRC2:USER_SGPR: 6
; COMPUTE_PGM_RSRC2:TRAP_HANDLER: 0
; COMPUTE_PGM_RSRC2:TGID_X_EN: 1
; COMPUTE_PGM_RSRC2:TGID_Y_EN: 0
; COMPUTE_PGM_RSRC2:TGID_Z_EN: 0
; COMPUTE_PGM_RSRC2:TIDIG_COMP_CNT: 1
	.section	.text._ZN12_GLOBAL__N_121softmax_warp_backwardIN3c104HalfES2_fLi10ELb1ELb0ELi32EEEvPT0_PKT_S7_iiiPKb,"axG",@progbits,_ZN12_GLOBAL__N_121softmax_warp_backwardIN3c104HalfES2_fLi10ELb1ELb0ELi32EEEvPT0_PKT_S7_iiiPKb,comdat
	.globl	_ZN12_GLOBAL__N_121softmax_warp_backwardIN3c104HalfES2_fLi10ELb1ELb0ELi32EEEvPT0_PKT_S7_iiiPKb ; -- Begin function _ZN12_GLOBAL__N_121softmax_warp_backwardIN3c104HalfES2_fLi10ELb1ELb0ELi32EEEvPT0_PKT_S7_iiiPKb
	.p2align	8
	.type	_ZN12_GLOBAL__N_121softmax_warp_backwardIN3c104HalfES2_fLi10ELb1ELb0ELi32EEEvPT0_PKT_S7_iiiPKb,@function
_ZN12_GLOBAL__N_121softmax_warp_backwardIN3c104HalfES2_fLi10ELb1ELb0ELi32EEEvPT0_PKT_S7_iiiPKb: ; @_ZN12_GLOBAL__N_121softmax_warp_backwardIN3c104HalfES2_fLi10ELb1ELb0ELi32EEEvPT0_PKT_S7_iiiPKb
; %bb.0:
	s_clause 0x1
	s_load_dword s0, s[4:5], 0x3c
	s_load_dwordx4 s[40:43], s[4:5], 0x18
	v_and_b32_e32 v7, 31, v0
	s_clause 0x1
	s_load_dwordx4 s[36:39], s[4:5], 0x0
	s_load_dwordx2 s[4:5], s[4:5], 0x10
	v_mov_b32_e32 v30, 0
	v_mov_b32_e32 v32, 1.0
	s_waitcnt lgkmcnt(0)
	s_lshr_b32 s0, s0, 16
	v_cmp_gt_i32_e32 vcc_lo, s42, v7
	v_mad_u64_u32 v[1:2], null, s6, s0, v[1:2]
	v_mad_u64_u32 v[2:3], null, v1, s41, v[7:8]
	v_sub_nc_u32_e32 v28, s40, v1
	v_cmp_lt_i32_e64 s2, 0, v28
	v_ashrrev_i32_e32 v3, 31, v2
	v_lshlrev_b64 v[1:2], 1, v[2:3]
	v_add_co_u32 v3, s0, s38, v1
	v_add_co_ci_u32_e64 v4, null, s39, v2, s0
	v_add_co_u32 v5, s0, s4, v1
	v_add_co_ci_u32_e64 v6, null, s5, v2, s0
	s_and_b32 s0, s2, vcc_lo
	s_and_saveexec_b32 s1, s0
	s_cbranch_execz .LBB273_2
; %bb.1:
	global_load_ushort v8, v[5:6], off
	global_load_ushort v9, v[3:4], off
	s_mov_b32 s0, 0x3fb8aa3b
	s_waitcnt vmcnt(1)
	v_cvt_f32_f16_e32 v10, v8
	s_waitcnt vmcnt(0)
	v_cvt_f32_f16_e32 v30, v9
	v_mul_f32_e32 v11, 0x3fb8aa3b, v10
	v_rndne_f32_e32 v12, v11
	v_fma_mix_f32 v13, v8, s0, -v11 op_sel_hi:[1,0,0]
	s_mov_b32 s0, 0x32a5705f
	v_sub_f32_e32 v11, v11, v12
	v_fma_mix_f32 v8, v8, s0, v13 op_sel_hi:[1,0,0]
	v_cmp_ngt_f32_e64 s0, 0xc2ce8ed0, v10
	v_add_f32_e32 v8, v11, v8
	v_cvt_i32_f32_e32 v11, v12
	v_exp_f32_e32 v8, v8
	v_ldexp_f32 v8, v8, v11
	v_cndmask_b32_e64 v8, 0, v8, s0
	v_cmp_nlt_f32_e64 s0, 0x42b17218, v10
	v_cndmask_b32_e64 v32, 0x7f800000, v8, s0
.LBB273_2:
	s_or_b32 exec_lo, exec_lo, s1
	v_or_b32_e32 v8, 32, v7
	v_cmp_gt_i32_e64 s0, s42, v8
	s_and_b32 s1, s2, s0
	s_xor_b32 s1, s1, -1
	s_mov_b32 s3, exec_lo
	s_and_b32 s4, s3, s1
                                        ; implicit-def: $vgpr8
                                        ; implicit-def: $vgpr9
                                        ; implicit-def: $vgpr10
                                        ; implicit-def: $vgpr11
                                        ; implicit-def: $vgpr12
                                        ; implicit-def: $vgpr14
                                        ; implicit-def: $vgpr15
                                        ; implicit-def: $vgpr16
                                        ; implicit-def: $vgpr17
                                        ; implicit-def: $vgpr18
                                        ; implicit-def: $vgpr19
                                        ; implicit-def: $vgpr20
                                        ; implicit-def: $vgpr21
                                        ; implicit-def: $vgpr22
                                        ; implicit-def: $vgpr23
                                        ; implicit-def: $vgpr24
                                        ; implicit-def: $vgpr25
                                        ; implicit-def: $vgpr26
                                        ; implicit-def: $vgpr27
                                        ; implicit-def: $vgpr29
                                        ; implicit-def: $vgpr31
                                        ; implicit-def: $vgpr33
                                        ; implicit-def: $vgpr34
                                        ; implicit-def: $vgpr35
                                        ; implicit-def: $vgpr36
                                        ; implicit-def: $vgpr37
                                        ; implicit-def: $vgpr38
                                        ; implicit-def: $vgpr40
                                        ; implicit-def: $vgpr41
                                        ; implicit-def: $vgpr39
                                        ; implicit-def: $vgpr13
	s_xor_b32 s1, s4, s3
	s_mov_b32 exec_lo, s4
; %bb.3:
	s_mov_b32 s3, 0
                                        ; implicit-def: $vgpr8
                                        ; implicit-def: $vgpr9
                                        ; implicit-def: $vgpr10
                                        ; implicit-def: $vgpr11
                                        ; implicit-def: $vgpr12
                                        ; implicit-def: $vgpr14
                                        ; implicit-def: $vgpr15
                                        ; implicit-def: $vgpr16
                                        ; implicit-def: $vgpr17
                                        ; implicit-def: $vgpr18
                                        ; implicit-def: $vgpr19
                                        ; implicit-def: $vgpr20
                                        ; implicit-def: $vgpr21
                                        ; implicit-def: $vgpr22
                                        ; implicit-def: $vgpr23
                                        ; implicit-def: $vgpr24
                                        ; implicit-def: $vgpr25
                                        ; implicit-def: $vgpr26
                                        ; implicit-def: $vgpr27
                                        ; implicit-def: $vgpr29
                                        ; implicit-def: $vgpr31
                                        ; implicit-def: $vgpr33
                                        ; implicit-def: $vgpr34
                                        ; implicit-def: $vgpr35
                                        ; implicit-def: $vgpr36
                                        ; implicit-def: $vgpr37
                                        ; implicit-def: $vgpr38
                                        ; implicit-def: $vgpr40
                                        ; implicit-def: $vgpr41
                                        ; implicit-def: $vgpr13
	v_mov_b32_e32 v39, s3
; %bb.4:
	s_or_saveexec_b32 s3, s1
	v_mov_b32_e32 v42, 1.0
	s_xor_b32 exec_lo, exec_lo, s3
	s_cbranch_execz .LBB273_6
; %bb.5:
	global_load_ushort v39, v[5:6], off offset:64
	global_load_ushort v42, v[3:4], off offset:64
	s_mov_b32 s1, 0x3fb8aa3b
	s_waitcnt vmcnt(1)
	v_cvt_f32_f16_e32 v43, v39
	v_mul_f32_e32 v44, 0x3fb8aa3b, v43
	v_rndne_f32_e32 v45, v44
	v_fma_mix_f32 v46, v39, s1, -v44 op_sel_hi:[1,0,0]
	s_mov_b32 s1, 0x32a5705f
	v_sub_f32_e32 v44, v44, v45
	v_fma_mix_f32 v39, v39, s1, v46 op_sel_hi:[1,0,0]
	v_cmp_ngt_f32_e64 s1, 0xc2ce8ed0, v43
	v_add_f32_e32 v39, v44, v39
	v_cvt_i32_f32_e32 v44, v45
	v_exp_f32_e32 v39, v39
	v_ldexp_f32 v39, v39, v44
	v_cndmask_b32_e64 v44, 0, v39, s1
	v_cmp_nlt_f32_e64 s1, 0x42b17218, v43
	s_waitcnt vmcnt(0)
	v_cvt_f32_f16_e32 v39, v42
	v_cndmask_b32_e64 v42, 0x7f800000, v44, s1
.LBB273_6:
	s_or_b32 exec_lo, exec_lo, s3
	v_or_b32_e32 v43, 64, v7
	v_cmp_gt_i32_e64 s1, s42, v43
	s_and_b32 s3, s2, s1
	s_xor_b32 s3, s3, -1
	s_and_saveexec_b32 s4, s3
	s_xor_b32 s3, exec_lo, s4
; %bb.7:
	s_mov_b32 s4, 0
	v_mov_b32_e32 v41, s4
; %bb.8:
	s_or_saveexec_b32 s4, s3
	v_mov_b32_e32 v43, 1.0
	s_xor_b32 exec_lo, exec_lo, s4
	s_cbranch_execz .LBB273_10
; %bb.9:
	global_load_ushort v41, v[5:6], off offset:128
	global_load_ushort v43, v[3:4], off offset:128
	s_mov_b32 s3, 0x3fb8aa3b
	s_waitcnt vmcnt(1)
	v_cvt_f32_f16_e32 v44, v41
	v_mul_f32_e32 v45, 0x3fb8aa3b, v44
	v_rndne_f32_e32 v46, v45
	v_fma_mix_f32 v47, v41, s3, -v45 op_sel_hi:[1,0,0]
	s_mov_b32 s3, 0x32a5705f
	v_sub_f32_e32 v45, v45, v46
	v_fma_mix_f32 v41, v41, s3, v47 op_sel_hi:[1,0,0]
	v_cmp_ngt_f32_e64 s3, 0xc2ce8ed0, v44
	v_add_f32_e32 v41, v45, v41
	v_cvt_i32_f32_e32 v45, v46
	v_exp_f32_e32 v41, v41
	v_ldexp_f32 v41, v41, v45
	v_cndmask_b32_e64 v45, 0, v41, s3
	v_cmp_nlt_f32_e64 s3, 0x42b17218, v44
	s_waitcnt vmcnt(0)
	v_cvt_f32_f16_e32 v41, v43
	v_cndmask_b32_e64 v43, 0x7f800000, v45, s3
.LBB273_10:
	s_or_b32 exec_lo, exec_lo, s4
	v_or_b32_e32 v44, 0x60, v7
	v_cmp_gt_i32_e64 s3, s42, v44
	s_and_b32 s4, s2, s3
	s_xor_b32 s4, s4, -1
	s_and_saveexec_b32 s5, s4
	s_xor_b32 s4, exec_lo, s5
; %bb.11:
	s_mov_b32 s5, 0
	;; [unrolled: 38-line block ×29, first 2 shown]
	v_mov_b32_e32 v8, s33
; %bb.120:
	s_or_saveexec_b32 s33, s31
	v_mov_b32_e32 v7, 1.0
	s_xor_b32 exec_lo, exec_lo, s33
	s_cbranch_execz .LBB273_122
; %bb.121:
	global_load_ushort v7, v[5:6], off offset:1920
	global_load_ushort v8, v[3:4], off offset:1920
	s_mov_b32 s31, 0x3fb8aa3b
	s_waitcnt vmcnt(1)
	v_cvt_f32_f16_e32 v71, v7
	s_waitcnt vmcnt(0)
	v_cvt_f32_f16_e32 v8, v8
	v_mul_f32_e32 v72, 0x3fb8aa3b, v71
	v_rndne_f32_e32 v73, v72
	v_fma_mix_f32 v74, v7, s31, -v72 op_sel_hi:[1,0,0]
	s_mov_b32 s31, 0x32a5705f
	v_sub_f32_e32 v72, v72, v73
	v_fma_mix_f32 v7, v7, s31, v74 op_sel_hi:[1,0,0]
	v_cmp_ngt_f32_e64 s31, 0xc2ce8ed0, v71
	v_add_f32_e32 v7, v72, v7
	v_cvt_i32_f32_e32 v72, v73
	v_exp_f32_e32 v7, v7
	v_ldexp_f32 v7, v7, v72
	v_cndmask_b32_e64 v7, 0, v7, s31
	v_cmp_nlt_f32_e64 s31, 0x42b17218, v71
	v_cndmask_b32_e64 v7, 0x7f800000, v7, s31
.LBB273_122:
	s_or_b32 exec_lo, exec_lo, s33
	v_or_b32_e32 v0, 0x3e0, v0
	v_cmp_gt_i32_e64 s31, s42, v0
	s_and_b32 s2, s2, s31
	s_xor_b32 s2, s2, -1
	s_and_saveexec_b32 s33, s2
	s_xor_b32 s2, exec_lo, s33
; %bb.123:
	s_mov_b32 s33, 0
                                        ; implicit-def: $vgpr3_vgpr4
                                        ; implicit-def: $vgpr5_vgpr6
	v_mov_b32_e32 v13, s33
; %bb.124:
	s_or_saveexec_b32 s33, s2
	v_mov_b32_e32 v71, 1.0
	s_xor_b32 exec_lo, exec_lo, s33
	s_cbranch_execz .LBB273_126
; %bb.125:
	global_load_ushort v0, v[5:6], off offset:1984
	global_load_ushort v3, v[3:4], off offset:1984
	s_mov_b32 s2, 0x3fb8aa3b
	s_waitcnt vmcnt(1)
	v_cvt_f32_f16_e32 v4, v0
	v_mul_f32_e32 v5, 0x3fb8aa3b, v4
	v_rndne_f32_e32 v6, v5
	v_fma_mix_f32 v13, v0, s2, -v5 op_sel_hi:[1,0,0]
	s_mov_b32 s2, 0x32a5705f
	v_sub_f32_e32 v5, v5, v6
	v_fma_mix_f32 v0, v0, s2, v13 op_sel_hi:[1,0,0]
	v_cmp_ngt_f32_e64 s2, 0xc2ce8ed0, v4
	s_waitcnt vmcnt(0)
	v_cvt_f32_f16_e32 v13, v3
	v_add_f32_e32 v0, v5, v0
	v_cvt_i32_f32_e32 v5, v6
	v_exp_f32_e32 v0, v0
	v_ldexp_f32 v0, v0, v5
	v_cndmask_b32_e64 v0, 0, v0, s2
	v_cmp_nlt_f32_e64 s2, 0x42b17218, v4
	v_cndmask_b32_e64 v71, 0x7f800000, v0, s2
.LBB273_126:
	s_or_b32 exec_lo, exec_lo, s33
	v_add_f32_e32 v0, 0, v30
	v_mbcnt_lo_u32_b32 v3, -1, 0
	s_mov_b32 s33, exec_lo
	v_add_f32_e32 v0, v0, v39
	v_xor_b32_e32 v4, 16, v3
	v_xor_b32_e32 v5, 8, v3
	v_add_f32_e32 v0, v0, v41
	v_cmp_gt_i32_e64 s2, 32, v4
	v_add_f32_e32 v0, v0, v40
	v_cndmask_b32_e64 v4, v3, v4, s2
	v_cmp_gt_i32_e64 s2, 32, v5
	v_add_f32_e32 v0, v0, v38
	v_lshlrev_b32_e32 v4, 2, v4
	v_cndmask_b32_e64 v5, v3, v5, s2
	v_add_f32_e32 v0, v0, v37
	v_lshlrev_b32_e32 v5, 2, v5
	v_add_f32_e32 v0, v0, v36
	v_add_f32_e32 v0, v0, v35
	;; [unrolled: 1-line block ×26, first 2 shown]
	ds_bpermute_b32 v4, v4, v0
	s_waitcnt lgkmcnt(0)
	v_add_f32_e32 v0, v0, v4
	ds_bpermute_b32 v4, v5, v0
	v_xor_b32_e32 v5, 4, v3
	v_cmp_gt_i32_e64 s2, 32, v5
	v_cndmask_b32_e64 v5, v3, v5, s2
	v_lshlrev_b32_e32 v5, 2, v5
	s_waitcnt lgkmcnt(0)
	v_add_f32_e32 v0, v0, v4
	ds_bpermute_b32 v4, v5, v0
	v_xor_b32_e32 v5, 2, v3
	v_cmp_gt_i32_e64 s2, 32, v5
	v_cndmask_b32_e64 v5, v3, v5, s2
	v_lshlrev_b32_e32 v5, 2, v5
	s_waitcnt lgkmcnt(0)
	v_add_f32_e32 v0, v0, v4
	ds_bpermute_b32 v4, v5, v0
	v_xor_b32_e32 v5, 1, v3
	v_cmp_gt_i32_e64 s2, 32, v5
	v_cndmask_b32_e64 v5, v3, v5, s2
	s_waitcnt lgkmcnt(0)
	v_add_f32_e32 v3, v0, v4
	v_lshlrev_b32_e32 v0, 2, v5
	ds_bpermute_b32 v4, v0, v3
	v_cmpx_lt_i32_e32 0, v28
	s_cbranch_execz .LBB273_160
; %bb.127:
	v_add_co_u32 v0, s2, s36, v1
	v_add_co_ci_u32_e64 v1, null, s37, v2, s2
	s_waitcnt lgkmcnt(0)
	v_add_f32_e32 v2, v3, v4
	s_and_saveexec_b32 s2, vcc_lo
	s_cbranch_execnz .LBB273_161
; %bb.128:
	s_or_b32 exec_lo, exec_lo, s2
	s_and_saveexec_b32 s2, s0
	s_cbranch_execnz .LBB273_162
.LBB273_129:
	s_or_b32 exec_lo, exec_lo, s2
	s_and_saveexec_b32 s0, s1
	s_cbranch_execnz .LBB273_163
.LBB273_130:
	s_or_b32 exec_lo, exec_lo, s0
	s_and_saveexec_b32 s0, s3
	s_cbranch_execnz .LBB273_164
.LBB273_131:
	s_or_b32 exec_lo, exec_lo, s0
	s_and_saveexec_b32 s0, s4
	s_cbranch_execnz .LBB273_165
.LBB273_132:
	s_or_b32 exec_lo, exec_lo, s0
	s_and_saveexec_b32 s0, s5
	s_cbranch_execnz .LBB273_166
.LBB273_133:
	s_or_b32 exec_lo, exec_lo, s0
	s_and_saveexec_b32 s0, s6
	s_cbranch_execnz .LBB273_167
.LBB273_134:
	s_or_b32 exec_lo, exec_lo, s0
	s_and_saveexec_b32 s0, s7
	s_cbranch_execnz .LBB273_168
.LBB273_135:
	s_or_b32 exec_lo, exec_lo, s0
	s_and_saveexec_b32 s0, s8
	s_cbranch_execnz .LBB273_169
.LBB273_136:
	s_or_b32 exec_lo, exec_lo, s0
	s_and_saveexec_b32 s0, s9
	s_cbranch_execnz .LBB273_170
.LBB273_137:
	s_or_b32 exec_lo, exec_lo, s0
	s_and_saveexec_b32 s0, s10
	s_cbranch_execnz .LBB273_171
.LBB273_138:
	s_or_b32 exec_lo, exec_lo, s0
	s_and_saveexec_b32 s0, s11
	s_cbranch_execnz .LBB273_172
.LBB273_139:
	s_or_b32 exec_lo, exec_lo, s0
	s_and_saveexec_b32 s0, s12
	s_cbranch_execnz .LBB273_173
.LBB273_140:
	s_or_b32 exec_lo, exec_lo, s0
	s_and_saveexec_b32 s0, s13
	s_cbranch_execnz .LBB273_174
.LBB273_141:
	s_or_b32 exec_lo, exec_lo, s0
	s_and_saveexec_b32 s0, s14
	s_cbranch_execnz .LBB273_175
.LBB273_142:
	s_or_b32 exec_lo, exec_lo, s0
	s_and_saveexec_b32 s0, s15
	s_cbranch_execnz .LBB273_176
.LBB273_143:
	s_or_b32 exec_lo, exec_lo, s0
	s_and_saveexec_b32 s0, s16
	s_cbranch_execnz .LBB273_177
.LBB273_144:
	s_or_b32 exec_lo, exec_lo, s0
	s_and_saveexec_b32 s0, s17
	s_cbranch_execnz .LBB273_178
.LBB273_145:
	s_or_b32 exec_lo, exec_lo, s0
	s_and_saveexec_b32 s0, s18
	s_cbranch_execnz .LBB273_179
.LBB273_146:
	s_or_b32 exec_lo, exec_lo, s0
	s_and_saveexec_b32 s0, s19
	s_cbranch_execnz .LBB273_180
.LBB273_147:
	s_or_b32 exec_lo, exec_lo, s0
	s_and_saveexec_b32 s0, s20
	s_cbranch_execnz .LBB273_181
.LBB273_148:
	s_or_b32 exec_lo, exec_lo, s0
	s_and_saveexec_b32 s0, s21
	s_cbranch_execnz .LBB273_182
.LBB273_149:
	s_or_b32 exec_lo, exec_lo, s0
	s_and_saveexec_b32 s0, s22
	s_cbranch_execnz .LBB273_183
.LBB273_150:
	s_or_b32 exec_lo, exec_lo, s0
	s_and_saveexec_b32 s0, s23
	s_cbranch_execnz .LBB273_184
.LBB273_151:
	s_or_b32 exec_lo, exec_lo, s0
	s_and_saveexec_b32 s0, s24
	s_cbranch_execnz .LBB273_185
.LBB273_152:
	s_or_b32 exec_lo, exec_lo, s0
	s_and_saveexec_b32 s0, s25
	s_cbranch_execnz .LBB273_186
.LBB273_153:
	s_or_b32 exec_lo, exec_lo, s0
	s_and_saveexec_b32 s0, s26
	s_cbranch_execnz .LBB273_187
.LBB273_154:
	s_or_b32 exec_lo, exec_lo, s0
	s_and_saveexec_b32 s0, s27
	s_cbranch_execnz .LBB273_188
.LBB273_155:
	s_or_b32 exec_lo, exec_lo, s0
	s_and_saveexec_b32 s0, s28
	s_cbranch_execnz .LBB273_189
.LBB273_156:
	s_or_b32 exec_lo, exec_lo, s0
	s_and_saveexec_b32 s0, s29
	s_cbranch_execnz .LBB273_190
.LBB273_157:
	s_or_b32 exec_lo, exec_lo, s0
	s_and_saveexec_b32 s0, s30
	s_cbranch_execnz .LBB273_191
.LBB273_158:
	s_or_b32 exec_lo, exec_lo, s0
	s_and_b32 exec_lo, exec_lo, s31
	s_cbranch_execz .LBB273_160
.LBB273_159:
	v_fma_mixlo_f16 v2, -v2, v71, v13
	global_store_short v[0:1], v2, off offset:1984
.LBB273_160:
	s_endpgm
.LBB273_161:
	v_fma_mixlo_f16 v3, -v2, v32, v30
	global_store_short v[0:1], v3, off
	s_or_b32 exec_lo, exec_lo, s2
	s_and_saveexec_b32 s2, s0
	s_cbranch_execz .LBB273_129
.LBB273_162:
	v_fma_mixlo_f16 v3, -v2, v42, v39
	global_store_short v[0:1], v3, off offset:64
	s_or_b32 exec_lo, exec_lo, s2
	s_and_saveexec_b32 s0, s1
	s_cbranch_execz .LBB273_130
.LBB273_163:
	v_fma_mixlo_f16 v3, -v2, v43, v41
	global_store_short v[0:1], v3, off offset:128
	s_or_b32 exec_lo, exec_lo, s0
	s_and_saveexec_b32 s0, s3
	s_cbranch_execz .LBB273_131
.LBB273_164:
	v_fma_mixlo_f16 v3, -v2, v44, v40
	global_store_short v[0:1], v3, off offset:192
	s_or_b32 exec_lo, exec_lo, s0
	s_and_saveexec_b32 s0, s4
	s_cbranch_execz .LBB273_132
.LBB273_165:
	v_fma_mixlo_f16 v3, -v2, v45, v38
	global_store_short v[0:1], v3, off offset:256
	s_or_b32 exec_lo, exec_lo, s0
	s_and_saveexec_b32 s0, s5
	s_cbranch_execz .LBB273_133
.LBB273_166:
	v_fma_mixlo_f16 v3, -v2, v46, v37
	global_store_short v[0:1], v3, off offset:320
	s_or_b32 exec_lo, exec_lo, s0
	s_and_saveexec_b32 s0, s6
	s_cbranch_execz .LBB273_134
.LBB273_167:
	v_fma_mixlo_f16 v3, -v2, v47, v36
	global_store_short v[0:1], v3, off offset:384
	s_or_b32 exec_lo, exec_lo, s0
	s_and_saveexec_b32 s0, s7
	s_cbranch_execz .LBB273_135
.LBB273_168:
	v_fma_mixlo_f16 v3, -v2, v48, v35
	global_store_short v[0:1], v3, off offset:448
	s_or_b32 exec_lo, exec_lo, s0
	s_and_saveexec_b32 s0, s8
	s_cbranch_execz .LBB273_136
.LBB273_169:
	v_fma_mixlo_f16 v3, -v2, v49, v34
	global_store_short v[0:1], v3, off offset:512
	s_or_b32 exec_lo, exec_lo, s0
	s_and_saveexec_b32 s0, s9
	s_cbranch_execz .LBB273_137
.LBB273_170:
	v_fma_mixlo_f16 v3, -v2, v50, v33
	global_store_short v[0:1], v3, off offset:576
	s_or_b32 exec_lo, exec_lo, s0
	s_and_saveexec_b32 s0, s10
	s_cbranch_execz .LBB273_138
.LBB273_171:
	v_fma_mixlo_f16 v3, -v2, v51, v31
	global_store_short v[0:1], v3, off offset:640
	s_or_b32 exec_lo, exec_lo, s0
	s_and_saveexec_b32 s0, s11
	s_cbranch_execz .LBB273_139
.LBB273_172:
	v_fma_mixlo_f16 v3, -v2, v52, v29
	global_store_short v[0:1], v3, off offset:704
	s_or_b32 exec_lo, exec_lo, s0
	s_and_saveexec_b32 s0, s12
	s_cbranch_execz .LBB273_140
.LBB273_173:
	v_fma_mixlo_f16 v3, -v2, v53, v27
	global_store_short v[0:1], v3, off offset:768
	s_or_b32 exec_lo, exec_lo, s0
	s_and_saveexec_b32 s0, s13
	s_cbranch_execz .LBB273_141
.LBB273_174:
	v_fma_mixlo_f16 v3, -v2, v54, v26
	global_store_short v[0:1], v3, off offset:832
	s_or_b32 exec_lo, exec_lo, s0
	s_and_saveexec_b32 s0, s14
	s_cbranch_execz .LBB273_142
.LBB273_175:
	v_fma_mixlo_f16 v3, -v2, v55, v25
	global_store_short v[0:1], v3, off offset:896
	s_or_b32 exec_lo, exec_lo, s0
	s_and_saveexec_b32 s0, s15
	s_cbranch_execz .LBB273_143
.LBB273_176:
	v_fma_mixlo_f16 v3, -v2, v56, v24
	global_store_short v[0:1], v3, off offset:960
	s_or_b32 exec_lo, exec_lo, s0
	s_and_saveexec_b32 s0, s16
	s_cbranch_execz .LBB273_144
.LBB273_177:
	v_fma_mixlo_f16 v3, -v2, v57, v23
	global_store_short v[0:1], v3, off offset:1024
	s_or_b32 exec_lo, exec_lo, s0
	s_and_saveexec_b32 s0, s17
	s_cbranch_execz .LBB273_145
.LBB273_178:
	v_fma_mixlo_f16 v3, -v2, v58, v22
	global_store_short v[0:1], v3, off offset:1088
	s_or_b32 exec_lo, exec_lo, s0
	s_and_saveexec_b32 s0, s18
	s_cbranch_execz .LBB273_146
.LBB273_179:
	v_fma_mixlo_f16 v3, -v2, v59, v21
	global_store_short v[0:1], v3, off offset:1152
	s_or_b32 exec_lo, exec_lo, s0
	s_and_saveexec_b32 s0, s19
	s_cbranch_execz .LBB273_147
.LBB273_180:
	v_fma_mixlo_f16 v3, -v2, v60, v20
	global_store_short v[0:1], v3, off offset:1216
	s_or_b32 exec_lo, exec_lo, s0
	s_and_saveexec_b32 s0, s20
	s_cbranch_execz .LBB273_148
.LBB273_181:
	v_fma_mixlo_f16 v3, -v2, v61, v19
	global_store_short v[0:1], v3, off offset:1280
	s_or_b32 exec_lo, exec_lo, s0
	s_and_saveexec_b32 s0, s21
	s_cbranch_execz .LBB273_149
.LBB273_182:
	v_fma_mixlo_f16 v3, -v2, v62, v18
	global_store_short v[0:1], v3, off offset:1344
	s_or_b32 exec_lo, exec_lo, s0
	s_and_saveexec_b32 s0, s22
	s_cbranch_execz .LBB273_150
.LBB273_183:
	v_fma_mixlo_f16 v3, -v2, v63, v17
	global_store_short v[0:1], v3, off offset:1408
	s_or_b32 exec_lo, exec_lo, s0
	s_and_saveexec_b32 s0, s23
	s_cbranch_execz .LBB273_151
.LBB273_184:
	v_fma_mixlo_f16 v3, -v2, v64, v16
	global_store_short v[0:1], v3, off offset:1472
	s_or_b32 exec_lo, exec_lo, s0
	s_and_saveexec_b32 s0, s24
	s_cbranch_execz .LBB273_152
.LBB273_185:
	v_fma_mixlo_f16 v3, -v2, v65, v15
	global_store_short v[0:1], v3, off offset:1536
	s_or_b32 exec_lo, exec_lo, s0
	s_and_saveexec_b32 s0, s25
	s_cbranch_execz .LBB273_153
.LBB273_186:
	v_fma_mixlo_f16 v3, -v2, v66, v14
	global_store_short v[0:1], v3, off offset:1600
	s_or_b32 exec_lo, exec_lo, s0
	s_and_saveexec_b32 s0, s26
	s_cbranch_execz .LBB273_154
.LBB273_187:
	v_fma_mixlo_f16 v3, -v2, v67, v12
	global_store_short v[0:1], v3, off offset:1664
	s_or_b32 exec_lo, exec_lo, s0
	s_and_saveexec_b32 s0, s27
	s_cbranch_execz .LBB273_155
.LBB273_188:
	v_fma_mixlo_f16 v3, -v2, v68, v11
	global_store_short v[0:1], v3, off offset:1728
	s_or_b32 exec_lo, exec_lo, s0
	s_and_saveexec_b32 s0, s28
	s_cbranch_execz .LBB273_156
.LBB273_189:
	v_fma_mixlo_f16 v3, -v2, v69, v10
	global_store_short v[0:1], v3, off offset:1792
	s_or_b32 exec_lo, exec_lo, s0
	s_and_saveexec_b32 s0, s29
	s_cbranch_execz .LBB273_157
.LBB273_190:
	v_fma_mixlo_f16 v3, -v2, v70, v9
	global_store_short v[0:1], v3, off offset:1856
	s_or_b32 exec_lo, exec_lo, s0
	s_and_saveexec_b32 s0, s30
	s_cbranch_execz .LBB273_158
.LBB273_191:
	v_fma_mixlo_f16 v3, -v2, v7, v8
	global_store_short v[0:1], v3, off offset:1920
	s_or_b32 exec_lo, exec_lo, s0
	s_and_b32 exec_lo, exec_lo, s31
	s_cbranch_execnz .LBB273_159
	s_branch .LBB273_160
	.section	.rodata,"a",@progbits
	.p2align	6, 0x0
	.amdhsa_kernel _ZN12_GLOBAL__N_121softmax_warp_backwardIN3c104HalfES2_fLi10ELb1ELb0ELi32EEEvPT0_PKT_S7_iiiPKb
		.amdhsa_group_segment_fixed_size 0
		.amdhsa_private_segment_fixed_size 0
		.amdhsa_kernarg_size 304
		.amdhsa_user_sgpr_count 6
		.amdhsa_user_sgpr_private_segment_buffer 1
		.amdhsa_user_sgpr_dispatch_ptr 0
		.amdhsa_user_sgpr_queue_ptr 0
		.amdhsa_user_sgpr_kernarg_segment_ptr 1
		.amdhsa_user_sgpr_dispatch_id 0
		.amdhsa_user_sgpr_flat_scratch_init 0
		.amdhsa_user_sgpr_private_segment_size 0
		.amdhsa_wavefront_size32 1
		.amdhsa_uses_dynamic_stack 0
		.amdhsa_system_sgpr_private_segment_wavefront_offset 0
		.amdhsa_system_sgpr_workgroup_id_x 1
		.amdhsa_system_sgpr_workgroup_id_y 0
		.amdhsa_system_sgpr_workgroup_id_z 0
		.amdhsa_system_sgpr_workgroup_info 0
		.amdhsa_system_vgpr_workitem_id 1
		.amdhsa_next_free_vgpr 75
		.amdhsa_next_free_sgpr 44
		.amdhsa_reserve_vcc 1
		.amdhsa_reserve_flat_scratch 0
		.amdhsa_float_round_mode_32 0
		.amdhsa_float_round_mode_16_64 0
		.amdhsa_float_denorm_mode_32 3
		.amdhsa_float_denorm_mode_16_64 3
		.amdhsa_dx10_clamp 1
		.amdhsa_ieee_mode 1
		.amdhsa_fp16_overflow 0
		.amdhsa_workgroup_processor_mode 1
		.amdhsa_memory_ordered 1
		.amdhsa_forward_progress 1
		.amdhsa_shared_vgpr_count 0
		.amdhsa_exception_fp_ieee_invalid_op 0
		.amdhsa_exception_fp_denorm_src 0
		.amdhsa_exception_fp_ieee_div_zero 0
		.amdhsa_exception_fp_ieee_overflow 0
		.amdhsa_exception_fp_ieee_underflow 0
		.amdhsa_exception_fp_ieee_inexact 0
		.amdhsa_exception_int_div_zero 0
	.end_amdhsa_kernel
	.section	.text._ZN12_GLOBAL__N_121softmax_warp_backwardIN3c104HalfES2_fLi10ELb1ELb0ELi32EEEvPT0_PKT_S7_iiiPKb,"axG",@progbits,_ZN12_GLOBAL__N_121softmax_warp_backwardIN3c104HalfES2_fLi10ELb1ELb0ELi32EEEvPT0_PKT_S7_iiiPKb,comdat
.Lfunc_end273:
	.size	_ZN12_GLOBAL__N_121softmax_warp_backwardIN3c104HalfES2_fLi10ELb1ELb0ELi32EEEvPT0_PKT_S7_iiiPKb, .Lfunc_end273-_ZN12_GLOBAL__N_121softmax_warp_backwardIN3c104HalfES2_fLi10ELb1ELb0ELi32EEEvPT0_PKT_S7_iiiPKb
                                        ; -- End function
	.set _ZN12_GLOBAL__N_121softmax_warp_backwardIN3c104HalfES2_fLi10ELb1ELb0ELi32EEEvPT0_PKT_S7_iiiPKb.num_vgpr, 75
	.set _ZN12_GLOBAL__N_121softmax_warp_backwardIN3c104HalfES2_fLi10ELb1ELb0ELi32EEEvPT0_PKT_S7_iiiPKb.num_agpr, 0
	.set _ZN12_GLOBAL__N_121softmax_warp_backwardIN3c104HalfES2_fLi10ELb1ELb0ELi32EEEvPT0_PKT_S7_iiiPKb.numbered_sgpr, 44
	.set _ZN12_GLOBAL__N_121softmax_warp_backwardIN3c104HalfES2_fLi10ELb1ELb0ELi32EEEvPT0_PKT_S7_iiiPKb.num_named_barrier, 0
	.set _ZN12_GLOBAL__N_121softmax_warp_backwardIN3c104HalfES2_fLi10ELb1ELb0ELi32EEEvPT0_PKT_S7_iiiPKb.private_seg_size, 0
	.set _ZN12_GLOBAL__N_121softmax_warp_backwardIN3c104HalfES2_fLi10ELb1ELb0ELi32EEEvPT0_PKT_S7_iiiPKb.uses_vcc, 1
	.set _ZN12_GLOBAL__N_121softmax_warp_backwardIN3c104HalfES2_fLi10ELb1ELb0ELi32EEEvPT0_PKT_S7_iiiPKb.uses_flat_scratch, 0
	.set _ZN12_GLOBAL__N_121softmax_warp_backwardIN3c104HalfES2_fLi10ELb1ELb0ELi32EEEvPT0_PKT_S7_iiiPKb.has_dyn_sized_stack, 0
	.set _ZN12_GLOBAL__N_121softmax_warp_backwardIN3c104HalfES2_fLi10ELb1ELb0ELi32EEEvPT0_PKT_S7_iiiPKb.has_recursion, 0
	.set _ZN12_GLOBAL__N_121softmax_warp_backwardIN3c104HalfES2_fLi10ELb1ELb0ELi32EEEvPT0_PKT_S7_iiiPKb.has_indirect_call, 0
	.section	.AMDGPU.csdata,"",@progbits
; Kernel info:
; codeLenInByte = 8256
; TotalNumSgprs: 46
; NumVgprs: 75
; ScratchSize: 0
; MemoryBound: 0
; FloatMode: 240
; IeeeMode: 1
; LDSByteSize: 0 bytes/workgroup (compile time only)
; SGPRBlocks: 0
; VGPRBlocks: 9
; NumSGPRsForWavesPerEU: 46
; NumVGPRsForWavesPerEU: 75
; Occupancy: 12
; WaveLimiterHint : 0
; COMPUTE_PGM_RSRC2:SCRATCH_EN: 0
; COMPUTE_PGM_RSRC2:USER_SGPR: 6
; COMPUTE_PGM_RSRC2:TRAP_HANDLER: 0
; COMPUTE_PGM_RSRC2:TGID_X_EN: 1
; COMPUTE_PGM_RSRC2:TGID_Y_EN: 0
; COMPUTE_PGM_RSRC2:TGID_Z_EN: 0
; COMPUTE_PGM_RSRC2:TIDIG_COMP_CNT: 1
	.section	.text._ZN2at6native12_GLOBAL__N_124cunn_SoftMaxBackwardSmemILi8EN3c104HalfEfS4_NS1_26LogSoftMaxBackwardEpilogueEEEvPT0_PKT2_SA_l,"axG",@progbits,_ZN2at6native12_GLOBAL__N_124cunn_SoftMaxBackwardSmemILi8EN3c104HalfEfS4_NS1_26LogSoftMaxBackwardEpilogueEEEvPT0_PKT2_SA_l,comdat
	.globl	_ZN2at6native12_GLOBAL__N_124cunn_SoftMaxBackwardSmemILi8EN3c104HalfEfS4_NS1_26LogSoftMaxBackwardEpilogueEEEvPT0_PKT2_SA_l ; -- Begin function _ZN2at6native12_GLOBAL__N_124cunn_SoftMaxBackwardSmemILi8EN3c104HalfEfS4_NS1_26LogSoftMaxBackwardEpilogueEEEvPT0_PKT2_SA_l
	.p2align	8
	.type	_ZN2at6native12_GLOBAL__N_124cunn_SoftMaxBackwardSmemILi8EN3c104HalfEfS4_NS1_26LogSoftMaxBackwardEpilogueEEEvPT0_PKT2_SA_l,@function
_ZN2at6native12_GLOBAL__N_124cunn_SoftMaxBackwardSmemILi8EN3c104HalfEfS4_NS1_26LogSoftMaxBackwardEpilogueEEEvPT0_PKT2_SA_l: ; @_ZN2at6native12_GLOBAL__N_124cunn_SoftMaxBackwardSmemILi8EN3c104HalfEfS4_NS1_26LogSoftMaxBackwardEpilogueEEEvPT0_PKT2_SA_l
; %bb.0:
	s_load_dwordx8 s[8:15], s[4:5], 0x0
	v_mov_b32_e32 v2, 0
	v_lshlrev_b32_e32 v1, 3, v0
	v_lshl_add_u32 v6, v0, 4, 0
	s_waitcnt lgkmcnt(0)
	v_cmp_gt_i64_e32 vcc_lo, s[14:15], v[1:2]
	s_mul_i32 s0, s15, s6
	s_mul_hi_u32 s1, s14, s6
	s_mul_i32 s2, s14, s6
	s_add_i32 s3, s1, s0
	s_and_saveexec_b32 s1, vcc_lo
	s_cbranch_execz .LBB274_4
; %bb.1:
	s_load_dword s0, s[4:5], 0x2c
	s_lshl_b64 s[6:7], s[2:3], 1
	v_lshl_add_u32 v5, v0, 4, 0
	s_add_u32 s6, s12, s6
	s_addc_u32 s7, s13, s7
	v_mov_b32_e32 v2, 0
	v_mov_b32_e32 v3, v0
	s_mov_b32 s13, 0
	s_waitcnt lgkmcnt(0)
	s_and_b32 s12, s0, 0xffff
	v_add_lshl_u32 v1, v0, s12, 3
	s_lshl_b32 s16, s12, 3
	s_lshl_b32 s17, s12, 4
	s_inst_prefetch 0x1
	.p2align	6
.LBB274_2:                              ; =>This Inner Loop Header: Depth=1
	v_ashrrev_i32_e32 v4, 31, v3
	v_lshlrev_b64 v[7:8], 4, v[3:4]
	v_add_nc_u32_e32 v3, s12, v3
	v_add_co_u32 v7, s0, s6, v7
	v_add_co_ci_u32_e64 v8, null, s7, v8, s0
	global_load_dwordx4 v[7:10], v[7:8], off
	s_waitcnt vmcnt(0)
	v_cvt_f32_f16_e32 v4, v7
	v_cvt_f32_f16_sdwa v11, v7 dst_sel:DWORD dst_unused:UNUSED_PAD src0_sel:WORD_1
	v_cvt_f32_f16_sdwa v12, v10 dst_sel:DWORD dst_unused:UNUSED_PAD src0_sel:WORD_1
	ds_write_b128 v5, v[7:10]
	v_add_nc_u32_e32 v5, s17, v5
	v_add_f32_e32 v2, v2, v4
	v_cvt_f32_f16_e32 v4, v8
	v_add_f32_e32 v2, v2, v11
	v_cvt_f32_f16_sdwa v11, v8 dst_sel:DWORD dst_unused:UNUSED_PAD src0_sel:WORD_1
	v_add_f32_e32 v2, v2, v4
	v_cvt_f32_f16_e32 v4, v9
	v_add_f32_e32 v2, v2, v11
	v_cvt_f32_f16_sdwa v11, v9 dst_sel:DWORD dst_unused:UNUSED_PAD src0_sel:WORD_1
	v_add_f32_e32 v2, v2, v4
	v_cvt_f32_f16_e32 v4, v10
	v_add_f32_e32 v11, v2, v11
	v_ashrrev_i32_e32 v2, 31, v1
	v_add_f32_e32 v4, v11, v4
	v_cmp_le_i64_e64 s0, s[14:15], v[1:2]
	v_add_nc_u32_e32 v1, s16, v1
	v_add_f32_e32 v2, v4, v12
	s_or_b32 s13, s0, s13
	s_andn2_b32 exec_lo, exec_lo, s13
	s_cbranch_execnz .LBB274_2
; %bb.3:
	s_inst_prefetch 0x2
	s_or_b32 exec_lo, exec_lo, s13
.LBB274_4:
	s_or_b32 exec_lo, exec_lo, s1
	v_mbcnt_lo_u32_b32 v5, -1, 0
	s_lshl_b32 s1, s14, 1
	s_mov_b32 s6, exec_lo
	s_add_i32 s1, s1, 0
	s_waitcnt lgkmcnt(0)
	v_lshl_or_b32 v1, v5, 2, 64
	v_cmp_gt_u32_e64 s0, 24, v5
	s_barrier
	buffer_gl0_inv
	ds_bpermute_b32 v4, v1, v2
	v_cndmask_b32_e64 v3, 0, 8, s0
	v_cmp_gt_u32_e64 s0, 28, v5
	v_add_lshl_u32 v3, v3, v5, 2
	s_waitcnt lgkmcnt(0)
	v_add_f32_e32 v4, v2, v4
	v_cndmask_b32_e64 v2, 0, 4, s0
	v_cmp_gt_u32_e64 s0, 30, v5
	ds_bpermute_b32 v7, v3, v4
	v_add_lshl_u32 v2, v2, v5, 2
	s_waitcnt lgkmcnt(0)
	v_add_f32_e32 v7, v4, v7
	v_cndmask_b32_e64 v4, 0, 2, s0
	v_cmp_ne_u32_e64 s0, 31, v5
	ds_bpermute_b32 v8, v2, v7
	v_add_lshl_u32 v4, v4, v5, 2
	v_add_co_ci_u32_e64 v5, null, 0, v5, s0
	v_lshlrev_b32_e32 v5, 2, v5
	s_waitcnt lgkmcnt(0)
	v_add_f32_e32 v7, v7, v8
	ds_bpermute_b32 v8, v4, v7
	s_waitcnt lgkmcnt(0)
	v_add_f32_e32 v8, v7, v8
	v_and_b32_e32 v7, 31, v0
	ds_bpermute_b32 v9, v5, v8
	v_cmpx_eq_u32_e32 0, v7
	s_cbranch_execz .LBB274_6
; %bb.5:
	v_lshrrev_b32_e32 v10, 3, v0
	s_waitcnt lgkmcnt(0)
	v_add_f32_e32 v8, v8, v9
	v_add_nc_u32_e32 v10, s1, v10
	ds_write_b32 v10, v8
.LBB274_6:
	s_or_b32 exec_lo, exec_lo, s6
	s_waitcnt lgkmcnt(0)
	s_barrier
	buffer_gl0_inv
	s_load_dword s4, s[4:5], 0x2c
	v_mov_b32_e32 v8, 0
	s_mov_b32 s5, exec_lo
	s_waitcnt lgkmcnt(0)
	s_bfe_u32 s0, s4, 0xb0005
	v_cmpx_gt_u32_e64 s0, v0
; %bb.7:
	v_lshl_add_u32 v7, v7, 2, s1
	ds_read_b32 v8, v7
; %bb.8:
	s_or_b32 exec_lo, exec_lo, s5
	s_mov_b32 s5, exec_lo
	v_cmpx_gt_u32_e32 32, v0
	s_cbranch_execz .LBB274_10
; %bb.9:
	s_waitcnt lgkmcnt(0)
	ds_bpermute_b32 v1, v1, v8
	s_waitcnt lgkmcnt(0)
	v_add_f32_e32 v1, v8, v1
	ds_bpermute_b32 v3, v3, v1
	s_waitcnt lgkmcnt(0)
	v_add_f32_e32 v1, v1, v3
	;; [unrolled: 3-line block ×5, first 2 shown]
.LBB274_10:
	s_or_b32 exec_lo, exec_lo, s5
	s_mov_b32 s5, exec_lo
	v_cmpx_eq_u32_e32 0, v0
	s_cbranch_execz .LBB274_12
; %bb.11:
	v_mov_b32_e32 v1, s1
	s_waitcnt lgkmcnt(0)
	ds_write_b32 v1, v8
.LBB274_12:
	s_or_b32 exec_lo, exec_lo, s5
	s_waitcnt lgkmcnt(0)
	s_barrier
	buffer_gl0_inv
	s_and_saveexec_b32 s0, vcc_lo
	s_cbranch_execz .LBB274_15
; %bb.13:
	v_mov_b32_e32 v1, s1
	s_lshl_b64 s[0:1], s[2:3], 1
	s_and_b32 s12, 0xffff, s4
	s_add_u32 s13, s8, s0
	v_add_lshl_u32 v2, v0, s12, 3
	ds_read_b32 v7, v1
	s_addc_u32 s9, s9, s1
	s_add_u32 s10, s10, s0
	s_addc_u32 s11, s11, s1
	s_lshl_b32 s16, s12, 3
	s_mov_b32 s17, 0
	s_lshl_b32 s18, s12, 4
	s_mov_b32 s19, 0x3fb8aa3b
	s_mov_b32 s20, 0x32a5705f
.LBB274_14:                             ; =>This Inner Loop Header: Depth=1
	v_ashrrev_i32_e32 v1, 31, v0
	v_ashrrev_i32_e32 v3, 31, v2
	ds_read_b128 v[12:15], v6
	v_add_nc_u32_e32 v6, s18, v6
	v_lshlrev_b64 v[4:5], 4, v[0:1]
	v_add_nc_u32_e32 v0, s12, v0
	v_add_co_u32 v8, vcc_lo, s10, v4
	v_add_co_ci_u32_e64 v9, null, s11, v5, vcc_lo
	v_cmp_le_i64_e32 vcc_lo, s[14:15], v[2:3]
	v_add_co_u32 v3, s0, s13, v4
	global_load_dwordx4 v[8:11], v[8:9], off
	v_add_nc_u32_e32 v2, s16, v2
	s_or_b32 s17, vcc_lo, s17
	s_waitcnt vmcnt(0)
	v_cvt_f32_f16_e32 v1, v8
	v_cvt_f32_f16_sdwa v4, v8 dst_sel:DWORD dst_unused:UNUSED_PAD src0_sel:WORD_1
	v_cvt_f32_f16_e32 v16, v9
	v_cvt_f32_f16_sdwa v17, v9 dst_sel:DWORD dst_unused:UNUSED_PAD src0_sel:WORD_1
	v_cvt_f32_f16_e32 v18, v10
	v_cvt_f32_f16_e32 v20, v11
	v_cvt_f32_f16_sdwa v19, v10 dst_sel:DWORD dst_unused:UNUSED_PAD src0_sel:WORD_1
	v_cvt_f32_f16_sdwa v21, v11 dst_sel:DWORD dst_unused:UNUSED_PAD src0_sel:WORD_1
	v_mul_f32_e32 v22, 0x3fb8aa3b, v1
	v_mul_f32_e32 v23, 0x3fb8aa3b, v4
	v_mul_f32_e32 v24, 0x3fb8aa3b, v16
	v_mul_f32_e32 v25, 0x3fb8aa3b, v17
	v_mul_f32_e32 v26, 0x3fb8aa3b, v18
	v_mul_f32_e32 v28, 0x3fb8aa3b, v20
	v_mul_f32_e32 v27, 0x3fb8aa3b, v19
	v_mul_f32_e32 v29, 0x3fb8aa3b, v21
	v_fma_mix_f32 v30, v8, s19, -v22 op_sel_hi:[1,0,0]
	v_rndne_f32_e32 v31, v22
	v_fma_mix_f32 v32, v8, s19, -v23 op_sel:[1,0,0] op_sel_hi:[1,0,0]
	v_rndne_f32_e32 v33, v23
	v_fma_mix_f32 v34, v9, s19, -v24 op_sel_hi:[1,0,0]
	v_rndne_f32_e32 v35, v24
	v_fma_mix_f32 v36, v9, s19, -v25 op_sel:[1,0,0] op_sel_hi:[1,0,0]
	v_rndne_f32_e32 v37, v25
	v_fma_mix_f32 v38, v10, s19, -v26 op_sel_hi:[1,0,0]
	v_rndne_f32_e32 v39, v26
	v_fma_mix_f32 v42, v11, s19, -v28 op_sel_hi:[1,0,0]
	v_rndne_f32_e32 v43, v28
	v_fma_mix_f32 v40, v10, s19, -v27 op_sel:[1,0,0] op_sel_hi:[1,0,0]
	v_rndne_f32_e32 v41, v27
	v_fma_mix_f32 v44, v11, s19, -v29 op_sel:[1,0,0] op_sel_hi:[1,0,0]
	v_rndne_f32_e32 v45, v29
	v_fma_mix_f32 v30, v8, s20, v30 op_sel_hi:[1,0,0]
	v_sub_f32_e32 v22, v22, v31
	v_fma_mix_f32 v8, v8, s20, v32 op_sel:[1,0,0] op_sel_hi:[1,0,0]
	v_sub_f32_e32 v23, v23, v33
	v_cvt_i32_f32_e32 v32, v33
	v_fma_mix_f32 v33, v9, s20, v34 op_sel_hi:[1,0,0]
	v_sub_f32_e32 v24, v24, v35
	v_cvt_i32_f32_e32 v34, v35
	v_fma_mix_f32 v9, v9, s20, v36 op_sel:[1,0,0] op_sel_hi:[1,0,0]
	v_sub_f32_e32 v25, v25, v37
	v_cvt_i32_f32_e32 v35, v37
	v_fma_mix_f32 v36, v10, s20, v38 op_sel_hi:[1,0,0]
	v_sub_f32_e32 v26, v26, v39
	v_cvt_i32_f32_e32 v37, v39
	v_fma_mix_f32 v39, v11, s20, v42 op_sel_hi:[1,0,0]
	v_sub_f32_e32 v28, v28, v43
	v_fma_mix_f32 v10, v10, s20, v40 op_sel:[1,0,0] op_sel_hi:[1,0,0]
	v_sub_f32_e32 v27, v27, v41
	v_fma_mix_f32 v11, v11, s20, v44 op_sel:[1,0,0] op_sel_hi:[1,0,0]
	v_sub_f32_e32 v29, v29, v45
	v_add_f32_e32 v22, v22, v30
	v_add_f32_e32 v8, v23, v8
	;; [unrolled: 1-line block ×8, first 2 shown]
	v_exp_f32_e32 v22, v22
	v_exp_f32_e32 v8, v8
	;; [unrolled: 1-line block ×6, first 2 shown]
	v_cvt_i32_f32_e32 v31, v31
	v_cvt_i32_f32_e32 v40, v43
	v_exp_f32_e32 v10, v10
	v_exp_f32_e32 v11, v11
	v_cvt_i32_f32_e32 v38, v41
	v_cvt_i32_f32_e32 v41, v45
	v_ldexp_f32 v22, v22, v31
	v_ldexp_f32 v8, v8, v32
	v_cmp_ngt_f32_e64 s1, 0xc2ce8ed0, v4
	v_ldexp_f32 v23, v23, v34
	v_cmp_ngt_f32_e64 s2, 0xc2ce8ed0, v16
	;; [unrolled: 2-line block ×5, first 2 shown]
	v_cmp_ngt_f32_e64 s8, 0xc2ce8ed0, v1
	v_ldexp_f32 v10, v10, v38
	v_cmp_ngt_f32_e64 s5, 0xc2ce8ed0, v19
	v_ldexp_f32 v11, v11, v41
	v_cmp_ngt_f32_e64 s7, 0xc2ce8ed0, v21
	v_cndmask_b32_e64 v22, 0, v22, s8
	v_cndmask_b32_e64 v8, 0, v8, s1
	v_cmp_nlt_f32_e64 s1, 0x42b17218, v4
	v_cndmask_b32_e64 v4, 0, v23, s2
	v_cmp_nlt_f32_e64 s2, 0x42b17218, v16
	;; [unrolled: 2-line block ×5, first 2 shown]
	v_cmp_nlt_f32_e64 s8, 0x42b17218, v1
	v_cndmask_b32_e64 v10, 0, v10, s5
	v_cmp_nlt_f32_e64 s5, 0x42b17218, v19
	v_cndmask_b32_e64 v11, 0, v11, s7
	;; [unrolled: 2-line block ×3, first 2 shown]
	v_cndmask_b32_e64 v4, 0x7f800000, v4, s2
	v_cndmask_b32_e64 v19, 0x7f800000, v9, s3
	;; [unrolled: 1-line block ×7, first 2 shown]
	s_waitcnt lgkmcnt(0)
	v_fma_mixlo_f16 v8, -v7, v1, v12 op_sel_hi:[0,0,1]
	v_fma_mixlo_f16 v11, -v7, v9, v15 op_sel_hi:[0,0,1]
	;; [unrolled: 1-line block ×4, first 2 shown]
	v_add_co_ci_u32_e64 v4, null, s9, v5, s0
	v_fma_mixhi_f16 v11, -v7, v20, v15 op_sel:[0,0,1] op_sel_hi:[0,0,1]
	v_fma_mixhi_f16 v10, -v7, v17, v14 op_sel:[0,0,1] op_sel_hi:[0,0,1]
	v_fma_mixhi_f16 v9, -v7, v19, v13 op_sel:[0,0,1] op_sel_hi:[0,0,1]
	v_fma_mixhi_f16 v8, -v7, v18, v12 op_sel:[0,0,1] op_sel_hi:[0,0,1]
	global_store_dwordx4 v[3:4], v[8:11], off
	s_andn2_b32 exec_lo, exec_lo, s17
	s_cbranch_execnz .LBB274_14
.LBB274_15:
	s_endpgm
	.section	.rodata,"a",@progbits
	.p2align	6, 0x0
	.amdhsa_kernel _ZN2at6native12_GLOBAL__N_124cunn_SoftMaxBackwardSmemILi8EN3c104HalfEfS4_NS1_26LogSoftMaxBackwardEpilogueEEEvPT0_PKT2_SA_l
		.amdhsa_group_segment_fixed_size 0
		.amdhsa_private_segment_fixed_size 0
		.amdhsa_kernarg_size 288
		.amdhsa_user_sgpr_count 6
		.amdhsa_user_sgpr_private_segment_buffer 1
		.amdhsa_user_sgpr_dispatch_ptr 0
		.amdhsa_user_sgpr_queue_ptr 0
		.amdhsa_user_sgpr_kernarg_segment_ptr 1
		.amdhsa_user_sgpr_dispatch_id 0
		.amdhsa_user_sgpr_flat_scratch_init 0
		.amdhsa_user_sgpr_private_segment_size 0
		.amdhsa_wavefront_size32 1
		.amdhsa_uses_dynamic_stack 0
		.amdhsa_system_sgpr_private_segment_wavefront_offset 0
		.amdhsa_system_sgpr_workgroup_id_x 1
		.amdhsa_system_sgpr_workgroup_id_y 0
		.amdhsa_system_sgpr_workgroup_id_z 0
		.amdhsa_system_sgpr_workgroup_info 0
		.amdhsa_system_vgpr_workitem_id 0
		.amdhsa_next_free_vgpr 46
		.amdhsa_next_free_sgpr 21
		.amdhsa_reserve_vcc 1
		.amdhsa_reserve_flat_scratch 0
		.amdhsa_float_round_mode_32 0
		.amdhsa_float_round_mode_16_64 0
		.amdhsa_float_denorm_mode_32 3
		.amdhsa_float_denorm_mode_16_64 3
		.amdhsa_dx10_clamp 1
		.amdhsa_ieee_mode 1
		.amdhsa_fp16_overflow 0
		.amdhsa_workgroup_processor_mode 1
		.amdhsa_memory_ordered 1
		.amdhsa_forward_progress 1
		.amdhsa_shared_vgpr_count 0
		.amdhsa_exception_fp_ieee_invalid_op 0
		.amdhsa_exception_fp_denorm_src 0
		.amdhsa_exception_fp_ieee_div_zero 0
		.amdhsa_exception_fp_ieee_overflow 0
		.amdhsa_exception_fp_ieee_underflow 0
		.amdhsa_exception_fp_ieee_inexact 0
		.amdhsa_exception_int_div_zero 0
	.end_amdhsa_kernel
	.section	.text._ZN2at6native12_GLOBAL__N_124cunn_SoftMaxBackwardSmemILi8EN3c104HalfEfS4_NS1_26LogSoftMaxBackwardEpilogueEEEvPT0_PKT2_SA_l,"axG",@progbits,_ZN2at6native12_GLOBAL__N_124cunn_SoftMaxBackwardSmemILi8EN3c104HalfEfS4_NS1_26LogSoftMaxBackwardEpilogueEEEvPT0_PKT2_SA_l,comdat
.Lfunc_end274:
	.size	_ZN2at6native12_GLOBAL__N_124cunn_SoftMaxBackwardSmemILi8EN3c104HalfEfS4_NS1_26LogSoftMaxBackwardEpilogueEEEvPT0_PKT2_SA_l, .Lfunc_end274-_ZN2at6native12_GLOBAL__N_124cunn_SoftMaxBackwardSmemILi8EN3c104HalfEfS4_NS1_26LogSoftMaxBackwardEpilogueEEEvPT0_PKT2_SA_l
                                        ; -- End function
	.set _ZN2at6native12_GLOBAL__N_124cunn_SoftMaxBackwardSmemILi8EN3c104HalfEfS4_NS1_26LogSoftMaxBackwardEpilogueEEEvPT0_PKT2_SA_l.num_vgpr, 46
	.set _ZN2at6native12_GLOBAL__N_124cunn_SoftMaxBackwardSmemILi8EN3c104HalfEfS4_NS1_26LogSoftMaxBackwardEpilogueEEEvPT0_PKT2_SA_l.num_agpr, 0
	.set _ZN2at6native12_GLOBAL__N_124cunn_SoftMaxBackwardSmemILi8EN3c104HalfEfS4_NS1_26LogSoftMaxBackwardEpilogueEEEvPT0_PKT2_SA_l.numbered_sgpr, 21
	.set _ZN2at6native12_GLOBAL__N_124cunn_SoftMaxBackwardSmemILi8EN3c104HalfEfS4_NS1_26LogSoftMaxBackwardEpilogueEEEvPT0_PKT2_SA_l.num_named_barrier, 0
	.set _ZN2at6native12_GLOBAL__N_124cunn_SoftMaxBackwardSmemILi8EN3c104HalfEfS4_NS1_26LogSoftMaxBackwardEpilogueEEEvPT0_PKT2_SA_l.private_seg_size, 0
	.set _ZN2at6native12_GLOBAL__N_124cunn_SoftMaxBackwardSmemILi8EN3c104HalfEfS4_NS1_26LogSoftMaxBackwardEpilogueEEEvPT0_PKT2_SA_l.uses_vcc, 1
	.set _ZN2at6native12_GLOBAL__N_124cunn_SoftMaxBackwardSmemILi8EN3c104HalfEfS4_NS1_26LogSoftMaxBackwardEpilogueEEEvPT0_PKT2_SA_l.uses_flat_scratch, 0
	.set _ZN2at6native12_GLOBAL__N_124cunn_SoftMaxBackwardSmemILi8EN3c104HalfEfS4_NS1_26LogSoftMaxBackwardEpilogueEEEvPT0_PKT2_SA_l.has_dyn_sized_stack, 0
	.set _ZN2at6native12_GLOBAL__N_124cunn_SoftMaxBackwardSmemILi8EN3c104HalfEfS4_NS1_26LogSoftMaxBackwardEpilogueEEEvPT0_PKT2_SA_l.has_recursion, 0
	.set _ZN2at6native12_GLOBAL__N_124cunn_SoftMaxBackwardSmemILi8EN3c104HalfEfS4_NS1_26LogSoftMaxBackwardEpilogueEEEvPT0_PKT2_SA_l.has_indirect_call, 0
	.section	.AMDGPU.csdata,"",@progbits
; Kernel info:
; codeLenInByte = 1848
; TotalNumSgprs: 23
; NumVgprs: 46
; ScratchSize: 0
; MemoryBound: 0
; FloatMode: 240
; IeeeMode: 1
; LDSByteSize: 0 bytes/workgroup (compile time only)
; SGPRBlocks: 0
; VGPRBlocks: 5
; NumSGPRsForWavesPerEU: 23
; NumVGPRsForWavesPerEU: 46
; Occupancy: 16
; WaveLimiterHint : 0
; COMPUTE_PGM_RSRC2:SCRATCH_EN: 0
; COMPUTE_PGM_RSRC2:USER_SGPR: 6
; COMPUTE_PGM_RSRC2:TRAP_HANDLER: 0
; COMPUTE_PGM_RSRC2:TGID_X_EN: 1
; COMPUTE_PGM_RSRC2:TGID_Y_EN: 0
; COMPUTE_PGM_RSRC2:TGID_Z_EN: 0
; COMPUTE_PGM_RSRC2:TIDIG_COMP_CNT: 0
	.section	.text._ZN2at6native12_GLOBAL__N_120cunn_SoftMaxBackwardILi8EN3c104HalfEfS4_NS1_26LogSoftMaxBackwardEpilogueEEEvPT0_PKT2_SA_l,"axG",@progbits,_ZN2at6native12_GLOBAL__N_120cunn_SoftMaxBackwardILi8EN3c104HalfEfS4_NS1_26LogSoftMaxBackwardEpilogueEEEvPT0_PKT2_SA_l,comdat
	.globl	_ZN2at6native12_GLOBAL__N_120cunn_SoftMaxBackwardILi8EN3c104HalfEfS4_NS1_26LogSoftMaxBackwardEpilogueEEEvPT0_PKT2_SA_l ; -- Begin function _ZN2at6native12_GLOBAL__N_120cunn_SoftMaxBackwardILi8EN3c104HalfEfS4_NS1_26LogSoftMaxBackwardEpilogueEEEvPT0_PKT2_SA_l
	.p2align	8
	.type	_ZN2at6native12_GLOBAL__N_120cunn_SoftMaxBackwardILi8EN3c104HalfEfS4_NS1_26LogSoftMaxBackwardEpilogueEEEvPT0_PKT2_SA_l,@function
_ZN2at6native12_GLOBAL__N_120cunn_SoftMaxBackwardILi8EN3c104HalfEfS4_NS1_26LogSoftMaxBackwardEpilogueEEEvPT0_PKT2_SA_l: ; @_ZN2at6native12_GLOBAL__N_120cunn_SoftMaxBackwardILi8EN3c104HalfEfS4_NS1_26LogSoftMaxBackwardEpilogueEEEvPT0_PKT2_SA_l
; %bb.0:
	s_load_dwordx8 s[8:15], s[4:5], 0x0
	s_mov_b32 s29, 0
	s_waitcnt lgkmcnt(0)
	s_mul_i32 s1, s15, s6
	s_mul_hi_u32 s2, s14, s6
	s_mul_i32 s0, s14, s6
	s_add_i32 s1, s2, s1
	v_cmp_lt_i64_e64 s30, 0x7ffffffe, s[14:15]
	s_lshl_b64 s[2:3], s[0:1], 1
	s_mov_b64 s[18:19], s[14:15]
	s_add_u32 s16, s12, s2
	s_addc_u32 s17, s13, s3
	s_bfe_u32 s28, s16, 0x30001
	s_cmp_lg_u32 s28, 0
	s_cselect_b32 s7, -1, 0
	s_and_b32 vcc_lo, exec_lo, s30
	s_cbranch_vccz .LBB275_16
; %bb.1:
	v_mov_b32_e32 v1, 0
	s_add_u32 s0, s4, 32
	s_addc_u32 s1, s5, 0
	s_and_b32 vcc_lo, exec_lo, s7
	s_cbranch_vccz .LBB275_39
; %bb.2:
	s_lshl_b32 s0, s28, 1
	v_mov_b32_e32 v6, v1
	s_sub_u32 s22, s16, s0
	s_mov_b32 s24, 0
	s_subb_u32 s23, s17, 0
	s_mov_b32 s0, exec_lo
	v_cmpx_le_u64_e64 s[28:29], v[0:1]
	s_cbranch_execz .LBB275_4
; %bb.3:
	v_lshlrev_b32_e32 v2, 1, v0
	global_load_ushort v2, v2, s[22:23]
	s_waitcnt vmcnt(0)
	v_cvt_f32_f16_e32 v2, v2
	v_add_f32_e32 v6, 0, v2
.LBB275_4:
	s_or_b32 exec_lo, exec_lo, s0
	s_load_dword s20, s[4:5], 0x2c
	s_add_u32 s21, s28, s14
	s_addc_u32 s25, 0, s15
	s_add_u32 s0, s4, 32
	s_addc_u32 s1, s5, 0
	s_waitcnt lgkmcnt(0)
	s_and_b32 s26, s20, 0xffff
	s_sub_u32 s20, s21, s26
	s_subb_u32 s21, s25, 0
	s_lshl_b32 s25, s26, 1
	s_add_u32 s22, s22, s25
	s_addc_u32 s23, s23, 0
	s_and_b32 vcc_lo, exec_lo, s24
	s_cbranch_vccz .LBB275_6
.LBB275_5:
	v_mov_b32_e32 v6, 0
	s_mov_b64 s[20:21], s[18:19]
	s_mov_b64 s[22:23], s[16:17]
.LBB275_6:
	s_load_dword s24, s[0:1], 0x0
	v_mov_b32_e32 v2, 0
	s_waitcnt lgkmcnt(0)
	s_cmp_lt_u32 s6, s24
	s_cselect_b32 s24, 12, 18
	s_add_u32 s0, s0, s24
	s_addc_u32 s1, s1, 0
	global_load_ushort v2, v2, s[0:1]
	s_mov_b32 s0, 0
	s_waitcnt vmcnt(0)
	v_readfirstlane_b32 s1, v2
	v_and_b32_e32 v7, 0xffff, v2
	s_and_b32 s24, 0xffff, s1
	s_mov_b32 s1, s21
	s_lshl_b32 s26, s24, 3
	s_cmp_lg_u64 s[0:1], 0
	s_cbranch_scc0 .LBB275_40
; %bb.7:
	v_cvt_f32_u32_e32 v2, s26
	s_sub_u32 s25, 0, s26
	s_subb_u32 s27, 0, 0
	v_fmamk_f32 v2, 0, 0x4f800000, v2
	v_rcp_f32_e32 v2, v2
	v_mul_f32_e32 v2, 0x5f7ffffc, v2
	v_mul_f32_e32 v3, 0x2f800000, v2
	v_trunc_f32_e32 v3, v3
	v_fmamk_f32 v2, v3, 0xcf800000, v2
	v_cvt_u32_f32_e32 v3, v3
	v_cvt_u32_f32_e32 v2, v2
	v_readfirstlane_b32 s1, v3
	v_readfirstlane_b32 s24, v2
	s_mul_i32 s31, s25, s1
	s_mul_hi_u32 s34, s25, s24
	s_mul_i32 s33, s27, s24
	s_add_i32 s31, s34, s31
	s_mul_i32 s35, s25, s24
	s_add_i32 s31, s31, s33
	s_mul_hi_u32 s34, s24, s35
	s_mul_i32 s37, s24, s31
	s_mul_hi_u32 s36, s1, s35
	s_mul_i32 s33, s1, s35
	s_mul_hi_u32 s35, s24, s31
	s_add_u32 s34, s34, s37
	s_addc_u32 s35, 0, s35
	s_mul_hi_u32 s38, s1, s31
	s_add_u32 s33, s34, s33
	s_mul_i32 s31, s1, s31
	s_addc_u32 s33, s35, s36
	s_addc_u32 s34, s38, 0
	s_add_u32 s31, s33, s31
	s_addc_u32 s33, 0, s34
	s_add_u32 s24, s24, s31
	s_cselect_b32 s31, -1, 0
	s_mul_hi_u32 s34, s25, s24
	s_cmp_lg_u32 s31, 0
	s_mul_i32 s31, s25, s24
	s_addc_u32 s1, s1, s33
	s_mul_i32 s27, s27, s24
	s_mul_i32 s25, s25, s1
	s_mul_hi_u32 s33, s24, s31
	s_add_i32 s25, s34, s25
	s_mul_hi_u32 s34, s1, s31
	s_add_i32 s25, s25, s27
	s_mul_i32 s27, s1, s31
	s_mul_i32 s36, s24, s25
	s_mul_hi_u32 s35, s24, s25
	s_add_u32 s33, s33, s36
	s_addc_u32 s35, 0, s35
	s_mul_hi_u32 s31, s1, s25
	s_add_u32 s27, s33, s27
	s_mul_i32 s25, s1, s25
	s_addc_u32 s27, s35, s34
	s_addc_u32 s31, s31, 0
	s_add_u32 s25, s27, s25
	s_addc_u32 s27, 0, s31
	s_add_u32 s24, s24, s25
	s_cselect_b32 s25, -1, 0
	s_mul_hi_u32 s31, s20, s24
	s_cmp_lg_u32 s25, 0
	s_mul_hi_u32 s25, s21, s24
	s_addc_u32 s1, s1, s27
	s_mul_i32 s24, s21, s24
	s_mul_i32 s33, s20, s1
	s_mul_hi_u32 s27, s20, s1
	s_add_u32 s31, s31, s33
	s_addc_u32 s27, 0, s27
	s_mul_hi_u32 s34, s21, s1
	s_add_u32 s24, s31, s24
	s_mul_i32 s1, s21, s1
	s_addc_u32 s24, s27, s25
	s_addc_u32 s25, s34, 0
	s_add_u32 s1, s24, s1
	s_addc_u32 s24, 0, s25
	s_mul_hi_u32 s25, s26, s1
	s_mul_i32 s24, s26, s24
	s_mul_i32 s1, s26, s1
	s_add_i32 s25, s25, s24
	s_sub_u32 s1, s20, s1
	s_cselect_b32 s24, -1, 0
	s_cmp_lg_u32 s24, 0
	s_subb_u32 s24, s21, s25
	s_sub_u32 s25, s1, s26
	s_cselect_b32 s27, -1, 0
	s_cmp_lg_u32 s27, 0
	s_subb_u32 s27, s24, 0
	;; [unrolled: 4-line block ×3, first 2 shown]
	s_cmp_ge_u32 s25, s26
	s_cselect_b32 s34, -1, 0
	s_cmp_eq_u32 s27, 0
	s_cselect_b32 s34, s34, -1
	s_cmp_lg_u32 s34, 0
	s_cselect_b32 s27, s33, s27
	s_cselect_b32 s31, s31, s25
	s_cmp_ge_u32 s1, s26
	s_cselect_b32 s25, -1, 0
	s_cmp_eq_u32 s24, 0
	s_cselect_b32 s25, s25, -1
	s_cmp_lg_u32 s25, 0
	s_cselect_b32 s25, s27, s24
	s_cselect_b32 s24, s31, s1
	s_andn2_b32 vcc_lo, exec_lo, s0
	s_cbranch_vccnz .LBB275_9
.LBB275_8:
	v_cvt_f32_u32_e32 v2, s26
	s_sub_i32 s1, 0, s26
	s_mov_b32 s25, 0
	v_rcp_iflag_f32_e32 v2, v2
	v_mul_f32_e32 v2, 0x4f7ffffe, v2
	v_cvt_u32_f32_e32 v2, v2
	v_readfirstlane_b32 s0, v2
	s_mul_i32 s1, s1, s0
	s_mul_hi_u32 s1, s0, s1
	s_add_i32 s0, s0, s1
	s_mul_hi_u32 s0, s20, s0
	s_mul_i32 s0, s0, s26
	s_sub_i32 s0, s20, s0
	s_sub_i32 s1, s0, s26
	s_cmp_ge_u32 s0, s26
	s_cselect_b32 s0, s1, s0
	s_sub_i32 s1, s0, s26
	s_cmp_ge_u32 s0, s26
	s_cselect_b32 s24, s1, s0
.LBB275_9:
	v_lshlrev_b32_e32 v2, 4, v0
	v_mov_b32_e32 v5, v1
	v_lshlrev_b32_e32 v8, 4, v7
	v_mov_b32_e32 v4, v0
	s_sub_u32 s24, s20, s24
	v_add_co_u32 v2, s0, s22, v2
	v_add_co_ci_u32_e64 v3, null, s23, 0, s0
	s_subb_u32 s25, s21, s25
	s_mov_b32 s1, 0
	s_inst_prefetch 0x1
	.p2align	6
.LBB275_10:                             ; =>This Inner Loop Header: Depth=1
	global_load_dwordx4 v[9:12], v[2:3], off
	v_add_co_u32 v4, vcc_lo, v4, v7
	v_add_co_ci_u32_e64 v5, null, 0, v5, vcc_lo
	v_add_co_u32 v2, s0, v2, v8
	v_add_co_ci_u32_e64 v3, null, 0, v3, s0
	s_waitcnt vmcnt(0)
	v_cvt_f32_f16_e32 v1, v9
	v_cvt_f32_f16_sdwa v9, v9 dst_sel:DWORD dst_unused:UNUSED_PAD src0_sel:WORD_1
	v_add_f32_e32 v1, v6, v1
	v_cvt_f32_f16_e32 v6, v10
	v_add_f32_e32 v1, v1, v9
	v_cvt_f32_f16_sdwa v9, v10 dst_sel:DWORD dst_unused:UNUSED_PAD src0_sel:WORD_1
	v_add_f32_e32 v1, v1, v6
	v_cvt_f32_f16_e32 v6, v11
	v_cvt_f32_f16_sdwa v11, v11 dst_sel:DWORD dst_unused:UNUSED_PAD src0_sel:WORD_1
	v_add_f32_e32 v1, v1, v9
	v_lshlrev_b64 v[9:10], 3, v[4:5]
	v_add_f32_e32 v1, v1, v6
	v_cvt_f32_f16_e32 v6, v12
	v_cmp_le_i64_e32 vcc_lo, s[24:25], v[9:10]
	v_cvt_f32_f16_sdwa v9, v12 dst_sel:DWORD dst_unused:UNUSED_PAD src0_sel:WORD_1
	v_add_f32_e32 v1, v1, v11
	s_or_b32 s1, vcc_lo, s1
	v_add_f32_e32 v1, v1, v6
	v_add_f32_e32 v6, v1, v9
	s_andn2_b32 exec_lo, exec_lo, s1
	s_cbranch_execnz .LBB275_10
; %bb.11:
	s_inst_prefetch 0x2
	s_or_b32 exec_lo, exec_lo, s1
	v_add_co_u32 v1, s0, s24, v0
	v_add_co_ci_u32_e64 v2, null, s25, 0, s0
	s_mov_b32 s0, exec_lo
	v_cmpx_gt_u64_e64 s[20:21], v[1:2]
	s_cbranch_execz .LBB275_15
; %bb.12:
	s_mov_b32 s1, 0
	.p2align	6
.LBB275_13:                             ; =>This Inner Loop Header: Depth=1
	v_lshlrev_b64 v[3:4], 1, v[1:2]
	v_add_co_u32 v3, vcc_lo, s22, v3
	v_add_co_ci_u32_e64 v4, null, s23, v4, vcc_lo
	v_add_co_u32 v1, vcc_lo, v1, v7
	v_add_co_ci_u32_e64 v2, null, 0, v2, vcc_lo
	global_load_ushort v3, v[3:4], off
	v_cmp_le_i64_e32 vcc_lo, s[20:21], v[1:2]
	s_or_b32 s1, vcc_lo, s1
	s_waitcnt vmcnt(0)
	v_cvt_f32_f16_e32 v3, v3
	v_add_f32_e32 v6, v6, v3
	s_andn2_b32 exec_lo, exec_lo, s1
	s_cbranch_execnz .LBB275_13
; %bb.14:
	s_or_b32 exec_lo, exec_lo, s1
.LBB275_15:
	s_or_b32 exec_lo, exec_lo, s0
	s_branch .LBB275_31
.LBB275_16:
                                        ; implicit-def: $vgpr6
	s_cbranch_execz .LBB275_31
; %bb.17:
	s_add_u32 s20, s4, 32
	s_addc_u32 s21, s5, 0
	s_and_b32 vcc_lo, exec_lo, s7
	s_cbranch_vccz .LBB275_41
; %bb.18:
	s_lshl_b64 s[0:1], s[28:29], 1
	v_cmp_le_u32_e32 vcc_lo, s28, v0
	s_sub_u32 s22, s16, s0
	s_subb_u32 s23, s17, s1
	s_add_i32 s1, s28, s14
	v_mov_b32_e32 v6, 0
	v_cmp_gt_i32_e64 s0, s1, v0
	s_and_b32 s7, vcc_lo, s0
	s_and_saveexec_b32 s0, s7
	s_cbranch_execz .LBB275_20
; %bb.19:
	v_lshlrev_b32_e32 v1, 1, v0
	global_load_ushort v1, v1, s[22:23]
	s_waitcnt vmcnt(0)
	v_cvt_f32_f16_e32 v1, v1
	v_add_f32_e32 v6, 0, v1
.LBB275_20:
	s_or_b32 exec_lo, exec_lo, s0
	s_load_dword s0, s[4:5], 0x2c
	s_add_u32 s20, s4, 32
	s_addc_u32 s21, s5, 0
	s_waitcnt lgkmcnt(0)
	s_and_b32 s0, s0, 0xffff
	v_sub_nc_u32_e64 v1, s1, s0 clamp
	s_lshl_b32 s0, s0, 1
	s_add_u32 s0, s22, s0
	s_addc_u32 s1, s23, 0
	v_readfirstlane_b32 s7, v1
	s_branch .LBB275_22
.LBB275_21:
	v_mov_b32_e32 v6, 0
	s_mov_b32 s7, s14
	s_mov_b64 s[0:1], s[16:17]
.LBB275_22:
	s_load_dword s22, s[20:21], 0x0
	v_mov_b32_e32 v1, 0
	s_waitcnt lgkmcnt(0)
	s_cmp_lt_u32 s6, s22
	s_cselect_b32 s22, 12, 18
	s_add_u32 s20, s20, s22
	s_addc_u32 s21, s21, 0
	global_load_ushort v3, v1, s[20:21]
	s_waitcnt vmcnt(0)
	v_readfirstlane_b32 s20, v3
	s_lshl_b32 s20, s20, 3
	v_cvt_f32_u32_e32 v1, s20
	s_sub_i32 s22, 0, s20
	v_rcp_iflag_f32_e32 v1, v1
	v_mul_f32_e32 v1, 0x4f7ffffe, v1
	v_cvt_u32_f32_e32 v1, v1
	v_readfirstlane_b32 s21, v1
	v_lshlrev_b32_e32 v1, 3, v0
	s_mul_i32 s22, s22, s21
	s_mul_hi_u32 s22, s21, s22
	s_add_i32 s21, s21, s22
	s_mul_hi_u32 s21, s7, s21
	s_mul_i32 s21, s21, s20
	s_sub_i32 s21, s7, s21
	s_sub_i32 s22, s21, s20
	s_cmp_ge_u32 s21, s20
	s_cselect_b32 s21, s22, s21
	s_sub_i32 s22, s21, s20
	s_cmp_ge_u32 s21, s20
	s_cselect_b32 s20, s22, s21
	s_mov_b32 s22, 0
	s_sub_i32 s20, s7, s20
	s_mov_b32 s21, exec_lo
	v_cmpx_gt_i32_e64 s20, v1
	s_cbranch_execz .LBB275_26
; %bb.23:
	v_mov_b32_e32 v1, v0
	s_inst_prefetch 0x1
	.p2align	6
.LBB275_24:                             ; =>This Inner Loop Header: Depth=1
	v_ashrrev_i32_e32 v2, 31, v1
	v_lshlrev_b64 v[4:5], 4, v[1:2]
	v_add_nc_u32_e32 v1, v1, v3
	v_add_co_u32 v4, vcc_lo, s0, v4
	v_add_co_ci_u32_e64 v5, null, s1, v5, vcc_lo
	global_load_dwordx4 v[7:10], v[4:5], off
	s_waitcnt vmcnt(0)
	v_cvt_f32_f16_e32 v2, v7
	v_cvt_f32_f16_sdwa v4, v7 dst_sel:DWORD dst_unused:UNUSED_PAD src0_sel:WORD_1
	v_cvt_f32_f16_e32 v5, v8
	v_add_f32_e32 v2, v6, v2
	v_cvt_f32_f16_sdwa v6, v10 dst_sel:DWORD dst_unused:UNUSED_PAD src0_sel:WORD_1
	v_add_f32_e32 v2, v2, v4
	v_cvt_f32_f16_sdwa v4, v8 dst_sel:DWORD dst_unused:UNUSED_PAD src0_sel:WORD_1
	v_add_f32_e32 v2, v2, v5
	v_cvt_f32_f16_e32 v5, v9
	v_add_f32_e32 v2, v2, v4
	v_cvt_f32_f16_sdwa v4, v9 dst_sel:DWORD dst_unused:UNUSED_PAD src0_sel:WORD_1
	v_add_f32_e32 v2, v2, v5
	v_cvt_f32_f16_e32 v5, v10
	v_add_f32_e32 v2, v2, v4
	v_lshlrev_b32_e32 v4, 3, v1
	v_add_f32_e32 v2, v2, v5
	v_cmp_le_i32_e32 vcc_lo, s20, v4
	v_add_f32_e32 v6, v2, v6
	s_or_b32 s22, vcc_lo, s22
	s_andn2_b32 exec_lo, exec_lo, s22
	s_cbranch_execnz .LBB275_24
; %bb.25:
	s_inst_prefetch 0x2
	s_or_b32 exec_lo, exec_lo, s22
.LBB275_26:
	s_or_b32 exec_lo, exec_lo, s21
	v_add_nc_u32_e32 v1, s20, v0
	s_mov_b32 s20, exec_lo
	v_cmpx_gt_i32_e64 s7, v1
	s_cbranch_execz .LBB275_30
; %bb.27:
	s_mov_b32 s21, 0
.LBB275_28:                             ; =>This Inner Loop Header: Depth=1
	v_ashrrev_i32_e32 v2, 31, v1
	v_lshlrev_b64 v[4:5], 1, v[1:2]
	v_add_nc_u32_e32 v1, v1, v3
	v_add_co_u32 v4, vcc_lo, s0, v4
	v_add_co_ci_u32_e64 v5, null, s1, v5, vcc_lo
	v_cmp_le_i32_e32 vcc_lo, s7, v1
	global_load_ushort v2, v[4:5], off
	s_or_b32 s21, vcc_lo, s21
	s_waitcnt vmcnt(0)
	v_cvt_f32_f16_e32 v2, v2
	v_add_f32_e32 v6, v6, v2
	s_andn2_b32 exec_lo, exec_lo, s21
	s_cbranch_execnz .LBB275_28
; %bb.29:
	s_or_b32 exec_lo, exec_lo, s21
.LBB275_30:
	s_or_b32 exec_lo, exec_lo, s20
.LBB275_31:
	v_lshl_add_u32 v1, v0, 2, 0
	s_barrier
	buffer_gl0_inv
	s_add_u32 s24, s4, 32
	ds_write_b32 v1, v6
	s_waitcnt lgkmcnt(0)
	s_barrier
	buffer_gl0_inv
	s_load_dword s1, s[4:5], 0x2c
	s_addc_u32 s25, s5, 0
	s_waitcnt lgkmcnt(0)
	s_bfe_u32 s0, s1, 0xb0005
	s_and_b32 s0, s0, 0xffff
	s_min_u32 s4, s0, 32
	v_cmp_gt_u32_e32 vcc_lo, s4, v0
	s_and_saveexec_b32 s4, vcc_lo
	s_cbranch_execz .LBB275_33
; %bb.32:
	v_mad_u32_u24 v10, 0x7c, v0, v1
	ds_read2_b32 v[2:3], v10 offset1:1
	ds_read2_b32 v[4:5], v10 offset0:2 offset1:3
	ds_read2_b32 v[6:7], v10 offset0:4 offset1:5
	;; [unrolled: 1-line block ×3, first 2 shown]
	s_waitcnt lgkmcnt(3)
	v_add_f32_e32 v2, 0, v2
	v_add_f32_e32 v2, v2, v3
	s_waitcnt lgkmcnt(2)
	v_add_f32_e32 v2, v2, v4
	v_add_f32_e32 v4, v2, v5
	ds_read2_b32 v[2:3], v10 offset0:8 offset1:9
	s_waitcnt lgkmcnt(2)
	v_add_f32_e32 v4, v4, v6
	v_add_f32_e32 v6, v4, v7
	ds_read2_b32 v[4:5], v10 offset0:10 offset1:11
	;; [unrolled: 4-line block ×3, first 2 shown]
	ds_read2_b32 v[8:9], v10 offset0:14 offset1:15
	s_waitcnt lgkmcnt(3)
	v_add_f32_e32 v2, v11, v2
	v_add_f32_e32 v2, v2, v3
	s_waitcnt lgkmcnt(2)
	v_add_f32_e32 v2, v2, v4
	v_add_f32_e32 v4, v2, v5
	ds_read2_b32 v[2:3], v10 offset0:16 offset1:17
	s_waitcnt lgkmcnt(2)
	v_add_f32_e32 v4, v4, v6
	v_add_f32_e32 v6, v4, v7
	ds_read2_b32 v[4:5], v10 offset0:18 offset1:19
	;; [unrolled: 4-line block ×3, first 2 shown]
	ds_read2_b32 v[8:9], v10 offset0:22 offset1:23
	s_waitcnt lgkmcnt(3)
	v_add_f32_e32 v2, v11, v2
	v_add_f32_e32 v2, v2, v3
	s_waitcnt lgkmcnt(2)
	v_add_f32_e32 v2, v2, v4
	v_add_f32_e32 v2, v2, v5
	s_waitcnt lgkmcnt(1)
	v_add_f32_e32 v4, v2, v6
	ds_read2_b32 v[2:3], v10 offset0:24 offset1:25
	v_add_f32_e32 v4, v4, v7
	s_waitcnt lgkmcnt(1)
	v_add_f32_e32 v6, v4, v8
	ds_read2_b32 v[4:5], v10 offset0:26 offset1:27
	v_add_f32_e32 v11, v6, v9
	ds_read2_b32 v[6:7], v10 offset0:28 offset1:29
	ds_read2_b32 v[8:9], v10 offset0:30 offset1:31
	s_waitcnt lgkmcnt(3)
	v_add_f32_e32 v2, v11, v2
	v_add_f32_e32 v2, v2, v3
	s_waitcnt lgkmcnt(2)
	v_add_f32_e32 v2, v2, v4
	v_add_f32_e32 v2, v2, v5
	;; [unrolled: 3-line block ×4, first 2 shown]
	ds_write_b32 v1, v2
.LBB275_33:
	s_or_b32 exec_lo, exec_lo, s4
	s_and_b32 s33, 0xffff, s1
	s_mov_b32 s1, exec_lo
	s_waitcnt lgkmcnt(0)
	s_barrier
	buffer_gl0_inv
	v_cmpx_eq_u32_e32 0, v0
	s_cbranch_execz .LBB275_46
; %bb.34:
	v_mov_b32_e32 v1, 0
	s_cmp_lt_u32 s33, 32
	s_cbranch_scc1 .LBB275_45
; %bb.35:
	s_add_i32 s4, s0, -1
	v_mov_b32_e32 v1, 0
	s_and_b32 s4, s4, 0xffff
	s_cmp_lt_u32 s4, 7
	s_cbranch_scc1 .LBB275_42
; %bb.36:
	s_and_b32 s4, s0, 0x7f8
	s_mov_b32 s5, 0
	s_mov_b32 s7, 0
	.p2align	6
.LBB275_37:                             ; =>This Inner Loop Header: Depth=1
	v_mov_b32_e32 v8, s7
	s_add_i32 s5, s5, 8
	s_add_i32 s7, s7, 32
	s_cmp_eq_u32 s4, s5
	ds_read2_b32 v[2:3], v8 offset1:1
	ds_read2_b32 v[4:5], v8 offset0:2 offset1:3
	ds_read2_b32 v[6:7], v8 offset0:4 offset1:5
	;; [unrolled: 1-line block ×3, first 2 shown]
	s_waitcnt lgkmcnt(3)
	v_add_f32_e32 v1, v1, v2
	v_add_f32_e32 v1, v1, v3
	s_waitcnt lgkmcnt(2)
	v_add_f32_e32 v1, v1, v4
	v_add_f32_e32 v1, v1, v5
	;; [unrolled: 3-line block ×4, first 2 shown]
	s_cbranch_scc0 .LBB275_37
; %bb.38:
	s_and_b32 s0, s0, 7
	s_cmp_eq_u32 s0, 0
	s_cbranch_scc0 .LBB275_43
	s_branch .LBB275_45
.LBB275_39:
                                        ; implicit-def: $sgpr22_sgpr23
                                        ; implicit-def: $sgpr20_sgpr21
                                        ; implicit-def: $vgpr6
	s_cbranch_execnz .LBB275_5
	s_branch .LBB275_6
.LBB275_40:
                                        ; implicit-def: $sgpr24_sgpr25
	s_branch .LBB275_8
.LBB275_41:
                                        ; implicit-def: $sgpr0_sgpr1
                                        ; implicit-def: $sgpr7
                                        ; implicit-def: $vgpr6
	s_cbranch_execnz .LBB275_21
	s_branch .LBB275_22
.LBB275_42:
	s_mov_b32 s4, 0
	s_and_b32 s0, s0, 7
	s_cmp_eq_u32 s0, 0
	s_cbranch_scc1 .LBB275_45
.LBB275_43:
	s_lshl_b32 s4, s4, 2
	s_add_i32 s4, s4, 0
.LBB275_44:                             ; =>This Inner Loop Header: Depth=1
	v_mov_b32_e32 v2, s4
	s_add_i32 s0, s0, -1
	s_add_i32 s4, s4, 4
	s_cmp_lg_u32 s0, 0
	ds_read_b32 v2, v2
	s_waitcnt lgkmcnt(0)
	v_add_f32_e32 v1, v1, v2
	s_cbranch_scc1 .LBB275_44
.LBB275_45:
	v_mov_b32_e32 v2, 0
	ds_write_b32 v2, v1
.LBB275_46:
	s_or_b32 exec_lo, exec_lo, s1
	v_mov_b32_e32 v1, 0
	s_waitcnt lgkmcnt(0)
	s_barrier
	buffer_gl0_inv
	s_add_u32 s20, s8, s2
	ds_read_b32 v9, v1
	s_addc_u32 s21, s9, s3
	s_add_u32 s22, s10, s2
	s_addc_u32 s23, s11, s3
	s_lshr_b64 s[0:1], s[20:21], 1
	s_mov_b32 s27, 0
	s_and_b32 s26, s0, 7
	s_bfe_u32 s0, s22, 0x30001
	s_mov_b32 s1, s27
	s_cmp_eq_u64 s[26:27], s[0:1]
	s_cselect_b32 s0, -1, 0
	s_cmp_eq_u64 s[26:27], s[28:29]
	s_cselect_b32 s1, -1, 0
	s_and_b32 s0, s0, s1
	s_andn2_b32 vcc_lo, exec_lo, s0
	s_mov_b32 s0, -1
	s_cbranch_vccz .LBB275_65
; %bb.47:
	s_and_b32 vcc_lo, exec_lo, s30
	s_cbranch_vccz .LBB275_56
; %bb.48:
	s_lshl_b32 s1, s33, 3
	s_mov_b32 s31, 0
	v_cvt_f32_u32_e32 v1, s1
	s_sub_i32 s4, 0, s1
	s_mov_b32 s7, exec_lo
	v_rcp_iflag_f32_e32 v1, v1
	v_mul_f32_e32 v1, 0x4f7ffffe, v1
	v_cvt_u32_f32_e32 v1, v1
	v_readfirstlane_b32 s0, v1
	v_mov_b32_e32 v1, 0
	s_mul_i32 s4, s4, s0
	v_mov_b32_e32 v3, v1
	s_mul_hi_u32 s4, s0, s4
	v_mov_b32_e32 v2, v0
	s_add_i32 s0, s0, s4
	s_mul_hi_u32 s0, s14, s0
	s_mul_i32 s0, s0, s1
	s_sub_i32 s0, s14, s0
	s_sub_i32 s4, s0, s1
	s_cmp_ge_u32 s0, s1
	s_cselect_b32 s0, s4, s0
	s_sub_i32 s4, s0, s1
	s_cmp_ge_u32 s0, s1
	s_cselect_b32 s0, s4, s0
	s_bfe_i64 s[4:5], s[14:15], 0x200000
	s_sub_u32 s28, s4, s0
	s_subb_u32 s29, s5, 0
	v_cmpx_gt_i64_e64 s[28:29], v[0:1]
	s_cbranch_execz .LBB275_52
; %bb.49:
	v_lshlrev_b64 v[2:3], 1, v[0:1]
	s_lshl_b32 s34, s33, 1
	s_lshl_b32 s35, s33, 4
	s_mov_b32 s36, 0x3fb8aa3b
	s_mov_b32 s37, 0x32a5705f
	v_add_co_u32 v6, vcc_lo, s2, v2
	v_add_co_ci_u32_e64 v7, null, s3, v3, vcc_lo
	v_mov_b32_e32 v3, v1
	v_mov_b32_e32 v2, v0
.LBB275_50:                             ; =>This Inner Loop Header: Depth=1
	v_add_co_u32 v4, vcc_lo, s10, v6
	v_add_co_ci_u32_e64 v5, null, s11, v7, vcc_lo
	v_add_co_u32 v10, vcc_lo, s12, v6
	v_add_co_ci_u32_e64 v11, null, s13, v7, vcc_lo
	global_load_ushort v19, v[4:5], off
	global_load_ushort v1, v[10:11], off
	v_add_co_u32 v4, vcc_lo, v4, s34
	v_add_co_ci_u32_e64 v5, null, 0, v5, vcc_lo
	v_add_co_u32 v10, vcc_lo, v10, s34
	v_add_co_ci_u32_e64 v11, null, 0, v11, vcc_lo
	;; [unrolled: 2-line block ×3, first 2 shown]
	s_clause 0x1
	global_load_ushort v23, v[4:5], off
	global_load_ushort v20, v[12:13], off
	v_add_co_u32 v4, vcc_lo, v12, s34
	v_add_co_ci_u32_e64 v5, null, 0, v13, vcc_lo
	global_load_ushort v14, v[10:11], off
	global_load_ushort v21, v[4:5], off
	v_add_co_u32 v4, vcc_lo, v4, s34
	v_add_co_ci_u32_e64 v5, null, 0, v5, vcc_lo
	global_load_ushort v22, v[4:5], off
	v_add_co_u32 v4, vcc_lo, v4, s34
	v_add_co_ci_u32_e64 v5, null, 0, v5, vcc_lo
	;; [unrolled: 3-line block ×6, first 2 shown]
	v_add_co_u32 v12, vcc_lo, v10, s34
	v_add_co_ci_u32_e64 v13, null, 0, v11, vcc_lo
	v_add_co_u32 v24, vcc_lo, v12, s34
	v_add_co_ci_u32_e64 v25, null, 0, v13, vcc_lo
	v_add_co_u32 v26, vcc_lo, v24, s34
	v_add_co_ci_u32_e64 v27, null, 0, v25, vcc_lo
	v_add_co_u32 v4, vcc_lo, v26, s34
	v_add_co_ci_u32_e64 v5, null, 0, v27, vcc_lo
	s_clause 0x4
	global_load_ushort v8, v[10:11], off
	global_load_ushort v10, v[12:13], off
	;; [unrolled: 1-line block ×5, first 2 shown]
	v_add_co_u32 v4, vcc_lo, s8, v6
	v_add_co_ci_u32_e64 v5, null, s9, v7, vcc_lo
	v_add_co_u32 v2, vcc_lo, v2, s1
	v_add_co_ci_u32_e64 v3, null, 0, v3, vcc_lo
	;; [unrolled: 2-line block ×4, first 2 shown]
	v_cmp_le_i64_e32 vcc_lo, s[28:29], v[2:3]
	v_add_co_u32 v26, s0, v24, s34
	v_add_co_ci_u32_e64 v27, null, 0, v25, s0
	s_or_b32 s31, vcc_lo, s31
	v_add_co_u32 v28, vcc_lo, v26, s34
	v_add_co_ci_u32_e64 v29, null, 0, v27, vcc_lo
	v_add_co_u32 v30, vcc_lo, v28, s34
	v_add_co_ci_u32_e64 v31, null, 0, v29, vcc_lo
	;; [unrolled: 2-line block ×5, first 2 shown]
	s_waitcnt vmcnt(15)
	v_cvt_f32_f16_e32 v38, v19
	v_mul_f32_e32 v39, 0x3fb8aa3b, v38
	v_cmp_ngt_f32_e32 vcc_lo, 0xc2ce8ed0, v38
	v_cmp_nlt_f32_e64 s0, 0x42b17218, v38
	v_fma_mix_f32 v41, v19, s36, -v39 op_sel_hi:[1,0,0]
	v_rndne_f32_e32 v42, v39
	s_waitcnt vmcnt(13)
	v_cvt_f32_f16_e32 v40, v23
	s_waitcnt vmcnt(12)
	v_cvt_f32_f16_e32 v44, v20
	v_fma_mix_f32 v19, v19, s37, v41 op_sel_hi:[1,0,0]
	v_sub_f32_e32 v39, v39, v42
	v_cvt_i32_f32_e32 v41, v42
	v_mul_f32_e32 v43, 0x3fb8aa3b, v40
	v_mul_f32_e32 v46, 0x3fb8aa3b, v44
	v_add_f32_e32 v19, v39, v19
	s_waitcnt vmcnt(10)
	v_cvt_f32_f16_e32 v47, v21
	v_fma_mix_f32 v42, v23, s36, -v43 op_sel_hi:[1,0,0]
	v_rndne_f32_e32 v45, v43
	v_exp_f32_e32 v19, v19
	v_mul_f32_e32 v48, 0x3fb8aa3b, v47
	v_fma_mix_f32 v23, v23, s37, v42 op_sel_hi:[1,0,0]
	v_sub_f32_e32 v39, v43, v45
	v_cvt_i32_f32_e32 v42, v45
	v_fma_mix_f32 v43, v20, s36, -v46 op_sel_hi:[1,0,0]
	v_rndne_f32_e32 v45, v46
	s_waitcnt vmcnt(9)
	v_cvt_f32_f16_e32 v49, v22
	v_add_f32_e32 v23, v39, v23
	v_fma_mix_f32 v20, v20, s37, v43 op_sel_hi:[1,0,0]
	v_sub_f32_e32 v39, v46, v45
	v_cvt_i32_f32_e32 v43, v45
	v_fma_mix_f32 v45, v21, s36, -v48 op_sel_hi:[1,0,0]
	v_rndne_f32_e32 v46, v48
	v_mul_f32_e32 v50, 0x3fb8aa3b, v49
	s_waitcnt vmcnt(8)
	v_cvt_f32_f16_e32 v51, v18
	v_exp_f32_e32 v23, v23
	v_add_f32_e32 v20, v39, v20
	v_fma_mix_f32 v21, v21, s37, v45 op_sel_hi:[1,0,0]
	v_sub_f32_e32 v39, v48, v46
	v_cvt_i32_f32_e32 v45, v46
	v_fma_mix_f32 v46, v22, s36, -v50 op_sel_hi:[1,0,0]
	v_rndne_f32_e32 v48, v50
	v_mul_f32_e32 v52, 0x3fb8aa3b, v51
	s_waitcnt vmcnt(7)
	v_cvt_f32_f16_e32 v53, v17
	v_ldexp_f32 v19, v19, v41
	v_exp_f32_e32 v20, v20
	v_add_f32_e32 v21, v39, v21
	v_fma_mix_f32 v22, v22, s37, v46 op_sel_hi:[1,0,0]
	v_sub_f32_e32 v39, v50, v48
	v_cvt_i32_f32_e32 v41, v48
	v_fma_mix_f32 v46, v18, s36, -v52 op_sel_hi:[1,0,0]
	v_rndne_f32_e32 v48, v52
	v_mul_f32_e32 v50, 0x3fb8aa3b, v53
	s_waitcnt vmcnt(6)
	v_cvt_f32_f16_e32 v54, v16
	v_cndmask_b32_e32 v19, 0, v19, vcc_lo
	v_ldexp_f32 v23, v23, v42
	v_cmp_ngt_f32_e32 vcc_lo, 0xc2ce8ed0, v40
	v_exp_f32_e32 v21, v21
	v_add_f32_e32 v22, v39, v22
	v_fma_mix_f32 v18, v18, s37, v46 op_sel_hi:[1,0,0]
	v_sub_f32_e32 v39, v52, v48
	v_cvt_i32_f32_e32 v42, v48
	v_fma_mix_f32 v46, v17, s36, -v50 op_sel_hi:[1,0,0]
	v_rndne_f32_e32 v48, v50
	v_mul_f32_e32 v52, 0x3fb8aa3b, v54
	v_cndmask_b32_e64 v19, 0x7f800000, v19, s0
	v_cndmask_b32_e32 v23, 0, v23, vcc_lo
	v_cmp_nlt_f32_e32 vcc_lo, 0x42b17218, v40
	v_ldexp_f32 v20, v20, v43
	v_cmp_ngt_f32_e64 s0, 0xc2ce8ed0, v44
	v_exp_f32_e32 v22, v22
	v_add_f32_e32 v18, v39, v18
	v_fma_mix_f32 v17, v17, s37, v46 op_sel_hi:[1,0,0]
	v_sub_f32_e32 v38, v50, v48
	v_fma_mix_f32 v40, v16, s36, -v52 op_sel_hi:[1,0,0]
	v_rndne_f32_e32 v43, v52
	s_waitcnt lgkmcnt(0)
	v_fma_mixlo_f16 v1, -v9, v19, v1 op_sel_hi:[0,0,1]
	v_cndmask_b32_e32 v19, 0x7f800000, v23, vcc_lo
	v_cndmask_b32_e64 v20, 0, v20, s0
	v_cmp_nlt_f32_e32 vcc_lo, 0x42b17218, v44
	v_ldexp_f32 v21, v21, v45
	v_cmp_ngt_f32_e64 s0, 0xc2ce8ed0, v47
	v_exp_f32_e32 v18, v18
	v_add_f32_e32 v17, v38, v17
	v_fma_mix_f32 v16, v16, s37, v40 op_sel_hi:[1,0,0]
	v_sub_f32_e32 v23, v52, v43
	global_store_short v[4:5], v1, off
	v_fma_mixlo_f16 v1, -v9, v19, v14 op_sel_hi:[0,0,1]
	v_cndmask_b32_e32 v4, 0x7f800000, v20, vcc_lo
	v_cndmask_b32_e64 v5, 0, v21, s0
	v_cmp_nlt_f32_e32 vcc_lo, 0x42b17218, v47
	v_ldexp_f32 v14, v22, v41
	v_add_f32_e32 v16, v23, v16
	v_cmp_ngt_f32_e64 s0, 0xc2ce8ed0, v49
	v_exp_f32_e32 v17, v17
	v_cvt_i32_f32_e32 v39, v48
	global_store_short v[24:25], v1, off
	s_waitcnt vmcnt(5)
	v_fma_mixlo_f16 v1, -v9, v4, v15 op_sel_hi:[0,0,1]
	v_exp_f32_e32 v4, v16
	v_cndmask_b32_e32 v5, 0x7f800000, v5, vcc_lo
	v_cndmask_b32_e64 v14, 0, v14, s0
	v_cmp_nlt_f32_e32 vcc_lo, 0x42b17218, v49
	v_ldexp_f32 v15, v18, v42
	v_cmp_ngt_f32_e64 s0, 0xc2ce8ed0, v51
	v_cvt_i32_f32_e32 v38, v43
	global_store_short v[26:27], v1, off
	v_cndmask_b32_e32 v1, 0x7f800000, v14, vcc_lo
	v_ldexp_f32 v14, v17, v39
	v_cndmask_b32_e64 v15, 0, v15, s0
	v_cmp_nlt_f32_e32 vcc_lo, 0x42b17218, v51
	v_cmp_ngt_f32_e64 s0, 0xc2ce8ed0, v53
	v_ldexp_f32 v4, v4, v38
	s_waitcnt vmcnt(4)
	v_fma_mixlo_f16 v5, -v9, v5, v8 op_sel_hi:[0,0,1]
	s_waitcnt vmcnt(3)
	v_fma_mixlo_f16 v1, -v9, v1, v10 op_sel_hi:[0,0,1]
	v_cndmask_b32_e32 v15, 0x7f800000, v15, vcc_lo
	v_cndmask_b32_e64 v14, 0, v14, s0
	v_cmp_ngt_f32_e64 s0, 0xc2ce8ed0, v54
	v_cmp_nlt_f32_e32 vcc_lo, 0x42b17218, v53
	s_waitcnt vmcnt(2)
	v_fma_mixlo_f16 v8, -v9, v15, v11 op_sel_hi:[0,0,1]
	v_cndmask_b32_e64 v4, 0, v4, s0
	v_cndmask_b32_e32 v14, 0x7f800000, v14, vcc_lo
	v_cmp_nlt_f32_e32 vcc_lo, 0x42b17218, v54
	s_waitcnt vmcnt(1)
	v_fma_mixlo_f16 v10, -v9, v14, v12 op_sel_hi:[0,0,1]
	v_cndmask_b32_e32 v4, 0x7f800000, v4, vcc_lo
	s_waitcnt vmcnt(0)
	v_fma_mixlo_f16 v4, -v9, v4, v13 op_sel_hi:[0,0,1]
	global_store_short v[28:29], v5, off
	global_store_short v[30:31], v1, off
	;; [unrolled: 1-line block ×5, first 2 shown]
	s_andn2_b32 exec_lo, exec_lo, s31
	s_cbranch_execnz .LBB275_50
; %bb.51:
	s_or_b32 exec_lo, exec_lo, s31
.LBB275_52:
	s_or_b32 exec_lo, exec_lo, s7
	s_mov_b32 s1, exec_lo
	v_cmpx_gt_i64_e64 s[4:5], v[2:3]
	s_cbranch_execz .LBB275_55
; %bb.53:
	v_lshlrev_b64 v[4:5], 1, v[2:3]
	s_mov_b32 s7, 0
	s_mov_b32 s28, 0x32a5705f
	v_add_co_u32 v1, vcc_lo, s2, v4
	v_add_co_ci_u32_e64 v4, null, s3, v5, vcc_lo
	s_lshl_b32 s2, s33, 1
	s_mov_b32 s3, 0x3fb8aa3b
.LBB275_54:                             ; =>This Inner Loop Header: Depth=1
	v_add_co_u32 v5, vcc_lo, s10, v1
	v_add_co_ci_u32_e64 v6, null, s11, v4, vcc_lo
	v_add_co_u32 v2, s0, v2, s33
	v_add_co_ci_u32_e64 v3, null, 0, v3, s0
	global_load_ushort v7, v[5:6], off
	v_add_co_u32 v5, vcc_lo, s12, v1
	v_add_co_ci_u32_e64 v6, null, s13, v4, vcc_lo
	global_load_ushort v8, v[5:6], off
	s_waitcnt vmcnt(1)
	v_cvt_f32_f16_e32 v10, v7
	v_mul_f32_e32 v5, 0x3fb8aa3b, v10
	v_cmp_ngt_f32_e64 s0, 0xc2ce8ed0, v10
	v_fma_mix_f32 v6, v7, s3, -v5 op_sel_hi:[1,0,0]
	v_rndne_f32_e32 v11, v5
	v_fma_mix_f32 v6, v7, s28, v6 op_sel_hi:[1,0,0]
	v_sub_f32_e32 v5, v5, v11
	v_cvt_i32_f32_e32 v7, v11
	v_add_f32_e32 v5, v5, v6
	v_exp_f32_e32 v6, v5
	v_add_co_u32 v5, vcc_lo, s8, v1
	v_ldexp_f32 v6, v6, v7
	v_cndmask_b32_e64 v7, 0, v6, s0
	v_add_co_ci_u32_e64 v6, null, s9, v4, vcc_lo
	v_cmp_nlt_f32_e32 vcc_lo, 0x42b17218, v10
	v_add_co_u32 v1, s0, v1, s2
	v_add_co_ci_u32_e64 v4, null, 0, v4, s0
	v_cndmask_b32_e32 v7, 0x7f800000, v7, vcc_lo
	v_cmp_le_i64_e32 vcc_lo, s[4:5], v[2:3]
	s_waitcnt vmcnt(0) lgkmcnt(0)
	v_fma_mixlo_f16 v7, -v9, v7, v8 op_sel_hi:[0,0,1]
	s_or_b32 s7, vcc_lo, s7
	global_store_short v[5:6], v7, off
	s_andn2_b32 exec_lo, exec_lo, s7
	s_cbranch_execnz .LBB275_54
.LBB275_55:
	s_or_b32 exec_lo, exec_lo, s1
	s_mov_b32 s0, 0
.LBB275_56:
	s_and_b32 vcc_lo, exec_lo, s0
	s_cbranch_vccz .LBB275_91
; %bb.57:
	s_lshl_b32 s0, s33, 3
	s_mov_b32 s10, 0
	v_cvt_f32_u32_e32 v1, s0
	s_sub_i32 s2, 0, s0
	s_mov_b32 s8, exec_lo
	v_rcp_iflag_f32_e32 v1, v1
	v_mul_f32_e32 v1, 0x4f7ffffe, v1
	v_cvt_u32_f32_e32 v1, v1
	v_readfirstlane_b32 s1, v1
	v_mov_b32_e32 v1, v0
	s_mul_i32 s2, s2, s1
	s_mul_hi_u32 s2, s1, s2
	s_add_i32 s1, s1, s2
	s_mul_hi_u32 s1, s14, s1
	s_mul_i32 s1, s1, s0
	s_sub_i32 s1, s14, s1
	s_sub_i32 s2, s1, s0
	s_cmp_ge_u32 s1, s0
	s_cselect_b32 s1, s2, s1
	s_sub_i32 s2, s1, s0
	s_cmp_ge_u32 s1, s0
	s_cselect_b32 s0, s2, s1
	s_sub_i32 s9, s14, s0
	v_cmpx_gt_i32_e64 s9, v0
	s_cbranch_execz .LBB275_61
; %bb.58:
	s_add_i32 s35, s33, s33
	v_mov_b32_e32 v2, 0
	v_mov_b32_e32 v1, v0
	s_add_i32 s0, s35, s33
	s_lshl_b32 s11, s33, 1
	s_mul_i32 s12, s33, 3
	s_lshl_b32 s13, s33, 2
	s_mul_i32 s28, s33, 5
	s_mul_i32 s29, s33, 6
	;; [unrolled: 1-line block ×3, first 2 shown]
	s_mov_b32 s34, 0x3fb8aa3b
	s_mov_b32 s36, 0x32a5705f
	s_add_i32 s37, s35, s0
.LBB275_59:                             ; =>This Inner Loop Header: Depth=1
	v_lshlrev_b64 v[3:4], 1, v[1:2]
	v_add_nc_u32_e32 v5, s33, v1
	v_mov_b32_e32 v6, v2
	v_add_nc_u32_e32 v7, s11, v1
	v_mov_b32_e32 v8, v2
	;; [unrolled: 2-line block ×3, first 2 shown]
	v_lshlrev_b64 v[18:19], 1, v[5:6]
	v_add_co_u32 v6, vcc_lo, s22, v3
	v_add_nc_u32_e32 v12, s13, v1
	v_mov_b32_e32 v13, v2
	v_lshlrev_b64 v[20:21], 1, v[7:8]
	v_add_co_ci_u32_e64 v7, null, s23, v4, vcc_lo
	v_add_nc_u32_e32 v14, s28, v1
	v_mov_b32_e32 v15, v2
	v_lshlrev_b64 v[22:23], 1, v[10:11]
	v_add_nc_u32_e32 v16, s29, v1
	v_mov_b32_e32 v17, v2
	v_lshlrev_b64 v[24:25], 1, v[12:13]
	global_load_ushort v40, v[6:7], off
	v_add_co_u32 v6, vcc_lo, s22, v18
	v_add_nc_u32_e32 v1, s31, v1
	v_lshlrev_b64 v[26:27], 1, v[14:15]
	v_add_co_ci_u32_e64 v7, null, s23, v19, vcc_lo
	v_add_co_u32 v10, vcc_lo, s22, v20
	v_lshlrev_b64 v[28:29], 1, v[16:17]
	v_add_co_ci_u32_e64 v11, null, s23, v21, vcc_lo
	v_add_co_u32 v12, vcc_lo, s22, v22
	;; [unrolled: 3-line block ×3, first 2 shown]
	v_add_co_ci_u32_e64 v15, null, s23, v25, vcc_lo
	v_add_co_u32 v16, vcc_lo, s22, v26
	v_add_co_ci_u32_e64 v17, null, s23, v27, vcc_lo
	v_add_co_u32 v32, vcc_lo, s22, v28
	;; [unrolled: 2-line block ×3, first 2 shown]
	v_add_co_ci_u32_e64 v35, null, s23, v31, vcc_lo
	s_clause 0x6
	global_load_ushort v41, v[6:7], off
	global_load_ushort v42, v[10:11], off
	;; [unrolled: 1-line block ×7, first 2 shown]
	v_add_co_u32 v6, vcc_lo, s16, v3
	v_add_co_ci_u32_e64 v7, null, s17, v4, vcc_lo
	v_add_co_u32 v17, s0, s20, v18
	v_add3_u32 v1, s35, s37, v5
	global_load_ushort v6, v[6:7], off
	v_add_co_u32 v7, vcc_lo, s16, v18
	v_add_co_ci_u32_e64 v8, null, s17, v19, vcc_lo
	v_add_co_u32 v10, vcc_lo, s16, v20
	v_add_co_ci_u32_e64 v11, null, s17, v21, vcc_lo
	;; [unrolled: 2-line block ×7, first 2 shown]
	s_clause 0x6
	global_load_ushort v7, v[7:8], off
	global_load_ushort v8, v[10:11], off
	;; [unrolled: 1-line block ×7, first 2 shown]
	v_add_co_ci_u32_e64 v18, null, s21, v19, s0
	v_add_co_u32 v19, s0, s20, v20
	v_add_co_ci_u32_e64 v20, null, s21, v21, s0
	v_add_co_u32 v21, s0, s20, v22
	;; [unrolled: 2-line block ×6, first 2 shown]
	v_add_co_ci_u32_e64 v30, null, s21, v31, s0
	v_add_co_u32 v3, vcc_lo, s20, v3
	v_add_co_ci_u32_e64 v4, null, s21, v4, vcc_lo
	v_cmp_le_i32_e32 vcc_lo, s9, v1
	s_or_b32 s10, vcc_lo, s10
	s_waitcnt vmcnt(15)
	v_cvt_f32_f16_e32 v5, v40
	v_mul_f32_e32 v31, 0x3fb8aa3b, v5
	v_cmp_ngt_f32_e32 vcc_lo, 0xc2ce8ed0, v5
	v_cmp_nlt_f32_e64 s7, 0x42b17218, v5
	v_fma_mix_f32 v39, v40, s34, -v31 op_sel_hi:[1,0,0]
	v_rndne_f32_e32 v46, v31
	v_fma_mix_f32 v39, v40, s36, v39 op_sel_hi:[1,0,0]
	v_sub_f32_e32 v31, v31, v46
	v_cvt_i32_f32_e32 v40, v46
	v_add_f32_e32 v31, v31, v39
	v_exp_f32_e32 v31, v31
	s_waitcnt vmcnt(14)
	v_cvt_f32_f16_e32 v32, v41
	s_waitcnt vmcnt(13)
	v_cvt_f32_f16_e32 v33, v42
	;; [unrolled: 2-line block ×5, first 2 shown]
	v_mul_f32_e32 v47, 0x3fb8aa3b, v32
	s_waitcnt vmcnt(9)
	v_cvt_f32_f16_e32 v37, v15
	s_waitcnt vmcnt(8)
	v_cvt_f32_f16_e32 v38, v16
	v_mul_f32_e32 v48, 0x3fb8aa3b, v33
	v_mul_f32_e32 v49, 0x3fb8aa3b, v34
	;; [unrolled: 1-line block ×4, first 2 shown]
	v_fma_mix_f32 v46, v41, s34, -v47 op_sel_hi:[1,0,0]
	v_mul_f32_e32 v52, 0x3fb8aa3b, v37
	v_mul_f32_e32 v53, 0x3fb8aa3b, v38
	v_rndne_f32_e32 v54, v47
	v_fma_mix_f32 v55, v42, s34, -v48 op_sel_hi:[1,0,0]
	v_fma_mix_f32 v57, v43, s34, -v49 op_sel_hi:[1,0,0]
	;; [unrolled: 1-line block ×4, first 2 shown]
	v_rndne_f32_e32 v56, v48
	v_rndne_f32_e32 v58, v49
	;; [unrolled: 1-line block ×3, first 2 shown]
	v_fma_mix_f32 v41, v41, s36, v46 op_sel_hi:[1,0,0]
	v_rndne_f32_e32 v46, v51
	v_fma_mix_f32 v42, v42, s36, v55 op_sel_hi:[1,0,0]
	v_fma_mix_f32 v55, v15, s34, -v52 op_sel_hi:[1,0,0]
	v_fma_mix_f32 v43, v43, s36, v57 op_sel_hi:[1,0,0]
	v_rndne_f32_e32 v57, v52
	v_fma_mix_f32 v44, v44, s36, v59 op_sel_hi:[1,0,0]
	v_fma_mix_f32 v59, v16, s34, -v53 op_sel_hi:[1,0,0]
	v_fma_mix_f32 v39, v45, s36, v39 op_sel_hi:[1,0,0]
	v_rndne_f32_e32 v45, v53
	v_sub_f32_e32 v47, v47, v54
	v_sub_f32_e32 v48, v48, v56
	;; [unrolled: 1-line block ×5, first 2 shown]
	v_fma_mix_f32 v15, v15, s36, v55 op_sel_hi:[1,0,0]
	v_sub_f32_e32 v52, v52, v57
	v_fma_mix_f32 v16, v16, s36, v59 op_sel_hi:[1,0,0]
	v_sub_f32_e32 v53, v53, v45
	v_add_f32_e32 v41, v47, v41
	v_add_f32_e32 v42, v48, v42
	;; [unrolled: 1-line block ×7, first 2 shown]
	v_exp_f32_e32 v41, v41
	v_exp_f32_e32 v42, v42
	;; [unrolled: 1-line block ×5, first 2 shown]
	v_cvt_i32_f32_e32 v54, v54
	v_exp_f32_e32 v15, v15
	v_exp_f32_e32 v16, v16
	v_ldexp_f32 v31, v31, v40
	v_cvt_i32_f32_e32 v56, v56
	v_cvt_i32_f32_e32 v58, v58
	;; [unrolled: 1-line block ×6, first 2 shown]
	v_cndmask_b32_e32 v31, 0, v31, vcc_lo
	v_ldexp_f32 v40, v41, v54
	v_cmp_ngt_f32_e32 vcc_lo, 0xc2ce8ed0, v32
	v_ldexp_f32 v41, v42, v56
	v_cmp_ngt_f32_e64 s0, 0xc2ce8ed0, v33
	v_ldexp_f32 v42, v43, v58
	v_cmp_ngt_f32_e64 s1, 0xc2ce8ed0, v34
	;; [unrolled: 2-line block ×6, first 2 shown]
	v_cndmask_b32_e64 v5, 0x7f800000, v31, s7
	v_cndmask_b32_e32 v31, 0, v40, vcc_lo
	v_cmp_nlt_f32_e32 vcc_lo, 0x42b17218, v32
	v_cndmask_b32_e64 v32, 0, v41, s0
	v_cmp_nlt_f32_e64 s0, 0x42b17218, v33
	v_cndmask_b32_e64 v33, 0, v42, s1
	v_cmp_nlt_f32_e64 s1, 0x42b17218, v34
	;; [unrolled: 2-line block ×6, first 2 shown]
	s_waitcnt vmcnt(7) lgkmcnt(0)
	v_fma_mixlo_f16 v5, -v9, v5, v6 op_sel_hi:[0,0,1]
	v_cndmask_b32_e32 v6, 0x7f800000, v31, vcc_lo
	v_cndmask_b32_e64 v31, 0x7f800000, v32, s0
	v_cndmask_b32_e64 v32, 0x7f800000, v33, s1
	;; [unrolled: 1-line block ×6, first 2 shown]
	global_store_short v[3:4], v5, off
	s_waitcnt vmcnt(6)
	v_fma_mixlo_f16 v3, -v9, v6, v7 op_sel_hi:[0,0,1]
	s_waitcnt vmcnt(5)
	v_fma_mixlo_f16 v4, -v9, v31, v8 op_sel_hi:[0,0,1]
	;; [unrolled: 2-line block ×7, first 2 shown]
	global_store_short v[17:18], v3, off
	global_store_short v[19:20], v4, off
	;; [unrolled: 1-line block ×7, first 2 shown]
	s_andn2_b32 exec_lo, exec_lo, s10
	s_cbranch_execnz .LBB275_59
; %bb.60:
	s_or_b32 exec_lo, exec_lo, s10
.LBB275_61:
	s_or_b32 exec_lo, exec_lo, s8
	s_mov_b32 s1, exec_lo
	v_cmpx_gt_i32_e64 s14, v1
	s_cbranch_execz .LBB275_64
; %bb.62:
	s_mov_b32 s2, 0
	s_mov_b32 s3, 0x3fb8aa3b
	;; [unrolled: 1-line block ×3, first 2 shown]
.LBB275_63:                             ; =>This Inner Loop Header: Depth=1
	v_ashrrev_i32_e32 v2, 31, v1
	v_lshlrev_b64 v[2:3], 1, v[1:2]
	v_add_nc_u32_e32 v1, s33, v1
	v_add_co_u32 v4, vcc_lo, s22, v2
	v_add_co_ci_u32_e64 v5, null, s23, v3, vcc_lo
	global_load_ushort v6, v[4:5], off
	v_add_co_u32 v4, vcc_lo, s16, v2
	v_add_co_ci_u32_e64 v5, null, s17, v3, vcc_lo
	v_add_co_u32 v2, s0, s20, v2
	v_add_co_ci_u32_e64 v3, null, s21, v3, s0
	global_load_ushort v4, v[4:5], off
	s_waitcnt vmcnt(1)
	v_cvt_f32_f16_e32 v5, v6
	v_mul_f32_e32 v7, 0x3fb8aa3b, v5
	v_cmp_ngt_f32_e32 vcc_lo, 0xc2ce8ed0, v5
	v_fma_mix_f32 v8, v6, s3, -v7 op_sel_hi:[1,0,0]
	v_rndne_f32_e32 v10, v7
	v_fma_mix_f32 v6, v6, s4, v8 op_sel_hi:[1,0,0]
	v_sub_f32_e32 v7, v7, v10
	v_add_f32_e32 v6, v7, v6
	v_cvt_i32_f32_e32 v7, v10
	v_exp_f32_e32 v6, v6
	v_ldexp_f32 v6, v6, v7
	v_cndmask_b32_e32 v6, 0, v6, vcc_lo
	v_cmp_nlt_f32_e32 vcc_lo, 0x42b17218, v5
	v_cndmask_b32_e32 v5, 0x7f800000, v6, vcc_lo
	v_cmp_le_i32_e32 vcc_lo, s14, v1
	s_waitcnt vmcnt(0) lgkmcnt(0)
	v_fma_mixlo_f16 v4, -v9, v5, v4 op_sel_hi:[0,0,1]
	s_or_b32 s2, vcc_lo, s2
	global_store_short v[2:3], v4, off
	s_andn2_b32 exec_lo, exec_lo, s2
	s_cbranch_execnz .LBB275_63
.LBB275_64:
	s_or_b32 exec_lo, exec_lo, s1
	s_mov_b32 s0, 0
.LBB275_65:
	s_andn2_b32 vcc_lo, exec_lo, s0
	s_cbranch_vccnz .LBB275_92
.LBB275_66:
	s_cmp_lg_u64 s[26:27], 0
	s_mov_b32 s1, -1
	s_cselect_b32 s38, -1, 0
	s_and_b32 vcc_lo, exec_lo, s30
	v_cndmask_b32_e64 v1, 0, 1, s38
	v_cmp_ne_u32_e64 s0, 1, v1
	s_cbranch_vccz .LBB275_80
; %bb.67:
	v_mov_b32_e32 v1, 0
	s_and_b32 vcc_lo, exec_lo, s0
	s_mov_b64 s[8:9], s[20:21]
	s_mov_b64 s[10:11], s[22:23]
	;; [unrolled: 1-line block ×3, first 2 shown]
	s_cbranch_vccnz .LBB275_71
; %bb.68:
	s_lshl_b32 s2, s26, 1
	s_mov_b32 s7, exec_lo
	s_sub_u32 s0, s20, s2
	s_subb_u32 s1, s21, 0
	s_sub_u32 s4, s22, s2
	s_subb_u32 s5, s23, 0
	;; [unrolled: 2-line block ×3, first 2 shown]
	v_cmpx_le_u64_e64 s[26:27], v[0:1]
	s_cbranch_execz .LBB275_70
; %bb.69:
	v_lshlrev_b64 v[2:3], 1, v[0:1]
	s_mov_b32 s8, 0x3fb8aa3b
	v_add_co_u32 v4, vcc_lo, s4, v2
	v_add_co_ci_u32_e64 v5, null, s5, v3, vcc_lo
	global_load_ushort v6, v[4:5], off
	v_add_co_u32 v4, vcc_lo, s2, v2
	v_add_co_ci_u32_e64 v5, null, s3, v3, vcc_lo
	global_load_ushort v4, v[4:5], off
	s_waitcnt vmcnt(1)
	v_cvt_f32_f16_e32 v5, v6
	v_mul_f32_e32 v7, 0x3fb8aa3b, v5
	v_cmp_ngt_f32_e32 vcc_lo, 0xc2ce8ed0, v5
	v_fma_mix_f32 v8, v6, s8, -v7 op_sel_hi:[1,0,0]
	v_rndne_f32_e32 v10, v7
	s_mov_b32 s8, 0x32a5705f
	v_fma_mix_f32 v6, v6, s8, v8 op_sel_hi:[1,0,0]
	v_sub_f32_e32 v7, v7, v10
	v_add_f32_e32 v6, v7, v6
	v_cvt_i32_f32_e32 v7, v10
	v_exp_f32_e32 v6, v6
	v_ldexp_f32 v6, v6, v7
	v_cndmask_b32_e32 v6, 0, v6, vcc_lo
	v_cmp_nlt_f32_e32 vcc_lo, 0x42b17218, v5
	v_cndmask_b32_e32 v5, 0x7f800000, v6, vcc_lo
	v_add_co_u32 v2, vcc_lo, s0, v2
	v_add_co_ci_u32_e64 v3, null, s1, v3, vcc_lo
	s_waitcnt vmcnt(0) lgkmcnt(0)
	v_fma_mixlo_f16 v4, -v9, v5, v4 op_sel_hi:[0,0,1]
	global_store_short v[2:3], v4, off
.LBB275_70:
	s_or_b32 exec_lo, exec_lo, s7
	s_add_u32 s7, s26, s14
	s_addc_u32 s8, 0, s15
	s_sub_u32 s18, s7, s33
	s_subb_u32 s19, s8, 0
	s_lshl_b32 s7, s33, 1
	s_add_u32 s8, s0, s7
	s_addc_u32 s9, s1, 0
	s_add_u32 s10, s4, s7
	s_addc_u32 s11, s5, 0
	;; [unrolled: 2-line block ×3, first 2 shown]
.LBB275_71:
	s_load_dword s0, s[24:25], 0x0
	v_mov_b32_e32 v2, 0
	s_waitcnt lgkmcnt(0)
	s_cmp_lt_u32 s6, s0
	s_cselect_b32 s0, 12, 18
	s_add_u32 s0, s24, s0
	s_addc_u32 s1, s25, 0
	global_load_ushort v2, v2, s[0:1]
	s_mov_b32 s0, 0
	s_waitcnt vmcnt(0)
	v_readfirstlane_b32 s1, v2
	s_and_b32 s15, s1, 0xffff
	s_mov_b32 s1, s19
	s_lshl_b32 s4, s15, 3
	s_cmp_lg_u64 s[0:1], 0
	s_cbranch_scc0 .LBB275_93
; %bb.72:
	v_cvt_f32_u32_e32 v2, s4
	s_sub_u32 s3, 0, s4
	s_subb_u32 s5, 0, 0
	v_fmamk_f32 v2, 0, 0x4f800000, v2
	v_rcp_f32_e32 v2, v2
	v_mul_f32_e32 v2, 0x5f7ffffc, v2
	v_mul_f32_e32 v3, 0x2f800000, v2
	v_trunc_f32_e32 v3, v3
	v_fmamk_f32 v2, v3, 0xcf800000, v2
	v_cvt_u32_f32_e32 v3, v3
	v_cvt_u32_f32_e32 v2, v2
	v_readfirstlane_b32 s1, v3
	v_readfirstlane_b32 s2, v2
	s_mul_i32 s7, s3, s1
	s_mul_hi_u32 s28, s3, s2
	s_mul_i32 s27, s5, s2
	s_add_i32 s7, s28, s7
	s_mul_i32 s29, s3, s2
	s_add_i32 s7, s7, s27
	s_mul_hi_u32 s28, s2, s29
	s_mul_i32 s31, s2, s7
	s_mul_hi_u32 s30, s1, s29
	s_mul_i32 s27, s1, s29
	s_mul_hi_u32 s29, s2, s7
	s_add_u32 s28, s28, s31
	s_addc_u32 s29, 0, s29
	s_mul_hi_u32 s34, s1, s7
	s_add_u32 s27, s28, s27
	s_mul_i32 s7, s1, s7
	s_addc_u32 s27, s29, s30
	s_addc_u32 s28, s34, 0
	s_add_u32 s7, s27, s7
	s_addc_u32 s27, 0, s28
	s_add_u32 s2, s2, s7
	s_cselect_b32 s7, -1, 0
	s_mul_hi_u32 s28, s3, s2
	s_cmp_lg_u32 s7, 0
	s_mul_i32 s7, s3, s2
	s_addc_u32 s1, s1, s27
	s_mul_i32 s5, s5, s2
	s_mul_i32 s3, s3, s1
	s_mul_hi_u32 s27, s2, s7
	s_add_i32 s3, s28, s3
	s_mul_hi_u32 s28, s1, s7
	s_add_i32 s3, s3, s5
	s_mul_i32 s5, s1, s7
	s_mul_i32 s30, s2, s3
	s_mul_hi_u32 s29, s2, s3
	s_add_u32 s27, s27, s30
	s_addc_u32 s29, 0, s29
	s_mul_hi_u32 s7, s1, s3
	s_add_u32 s5, s27, s5
	s_mul_i32 s3, s1, s3
	s_addc_u32 s5, s29, s28
	s_addc_u32 s7, s7, 0
	s_add_u32 s3, s5, s3
	s_addc_u32 s5, 0, s7
	s_add_u32 s2, s2, s3
	s_cselect_b32 s3, -1, 0
	s_mul_hi_u32 s7, s18, s2
	s_cmp_lg_u32 s3, 0
	s_mul_hi_u32 s3, s19, s2
	s_addc_u32 s1, s1, s5
	s_mul_i32 s2, s19, s2
	s_mul_i32 s27, s18, s1
	s_mul_hi_u32 s5, s18, s1
	s_add_u32 s7, s7, s27
	s_addc_u32 s5, 0, s5
	s_mul_hi_u32 s28, s19, s1
	s_add_u32 s2, s7, s2
	s_mul_i32 s1, s19, s1
	s_addc_u32 s2, s5, s3
	s_addc_u32 s3, s28, 0
	s_add_u32 s1, s2, s1
	s_addc_u32 s2, 0, s3
	s_mul_hi_u32 s3, s4, s1
	s_mul_i32 s2, s4, s2
	s_mul_i32 s1, s4, s1
	s_add_i32 s3, s3, s2
	s_sub_u32 s1, s18, s1
	s_cselect_b32 s2, -1, 0
	s_cmp_lg_u32 s2, 0
	s_subb_u32 s2, s19, s3
	s_sub_u32 s3, s1, s4
	s_cselect_b32 s5, -1, 0
	s_cmp_lg_u32 s5, 0
	s_subb_u32 s5, s2, 0
	;; [unrolled: 4-line block ×3, first 2 shown]
	s_cmp_ge_u32 s3, s4
	s_cselect_b32 s28, -1, 0
	s_cmp_eq_u32 s5, 0
	s_cselect_b32 s28, s28, -1
	s_cmp_lg_u32 s28, 0
	s_cselect_b32 s5, s27, s5
	s_cselect_b32 s7, s7, s3
	s_cmp_ge_u32 s1, s4
	s_cselect_b32 s3, -1, 0
	s_cmp_eq_u32 s2, 0
	s_cselect_b32 s3, s3, -1
	s_cmp_lg_u32 s3, 0
	s_cselect_b32 s3, s5, s2
	s_cselect_b32 s2, s7, s1
	s_andn2_b32 vcc_lo, exec_lo, s0
	s_cbranch_vccnz .LBB275_74
.LBB275_73:
	v_cvt_f32_u32_e32 v2, s4
	s_sub_i32 s1, 0, s4
	s_mov_b32 s3, 0
	v_rcp_iflag_f32_e32 v2, v2
	v_mul_f32_e32 v2, 0x4f7ffffe, v2
	v_cvt_u32_f32_e32 v2, v2
	v_readfirstlane_b32 s0, v2
	s_mul_i32 s1, s1, s0
	s_mul_hi_u32 s1, s0, s1
	s_add_i32 s0, s0, s1
	s_mul_hi_u32 s0, s18, s0
	s_mul_i32 s0, s0, s4
	s_sub_i32 s0, s18, s0
	s_sub_i32 s1, s0, s4
	s_cmp_ge_u32 s0, s4
	s_cselect_b32 s0, s1, s0
	s_sub_i32 s1, s0, s4
	s_cmp_ge_u32 s0, s4
	s_cselect_b32 s2, s1, s0
.LBB275_74:
	v_lshlrev_b64 v[5:6], 4, v[0:1]
	v_mov_b32_e32 v8, v1
	v_mov_b32_e32 v7, v0
	s_sub_u32 s28, s18, s2
	s_subb_u32 s29, s19, s3
	s_lshl_b32 s39, s15, 4
	s_mov_b32 s27, 0
	s_mov_b32 s40, 0x3fb8aa3b
	;; [unrolled: 1-line block ×3, first 2 shown]
	s_mov_b64 s[30:31], s[12:13]
	s_mov_b64 s[34:35], s[10:11]
	;; [unrolled: 1-line block ×3, first 2 shown]
.LBB275_75:                             ; =>This Inner Loop Header: Depth=1
	v_add_co_u32 v1, vcc_lo, s34, v5
	v_add_co_ci_u32_e64 v2, null, s35, v6, vcc_lo
	global_load_dwordx4 v[10:13], v[1:2], off
	v_add_co_u32 v1, vcc_lo, s30, v5
	v_add_co_ci_u32_e64 v2, null, s31, v6, vcc_lo
	v_add_co_u32 v14, vcc_lo, s36, v5
	v_add_co_ci_u32_e64 v15, null, s37, v6, vcc_lo
	global_load_dwordx4 v[1:4], v[1:2], off
	v_add_co_u32 v7, vcc_lo, v7, s15
	v_add_co_ci_u32_e64 v8, null, 0, v8, vcc_lo
	s_add_u32 s36, s36, s39
	s_addc_u32 s37, s37, 0
	s_add_u32 s34, s34, s39
	v_lshlrev_b64 v[16:17], 3, v[7:8]
	s_addc_u32 s35, s35, 0
	s_add_u32 s30, s30, s39
	s_addc_u32 s31, s31, 0
	s_waitcnt vmcnt(1)
	v_cvt_f32_f16_e32 v18, v10
	v_cvt_f32_f16_sdwa v19, v10 dst_sel:DWORD dst_unused:UNUSED_PAD src0_sel:WORD_1
	v_cvt_f32_f16_e32 v20, v11
	v_cvt_f32_f16_sdwa v21, v11 dst_sel:DWORD dst_unused:UNUSED_PAD src0_sel:WORD_1
	v_cvt_f32_f16_e32 v22, v12
	v_cvt_f32_f16_e32 v24, v13
	v_cvt_f32_f16_sdwa v23, v12 dst_sel:DWORD dst_unused:UNUSED_PAD src0_sel:WORD_1
	v_cvt_f32_f16_sdwa v25, v13 dst_sel:DWORD dst_unused:UNUSED_PAD src0_sel:WORD_1
	v_mul_f32_e32 v26, 0x3fb8aa3b, v18
	v_mul_f32_e32 v27, 0x3fb8aa3b, v19
	v_mul_f32_e32 v28, 0x3fb8aa3b, v20
	v_mul_f32_e32 v29, 0x3fb8aa3b, v21
	v_mul_f32_e32 v30, 0x3fb8aa3b, v22
	v_mul_f32_e32 v32, 0x3fb8aa3b, v24
	v_mul_f32_e32 v31, 0x3fb8aa3b, v23
	v_mul_f32_e32 v33, 0x3fb8aa3b, v25
	v_fma_mix_f32 v34, v10, s40, -v26 op_sel_hi:[1,0,0]
	v_rndne_f32_e32 v35, v26
	v_fma_mix_f32 v36, v10, s40, -v27 op_sel:[1,0,0] op_sel_hi:[1,0,0]
	v_rndne_f32_e32 v37, v27
	v_fma_mix_f32 v38, v11, s40, -v28 op_sel_hi:[1,0,0]
	v_rndne_f32_e32 v39, v28
	v_fma_mix_f32 v40, v11, s40, -v29 op_sel:[1,0,0] op_sel_hi:[1,0,0]
	v_rndne_f32_e32 v41, v29
	v_fma_mix_f32 v42, v12, s40, -v30 op_sel_hi:[1,0,0]
	v_rndne_f32_e32 v43, v30
	v_fma_mix_f32 v46, v13, s40, -v32 op_sel_hi:[1,0,0]
	v_rndne_f32_e32 v47, v32
	v_fma_mix_f32 v44, v12, s40, -v31 op_sel:[1,0,0] op_sel_hi:[1,0,0]
	v_rndne_f32_e32 v45, v31
	v_fma_mix_f32 v48, v13, s40, -v33 op_sel:[1,0,0] op_sel_hi:[1,0,0]
	v_rndne_f32_e32 v49, v33
	v_fma_mix_f32 v34, v10, s41, v34 op_sel_hi:[1,0,0]
	v_sub_f32_e32 v26, v26, v35
	v_fma_mix_f32 v10, v10, s41, v36 op_sel:[1,0,0] op_sel_hi:[1,0,0]
	v_sub_f32_e32 v27, v27, v37
	v_cvt_i32_f32_e32 v36, v37
	v_fma_mix_f32 v37, v11, s41, v38 op_sel_hi:[1,0,0]
	v_sub_f32_e32 v28, v28, v39
	v_cvt_i32_f32_e32 v38, v39
	v_fma_mix_f32 v11, v11, s41, v40 op_sel:[1,0,0] op_sel_hi:[1,0,0]
	v_sub_f32_e32 v29, v29, v41
	v_cvt_i32_f32_e32 v39, v41
	v_fma_mix_f32 v40, v12, s41, v42 op_sel_hi:[1,0,0]
	v_sub_f32_e32 v30, v30, v43
	v_cvt_i32_f32_e32 v41, v43
	v_fma_mix_f32 v43, v13, s41, v46 op_sel_hi:[1,0,0]
	v_sub_f32_e32 v32, v32, v47
	v_fma_mix_f32 v12, v12, s41, v44 op_sel:[1,0,0] op_sel_hi:[1,0,0]
	v_sub_f32_e32 v31, v31, v45
	v_fma_mix_f32 v13, v13, s41, v48 op_sel:[1,0,0] op_sel_hi:[1,0,0]
	v_sub_f32_e32 v33, v33, v49
	v_add_f32_e32 v26, v26, v34
	v_add_f32_e32 v10, v27, v10
	;; [unrolled: 1-line block ×8, first 2 shown]
	v_exp_f32_e32 v26, v26
	v_exp_f32_e32 v10, v10
	;; [unrolled: 1-line block ×6, first 2 shown]
	v_cvt_i32_f32_e32 v35, v35
	v_cvt_i32_f32_e32 v44, v47
	v_exp_f32_e32 v12, v12
	v_exp_f32_e32 v13, v13
	v_cvt_i32_f32_e32 v42, v45
	v_cvt_i32_f32_e32 v45, v49
	v_ldexp_f32 v26, v26, v35
	v_ldexp_f32 v10, v10, v36
	v_cmp_ngt_f32_e32 vcc_lo, 0xc2ce8ed0, v19
	v_ldexp_f32 v27, v27, v38
	v_cmp_ngt_f32_e64 s0, 0xc2ce8ed0, v20
	v_ldexp_f32 v11, v11, v39
	v_cmp_ngt_f32_e64 s1, 0xc2ce8ed0, v21
	v_ldexp_f32 v28, v28, v41
	v_cmp_ngt_f32_e64 s2, 0xc2ce8ed0, v22
	v_ldexp_f32 v29, v29, v44
	v_cmp_ngt_f32_e64 s4, 0xc2ce8ed0, v24
	v_cmp_ngt_f32_e64 s7, 0xc2ce8ed0, v18
	v_ldexp_f32 v12, v12, v42
	v_cmp_ngt_f32_e64 s3, 0xc2ce8ed0, v23
	v_ldexp_f32 v13, v13, v45
	v_cmp_ngt_f32_e64 s5, 0xc2ce8ed0, v25
	v_cndmask_b32_e64 v26, 0, v26, s7
	v_cndmask_b32_e32 v10, 0, v10, vcc_lo
	v_cmp_nlt_f32_e32 vcc_lo, 0x42b17218, v19
	v_cndmask_b32_e64 v19, 0, v27, s0
	v_cmp_nlt_f32_e64 s0, 0x42b17218, v20
	v_cndmask_b32_e64 v11, 0, v11, s1
	v_cmp_nlt_f32_e64 s1, 0x42b17218, v21
	;; [unrolled: 2-line block ×4, first 2 shown]
	v_cmp_nlt_f32_e64 s7, 0x42b17218, v18
	v_cndmask_b32_e64 v12, 0, v12, s3
	v_cmp_nlt_f32_e64 s3, 0x42b17218, v23
	v_cndmask_b32_e64 v13, 0, v13, s5
	v_cmp_nlt_f32_e64 s5, 0x42b17218, v25
	v_cndmask_b32_e64 v18, 0x7f800000, v26, s7
	v_cndmask_b32_e32 v22, 0x7f800000, v10, vcc_lo
	v_cndmask_b32_e64 v10, 0x7f800000, v19, s0
	v_cndmask_b32_e64 v19, 0x7f800000, v21, s4
	;; [unrolled: 1-line block ×6, first 2 shown]
	s_waitcnt vmcnt(0)
	v_fma_mixlo_f16 v13, -v9, v19, v4 op_sel_hi:[0,0,1]
	v_fma_mixlo_f16 v12, -v9, v20, v3 op_sel_hi:[0,0,1]
	;; [unrolled: 1-line block ×4, first 2 shown]
	v_cmp_le_i64_e32 vcc_lo, s[28:29], v[16:17]
	v_fma_mixhi_f16 v13, -v9, v24, v4 op_sel:[0,0,1] op_sel_hi:[0,0,1]
	v_fma_mixhi_f16 v12, -v9, v23, v3 op_sel:[0,0,1] op_sel_hi:[0,0,1]
	;; [unrolled: 1-line block ×4, first 2 shown]
	s_or_b32 s27, vcc_lo, s27
	global_store_dwordx4 v[14:15], v[10:13], off
	s_andn2_b32 exec_lo, exec_lo, s27
	s_cbranch_execnz .LBB275_75
; %bb.76:
	s_or_b32 exec_lo, exec_lo, s27
	v_add_co_u32 v1, s0, s28, v0
	v_add_co_ci_u32_e64 v2, null, s29, 0, s0
	s_mov_b32 s1, exec_lo
	v_cmpx_gt_u64_e64 s[18:19], v[1:2]
	s_cbranch_execz .LBB275_79
; %bb.77:
	s_mov_b32 s2, 0
	s_mov_b32 s3, 0x3fb8aa3b
	;; [unrolled: 1-line block ×3, first 2 shown]
.LBB275_78:                             ; =>This Inner Loop Header: Depth=1
	v_lshlrev_b64 v[3:4], 1, v[1:2]
	v_add_co_u32 v5, vcc_lo, s10, v3
	v_add_co_ci_u32_e64 v6, null, s11, v4, vcc_lo
	global_load_ushort v7, v[5:6], off
	v_add_co_u32 v5, vcc_lo, s12, v3
	v_add_co_ci_u32_e64 v6, null, s13, v4, vcc_lo
	v_add_co_u32 v1, vcc_lo, v1, s15
	v_add_co_ci_u32_e64 v2, null, 0, v2, vcc_lo
	global_load_ushort v5, v[5:6], off
	v_cmp_le_i64_e32 vcc_lo, s[18:19], v[1:2]
	s_or_b32 s2, vcc_lo, s2
	s_waitcnt vmcnt(1)
	v_cvt_f32_f16_e32 v6, v7
	v_mul_f32_e32 v8, 0x3fb8aa3b, v6
	v_cmp_ngt_f32_e64 s0, 0xc2ce8ed0, v6
	v_fma_mix_f32 v10, v7, s3, -v8 op_sel_hi:[1,0,0]
	v_rndne_f32_e32 v11, v8
	v_fma_mix_f32 v7, v7, s4, v10 op_sel_hi:[1,0,0]
	v_sub_f32_e32 v8, v8, v11
	v_add_f32_e32 v7, v8, v7
	v_cvt_i32_f32_e32 v8, v11
	v_exp_f32_e32 v7, v7
	v_ldexp_f32 v7, v7, v8
	v_cndmask_b32_e64 v7, 0, v7, s0
	v_cmp_nlt_f32_e64 s0, 0x42b17218, v6
	v_cndmask_b32_e64 v6, 0x7f800000, v7, s0
	v_add_co_u32 v3, s0, s8, v3
	v_add_co_ci_u32_e64 v4, null, s9, v4, s0
	s_waitcnt vmcnt(0)
	v_fma_mixlo_f16 v5, -v9, v6, v5 op_sel_hi:[0,0,1]
	global_store_short v[3:4], v5, off
	s_andn2_b32 exec_lo, exec_lo, s2
	s_cbranch_execnz .LBB275_78
.LBB275_79:
	s_or_b32 exec_lo, exec_lo, s1
	s_mov_b32 s1, 0
.LBB275_80:
	s_and_b32 vcc_lo, exec_lo, s1
	s_cbranch_vccz .LBB275_92
; %bb.81:
	s_andn2_b32 vcc_lo, exec_lo, s38
	s_cbranch_vccnz .LBB275_85
; %bb.82:
	s_lshl_b32 s1, s26, 1
	s_mov_b32 s7, exec_lo
	s_sub_u32 s3, s20, s1
	s_subb_u32 s4, s21, 0
	s_sub_u32 s0, s22, s1
	s_subb_u32 s5, s23, 0
	;; [unrolled: 2-line block ×3, first 2 shown]
	v_cmpx_le_u32_e64 s26, v0
	s_cbranch_execz .LBB275_84
; %bb.83:
	v_mov_b32_e32 v1, 0
	s_mov_b32 s8, 0x3fb8aa3b
	v_lshlrev_b64 v[1:2], 1, v[0:1]
	v_add_co_u32 v3, vcc_lo, s0, v1
	v_add_co_ci_u32_e64 v4, null, s5, v2, vcc_lo
	global_load_ushort v5, v[3:4], off
	v_add_co_u32 v3, vcc_lo, s1, v1
	v_add_co_ci_u32_e64 v4, null, s2, v2, vcc_lo
	global_load_ushort v3, v[3:4], off
	s_waitcnt vmcnt(1)
	v_cvt_f32_f16_e32 v4, v5
	v_mul_f32_e32 v6, 0x3fb8aa3b, v4
	v_cmp_ngt_f32_e32 vcc_lo, 0xc2ce8ed0, v4
	v_fma_mix_f32 v7, v5, s8, -v6 op_sel_hi:[1,0,0]
	v_rndne_f32_e32 v8, v6
	s_mov_b32 s8, 0x32a5705f
	v_fma_mix_f32 v5, v5, s8, v7 op_sel_hi:[1,0,0]
	v_sub_f32_e32 v6, v6, v8
	v_add_f32_e32 v5, v6, v5
	v_cvt_i32_f32_e32 v6, v8
	v_exp_f32_e32 v5, v5
	v_ldexp_f32 v5, v5, v6
	v_cndmask_b32_e32 v5, 0, v5, vcc_lo
	v_cmp_nlt_f32_e32 vcc_lo, 0x42b17218, v4
	v_cndmask_b32_e32 v4, 0x7f800000, v5, vcc_lo
	v_add_co_u32 v1, vcc_lo, s3, v1
	v_add_co_ci_u32_e64 v2, null, s4, v2, vcc_lo
	s_waitcnt vmcnt(0) lgkmcnt(0)
	v_fma_mixlo_f16 v3, -v9, v4, v3 op_sel_hi:[0,0,1]
	global_store_short v[1:2], v3, off
.LBB275_84:
	s_or_b32 exec_lo, exec_lo, s7
	s_add_i32 s7, s26, s14
	v_sub_nc_u32_e64 v1, s7, s33 clamp
	s_lshl_b32 s7, s33, 1
	s_add_u32 s20, s3, s7
	s_addc_u32 s21, s4, 0
	v_readfirstlane_b32 s14, v1
	s_add_u32 s22, s0, s7
	s_addc_u32 s23, s5, 0
	s_add_u32 s16, s1, s7
	s_addc_u32 s17, s2, 0
.LBB275_85:
	s_load_dword s0, s[24:25], 0x0
	v_mov_b32_e32 v1, 0
	s_waitcnt lgkmcnt(0)
	s_cmp_lt_u32 s6, s0
	s_cselect_b32 s0, 12, 18
	s_add_u32 s0, s24, s0
	s_addc_u32 s1, s25, 0
	global_load_ushort v7, v1, s[0:1]
	s_waitcnt vmcnt(0)
	v_readfirstlane_b32 s0, v7
	s_lshl_b32 s0, s0, 3
	v_cvt_f32_u32_e32 v1, s0
	s_sub_i32 s2, 0, s0
	v_rcp_iflag_f32_e32 v1, v1
	v_mul_f32_e32 v1, 0x4f7ffffe, v1
	v_cvt_u32_f32_e32 v1, v1
	v_readfirstlane_b32 s1, v1
	v_lshlrev_b32_e32 v1, 3, v0
	s_mul_i32 s2, s2, s1
	s_mul_hi_u32 s2, s1, s2
	s_add_i32 s1, s1, s2
	s_mul_hi_u32 s1, s14, s1
	s_mul_i32 s1, s1, s0
	s_sub_i32 s1, s14, s1
	s_sub_i32 s2, s1, s0
	s_cmp_ge_u32 s1, s0
	s_cselect_b32 s1, s2, s1
	s_sub_i32 s2, s1, s0
	s_cmp_ge_u32 s1, s0
	s_cselect_b32 s0, s2, s1
	s_mov_b32 s2, 0
	s_sub_i32 s0, s14, s0
	s_mov_b32 s1, exec_lo
	v_cmpx_gt_i32_e64 s0, v1
	s_cbranch_execz .LBB275_88
; %bb.86:
	v_mov_b32_e32 v5, v0
	s_mov_b32 s3, 0x3fb8aa3b
	s_mov_b32 s4, 0x32a5705f
.LBB275_87:                             ; =>This Inner Loop Header: Depth=1
	v_ashrrev_i32_e32 v6, 31, v5
	v_lshlrev_b64 v[14:15], 4, v[5:6]
	v_add_nc_u32_e32 v5, v5, v7
	v_lshlrev_b32_e32 v6, 3, v5
	v_add_co_u32 v1, vcc_lo, s22, v14
	v_add_co_ci_u32_e64 v2, null, s23, v15, vcc_lo
	global_load_dwordx4 v[10:13], v[1:2], off
	v_add_co_u32 v1, vcc_lo, s16, v14
	v_add_co_ci_u32_e64 v2, null, s17, v15, vcc_lo
	v_add_co_u32 v14, vcc_lo, s20, v14
	v_add_co_ci_u32_e64 v15, null, s21, v15, vcc_lo
	global_load_dwordx4 v[1:4], v[1:2], off
	s_waitcnt vmcnt(1)
	v_cvt_f32_f16_e32 v8, v10
	v_cvt_f32_f16_sdwa v16, v10 dst_sel:DWORD dst_unused:UNUSED_PAD src0_sel:WORD_1
	v_cvt_f32_f16_e32 v17, v11
	v_cvt_f32_f16_sdwa v18, v11 dst_sel:DWORD dst_unused:UNUSED_PAD src0_sel:WORD_1
	v_cvt_f32_f16_e32 v19, v12
	v_mul_f32_e32 v23, 0x3fb8aa3b, v8
	v_mul_f32_e32 v24, 0x3fb8aa3b, v16
	;; [unrolled: 1-line block ×4, first 2 shown]
	v_cvt_f32_f16_sdwa v20, v12 dst_sel:DWORD dst_unused:UNUSED_PAD src0_sel:WORD_1
	v_fma_mix_f32 v31, v10, s3, -v23 op_sel_hi:[1,0,0]
	v_rndne_f32_e32 v32, v23
	v_fma_mix_f32 v33, v10, s3, -v24 op_sel:[1,0,0] op_sel_hi:[1,0,0]
	v_rndne_f32_e32 v34, v24
	v_fma_mix_f32 v35, v11, s3, -v25 op_sel_hi:[1,0,0]
	v_fma_mix_f32 v31, v10, s4, v31 op_sel_hi:[1,0,0]
	v_sub_f32_e32 v23, v23, v32
	v_rndne_f32_e32 v36, v25
	v_fma_mix_f32 v10, v10, s4, v33 op_sel:[1,0,0] op_sel_hi:[1,0,0]
	v_sub_f32_e32 v24, v24, v34
	v_mul_f32_e32 v27, 0x3fb8aa3b, v19
	v_add_f32_e32 v23, v23, v31
	v_fma_mix_f32 v37, v11, s3, -v26 op_sel:[1,0,0] op_sel_hi:[1,0,0]
	v_rndne_f32_e32 v38, v26
	v_cvt_i32_f32_e32 v33, v34
	v_fma_mix_f32 v34, v11, s4, v35 op_sel_hi:[1,0,0]
	v_sub_f32_e32 v25, v25, v36
	v_add_f32_e32 v10, v24, v10
	v_exp_f32_e32 v23, v23
	v_cvt_f32_f16_e32 v21, v13
	v_mul_f32_e32 v28, 0x3fb8aa3b, v20
	v_fma_mix_f32 v39, v12, s3, -v27 op_sel_hi:[1,0,0]
	v_rndne_f32_e32 v40, v27
	v_cvt_i32_f32_e32 v32, v32
	v_fma_mix_f32 v11, v11, s4, v37 op_sel:[1,0,0] op_sel_hi:[1,0,0]
	v_sub_f32_e32 v26, v26, v38
	v_add_f32_e32 v24, v25, v34
	v_exp_f32_e32 v10, v10
	v_cvt_f32_f16_sdwa v22, v13 dst_sel:DWORD dst_unused:UNUSED_PAD src0_sel:WORD_1
	v_mul_f32_e32 v29, 0x3fb8aa3b, v21
	v_fma_mix_f32 v41, v12, s3, -v28 op_sel:[1,0,0] op_sel_hi:[1,0,0]
	v_rndne_f32_e32 v42, v28
	v_fma_mix_f32 v37, v12, s4, v39 op_sel_hi:[1,0,0]
	v_sub_f32_e32 v27, v27, v40
	v_add_f32_e32 v11, v26, v11
	v_exp_f32_e32 v24, v24
	v_ldexp_f32 v23, v23, v32
	v_cmp_ngt_f32_e32 vcc_lo, 0xc2ce8ed0, v8
	v_mul_f32_e32 v30, 0x3fb8aa3b, v22
	v_fma_mix_f32 v43, v13, s3, -v29 op_sel_hi:[1,0,0]
	v_rndne_f32_e32 v44, v29
	v_cvt_i32_f32_e32 v35, v36
	v_fma_mix_f32 v12, v12, s4, v41 op_sel:[1,0,0] op_sel_hi:[1,0,0]
	v_sub_f32_e32 v28, v28, v42
	v_add_f32_e32 v25, v27, v37
	v_exp_f32_e32 v11, v11
	v_ldexp_f32 v10, v10, v33
	v_cndmask_b32_e32 v23, 0, v23, vcc_lo
	v_cmp_ngt_f32_e32 vcc_lo, 0xc2ce8ed0, v16
	v_fma_mix_f32 v45, v13, s3, -v30 op_sel:[1,0,0] op_sel_hi:[1,0,0]
	v_rndne_f32_e32 v46, v30
	v_cvt_i32_f32_e32 v36, v38
	v_cvt_i32_f32_e32 v38, v40
	v_fma_mix_f32 v40, v13, s4, v43 op_sel_hi:[1,0,0]
	v_sub_f32_e32 v29, v29, v44
	v_add_f32_e32 v12, v28, v12
	v_exp_f32_e32 v25, v25
	v_ldexp_f32 v24, v24, v35
	v_cndmask_b32_e32 v10, 0, v10, vcc_lo
	v_cmp_ngt_f32_e32 vcc_lo, 0xc2ce8ed0, v17
	v_fma_mix_f32 v13, v13, s4, v45 op_sel:[1,0,0] op_sel_hi:[1,0,0]
	v_sub_f32_e32 v30, v30, v46
	v_add_f32_e32 v26, v29, v40
	v_exp_f32_e32 v12, v12
	v_ldexp_f32 v11, v11, v36
	v_cndmask_b32_e32 v24, 0, v24, vcc_lo
	v_cmp_ngt_f32_e32 vcc_lo, 0xc2ce8ed0, v18
	v_cvt_i32_f32_e32 v39, v42
	v_add_f32_e32 v13, v30, v13
	v_exp_f32_e32 v26, v26
	v_ldexp_f32 v25, v25, v38
	v_cndmask_b32_e32 v11, 0, v11, vcc_lo
	v_cmp_ngt_f32_e32 vcc_lo, 0xc2ce8ed0, v19
	v_exp_f32_e32 v13, v13
	v_cvt_i32_f32_e32 v27, v44
	v_ldexp_f32 v12, v12, v39
	v_cvt_i32_f32_e32 v28, v46
	v_cndmask_b32_e32 v25, 0, v25, vcc_lo
	v_cmp_ngt_f32_e32 vcc_lo, 0xc2ce8ed0, v20
	v_ldexp_f32 v26, v26, v27
	v_cndmask_b32_e32 v12, 0, v12, vcc_lo
	v_cmp_ngt_f32_e32 vcc_lo, 0xc2ce8ed0, v21
	v_ldexp_f32 v13, v13, v28
	v_cndmask_b32_e32 v26, 0, v26, vcc_lo
	v_cmp_ngt_f32_e32 vcc_lo, 0xc2ce8ed0, v22
	v_cndmask_b32_e32 v13, 0, v13, vcc_lo
	v_cmp_nlt_f32_e32 vcc_lo, 0x42b17218, v8
	v_cndmask_b32_e32 v8, 0x7f800000, v23, vcc_lo
	v_cmp_nlt_f32_e32 vcc_lo, 0x42b17218, v16
	;; [unrolled: 2-line block ×8, first 2 shown]
	s_waitcnt vmcnt(0)
	v_fma_mixlo_f16 v12, -v9, v11, v3 op_sel_hi:[0,0,1]
	v_fma_mixlo_f16 v11, -v9, v10, v2 op_sel_hi:[0,0,1]
	;; [unrolled: 1-line block ×3, first 2 shown]
	v_cndmask_b32_e32 v20, 0x7f800000, v13, vcc_lo
	v_fma_mixlo_f16 v13, -v9, v18, v4 op_sel_hi:[0,0,1]
	v_cmp_le_i32_e32 vcc_lo, s0, v6
	v_fma_mixhi_f16 v12, -v9, v19, v3 op_sel:[0,0,1] op_sel_hi:[0,0,1]
	v_fma_mixhi_f16 v11, -v9, v17, v2 op_sel:[0,0,1] op_sel_hi:[0,0,1]
	;; [unrolled: 1-line block ×4, first 2 shown]
	s_or_b32 s2, vcc_lo, s2
	global_store_dwordx4 v[14:15], v[10:13], off
	s_andn2_b32 exec_lo, exec_lo, s2
	s_cbranch_execnz .LBB275_87
.LBB275_88:
	s_or_b32 exec_lo, exec_lo, s1
	v_add_nc_u32_e32 v0, s0, v0
	s_mov_b32 s0, exec_lo
	v_cmpx_gt_i32_e64 s14, v0
	s_cbranch_execz .LBB275_92
; %bb.89:
	s_mov_b32 s1, 0
	s_mov_b32 s2, 0x3fb8aa3b
	;; [unrolled: 1-line block ×3, first 2 shown]
.LBB275_90:                             ; =>This Inner Loop Header: Depth=1
	v_ashrrev_i32_e32 v1, 31, v0
	v_lshlrev_b64 v[1:2], 1, v[0:1]
	v_add_nc_u32_e32 v0, v0, v7
	v_add_co_u32 v3, vcc_lo, s22, v1
	v_add_co_ci_u32_e64 v4, null, s23, v2, vcc_lo
	global_load_ushort v5, v[3:4], off
	v_add_co_u32 v3, vcc_lo, s16, v1
	v_add_co_ci_u32_e64 v4, null, s17, v2, vcc_lo
	v_add_co_u32 v1, s0, s20, v1
	v_add_co_ci_u32_e64 v2, null, s21, v2, s0
	global_load_ushort v3, v[3:4], off
	s_waitcnt vmcnt(1)
	v_cvt_f32_f16_e32 v4, v5
	v_mul_f32_e32 v6, 0x3fb8aa3b, v4
	v_cmp_ngt_f32_e32 vcc_lo, 0xc2ce8ed0, v4
	v_fma_mix_f32 v8, v5, s2, -v6 op_sel_hi:[1,0,0]
	v_rndne_f32_e32 v10, v6
	v_fma_mix_f32 v5, v5, s3, v8 op_sel_hi:[1,0,0]
	v_sub_f32_e32 v6, v6, v10
	v_add_f32_e32 v5, v6, v5
	v_cvt_i32_f32_e32 v6, v10
	v_exp_f32_e32 v5, v5
	v_ldexp_f32 v5, v5, v6
	v_cndmask_b32_e32 v5, 0, v5, vcc_lo
	v_cmp_nlt_f32_e32 vcc_lo, 0x42b17218, v4
	v_cndmask_b32_e32 v4, 0x7f800000, v5, vcc_lo
	v_cmp_le_i32_e32 vcc_lo, s14, v0
	s_waitcnt vmcnt(0)
	v_fma_mixlo_f16 v3, -v9, v4, v3 op_sel_hi:[0,0,1]
	s_or_b32 s1, vcc_lo, s1
	global_store_short v[1:2], v3, off
	s_andn2_b32 exec_lo, exec_lo, s1
	s_cbranch_execnz .LBB275_90
	s_branch .LBB275_92
.LBB275_91:
	s_cbranch_execz .LBB275_66
.LBB275_92:
	s_endpgm
.LBB275_93:
                                        ; implicit-def: $sgpr2_sgpr3
	s_branch .LBB275_73
	.section	.rodata,"a",@progbits
	.p2align	6, 0x0
	.amdhsa_kernel _ZN2at6native12_GLOBAL__N_120cunn_SoftMaxBackwardILi8EN3c104HalfEfS4_NS1_26LogSoftMaxBackwardEpilogueEEEvPT0_PKT2_SA_l
		.amdhsa_group_segment_fixed_size 0
		.amdhsa_private_segment_fixed_size 0
		.amdhsa_kernarg_size 288
		.amdhsa_user_sgpr_count 6
		.amdhsa_user_sgpr_private_segment_buffer 1
		.amdhsa_user_sgpr_dispatch_ptr 0
		.amdhsa_user_sgpr_queue_ptr 0
		.amdhsa_user_sgpr_kernarg_segment_ptr 1
		.amdhsa_user_sgpr_dispatch_id 0
		.amdhsa_user_sgpr_flat_scratch_init 0
		.amdhsa_user_sgpr_private_segment_size 0
		.amdhsa_wavefront_size32 1
		.amdhsa_uses_dynamic_stack 0
		.amdhsa_system_sgpr_private_segment_wavefront_offset 0
		.amdhsa_system_sgpr_workgroup_id_x 1
		.amdhsa_system_sgpr_workgroup_id_y 0
		.amdhsa_system_sgpr_workgroup_id_z 0
		.amdhsa_system_sgpr_workgroup_info 0
		.amdhsa_system_vgpr_workitem_id 0
		.amdhsa_next_free_vgpr 61
		.amdhsa_next_free_sgpr 42
		.amdhsa_reserve_vcc 1
		.amdhsa_reserve_flat_scratch 0
		.amdhsa_float_round_mode_32 0
		.amdhsa_float_round_mode_16_64 0
		.amdhsa_float_denorm_mode_32 3
		.amdhsa_float_denorm_mode_16_64 3
		.amdhsa_dx10_clamp 1
		.amdhsa_ieee_mode 1
		.amdhsa_fp16_overflow 0
		.amdhsa_workgroup_processor_mode 1
		.amdhsa_memory_ordered 1
		.amdhsa_forward_progress 1
		.amdhsa_shared_vgpr_count 0
		.amdhsa_exception_fp_ieee_invalid_op 0
		.amdhsa_exception_fp_denorm_src 0
		.amdhsa_exception_fp_ieee_div_zero 0
		.amdhsa_exception_fp_ieee_overflow 0
		.amdhsa_exception_fp_ieee_underflow 0
		.amdhsa_exception_fp_ieee_inexact 0
		.amdhsa_exception_int_div_zero 0
	.end_amdhsa_kernel
	.section	.text._ZN2at6native12_GLOBAL__N_120cunn_SoftMaxBackwardILi8EN3c104HalfEfS4_NS1_26LogSoftMaxBackwardEpilogueEEEvPT0_PKT2_SA_l,"axG",@progbits,_ZN2at6native12_GLOBAL__N_120cunn_SoftMaxBackwardILi8EN3c104HalfEfS4_NS1_26LogSoftMaxBackwardEpilogueEEEvPT0_PKT2_SA_l,comdat
.Lfunc_end275:
	.size	_ZN2at6native12_GLOBAL__N_120cunn_SoftMaxBackwardILi8EN3c104HalfEfS4_NS1_26LogSoftMaxBackwardEpilogueEEEvPT0_PKT2_SA_l, .Lfunc_end275-_ZN2at6native12_GLOBAL__N_120cunn_SoftMaxBackwardILi8EN3c104HalfEfS4_NS1_26LogSoftMaxBackwardEpilogueEEEvPT0_PKT2_SA_l
                                        ; -- End function
	.set _ZN2at6native12_GLOBAL__N_120cunn_SoftMaxBackwardILi8EN3c104HalfEfS4_NS1_26LogSoftMaxBackwardEpilogueEEEvPT0_PKT2_SA_l.num_vgpr, 61
	.set _ZN2at6native12_GLOBAL__N_120cunn_SoftMaxBackwardILi8EN3c104HalfEfS4_NS1_26LogSoftMaxBackwardEpilogueEEEvPT0_PKT2_SA_l.num_agpr, 0
	.set _ZN2at6native12_GLOBAL__N_120cunn_SoftMaxBackwardILi8EN3c104HalfEfS4_NS1_26LogSoftMaxBackwardEpilogueEEEvPT0_PKT2_SA_l.numbered_sgpr, 42
	.set _ZN2at6native12_GLOBAL__N_120cunn_SoftMaxBackwardILi8EN3c104HalfEfS4_NS1_26LogSoftMaxBackwardEpilogueEEEvPT0_PKT2_SA_l.num_named_barrier, 0
	.set _ZN2at6native12_GLOBAL__N_120cunn_SoftMaxBackwardILi8EN3c104HalfEfS4_NS1_26LogSoftMaxBackwardEpilogueEEEvPT0_PKT2_SA_l.private_seg_size, 0
	.set _ZN2at6native12_GLOBAL__N_120cunn_SoftMaxBackwardILi8EN3c104HalfEfS4_NS1_26LogSoftMaxBackwardEpilogueEEEvPT0_PKT2_SA_l.uses_vcc, 1
	.set _ZN2at6native12_GLOBAL__N_120cunn_SoftMaxBackwardILi8EN3c104HalfEfS4_NS1_26LogSoftMaxBackwardEpilogueEEEvPT0_PKT2_SA_l.uses_flat_scratch, 0
	.set _ZN2at6native12_GLOBAL__N_120cunn_SoftMaxBackwardILi8EN3c104HalfEfS4_NS1_26LogSoftMaxBackwardEpilogueEEEvPT0_PKT2_SA_l.has_dyn_sized_stack, 0
	.set _ZN2at6native12_GLOBAL__N_120cunn_SoftMaxBackwardILi8EN3c104HalfEfS4_NS1_26LogSoftMaxBackwardEpilogueEEEvPT0_PKT2_SA_l.has_recursion, 0
	.set _ZN2at6native12_GLOBAL__N_120cunn_SoftMaxBackwardILi8EN3c104HalfEfS4_NS1_26LogSoftMaxBackwardEpilogueEEEvPT0_PKT2_SA_l.has_indirect_call, 0
	.section	.AMDGPU.csdata,"",@progbits
; Kernel info:
; codeLenInByte = 10720
; TotalNumSgprs: 44
; NumVgprs: 61
; ScratchSize: 0
; MemoryBound: 0
; FloatMode: 240
; IeeeMode: 1
; LDSByteSize: 0 bytes/workgroup (compile time only)
; SGPRBlocks: 0
; VGPRBlocks: 7
; NumSGPRsForWavesPerEU: 44
; NumVGPRsForWavesPerEU: 61
; Occupancy: 16
; WaveLimiterHint : 0
; COMPUTE_PGM_RSRC2:SCRATCH_EN: 0
; COMPUTE_PGM_RSRC2:USER_SGPR: 6
; COMPUTE_PGM_RSRC2:TRAP_HANDLER: 0
; COMPUTE_PGM_RSRC2:TGID_X_EN: 1
; COMPUTE_PGM_RSRC2:TGID_Y_EN: 0
; COMPUTE_PGM_RSRC2:TGID_Z_EN: 0
; COMPUTE_PGM_RSRC2:TIDIG_COMP_CNT: 0
	.section	.text._ZN12_GLOBAL__N_121softmax_warp_backwardIfN3c104HalfEfLi0ELb1ELb0ELi64EEEvPT0_PKT_S7_iiiPKb,"axG",@progbits,_ZN12_GLOBAL__N_121softmax_warp_backwardIfN3c104HalfEfLi0ELb1ELb0ELi64EEEvPT0_PKT_S7_iiiPKb,comdat
	.globl	_ZN12_GLOBAL__N_121softmax_warp_backwardIfN3c104HalfEfLi0ELb1ELb0ELi64EEEvPT0_PKT_S7_iiiPKb ; -- Begin function _ZN12_GLOBAL__N_121softmax_warp_backwardIfN3c104HalfEfLi0ELb1ELb0ELi64EEEvPT0_PKT_S7_iiiPKb
	.p2align	8
	.type	_ZN12_GLOBAL__N_121softmax_warp_backwardIfN3c104HalfEfLi0ELb1ELb0ELi64EEEvPT0_PKT_S7_iiiPKb,@function
_ZN12_GLOBAL__N_121softmax_warp_backwardIfN3c104HalfEfLi0ELb1ELb0ELi64EEEvPT0_PKT_S7_iiiPKb: ; @_ZN12_GLOBAL__N_121softmax_warp_backwardIfN3c104HalfEfLi0ELb1ELb0ELi64EEEvPT0_PKT_S7_iiiPKb
; %bb.0:
	s_clause 0x3
	s_load_dword s7, s[4:5], 0x3c
	s_load_dwordx4 s[0:3], s[4:5], 0x18
	s_load_dwordx4 s[8:11], s[4:5], 0x0
	s_load_dwordx2 s[4:5], s[4:5], 0x10
	v_mov_b32_e32 v7, 0
	v_mov_b32_e32 v8, 0
	s_waitcnt lgkmcnt(0)
	s_lshr_b32 s3, s7, 16
	s_and_b32 s3, s3, 0xffff
	s_cmp_gt_i32 s2, 0
	s_mul_i32 s6, s6, s3
	v_add_lshl_u32 v2, s6, v1, 1
	v_mul_lo_u32 v0, v2, s1
	v_sub_nc_u32_e32 v6, s0, v2
	s_cselect_b32 s1, -1, 0
	v_cmp_lt_i32_e32 vcc_lo, 0, v6
	v_ashrrev_i32_e32 v1, 31, v0
	s_and_b32 s3, s1, vcc_lo
	v_lshlrev_b64 v[4:5], 2, v[0:1]
	v_add_co_u32 v2, s0, s10, v4
	v_add_co_ci_u32_e64 v3, null, s11, v5, s0
	v_add_co_u32 v4, s0, s4, v4
	v_add_co_ci_u32_e64 v5, null, s5, v5, s0
	s_and_saveexec_b32 s0, s3
	s_cbranch_execz .LBB276_2
; %bb.1:
	global_load_dword v8, v[2:3], off
	global_load_dword v7, v[4:5], off
.LBB276_2:
	s_or_b32 exec_lo, exec_lo, s0
	v_cmp_gt_i32_e64 s0, 2, v6
	s_xor_b32 s3, s1, -1
	s_or_b32 s0, s3, s0
	s_and_saveexec_b32 s3, s0
	s_xor_b32 s0, exec_lo, s3
                                        ; implicit-def: $vgpr9
	s_cbranch_execnz .LBB276_6
; %bb.3:
	s_or_saveexec_b32 s4, s0
	v_mov_b32_e32 v10, 1.0
	s_xor_b32 exec_lo, exec_lo, s4
	s_cbranch_execnz .LBB276_7
.LBB276_4:
	s_or_b32 exec_lo, exec_lo, s4
	s_and_saveexec_b32 s0, vcc_lo
	s_cbranch_execnz .LBB276_8
.LBB276_5:
	s_endpgm
.LBB276_6:
	v_mov_b32_e32 v9, 0
                                        ; implicit-def: $vgpr4
                                        ; implicit-def: $vgpr2
	s_or_saveexec_b32 s4, s0
	v_mov_b32_e32 v10, 1.0
	s_xor_b32 exec_lo, exec_lo, s4
	s_cbranch_execz .LBB276_4
.LBB276_7:
	s_mov_b32 s3, 0
	s_lshl_b64 s[6:7], s[2:3], 2
	v_add_co_u32 v4, s0, v4, s6
	v_add_co_ci_u32_e64 v5, null, s7, v5, s0
	v_add_co_u32 v2, s0, v2, s6
	v_add_co_ci_u32_e64 v3, null, s7, v3, s0
	global_load_dword v4, v[4:5], off
	global_load_dword v9, v[2:3], off
	s_waitcnt vmcnt(1)
	v_mul_f32_e32 v2, 0x3fb8aa3b, v4
	v_cmp_ngt_f32_e64 s0, 0xc2ce8ed0, v4
	v_fma_f32 v3, 0x3fb8aa3b, v4, -v2
	v_rndne_f32_e32 v5, v2
	v_fmamk_f32 v3, v4, 0x32a5705f, v3
	v_sub_f32_e32 v2, v2, v5
	v_add_f32_e32 v2, v2, v3
	v_cvt_i32_f32_e32 v3, v5
	v_exp_f32_e32 v2, v2
	v_ldexp_f32 v2, v2, v3
	v_cndmask_b32_e64 v2, 0, v2, s0
	v_cmp_nlt_f32_e64 s0, 0x42b17218, v4
	v_cndmask_b32_e64 v10, 0x7f800000, v2, s0
	s_or_b32 exec_lo, exec_lo, s4
	s_and_saveexec_b32 s0, vcc_lo
	s_cbranch_execz .LBB276_5
.LBB276_8:
	v_lshlrev_b64 v[0:1], 1, v[0:1]
	v_add_co_u32 v0, vcc_lo, s8, v0
	v_add_co_ci_u32_e64 v1, null, s9, v1, vcc_lo
	s_andn2_b32 vcc_lo, exec_lo, s1
	s_cbranch_vccnz .LBB276_10
; %bb.9:
	s_waitcnt vmcnt(0)
	v_mul_f32_e32 v2, 0x3fb8aa3b, v7
	v_cmp_ngt_f32_e32 vcc_lo, 0xc2ce8ed0, v7
	v_rndne_f32_e32 v3, v2
	v_fma_f32 v4, 0x3fb8aa3b, v7, -v2
	v_sub_f32_e32 v2, v2, v3
	v_fmamk_f32 v4, v7, 0x32a5705f, v4
	v_cvt_i32_f32_e32 v3, v3
	v_add_f32_e32 v2, v2, v4
	v_exp_f32_e32 v2, v2
	v_ldexp_f32 v2, v2, v3
	v_add_f32_e32 v3, 0, v8
	v_cndmask_b32_e32 v2, 0, v2, vcc_lo
	v_cmp_nlt_f32_e32 vcc_lo, 0x42b17218, v7
	v_cndmask_b32_e32 v2, 0x7f800000, v2, vcc_lo
	v_fma_mixlo_f16 v2, -v3, v2, v8
	global_store_short v[0:1], v2, off
.LBB276_10:
	v_cmp_ne_u32_e32 vcc_lo, 1, v6
	s_and_b32 s0, vcc_lo, s1
	s_and_b32 exec_lo, exec_lo, s0
	s_cbranch_execz .LBB276_5
; %bb.11:
	s_mov_b32 s3, 0
	s_waitcnt vmcnt(0)
	v_add_f32_e32 v2, 0, v9
	s_lshl_b64 s[0:1], s[2:3], 1
	v_add_co_u32 v0, vcc_lo, v0, s0
	v_add_co_ci_u32_e64 v1, null, s1, v1, vcc_lo
	v_fma_mixlo_f16 v2, -v2, v10, v9
	global_store_short v[0:1], v2, off
	s_endpgm
	.section	.rodata,"a",@progbits
	.p2align	6, 0x0
	.amdhsa_kernel _ZN12_GLOBAL__N_121softmax_warp_backwardIfN3c104HalfEfLi0ELb1ELb0ELi64EEEvPT0_PKT_S7_iiiPKb
		.amdhsa_group_segment_fixed_size 0
		.amdhsa_private_segment_fixed_size 0
		.amdhsa_kernarg_size 304
		.amdhsa_user_sgpr_count 6
		.amdhsa_user_sgpr_private_segment_buffer 1
		.amdhsa_user_sgpr_dispatch_ptr 0
		.amdhsa_user_sgpr_queue_ptr 0
		.amdhsa_user_sgpr_kernarg_segment_ptr 1
		.amdhsa_user_sgpr_dispatch_id 0
		.amdhsa_user_sgpr_flat_scratch_init 0
		.amdhsa_user_sgpr_private_segment_size 0
		.amdhsa_wavefront_size32 1
		.amdhsa_uses_dynamic_stack 0
		.amdhsa_system_sgpr_private_segment_wavefront_offset 0
		.amdhsa_system_sgpr_workgroup_id_x 1
		.amdhsa_system_sgpr_workgroup_id_y 0
		.amdhsa_system_sgpr_workgroup_id_z 0
		.amdhsa_system_sgpr_workgroup_info 0
		.amdhsa_system_vgpr_workitem_id 1
		.amdhsa_next_free_vgpr 11
		.amdhsa_next_free_sgpr 12
		.amdhsa_reserve_vcc 1
		.amdhsa_reserve_flat_scratch 0
		.amdhsa_float_round_mode_32 0
		.amdhsa_float_round_mode_16_64 0
		.amdhsa_float_denorm_mode_32 3
		.amdhsa_float_denorm_mode_16_64 3
		.amdhsa_dx10_clamp 1
		.amdhsa_ieee_mode 1
		.amdhsa_fp16_overflow 0
		.amdhsa_workgroup_processor_mode 1
		.amdhsa_memory_ordered 1
		.amdhsa_forward_progress 1
		.amdhsa_shared_vgpr_count 0
		.amdhsa_exception_fp_ieee_invalid_op 0
		.amdhsa_exception_fp_denorm_src 0
		.amdhsa_exception_fp_ieee_div_zero 0
		.amdhsa_exception_fp_ieee_overflow 0
		.amdhsa_exception_fp_ieee_underflow 0
		.amdhsa_exception_fp_ieee_inexact 0
		.amdhsa_exception_int_div_zero 0
	.end_amdhsa_kernel
	.section	.text._ZN12_GLOBAL__N_121softmax_warp_backwardIfN3c104HalfEfLi0ELb1ELb0ELi64EEEvPT0_PKT_S7_iiiPKb,"axG",@progbits,_ZN12_GLOBAL__N_121softmax_warp_backwardIfN3c104HalfEfLi0ELb1ELb0ELi64EEEvPT0_PKT_S7_iiiPKb,comdat
.Lfunc_end276:
	.size	_ZN12_GLOBAL__N_121softmax_warp_backwardIfN3c104HalfEfLi0ELb1ELb0ELi64EEEvPT0_PKT_S7_iiiPKb, .Lfunc_end276-_ZN12_GLOBAL__N_121softmax_warp_backwardIfN3c104HalfEfLi0ELb1ELb0ELi64EEEvPT0_PKT_S7_iiiPKb
                                        ; -- End function
	.set _ZN12_GLOBAL__N_121softmax_warp_backwardIfN3c104HalfEfLi0ELb1ELb0ELi64EEEvPT0_PKT_S7_iiiPKb.num_vgpr, 11
	.set _ZN12_GLOBAL__N_121softmax_warp_backwardIfN3c104HalfEfLi0ELb1ELb0ELi64EEEvPT0_PKT_S7_iiiPKb.num_agpr, 0
	.set _ZN12_GLOBAL__N_121softmax_warp_backwardIfN3c104HalfEfLi0ELb1ELb0ELi64EEEvPT0_PKT_S7_iiiPKb.numbered_sgpr, 12
	.set _ZN12_GLOBAL__N_121softmax_warp_backwardIfN3c104HalfEfLi0ELb1ELb0ELi64EEEvPT0_PKT_S7_iiiPKb.num_named_barrier, 0
	.set _ZN12_GLOBAL__N_121softmax_warp_backwardIfN3c104HalfEfLi0ELb1ELb0ELi64EEEvPT0_PKT_S7_iiiPKb.private_seg_size, 0
	.set _ZN12_GLOBAL__N_121softmax_warp_backwardIfN3c104HalfEfLi0ELb1ELb0ELi64EEEvPT0_PKT_S7_iiiPKb.uses_vcc, 1
	.set _ZN12_GLOBAL__N_121softmax_warp_backwardIfN3c104HalfEfLi0ELb1ELb0ELi64EEEvPT0_PKT_S7_iiiPKb.uses_flat_scratch, 0
	.set _ZN12_GLOBAL__N_121softmax_warp_backwardIfN3c104HalfEfLi0ELb1ELb0ELi64EEEvPT0_PKT_S7_iiiPKb.has_dyn_sized_stack, 0
	.set _ZN12_GLOBAL__N_121softmax_warp_backwardIfN3c104HalfEfLi0ELb1ELb0ELi64EEEvPT0_PKT_S7_iiiPKb.has_recursion, 0
	.set _ZN12_GLOBAL__N_121softmax_warp_backwardIfN3c104HalfEfLi0ELb1ELb0ELi64EEEvPT0_PKT_S7_iiiPKb.has_indirect_call, 0
	.section	.AMDGPU.csdata,"",@progbits
; Kernel info:
; codeLenInByte = 632
; TotalNumSgprs: 14
; NumVgprs: 11
; ScratchSize: 0
; MemoryBound: 0
; FloatMode: 240
; IeeeMode: 1
; LDSByteSize: 0 bytes/workgroup (compile time only)
; SGPRBlocks: 0
; VGPRBlocks: 1
; NumSGPRsForWavesPerEU: 14
; NumVGPRsForWavesPerEU: 11
; Occupancy: 16
; WaveLimiterHint : 0
; COMPUTE_PGM_RSRC2:SCRATCH_EN: 0
; COMPUTE_PGM_RSRC2:USER_SGPR: 6
; COMPUTE_PGM_RSRC2:TRAP_HANDLER: 0
; COMPUTE_PGM_RSRC2:TGID_X_EN: 1
; COMPUTE_PGM_RSRC2:TGID_Y_EN: 0
; COMPUTE_PGM_RSRC2:TGID_Z_EN: 0
; COMPUTE_PGM_RSRC2:TIDIG_COMP_CNT: 1
	.section	.text._ZN12_GLOBAL__N_121softmax_warp_backwardIfN3c104HalfEfLi0ELb1ELb0ELi32EEEvPT0_PKT_S7_iiiPKb,"axG",@progbits,_ZN12_GLOBAL__N_121softmax_warp_backwardIfN3c104HalfEfLi0ELb1ELb0ELi32EEEvPT0_PKT_S7_iiiPKb,comdat
	.globl	_ZN12_GLOBAL__N_121softmax_warp_backwardIfN3c104HalfEfLi0ELb1ELb0ELi32EEEvPT0_PKT_S7_iiiPKb ; -- Begin function _ZN12_GLOBAL__N_121softmax_warp_backwardIfN3c104HalfEfLi0ELb1ELb0ELi32EEEvPT0_PKT_S7_iiiPKb
	.p2align	8
	.type	_ZN12_GLOBAL__N_121softmax_warp_backwardIfN3c104HalfEfLi0ELb1ELb0ELi32EEEvPT0_PKT_S7_iiiPKb,@function
_ZN12_GLOBAL__N_121softmax_warp_backwardIfN3c104HalfEfLi0ELb1ELb0ELi32EEEvPT0_PKT_S7_iiiPKb: ; @_ZN12_GLOBAL__N_121softmax_warp_backwardIfN3c104HalfEfLi0ELb1ELb0ELi32EEEvPT0_PKT_S7_iiiPKb
; %bb.0:
	s_clause 0x3
	s_load_dword s7, s[4:5], 0x3c
	s_load_dwordx4 s[0:3], s[4:5], 0x18
	s_load_dwordx4 s[8:11], s[4:5], 0x0
	s_load_dwordx2 s[4:5], s[4:5], 0x10
	v_mov_b32_e32 v7, 0
	v_mov_b32_e32 v8, 0
	s_waitcnt lgkmcnt(0)
	s_lshr_b32 s3, s7, 16
	s_and_b32 s3, s3, 0xffff
	s_cmp_gt_i32 s2, 0
	s_mul_i32 s6, s6, s3
	v_add_lshl_u32 v2, s6, v1, 1
	v_mul_lo_u32 v0, v2, s1
	v_sub_nc_u32_e32 v6, s0, v2
	s_cselect_b32 s1, -1, 0
	v_cmp_lt_i32_e32 vcc_lo, 0, v6
	v_ashrrev_i32_e32 v1, 31, v0
	s_and_b32 s3, s1, vcc_lo
	v_lshlrev_b64 v[4:5], 2, v[0:1]
	v_add_co_u32 v2, s0, s10, v4
	v_add_co_ci_u32_e64 v3, null, s11, v5, s0
	v_add_co_u32 v4, s0, s4, v4
	v_add_co_ci_u32_e64 v5, null, s5, v5, s0
	s_and_saveexec_b32 s0, s3
	s_cbranch_execz .LBB277_2
; %bb.1:
	global_load_dword v8, v[2:3], off
	global_load_dword v7, v[4:5], off
.LBB277_2:
	s_or_b32 exec_lo, exec_lo, s0
	v_cmp_gt_i32_e64 s0, 2, v6
	s_xor_b32 s3, s1, -1
	s_or_b32 s0, s3, s0
	s_and_saveexec_b32 s3, s0
	s_xor_b32 s0, exec_lo, s3
                                        ; implicit-def: $vgpr9
	s_cbranch_execnz .LBB277_6
; %bb.3:
	s_or_saveexec_b32 s4, s0
	v_mov_b32_e32 v10, 1.0
	s_xor_b32 exec_lo, exec_lo, s4
	s_cbranch_execnz .LBB277_7
.LBB277_4:
	s_or_b32 exec_lo, exec_lo, s4
	s_and_saveexec_b32 s0, vcc_lo
	s_cbranch_execnz .LBB277_8
.LBB277_5:
	s_endpgm
.LBB277_6:
	v_mov_b32_e32 v9, 0
                                        ; implicit-def: $vgpr4
                                        ; implicit-def: $vgpr2
	s_or_saveexec_b32 s4, s0
	v_mov_b32_e32 v10, 1.0
	s_xor_b32 exec_lo, exec_lo, s4
	s_cbranch_execz .LBB277_4
.LBB277_7:
	s_mov_b32 s3, 0
	s_lshl_b64 s[6:7], s[2:3], 2
	v_add_co_u32 v4, s0, v4, s6
	v_add_co_ci_u32_e64 v5, null, s7, v5, s0
	v_add_co_u32 v2, s0, v2, s6
	v_add_co_ci_u32_e64 v3, null, s7, v3, s0
	global_load_dword v4, v[4:5], off
	global_load_dword v9, v[2:3], off
	s_waitcnt vmcnt(1)
	v_mul_f32_e32 v2, 0x3fb8aa3b, v4
	v_cmp_ngt_f32_e64 s0, 0xc2ce8ed0, v4
	v_fma_f32 v3, 0x3fb8aa3b, v4, -v2
	v_rndne_f32_e32 v5, v2
	v_fmamk_f32 v3, v4, 0x32a5705f, v3
	v_sub_f32_e32 v2, v2, v5
	v_add_f32_e32 v2, v2, v3
	v_cvt_i32_f32_e32 v3, v5
	v_exp_f32_e32 v2, v2
	v_ldexp_f32 v2, v2, v3
	v_cndmask_b32_e64 v2, 0, v2, s0
	v_cmp_nlt_f32_e64 s0, 0x42b17218, v4
	v_cndmask_b32_e64 v10, 0x7f800000, v2, s0
	s_or_b32 exec_lo, exec_lo, s4
	s_and_saveexec_b32 s0, vcc_lo
	s_cbranch_execz .LBB277_5
.LBB277_8:
	v_lshlrev_b64 v[0:1], 1, v[0:1]
	v_add_co_u32 v0, vcc_lo, s8, v0
	v_add_co_ci_u32_e64 v1, null, s9, v1, vcc_lo
	s_andn2_b32 vcc_lo, exec_lo, s1
	s_cbranch_vccnz .LBB277_10
; %bb.9:
	s_waitcnt vmcnt(0)
	v_mul_f32_e32 v2, 0x3fb8aa3b, v7
	v_cmp_ngt_f32_e32 vcc_lo, 0xc2ce8ed0, v7
	v_rndne_f32_e32 v3, v2
	v_fma_f32 v4, 0x3fb8aa3b, v7, -v2
	v_sub_f32_e32 v2, v2, v3
	v_fmamk_f32 v4, v7, 0x32a5705f, v4
	v_cvt_i32_f32_e32 v3, v3
	v_add_f32_e32 v2, v2, v4
	v_exp_f32_e32 v2, v2
	v_ldexp_f32 v2, v2, v3
	v_add_f32_e32 v3, 0, v8
	v_cndmask_b32_e32 v2, 0, v2, vcc_lo
	v_cmp_nlt_f32_e32 vcc_lo, 0x42b17218, v7
	v_cndmask_b32_e32 v2, 0x7f800000, v2, vcc_lo
	v_fma_mixlo_f16 v2, -v3, v2, v8
	global_store_short v[0:1], v2, off
.LBB277_10:
	v_cmp_ne_u32_e32 vcc_lo, 1, v6
	s_and_b32 s0, vcc_lo, s1
	s_and_b32 exec_lo, exec_lo, s0
	s_cbranch_execz .LBB277_5
; %bb.11:
	s_mov_b32 s3, 0
	s_waitcnt vmcnt(0)
	v_add_f32_e32 v2, 0, v9
	s_lshl_b64 s[0:1], s[2:3], 1
	v_add_co_u32 v0, vcc_lo, v0, s0
	v_add_co_ci_u32_e64 v1, null, s1, v1, vcc_lo
	v_fma_mixlo_f16 v2, -v2, v10, v9
	global_store_short v[0:1], v2, off
	s_endpgm
	.section	.rodata,"a",@progbits
	.p2align	6, 0x0
	.amdhsa_kernel _ZN12_GLOBAL__N_121softmax_warp_backwardIfN3c104HalfEfLi0ELb1ELb0ELi32EEEvPT0_PKT_S7_iiiPKb
		.amdhsa_group_segment_fixed_size 0
		.amdhsa_private_segment_fixed_size 0
		.amdhsa_kernarg_size 304
		.amdhsa_user_sgpr_count 6
		.amdhsa_user_sgpr_private_segment_buffer 1
		.amdhsa_user_sgpr_dispatch_ptr 0
		.amdhsa_user_sgpr_queue_ptr 0
		.amdhsa_user_sgpr_kernarg_segment_ptr 1
		.amdhsa_user_sgpr_dispatch_id 0
		.amdhsa_user_sgpr_flat_scratch_init 0
		.amdhsa_user_sgpr_private_segment_size 0
		.amdhsa_wavefront_size32 1
		.amdhsa_uses_dynamic_stack 0
		.amdhsa_system_sgpr_private_segment_wavefront_offset 0
		.amdhsa_system_sgpr_workgroup_id_x 1
		.amdhsa_system_sgpr_workgroup_id_y 0
		.amdhsa_system_sgpr_workgroup_id_z 0
		.amdhsa_system_sgpr_workgroup_info 0
		.amdhsa_system_vgpr_workitem_id 1
		.amdhsa_next_free_vgpr 11
		.amdhsa_next_free_sgpr 12
		.amdhsa_reserve_vcc 1
		.amdhsa_reserve_flat_scratch 0
		.amdhsa_float_round_mode_32 0
		.amdhsa_float_round_mode_16_64 0
		.amdhsa_float_denorm_mode_32 3
		.amdhsa_float_denorm_mode_16_64 3
		.amdhsa_dx10_clamp 1
		.amdhsa_ieee_mode 1
		.amdhsa_fp16_overflow 0
		.amdhsa_workgroup_processor_mode 1
		.amdhsa_memory_ordered 1
		.amdhsa_forward_progress 1
		.amdhsa_shared_vgpr_count 0
		.amdhsa_exception_fp_ieee_invalid_op 0
		.amdhsa_exception_fp_denorm_src 0
		.amdhsa_exception_fp_ieee_div_zero 0
		.amdhsa_exception_fp_ieee_overflow 0
		.amdhsa_exception_fp_ieee_underflow 0
		.amdhsa_exception_fp_ieee_inexact 0
		.amdhsa_exception_int_div_zero 0
	.end_amdhsa_kernel
	.section	.text._ZN12_GLOBAL__N_121softmax_warp_backwardIfN3c104HalfEfLi0ELb1ELb0ELi32EEEvPT0_PKT_S7_iiiPKb,"axG",@progbits,_ZN12_GLOBAL__N_121softmax_warp_backwardIfN3c104HalfEfLi0ELb1ELb0ELi32EEEvPT0_PKT_S7_iiiPKb,comdat
.Lfunc_end277:
	.size	_ZN12_GLOBAL__N_121softmax_warp_backwardIfN3c104HalfEfLi0ELb1ELb0ELi32EEEvPT0_PKT_S7_iiiPKb, .Lfunc_end277-_ZN12_GLOBAL__N_121softmax_warp_backwardIfN3c104HalfEfLi0ELb1ELb0ELi32EEEvPT0_PKT_S7_iiiPKb
                                        ; -- End function
	.set _ZN12_GLOBAL__N_121softmax_warp_backwardIfN3c104HalfEfLi0ELb1ELb0ELi32EEEvPT0_PKT_S7_iiiPKb.num_vgpr, 11
	.set _ZN12_GLOBAL__N_121softmax_warp_backwardIfN3c104HalfEfLi0ELb1ELb0ELi32EEEvPT0_PKT_S7_iiiPKb.num_agpr, 0
	.set _ZN12_GLOBAL__N_121softmax_warp_backwardIfN3c104HalfEfLi0ELb1ELb0ELi32EEEvPT0_PKT_S7_iiiPKb.numbered_sgpr, 12
	.set _ZN12_GLOBAL__N_121softmax_warp_backwardIfN3c104HalfEfLi0ELb1ELb0ELi32EEEvPT0_PKT_S7_iiiPKb.num_named_barrier, 0
	.set _ZN12_GLOBAL__N_121softmax_warp_backwardIfN3c104HalfEfLi0ELb1ELb0ELi32EEEvPT0_PKT_S7_iiiPKb.private_seg_size, 0
	.set _ZN12_GLOBAL__N_121softmax_warp_backwardIfN3c104HalfEfLi0ELb1ELb0ELi32EEEvPT0_PKT_S7_iiiPKb.uses_vcc, 1
	.set _ZN12_GLOBAL__N_121softmax_warp_backwardIfN3c104HalfEfLi0ELb1ELb0ELi32EEEvPT0_PKT_S7_iiiPKb.uses_flat_scratch, 0
	.set _ZN12_GLOBAL__N_121softmax_warp_backwardIfN3c104HalfEfLi0ELb1ELb0ELi32EEEvPT0_PKT_S7_iiiPKb.has_dyn_sized_stack, 0
	.set _ZN12_GLOBAL__N_121softmax_warp_backwardIfN3c104HalfEfLi0ELb1ELb0ELi32EEEvPT0_PKT_S7_iiiPKb.has_recursion, 0
	.set _ZN12_GLOBAL__N_121softmax_warp_backwardIfN3c104HalfEfLi0ELb1ELb0ELi32EEEvPT0_PKT_S7_iiiPKb.has_indirect_call, 0
	.section	.AMDGPU.csdata,"",@progbits
; Kernel info:
; codeLenInByte = 632
; TotalNumSgprs: 14
; NumVgprs: 11
; ScratchSize: 0
; MemoryBound: 0
; FloatMode: 240
; IeeeMode: 1
; LDSByteSize: 0 bytes/workgroup (compile time only)
; SGPRBlocks: 0
; VGPRBlocks: 1
; NumSGPRsForWavesPerEU: 14
; NumVGPRsForWavesPerEU: 11
; Occupancy: 16
; WaveLimiterHint : 0
; COMPUTE_PGM_RSRC2:SCRATCH_EN: 0
; COMPUTE_PGM_RSRC2:USER_SGPR: 6
; COMPUTE_PGM_RSRC2:TRAP_HANDLER: 0
; COMPUTE_PGM_RSRC2:TGID_X_EN: 1
; COMPUTE_PGM_RSRC2:TGID_Y_EN: 0
; COMPUTE_PGM_RSRC2:TGID_Z_EN: 0
; COMPUTE_PGM_RSRC2:TIDIG_COMP_CNT: 1
	.section	.text._ZN12_GLOBAL__N_121softmax_warp_backwardIfN3c104HalfEfLi1ELb1ELb0ELi64EEEvPT0_PKT_S7_iiiPKb,"axG",@progbits,_ZN12_GLOBAL__N_121softmax_warp_backwardIfN3c104HalfEfLi1ELb1ELb0ELi64EEEvPT0_PKT_S7_iiiPKb,comdat
	.globl	_ZN12_GLOBAL__N_121softmax_warp_backwardIfN3c104HalfEfLi1ELb1ELb0ELi64EEEvPT0_PKT_S7_iiiPKb ; -- Begin function _ZN12_GLOBAL__N_121softmax_warp_backwardIfN3c104HalfEfLi1ELb1ELb0ELi64EEEvPT0_PKT_S7_iiiPKb
	.p2align	8
	.type	_ZN12_GLOBAL__N_121softmax_warp_backwardIfN3c104HalfEfLi1ELb1ELb0ELi64EEEvPT0_PKT_S7_iiiPKb,@function
_ZN12_GLOBAL__N_121softmax_warp_backwardIfN3c104HalfEfLi1ELb1ELb0ELi64EEEvPT0_PKT_S7_iiiPKb: ; @_ZN12_GLOBAL__N_121softmax_warp_backwardIfN3c104HalfEfLi1ELb1ELb0ELi64EEEvPT0_PKT_S7_iiiPKb
; %bb.0:
	s_clause 0x1
	s_load_dword s7, s[4:5], 0x3c
	s_load_dwordx4 s[0:3], s[4:5], 0x18
	v_and_b32_e32 v3, 1, v0
	s_clause 0x1
	s_load_dwordx4 s[8:11], s[4:5], 0x0
	s_load_dwordx2 s[4:5], s[4:5], 0x10
	v_mov_b32_e32 v7, 0
	v_mov_b32_e32 v8, 0
	s_waitcnt lgkmcnt(0)
	s_lshr_b32 s3, s7, 16
	v_cmp_gt_i32_e32 vcc_lo, s2, v3
	s_and_b32 s3, s3, 0xffff
	s_mul_i32 s6, s6, s3
	v_add_lshl_u32 v2, s6, v1, 1
	v_mul_lo_u32 v1, v2, s1
	v_sub_nc_u32_e32 v6, s0, v2
	v_cmp_lt_i32_e64 s0, 0, v6
	v_or_b32_e32 v0, v1, v3
	s_and_b32 s3, vcc_lo, s0
	v_ashrrev_i32_e32 v1, 31, v0
	v_lshlrev_b64 v[4:5], 2, v[0:1]
	v_add_co_u32 v2, s1, s10, v4
	v_add_co_ci_u32_e64 v3, null, s11, v5, s1
	v_add_co_u32 v4, s1, s4, v4
	v_add_co_ci_u32_e64 v5, null, s5, v5, s1
	s_and_saveexec_b32 s1, s3
	s_cbranch_execz .LBB278_2
; %bb.1:
	global_load_dword v8, v[2:3], off
	global_load_dword v7, v[4:5], off
.LBB278_2:
	s_or_b32 exec_lo, exec_lo, s1
	v_cmp_gt_i32_e64 s1, 2, v6
	s_xor_b32 s3, vcc_lo, -1
	s_or_b32 s1, s3, s1
	s_and_saveexec_b32 s3, s1
	s_xor_b32 s1, exec_lo, s3
                                        ; implicit-def: $vgpr9
; %bb.3:
	v_mov_b32_e32 v9, 0
                                        ; implicit-def: $vgpr4
                                        ; implicit-def: $vgpr2
; %bb.4:
	s_or_saveexec_b32 s4, s1
	v_mov_b32_e32 v10, 1.0
	s_xor_b32 exec_lo, exec_lo, s4
	s_cbranch_execz .LBB278_6
; %bb.5:
	s_mov_b32 s3, 0
	s_lshl_b64 s[6:7], s[2:3], 2
	v_add_co_u32 v4, s1, v4, s6
	v_add_co_ci_u32_e64 v5, null, s7, v5, s1
	v_add_co_u32 v2, s1, v2, s6
	v_add_co_ci_u32_e64 v3, null, s7, v3, s1
	global_load_dword v4, v[4:5], off
	global_load_dword v9, v[2:3], off
	s_waitcnt vmcnt(1)
	v_mul_f32_e32 v2, 0x3fb8aa3b, v4
	v_cmp_ngt_f32_e64 s1, 0xc2ce8ed0, v4
	v_fma_f32 v3, 0x3fb8aa3b, v4, -v2
	v_rndne_f32_e32 v5, v2
	v_fmamk_f32 v3, v4, 0x32a5705f, v3
	v_sub_f32_e32 v2, v2, v5
	v_add_f32_e32 v2, v2, v3
	v_cvt_i32_f32_e32 v3, v5
	v_exp_f32_e32 v2, v2
	v_ldexp_f32 v2, v2, v3
	v_cndmask_b32_e64 v2, 0, v2, s1
	v_cmp_nlt_f32_e64 s1, 0x42b17218, v4
	v_cndmask_b32_e64 v10, 0x7f800000, v2, s1
.LBB278_6:
	s_or_b32 exec_lo, exec_lo, s4
	v_mbcnt_lo_u32_b32 v2, -1, 0
	v_and_b32_e32 v3, 30, v2
	v_xor_b32_e32 v4, 1, v2
	v_add_nc_u32_e32 v3, 2, v3
	v_cmp_lt_i32_e64 s1, v4, v3
	v_cndmask_b32_e64 v2, v2, v4, s1
	s_waitcnt vmcnt(1)
	v_add_f32_e32 v4, 0, v8
	v_lshlrev_b32_e32 v3, 2, v2
	s_waitcnt vmcnt(0)
	v_add_f32_e32 v2, 0, v9
	ds_bpermute_b32 v5, v3, v4
	ds_bpermute_b32 v3, v3, v2
	s_and_saveexec_b32 s1, s0
	s_cbranch_execz .LBB278_11
; %bb.7:
	v_lshlrev_b64 v[0:1], 1, v[0:1]
	v_add_co_u32 v0, s0, s8, v0
	v_add_co_ci_u32_e64 v1, null, s9, v1, s0
	s_and_saveexec_b32 s1, vcc_lo
	s_cbranch_execz .LBB278_9
; %bb.8:
	v_mul_f32_e32 v11, 0x3fb8aa3b, v7
	v_cmp_ngt_f32_e64 s0, 0xc2ce8ed0, v7
	s_waitcnt lgkmcnt(1)
	v_add_f32_e32 v4, v4, v5
	v_rndne_f32_e32 v12, v11
	v_fma_f32 v13, 0x3fb8aa3b, v7, -v11
	v_sub_f32_e32 v11, v11, v12
	v_fmamk_f32 v13, v7, 0x32a5705f, v13
	v_cvt_i32_f32_e32 v12, v12
	v_add_f32_e32 v11, v11, v13
	v_exp_f32_e32 v11, v11
	v_ldexp_f32 v11, v11, v12
	v_cndmask_b32_e64 v11, 0, v11, s0
	v_cmp_nlt_f32_e64 s0, 0x42b17218, v7
	v_cndmask_b32_e64 v5, 0x7f800000, v11, s0
	v_fma_mixlo_f16 v4, -v4, v5, v8
	global_store_short v[0:1], v4, off
.LBB278_9:
	s_or_b32 exec_lo, exec_lo, s1
	v_cmp_ne_u32_e64 s0, 1, v6
	s_and_b32 s0, s0, vcc_lo
	s_and_b32 exec_lo, exec_lo, s0
	s_cbranch_execz .LBB278_11
; %bb.10:
	s_mov_b32 s3, 0
	s_waitcnt lgkmcnt(0)
	v_add_f32_e32 v2, v2, v3
	s_lshl_b64 s[0:1], s[2:3], 1
	v_add_co_u32 v0, vcc_lo, v0, s0
	v_add_co_ci_u32_e64 v1, null, s1, v1, vcc_lo
	v_fma_mixlo_f16 v2, -v2, v10, v9
	global_store_short v[0:1], v2, off
.LBB278_11:
	s_endpgm
	.section	.rodata,"a",@progbits
	.p2align	6, 0x0
	.amdhsa_kernel _ZN12_GLOBAL__N_121softmax_warp_backwardIfN3c104HalfEfLi1ELb1ELb0ELi64EEEvPT0_PKT_S7_iiiPKb
		.amdhsa_group_segment_fixed_size 0
		.amdhsa_private_segment_fixed_size 0
		.amdhsa_kernarg_size 304
		.amdhsa_user_sgpr_count 6
		.amdhsa_user_sgpr_private_segment_buffer 1
		.amdhsa_user_sgpr_dispatch_ptr 0
		.amdhsa_user_sgpr_queue_ptr 0
		.amdhsa_user_sgpr_kernarg_segment_ptr 1
		.amdhsa_user_sgpr_dispatch_id 0
		.amdhsa_user_sgpr_flat_scratch_init 0
		.amdhsa_user_sgpr_private_segment_size 0
		.amdhsa_wavefront_size32 1
		.amdhsa_uses_dynamic_stack 0
		.amdhsa_system_sgpr_private_segment_wavefront_offset 0
		.amdhsa_system_sgpr_workgroup_id_x 1
		.amdhsa_system_sgpr_workgroup_id_y 0
		.amdhsa_system_sgpr_workgroup_id_z 0
		.amdhsa_system_sgpr_workgroup_info 0
		.amdhsa_system_vgpr_workitem_id 1
		.amdhsa_next_free_vgpr 14
		.amdhsa_next_free_sgpr 12
		.amdhsa_reserve_vcc 1
		.amdhsa_reserve_flat_scratch 0
		.amdhsa_float_round_mode_32 0
		.amdhsa_float_round_mode_16_64 0
		.amdhsa_float_denorm_mode_32 3
		.amdhsa_float_denorm_mode_16_64 3
		.amdhsa_dx10_clamp 1
		.amdhsa_ieee_mode 1
		.amdhsa_fp16_overflow 0
		.amdhsa_workgroup_processor_mode 1
		.amdhsa_memory_ordered 1
		.amdhsa_forward_progress 1
		.amdhsa_shared_vgpr_count 0
		.amdhsa_exception_fp_ieee_invalid_op 0
		.amdhsa_exception_fp_denorm_src 0
		.amdhsa_exception_fp_ieee_div_zero 0
		.amdhsa_exception_fp_ieee_overflow 0
		.amdhsa_exception_fp_ieee_underflow 0
		.amdhsa_exception_fp_ieee_inexact 0
		.amdhsa_exception_int_div_zero 0
	.end_amdhsa_kernel
	.section	.text._ZN12_GLOBAL__N_121softmax_warp_backwardIfN3c104HalfEfLi1ELb1ELb0ELi64EEEvPT0_PKT_S7_iiiPKb,"axG",@progbits,_ZN12_GLOBAL__N_121softmax_warp_backwardIfN3c104HalfEfLi1ELb1ELb0ELi64EEEvPT0_PKT_S7_iiiPKb,comdat
.Lfunc_end278:
	.size	_ZN12_GLOBAL__N_121softmax_warp_backwardIfN3c104HalfEfLi1ELb1ELb0ELi64EEEvPT0_PKT_S7_iiiPKb, .Lfunc_end278-_ZN12_GLOBAL__N_121softmax_warp_backwardIfN3c104HalfEfLi1ELb1ELb0ELi64EEEvPT0_PKT_S7_iiiPKb
                                        ; -- End function
	.set _ZN12_GLOBAL__N_121softmax_warp_backwardIfN3c104HalfEfLi1ELb1ELb0ELi64EEEvPT0_PKT_S7_iiiPKb.num_vgpr, 14
	.set _ZN12_GLOBAL__N_121softmax_warp_backwardIfN3c104HalfEfLi1ELb1ELb0ELi64EEEvPT0_PKT_S7_iiiPKb.num_agpr, 0
	.set _ZN12_GLOBAL__N_121softmax_warp_backwardIfN3c104HalfEfLi1ELb1ELb0ELi64EEEvPT0_PKT_S7_iiiPKb.numbered_sgpr, 12
	.set _ZN12_GLOBAL__N_121softmax_warp_backwardIfN3c104HalfEfLi1ELb1ELb0ELi64EEEvPT0_PKT_S7_iiiPKb.num_named_barrier, 0
	.set _ZN12_GLOBAL__N_121softmax_warp_backwardIfN3c104HalfEfLi1ELb1ELb0ELi64EEEvPT0_PKT_S7_iiiPKb.private_seg_size, 0
	.set _ZN12_GLOBAL__N_121softmax_warp_backwardIfN3c104HalfEfLi1ELb1ELb0ELi64EEEvPT0_PKT_S7_iiiPKb.uses_vcc, 1
	.set _ZN12_GLOBAL__N_121softmax_warp_backwardIfN3c104HalfEfLi1ELb1ELb0ELi64EEEvPT0_PKT_S7_iiiPKb.uses_flat_scratch, 0
	.set _ZN12_GLOBAL__N_121softmax_warp_backwardIfN3c104HalfEfLi1ELb1ELb0ELi64EEEvPT0_PKT_S7_iiiPKb.has_dyn_sized_stack, 0
	.set _ZN12_GLOBAL__N_121softmax_warp_backwardIfN3c104HalfEfLi1ELb1ELb0ELi64EEEvPT0_PKT_S7_iiiPKb.has_recursion, 0
	.set _ZN12_GLOBAL__N_121softmax_warp_backwardIfN3c104HalfEfLi1ELb1ELb0ELi64EEEvPT0_PKT_S7_iiiPKb.has_indirect_call, 0
	.section	.AMDGPU.csdata,"",@progbits
; Kernel info:
; codeLenInByte = 704
; TotalNumSgprs: 14
; NumVgprs: 14
; ScratchSize: 0
; MemoryBound: 0
; FloatMode: 240
; IeeeMode: 1
; LDSByteSize: 0 bytes/workgroup (compile time only)
; SGPRBlocks: 0
; VGPRBlocks: 1
; NumSGPRsForWavesPerEU: 14
; NumVGPRsForWavesPerEU: 14
; Occupancy: 16
; WaveLimiterHint : 0
; COMPUTE_PGM_RSRC2:SCRATCH_EN: 0
; COMPUTE_PGM_RSRC2:USER_SGPR: 6
; COMPUTE_PGM_RSRC2:TRAP_HANDLER: 0
; COMPUTE_PGM_RSRC2:TGID_X_EN: 1
; COMPUTE_PGM_RSRC2:TGID_Y_EN: 0
; COMPUTE_PGM_RSRC2:TGID_Z_EN: 0
; COMPUTE_PGM_RSRC2:TIDIG_COMP_CNT: 1
	.section	.text._ZN12_GLOBAL__N_121softmax_warp_backwardIfN3c104HalfEfLi1ELb1ELb0ELi32EEEvPT0_PKT_S7_iiiPKb,"axG",@progbits,_ZN12_GLOBAL__N_121softmax_warp_backwardIfN3c104HalfEfLi1ELb1ELb0ELi32EEEvPT0_PKT_S7_iiiPKb,comdat
	.globl	_ZN12_GLOBAL__N_121softmax_warp_backwardIfN3c104HalfEfLi1ELb1ELb0ELi32EEEvPT0_PKT_S7_iiiPKb ; -- Begin function _ZN12_GLOBAL__N_121softmax_warp_backwardIfN3c104HalfEfLi1ELb1ELb0ELi32EEEvPT0_PKT_S7_iiiPKb
	.p2align	8
	.type	_ZN12_GLOBAL__N_121softmax_warp_backwardIfN3c104HalfEfLi1ELb1ELb0ELi32EEEvPT0_PKT_S7_iiiPKb,@function
_ZN12_GLOBAL__N_121softmax_warp_backwardIfN3c104HalfEfLi1ELb1ELb0ELi32EEEvPT0_PKT_S7_iiiPKb: ; @_ZN12_GLOBAL__N_121softmax_warp_backwardIfN3c104HalfEfLi1ELb1ELb0ELi32EEEvPT0_PKT_S7_iiiPKb
; %bb.0:
	s_clause 0x1
	s_load_dword s7, s[4:5], 0x3c
	s_load_dwordx4 s[0:3], s[4:5], 0x18
	v_and_b32_e32 v3, 1, v0
	s_clause 0x1
	s_load_dwordx4 s[8:11], s[4:5], 0x0
	s_load_dwordx2 s[4:5], s[4:5], 0x10
	v_mov_b32_e32 v7, 0
	v_mov_b32_e32 v8, 0
	s_waitcnt lgkmcnt(0)
	s_lshr_b32 s3, s7, 16
	v_cmp_gt_i32_e32 vcc_lo, s2, v3
	s_and_b32 s3, s3, 0xffff
	s_mul_i32 s6, s6, s3
	v_add_lshl_u32 v2, s6, v1, 1
	v_mul_lo_u32 v1, v2, s1
	v_sub_nc_u32_e32 v6, s0, v2
	v_cmp_lt_i32_e64 s0, 0, v6
	v_or_b32_e32 v0, v1, v3
	s_and_b32 s3, vcc_lo, s0
	v_ashrrev_i32_e32 v1, 31, v0
	v_lshlrev_b64 v[4:5], 2, v[0:1]
	v_add_co_u32 v2, s1, s10, v4
	v_add_co_ci_u32_e64 v3, null, s11, v5, s1
	v_add_co_u32 v4, s1, s4, v4
	v_add_co_ci_u32_e64 v5, null, s5, v5, s1
	s_and_saveexec_b32 s1, s3
	s_cbranch_execz .LBB279_2
; %bb.1:
	global_load_dword v8, v[2:3], off
	global_load_dword v7, v[4:5], off
.LBB279_2:
	s_or_b32 exec_lo, exec_lo, s1
	v_cmp_gt_i32_e64 s1, 2, v6
	s_xor_b32 s3, vcc_lo, -1
	s_or_b32 s1, s3, s1
	s_and_saveexec_b32 s3, s1
	s_xor_b32 s1, exec_lo, s3
                                        ; implicit-def: $vgpr9
; %bb.3:
	v_mov_b32_e32 v9, 0
                                        ; implicit-def: $vgpr4
                                        ; implicit-def: $vgpr2
; %bb.4:
	s_or_saveexec_b32 s4, s1
	v_mov_b32_e32 v10, 1.0
	s_xor_b32 exec_lo, exec_lo, s4
	s_cbranch_execz .LBB279_6
; %bb.5:
	s_mov_b32 s3, 0
	s_lshl_b64 s[6:7], s[2:3], 2
	v_add_co_u32 v4, s1, v4, s6
	v_add_co_ci_u32_e64 v5, null, s7, v5, s1
	v_add_co_u32 v2, s1, v2, s6
	v_add_co_ci_u32_e64 v3, null, s7, v3, s1
	global_load_dword v4, v[4:5], off
	global_load_dword v9, v[2:3], off
	s_waitcnt vmcnt(1)
	v_mul_f32_e32 v2, 0x3fb8aa3b, v4
	v_cmp_ngt_f32_e64 s1, 0xc2ce8ed0, v4
	v_fma_f32 v3, 0x3fb8aa3b, v4, -v2
	v_rndne_f32_e32 v5, v2
	v_fmamk_f32 v3, v4, 0x32a5705f, v3
	v_sub_f32_e32 v2, v2, v5
	v_add_f32_e32 v2, v2, v3
	v_cvt_i32_f32_e32 v3, v5
	v_exp_f32_e32 v2, v2
	v_ldexp_f32 v2, v2, v3
	v_cndmask_b32_e64 v2, 0, v2, s1
	v_cmp_nlt_f32_e64 s1, 0x42b17218, v4
	v_cndmask_b32_e64 v10, 0x7f800000, v2, s1
.LBB279_6:
	s_or_b32 exec_lo, exec_lo, s4
	v_mbcnt_lo_u32_b32 v2, -1, 0
	v_and_b32_e32 v3, 30, v2
	v_xor_b32_e32 v4, 1, v2
	v_add_nc_u32_e32 v3, 2, v3
	v_cmp_lt_i32_e64 s1, v4, v3
	v_cndmask_b32_e64 v2, v2, v4, s1
	s_waitcnt vmcnt(1)
	v_add_f32_e32 v4, 0, v8
	v_lshlrev_b32_e32 v3, 2, v2
	s_waitcnt vmcnt(0)
	v_add_f32_e32 v2, 0, v9
	ds_bpermute_b32 v5, v3, v4
	ds_bpermute_b32 v3, v3, v2
	s_and_saveexec_b32 s1, s0
	s_cbranch_execz .LBB279_11
; %bb.7:
	v_lshlrev_b64 v[0:1], 1, v[0:1]
	v_add_co_u32 v0, s0, s8, v0
	v_add_co_ci_u32_e64 v1, null, s9, v1, s0
	s_and_saveexec_b32 s1, vcc_lo
	s_cbranch_execz .LBB279_9
; %bb.8:
	v_mul_f32_e32 v11, 0x3fb8aa3b, v7
	v_cmp_ngt_f32_e64 s0, 0xc2ce8ed0, v7
	s_waitcnt lgkmcnt(1)
	v_add_f32_e32 v4, v4, v5
	v_rndne_f32_e32 v12, v11
	v_fma_f32 v13, 0x3fb8aa3b, v7, -v11
	v_sub_f32_e32 v11, v11, v12
	v_fmamk_f32 v13, v7, 0x32a5705f, v13
	v_cvt_i32_f32_e32 v12, v12
	v_add_f32_e32 v11, v11, v13
	v_exp_f32_e32 v11, v11
	v_ldexp_f32 v11, v11, v12
	v_cndmask_b32_e64 v11, 0, v11, s0
	v_cmp_nlt_f32_e64 s0, 0x42b17218, v7
	v_cndmask_b32_e64 v5, 0x7f800000, v11, s0
	v_fma_mixlo_f16 v4, -v4, v5, v8
	global_store_short v[0:1], v4, off
.LBB279_9:
	s_or_b32 exec_lo, exec_lo, s1
	v_cmp_ne_u32_e64 s0, 1, v6
	s_and_b32 s0, s0, vcc_lo
	s_and_b32 exec_lo, exec_lo, s0
	s_cbranch_execz .LBB279_11
; %bb.10:
	s_mov_b32 s3, 0
	s_waitcnt lgkmcnt(0)
	v_add_f32_e32 v2, v2, v3
	s_lshl_b64 s[0:1], s[2:3], 1
	v_add_co_u32 v0, vcc_lo, v0, s0
	v_add_co_ci_u32_e64 v1, null, s1, v1, vcc_lo
	v_fma_mixlo_f16 v2, -v2, v10, v9
	global_store_short v[0:1], v2, off
.LBB279_11:
	s_endpgm
	.section	.rodata,"a",@progbits
	.p2align	6, 0x0
	.amdhsa_kernel _ZN12_GLOBAL__N_121softmax_warp_backwardIfN3c104HalfEfLi1ELb1ELb0ELi32EEEvPT0_PKT_S7_iiiPKb
		.amdhsa_group_segment_fixed_size 0
		.amdhsa_private_segment_fixed_size 0
		.amdhsa_kernarg_size 304
		.amdhsa_user_sgpr_count 6
		.amdhsa_user_sgpr_private_segment_buffer 1
		.amdhsa_user_sgpr_dispatch_ptr 0
		.amdhsa_user_sgpr_queue_ptr 0
		.amdhsa_user_sgpr_kernarg_segment_ptr 1
		.amdhsa_user_sgpr_dispatch_id 0
		.amdhsa_user_sgpr_flat_scratch_init 0
		.amdhsa_user_sgpr_private_segment_size 0
		.amdhsa_wavefront_size32 1
		.amdhsa_uses_dynamic_stack 0
		.amdhsa_system_sgpr_private_segment_wavefront_offset 0
		.amdhsa_system_sgpr_workgroup_id_x 1
		.amdhsa_system_sgpr_workgroup_id_y 0
		.amdhsa_system_sgpr_workgroup_id_z 0
		.amdhsa_system_sgpr_workgroup_info 0
		.amdhsa_system_vgpr_workitem_id 1
		.amdhsa_next_free_vgpr 14
		.amdhsa_next_free_sgpr 12
		.amdhsa_reserve_vcc 1
		.amdhsa_reserve_flat_scratch 0
		.amdhsa_float_round_mode_32 0
		.amdhsa_float_round_mode_16_64 0
		.amdhsa_float_denorm_mode_32 3
		.amdhsa_float_denorm_mode_16_64 3
		.amdhsa_dx10_clamp 1
		.amdhsa_ieee_mode 1
		.amdhsa_fp16_overflow 0
		.amdhsa_workgroup_processor_mode 1
		.amdhsa_memory_ordered 1
		.amdhsa_forward_progress 1
		.amdhsa_shared_vgpr_count 0
		.amdhsa_exception_fp_ieee_invalid_op 0
		.amdhsa_exception_fp_denorm_src 0
		.amdhsa_exception_fp_ieee_div_zero 0
		.amdhsa_exception_fp_ieee_overflow 0
		.amdhsa_exception_fp_ieee_underflow 0
		.amdhsa_exception_fp_ieee_inexact 0
		.amdhsa_exception_int_div_zero 0
	.end_amdhsa_kernel
	.section	.text._ZN12_GLOBAL__N_121softmax_warp_backwardIfN3c104HalfEfLi1ELb1ELb0ELi32EEEvPT0_PKT_S7_iiiPKb,"axG",@progbits,_ZN12_GLOBAL__N_121softmax_warp_backwardIfN3c104HalfEfLi1ELb1ELb0ELi32EEEvPT0_PKT_S7_iiiPKb,comdat
.Lfunc_end279:
	.size	_ZN12_GLOBAL__N_121softmax_warp_backwardIfN3c104HalfEfLi1ELb1ELb0ELi32EEEvPT0_PKT_S7_iiiPKb, .Lfunc_end279-_ZN12_GLOBAL__N_121softmax_warp_backwardIfN3c104HalfEfLi1ELb1ELb0ELi32EEEvPT0_PKT_S7_iiiPKb
                                        ; -- End function
	.set _ZN12_GLOBAL__N_121softmax_warp_backwardIfN3c104HalfEfLi1ELb1ELb0ELi32EEEvPT0_PKT_S7_iiiPKb.num_vgpr, 14
	.set _ZN12_GLOBAL__N_121softmax_warp_backwardIfN3c104HalfEfLi1ELb1ELb0ELi32EEEvPT0_PKT_S7_iiiPKb.num_agpr, 0
	.set _ZN12_GLOBAL__N_121softmax_warp_backwardIfN3c104HalfEfLi1ELb1ELb0ELi32EEEvPT0_PKT_S7_iiiPKb.numbered_sgpr, 12
	.set _ZN12_GLOBAL__N_121softmax_warp_backwardIfN3c104HalfEfLi1ELb1ELb0ELi32EEEvPT0_PKT_S7_iiiPKb.num_named_barrier, 0
	.set _ZN12_GLOBAL__N_121softmax_warp_backwardIfN3c104HalfEfLi1ELb1ELb0ELi32EEEvPT0_PKT_S7_iiiPKb.private_seg_size, 0
	.set _ZN12_GLOBAL__N_121softmax_warp_backwardIfN3c104HalfEfLi1ELb1ELb0ELi32EEEvPT0_PKT_S7_iiiPKb.uses_vcc, 1
	.set _ZN12_GLOBAL__N_121softmax_warp_backwardIfN3c104HalfEfLi1ELb1ELb0ELi32EEEvPT0_PKT_S7_iiiPKb.uses_flat_scratch, 0
	.set _ZN12_GLOBAL__N_121softmax_warp_backwardIfN3c104HalfEfLi1ELb1ELb0ELi32EEEvPT0_PKT_S7_iiiPKb.has_dyn_sized_stack, 0
	.set _ZN12_GLOBAL__N_121softmax_warp_backwardIfN3c104HalfEfLi1ELb1ELb0ELi32EEEvPT0_PKT_S7_iiiPKb.has_recursion, 0
	.set _ZN12_GLOBAL__N_121softmax_warp_backwardIfN3c104HalfEfLi1ELb1ELb0ELi32EEEvPT0_PKT_S7_iiiPKb.has_indirect_call, 0
	.section	.AMDGPU.csdata,"",@progbits
; Kernel info:
; codeLenInByte = 704
; TotalNumSgprs: 14
; NumVgprs: 14
; ScratchSize: 0
; MemoryBound: 0
; FloatMode: 240
; IeeeMode: 1
; LDSByteSize: 0 bytes/workgroup (compile time only)
; SGPRBlocks: 0
; VGPRBlocks: 1
; NumSGPRsForWavesPerEU: 14
; NumVGPRsForWavesPerEU: 14
; Occupancy: 16
; WaveLimiterHint : 0
; COMPUTE_PGM_RSRC2:SCRATCH_EN: 0
; COMPUTE_PGM_RSRC2:USER_SGPR: 6
; COMPUTE_PGM_RSRC2:TRAP_HANDLER: 0
; COMPUTE_PGM_RSRC2:TGID_X_EN: 1
; COMPUTE_PGM_RSRC2:TGID_Y_EN: 0
; COMPUTE_PGM_RSRC2:TGID_Z_EN: 0
; COMPUTE_PGM_RSRC2:TIDIG_COMP_CNT: 1
	.section	.text._ZN12_GLOBAL__N_121softmax_warp_backwardIfN3c104HalfEfLi2ELb1ELb0ELi64EEEvPT0_PKT_S7_iiiPKb,"axG",@progbits,_ZN12_GLOBAL__N_121softmax_warp_backwardIfN3c104HalfEfLi2ELb1ELb0ELi64EEEvPT0_PKT_S7_iiiPKb,comdat
	.globl	_ZN12_GLOBAL__N_121softmax_warp_backwardIfN3c104HalfEfLi2ELb1ELb0ELi64EEEvPT0_PKT_S7_iiiPKb ; -- Begin function _ZN12_GLOBAL__N_121softmax_warp_backwardIfN3c104HalfEfLi2ELb1ELb0ELi64EEEvPT0_PKT_S7_iiiPKb
	.p2align	8
	.type	_ZN12_GLOBAL__N_121softmax_warp_backwardIfN3c104HalfEfLi2ELb1ELb0ELi64EEEvPT0_PKT_S7_iiiPKb,@function
_ZN12_GLOBAL__N_121softmax_warp_backwardIfN3c104HalfEfLi2ELb1ELb0ELi64EEEvPT0_PKT_S7_iiiPKb: ; @_ZN12_GLOBAL__N_121softmax_warp_backwardIfN3c104HalfEfLi2ELb1ELb0ELi64EEEvPT0_PKT_S7_iiiPKb
; %bb.0:
	s_clause 0x1
	s_load_dword s7, s[4:5], 0x3c
	s_load_dwordx4 s[0:3], s[4:5], 0x18
	v_and_b32_e32 v2, 3, v0
	s_clause 0x1
	s_load_dwordx4 s[8:11], s[4:5], 0x0
	s_load_dwordx2 s[4:5], s[4:5], 0x10
	v_mov_b32_e32 v7, 0
	v_mov_b32_e32 v8, 0
	s_waitcnt lgkmcnt(0)
	s_lshr_b32 s3, s7, 16
	v_cmp_gt_i32_e32 vcc_lo, s2, v2
	s_and_b32 s3, s3, 0xffff
	s_mul_i32 s6, s6, s3
	v_add_lshl_u32 v3, s6, v1, 1
	v_mad_u64_u32 v[0:1], null, v3, s1, v[2:3]
	v_sub_nc_u32_e32 v6, s0, v3
	v_cmp_lt_i32_e64 s0, 0, v6
	v_ashrrev_i32_e32 v1, 31, v0
	s_and_b32 s3, vcc_lo, s0
	v_lshlrev_b64 v[4:5], 2, v[0:1]
	v_add_co_u32 v2, s1, s10, v4
	v_add_co_ci_u32_e64 v3, null, s11, v5, s1
	v_add_co_u32 v4, s1, s4, v4
	v_add_co_ci_u32_e64 v5, null, s5, v5, s1
	s_and_saveexec_b32 s1, s3
	s_cbranch_execz .LBB280_2
; %bb.1:
	global_load_dword v8, v[2:3], off
	global_load_dword v7, v[4:5], off
.LBB280_2:
	s_or_b32 exec_lo, exec_lo, s1
	v_cmp_gt_i32_e64 s1, 2, v6
	s_xor_b32 s3, vcc_lo, -1
	s_or_b32 s1, s3, s1
	s_and_saveexec_b32 s3, s1
	s_xor_b32 s1, exec_lo, s3
                                        ; implicit-def: $vgpr9
; %bb.3:
	v_mov_b32_e32 v9, 0
                                        ; implicit-def: $vgpr4
                                        ; implicit-def: $vgpr2
; %bb.4:
	s_or_saveexec_b32 s4, s1
	v_mov_b32_e32 v10, 1.0
	s_xor_b32 exec_lo, exec_lo, s4
	s_cbranch_execz .LBB280_6
; %bb.5:
	s_mov_b32 s3, 0
	s_lshl_b64 s[6:7], s[2:3], 2
	v_add_co_u32 v4, s1, v4, s6
	v_add_co_ci_u32_e64 v5, null, s7, v5, s1
	v_add_co_u32 v2, s1, v2, s6
	v_add_co_ci_u32_e64 v3, null, s7, v3, s1
	global_load_dword v4, v[4:5], off
	global_load_dword v9, v[2:3], off
	s_waitcnt vmcnt(1)
	v_mul_f32_e32 v2, 0x3fb8aa3b, v4
	v_cmp_ngt_f32_e64 s1, 0xc2ce8ed0, v4
	v_fma_f32 v3, 0x3fb8aa3b, v4, -v2
	v_rndne_f32_e32 v5, v2
	v_fmamk_f32 v3, v4, 0x32a5705f, v3
	v_sub_f32_e32 v2, v2, v5
	v_add_f32_e32 v2, v2, v3
	v_cvt_i32_f32_e32 v3, v5
	v_exp_f32_e32 v2, v2
	v_ldexp_f32 v2, v2, v3
	v_cndmask_b32_e64 v2, 0, v2, s1
	v_cmp_nlt_f32_e64 s1, 0x42b17218, v4
	v_cndmask_b32_e64 v10, 0x7f800000, v2, s1
.LBB280_6:
	s_or_b32 exec_lo, exec_lo, s4
	v_mbcnt_lo_u32_b32 v2, -1, 0
	s_waitcnt vmcnt(1)
	v_add_f32_e32 v5, 0, v8
	s_waitcnt vmcnt(0)
	v_add_f32_e32 v11, 0, v9
	v_and_b32_e32 v3, 28, v2
	v_xor_b32_e32 v4, 2, v2
	v_add_nc_u32_e32 v3, 4, v3
	v_cmp_lt_i32_e64 s1, v4, v3
	v_cndmask_b32_e64 v4, v2, v4, s1
	v_lshlrev_b32_e32 v4, 2, v4
	ds_bpermute_b32 v12, v4, v5
	ds_bpermute_b32 v13, v4, v11
	v_xor_b32_e32 v4, 1, v2
	v_cmp_lt_i32_e64 s1, v4, v3
	v_cndmask_b32_e64 v2, v2, v4, s1
	v_lshlrev_b32_e32 v3, 2, v2
	s_waitcnt lgkmcnt(1)
	v_add_f32_e32 v4, v5, v12
	s_waitcnt lgkmcnt(0)
	v_add_f32_e32 v2, v11, v13
	ds_bpermute_b32 v5, v3, v4
	ds_bpermute_b32 v3, v3, v2
	s_and_saveexec_b32 s1, s0
	s_cbranch_execz .LBB280_11
; %bb.7:
	v_lshlrev_b64 v[0:1], 1, v[0:1]
	v_add_co_u32 v0, s0, s8, v0
	v_add_co_ci_u32_e64 v1, null, s9, v1, s0
	s_and_saveexec_b32 s1, vcc_lo
	s_cbranch_execz .LBB280_9
; %bb.8:
	v_mul_f32_e32 v11, 0x3fb8aa3b, v7
	v_cmp_ngt_f32_e64 s0, 0xc2ce8ed0, v7
	s_waitcnt lgkmcnt(1)
	v_add_f32_e32 v4, v4, v5
	v_rndne_f32_e32 v12, v11
	v_fma_f32 v13, 0x3fb8aa3b, v7, -v11
	v_sub_f32_e32 v11, v11, v12
	v_fmamk_f32 v13, v7, 0x32a5705f, v13
	v_cvt_i32_f32_e32 v12, v12
	v_add_f32_e32 v11, v11, v13
	v_exp_f32_e32 v11, v11
	v_ldexp_f32 v11, v11, v12
	v_cndmask_b32_e64 v11, 0, v11, s0
	v_cmp_nlt_f32_e64 s0, 0x42b17218, v7
	v_cndmask_b32_e64 v5, 0x7f800000, v11, s0
	v_fma_mixlo_f16 v4, -v4, v5, v8
	global_store_short v[0:1], v4, off
.LBB280_9:
	s_or_b32 exec_lo, exec_lo, s1
	v_cmp_ne_u32_e64 s0, 1, v6
	s_and_b32 s0, s0, vcc_lo
	s_and_b32 exec_lo, exec_lo, s0
	s_cbranch_execz .LBB280_11
; %bb.10:
	s_mov_b32 s3, 0
	s_waitcnt lgkmcnt(0)
	v_add_f32_e32 v2, v2, v3
	s_lshl_b64 s[0:1], s[2:3], 1
	v_add_co_u32 v0, vcc_lo, v0, s0
	v_add_co_ci_u32_e64 v1, null, s1, v1, vcc_lo
	v_fma_mixlo_f16 v2, -v2, v10, v9
	global_store_short v[0:1], v2, off
.LBB280_11:
	s_endpgm
	.section	.rodata,"a",@progbits
	.p2align	6, 0x0
	.amdhsa_kernel _ZN12_GLOBAL__N_121softmax_warp_backwardIfN3c104HalfEfLi2ELb1ELb0ELi64EEEvPT0_PKT_S7_iiiPKb
		.amdhsa_group_segment_fixed_size 0
		.amdhsa_private_segment_fixed_size 0
		.amdhsa_kernarg_size 304
		.amdhsa_user_sgpr_count 6
		.amdhsa_user_sgpr_private_segment_buffer 1
		.amdhsa_user_sgpr_dispatch_ptr 0
		.amdhsa_user_sgpr_queue_ptr 0
		.amdhsa_user_sgpr_kernarg_segment_ptr 1
		.amdhsa_user_sgpr_dispatch_id 0
		.amdhsa_user_sgpr_flat_scratch_init 0
		.amdhsa_user_sgpr_private_segment_size 0
		.amdhsa_wavefront_size32 1
		.amdhsa_uses_dynamic_stack 0
		.amdhsa_system_sgpr_private_segment_wavefront_offset 0
		.amdhsa_system_sgpr_workgroup_id_x 1
		.amdhsa_system_sgpr_workgroup_id_y 0
		.amdhsa_system_sgpr_workgroup_id_z 0
		.amdhsa_system_sgpr_workgroup_info 0
		.amdhsa_system_vgpr_workitem_id 1
		.amdhsa_next_free_vgpr 14
		.amdhsa_next_free_sgpr 12
		.amdhsa_reserve_vcc 1
		.amdhsa_reserve_flat_scratch 0
		.amdhsa_float_round_mode_32 0
		.amdhsa_float_round_mode_16_64 0
		.amdhsa_float_denorm_mode_32 3
		.amdhsa_float_denorm_mode_16_64 3
		.amdhsa_dx10_clamp 1
		.amdhsa_ieee_mode 1
		.amdhsa_fp16_overflow 0
		.amdhsa_workgroup_processor_mode 1
		.amdhsa_memory_ordered 1
		.amdhsa_forward_progress 1
		.amdhsa_shared_vgpr_count 0
		.amdhsa_exception_fp_ieee_invalid_op 0
		.amdhsa_exception_fp_denorm_src 0
		.amdhsa_exception_fp_ieee_div_zero 0
		.amdhsa_exception_fp_ieee_overflow 0
		.amdhsa_exception_fp_ieee_underflow 0
		.amdhsa_exception_fp_ieee_inexact 0
		.amdhsa_exception_int_div_zero 0
	.end_amdhsa_kernel
	.section	.text._ZN12_GLOBAL__N_121softmax_warp_backwardIfN3c104HalfEfLi2ELb1ELb0ELi64EEEvPT0_PKT_S7_iiiPKb,"axG",@progbits,_ZN12_GLOBAL__N_121softmax_warp_backwardIfN3c104HalfEfLi2ELb1ELb0ELi64EEEvPT0_PKT_S7_iiiPKb,comdat
.Lfunc_end280:
	.size	_ZN12_GLOBAL__N_121softmax_warp_backwardIfN3c104HalfEfLi2ELb1ELb0ELi64EEEvPT0_PKT_S7_iiiPKb, .Lfunc_end280-_ZN12_GLOBAL__N_121softmax_warp_backwardIfN3c104HalfEfLi2ELb1ELb0ELi64EEEvPT0_PKT_S7_iiiPKb
                                        ; -- End function
	.set _ZN12_GLOBAL__N_121softmax_warp_backwardIfN3c104HalfEfLi2ELb1ELb0ELi64EEEvPT0_PKT_S7_iiiPKb.num_vgpr, 14
	.set _ZN12_GLOBAL__N_121softmax_warp_backwardIfN3c104HalfEfLi2ELb1ELb0ELi64EEEvPT0_PKT_S7_iiiPKb.num_agpr, 0
	.set _ZN12_GLOBAL__N_121softmax_warp_backwardIfN3c104HalfEfLi2ELb1ELb0ELi64EEEvPT0_PKT_S7_iiiPKb.numbered_sgpr, 12
	.set _ZN12_GLOBAL__N_121softmax_warp_backwardIfN3c104HalfEfLi2ELb1ELb0ELi64EEEvPT0_PKT_S7_iiiPKb.num_named_barrier, 0
	.set _ZN12_GLOBAL__N_121softmax_warp_backwardIfN3c104HalfEfLi2ELb1ELb0ELi64EEEvPT0_PKT_S7_iiiPKb.private_seg_size, 0
	.set _ZN12_GLOBAL__N_121softmax_warp_backwardIfN3c104HalfEfLi2ELb1ELb0ELi64EEEvPT0_PKT_S7_iiiPKb.uses_vcc, 1
	.set _ZN12_GLOBAL__N_121softmax_warp_backwardIfN3c104HalfEfLi2ELb1ELb0ELi64EEEvPT0_PKT_S7_iiiPKb.uses_flat_scratch, 0
	.set _ZN12_GLOBAL__N_121softmax_warp_backwardIfN3c104HalfEfLi2ELb1ELb0ELi64EEEvPT0_PKT_S7_iiiPKb.has_dyn_sized_stack, 0
	.set _ZN12_GLOBAL__N_121softmax_warp_backwardIfN3c104HalfEfLi2ELb1ELb0ELi64EEEvPT0_PKT_S7_iiiPKb.has_recursion, 0
	.set _ZN12_GLOBAL__N_121softmax_warp_backwardIfN3c104HalfEfLi2ELb1ELb0ELi64EEEvPT0_PKT_S7_iiiPKb.has_indirect_call, 0
	.section	.AMDGPU.csdata,"",@progbits
; Kernel info:
; codeLenInByte = 756
; TotalNumSgprs: 14
; NumVgprs: 14
; ScratchSize: 0
; MemoryBound: 0
; FloatMode: 240
; IeeeMode: 1
; LDSByteSize: 0 bytes/workgroup (compile time only)
; SGPRBlocks: 0
; VGPRBlocks: 1
; NumSGPRsForWavesPerEU: 14
; NumVGPRsForWavesPerEU: 14
; Occupancy: 16
; WaveLimiterHint : 0
; COMPUTE_PGM_RSRC2:SCRATCH_EN: 0
; COMPUTE_PGM_RSRC2:USER_SGPR: 6
; COMPUTE_PGM_RSRC2:TRAP_HANDLER: 0
; COMPUTE_PGM_RSRC2:TGID_X_EN: 1
; COMPUTE_PGM_RSRC2:TGID_Y_EN: 0
; COMPUTE_PGM_RSRC2:TGID_Z_EN: 0
; COMPUTE_PGM_RSRC2:TIDIG_COMP_CNT: 1
	.section	.text._ZN12_GLOBAL__N_121softmax_warp_backwardIfN3c104HalfEfLi2ELb1ELb0ELi32EEEvPT0_PKT_S7_iiiPKb,"axG",@progbits,_ZN12_GLOBAL__N_121softmax_warp_backwardIfN3c104HalfEfLi2ELb1ELb0ELi32EEEvPT0_PKT_S7_iiiPKb,comdat
	.globl	_ZN12_GLOBAL__N_121softmax_warp_backwardIfN3c104HalfEfLi2ELb1ELb0ELi32EEEvPT0_PKT_S7_iiiPKb ; -- Begin function _ZN12_GLOBAL__N_121softmax_warp_backwardIfN3c104HalfEfLi2ELb1ELb0ELi32EEEvPT0_PKT_S7_iiiPKb
	.p2align	8
	.type	_ZN12_GLOBAL__N_121softmax_warp_backwardIfN3c104HalfEfLi2ELb1ELb0ELi32EEEvPT0_PKT_S7_iiiPKb,@function
_ZN12_GLOBAL__N_121softmax_warp_backwardIfN3c104HalfEfLi2ELb1ELb0ELi32EEEvPT0_PKT_S7_iiiPKb: ; @_ZN12_GLOBAL__N_121softmax_warp_backwardIfN3c104HalfEfLi2ELb1ELb0ELi32EEEvPT0_PKT_S7_iiiPKb
; %bb.0:
	s_clause 0x1
	s_load_dword s7, s[4:5], 0x3c
	s_load_dwordx4 s[0:3], s[4:5], 0x18
	v_and_b32_e32 v2, 3, v0
	s_clause 0x1
	s_load_dwordx4 s[8:11], s[4:5], 0x0
	s_load_dwordx2 s[4:5], s[4:5], 0x10
	v_mov_b32_e32 v7, 0
	v_mov_b32_e32 v8, 0
	s_waitcnt lgkmcnt(0)
	s_lshr_b32 s3, s7, 16
	v_cmp_gt_i32_e32 vcc_lo, s2, v2
	s_and_b32 s3, s3, 0xffff
	s_mul_i32 s6, s6, s3
	v_add_lshl_u32 v3, s6, v1, 1
	v_mad_u64_u32 v[0:1], null, v3, s1, v[2:3]
	v_sub_nc_u32_e32 v6, s0, v3
	v_cmp_lt_i32_e64 s0, 0, v6
	v_ashrrev_i32_e32 v1, 31, v0
	s_and_b32 s3, vcc_lo, s0
	v_lshlrev_b64 v[4:5], 2, v[0:1]
	v_add_co_u32 v2, s1, s10, v4
	v_add_co_ci_u32_e64 v3, null, s11, v5, s1
	v_add_co_u32 v4, s1, s4, v4
	v_add_co_ci_u32_e64 v5, null, s5, v5, s1
	s_and_saveexec_b32 s1, s3
	s_cbranch_execz .LBB281_2
; %bb.1:
	global_load_dword v8, v[2:3], off
	global_load_dword v7, v[4:5], off
.LBB281_2:
	s_or_b32 exec_lo, exec_lo, s1
	v_cmp_gt_i32_e64 s1, 2, v6
	s_xor_b32 s3, vcc_lo, -1
	s_or_b32 s1, s3, s1
	s_and_saveexec_b32 s3, s1
	s_xor_b32 s1, exec_lo, s3
                                        ; implicit-def: $vgpr9
; %bb.3:
	v_mov_b32_e32 v9, 0
                                        ; implicit-def: $vgpr4
                                        ; implicit-def: $vgpr2
; %bb.4:
	s_or_saveexec_b32 s4, s1
	v_mov_b32_e32 v10, 1.0
	s_xor_b32 exec_lo, exec_lo, s4
	s_cbranch_execz .LBB281_6
; %bb.5:
	s_mov_b32 s3, 0
	s_lshl_b64 s[6:7], s[2:3], 2
	v_add_co_u32 v4, s1, v4, s6
	v_add_co_ci_u32_e64 v5, null, s7, v5, s1
	v_add_co_u32 v2, s1, v2, s6
	v_add_co_ci_u32_e64 v3, null, s7, v3, s1
	global_load_dword v4, v[4:5], off
	global_load_dword v9, v[2:3], off
	s_waitcnt vmcnt(1)
	v_mul_f32_e32 v2, 0x3fb8aa3b, v4
	v_cmp_ngt_f32_e64 s1, 0xc2ce8ed0, v4
	v_fma_f32 v3, 0x3fb8aa3b, v4, -v2
	v_rndne_f32_e32 v5, v2
	v_fmamk_f32 v3, v4, 0x32a5705f, v3
	v_sub_f32_e32 v2, v2, v5
	v_add_f32_e32 v2, v2, v3
	v_cvt_i32_f32_e32 v3, v5
	v_exp_f32_e32 v2, v2
	v_ldexp_f32 v2, v2, v3
	v_cndmask_b32_e64 v2, 0, v2, s1
	v_cmp_nlt_f32_e64 s1, 0x42b17218, v4
	v_cndmask_b32_e64 v10, 0x7f800000, v2, s1
.LBB281_6:
	s_or_b32 exec_lo, exec_lo, s4
	v_mbcnt_lo_u32_b32 v2, -1, 0
	s_waitcnt vmcnt(1)
	v_add_f32_e32 v5, 0, v8
	s_waitcnt vmcnt(0)
	v_add_f32_e32 v11, 0, v9
	v_and_b32_e32 v3, 28, v2
	v_xor_b32_e32 v4, 2, v2
	v_add_nc_u32_e32 v3, 4, v3
	v_cmp_lt_i32_e64 s1, v4, v3
	v_cndmask_b32_e64 v4, v2, v4, s1
	v_lshlrev_b32_e32 v4, 2, v4
	ds_bpermute_b32 v12, v4, v5
	ds_bpermute_b32 v13, v4, v11
	v_xor_b32_e32 v4, 1, v2
	v_cmp_lt_i32_e64 s1, v4, v3
	v_cndmask_b32_e64 v2, v2, v4, s1
	v_lshlrev_b32_e32 v3, 2, v2
	s_waitcnt lgkmcnt(1)
	v_add_f32_e32 v4, v5, v12
	s_waitcnt lgkmcnt(0)
	v_add_f32_e32 v2, v11, v13
	ds_bpermute_b32 v5, v3, v4
	ds_bpermute_b32 v3, v3, v2
	s_and_saveexec_b32 s1, s0
	s_cbranch_execz .LBB281_11
; %bb.7:
	v_lshlrev_b64 v[0:1], 1, v[0:1]
	v_add_co_u32 v0, s0, s8, v0
	v_add_co_ci_u32_e64 v1, null, s9, v1, s0
	s_and_saveexec_b32 s1, vcc_lo
	s_cbranch_execz .LBB281_9
; %bb.8:
	v_mul_f32_e32 v11, 0x3fb8aa3b, v7
	v_cmp_ngt_f32_e64 s0, 0xc2ce8ed0, v7
	s_waitcnt lgkmcnt(1)
	v_add_f32_e32 v4, v4, v5
	v_rndne_f32_e32 v12, v11
	v_fma_f32 v13, 0x3fb8aa3b, v7, -v11
	v_sub_f32_e32 v11, v11, v12
	v_fmamk_f32 v13, v7, 0x32a5705f, v13
	v_cvt_i32_f32_e32 v12, v12
	v_add_f32_e32 v11, v11, v13
	v_exp_f32_e32 v11, v11
	v_ldexp_f32 v11, v11, v12
	v_cndmask_b32_e64 v11, 0, v11, s0
	v_cmp_nlt_f32_e64 s0, 0x42b17218, v7
	v_cndmask_b32_e64 v5, 0x7f800000, v11, s0
	v_fma_mixlo_f16 v4, -v4, v5, v8
	global_store_short v[0:1], v4, off
.LBB281_9:
	s_or_b32 exec_lo, exec_lo, s1
	v_cmp_ne_u32_e64 s0, 1, v6
	s_and_b32 s0, s0, vcc_lo
	s_and_b32 exec_lo, exec_lo, s0
	s_cbranch_execz .LBB281_11
; %bb.10:
	s_mov_b32 s3, 0
	s_waitcnt lgkmcnt(0)
	v_add_f32_e32 v2, v2, v3
	s_lshl_b64 s[0:1], s[2:3], 1
	v_add_co_u32 v0, vcc_lo, v0, s0
	v_add_co_ci_u32_e64 v1, null, s1, v1, vcc_lo
	v_fma_mixlo_f16 v2, -v2, v10, v9
	global_store_short v[0:1], v2, off
.LBB281_11:
	s_endpgm
	.section	.rodata,"a",@progbits
	.p2align	6, 0x0
	.amdhsa_kernel _ZN12_GLOBAL__N_121softmax_warp_backwardIfN3c104HalfEfLi2ELb1ELb0ELi32EEEvPT0_PKT_S7_iiiPKb
		.amdhsa_group_segment_fixed_size 0
		.amdhsa_private_segment_fixed_size 0
		.amdhsa_kernarg_size 304
		.amdhsa_user_sgpr_count 6
		.amdhsa_user_sgpr_private_segment_buffer 1
		.amdhsa_user_sgpr_dispatch_ptr 0
		.amdhsa_user_sgpr_queue_ptr 0
		.amdhsa_user_sgpr_kernarg_segment_ptr 1
		.amdhsa_user_sgpr_dispatch_id 0
		.amdhsa_user_sgpr_flat_scratch_init 0
		.amdhsa_user_sgpr_private_segment_size 0
		.amdhsa_wavefront_size32 1
		.amdhsa_uses_dynamic_stack 0
		.amdhsa_system_sgpr_private_segment_wavefront_offset 0
		.amdhsa_system_sgpr_workgroup_id_x 1
		.amdhsa_system_sgpr_workgroup_id_y 0
		.amdhsa_system_sgpr_workgroup_id_z 0
		.amdhsa_system_sgpr_workgroup_info 0
		.amdhsa_system_vgpr_workitem_id 1
		.amdhsa_next_free_vgpr 14
		.amdhsa_next_free_sgpr 12
		.amdhsa_reserve_vcc 1
		.amdhsa_reserve_flat_scratch 0
		.amdhsa_float_round_mode_32 0
		.amdhsa_float_round_mode_16_64 0
		.amdhsa_float_denorm_mode_32 3
		.amdhsa_float_denorm_mode_16_64 3
		.amdhsa_dx10_clamp 1
		.amdhsa_ieee_mode 1
		.amdhsa_fp16_overflow 0
		.amdhsa_workgroup_processor_mode 1
		.amdhsa_memory_ordered 1
		.amdhsa_forward_progress 1
		.amdhsa_shared_vgpr_count 0
		.amdhsa_exception_fp_ieee_invalid_op 0
		.amdhsa_exception_fp_denorm_src 0
		.amdhsa_exception_fp_ieee_div_zero 0
		.amdhsa_exception_fp_ieee_overflow 0
		.amdhsa_exception_fp_ieee_underflow 0
		.amdhsa_exception_fp_ieee_inexact 0
		.amdhsa_exception_int_div_zero 0
	.end_amdhsa_kernel
	.section	.text._ZN12_GLOBAL__N_121softmax_warp_backwardIfN3c104HalfEfLi2ELb1ELb0ELi32EEEvPT0_PKT_S7_iiiPKb,"axG",@progbits,_ZN12_GLOBAL__N_121softmax_warp_backwardIfN3c104HalfEfLi2ELb1ELb0ELi32EEEvPT0_PKT_S7_iiiPKb,comdat
.Lfunc_end281:
	.size	_ZN12_GLOBAL__N_121softmax_warp_backwardIfN3c104HalfEfLi2ELb1ELb0ELi32EEEvPT0_PKT_S7_iiiPKb, .Lfunc_end281-_ZN12_GLOBAL__N_121softmax_warp_backwardIfN3c104HalfEfLi2ELb1ELb0ELi32EEEvPT0_PKT_S7_iiiPKb
                                        ; -- End function
	.set _ZN12_GLOBAL__N_121softmax_warp_backwardIfN3c104HalfEfLi2ELb1ELb0ELi32EEEvPT0_PKT_S7_iiiPKb.num_vgpr, 14
	.set _ZN12_GLOBAL__N_121softmax_warp_backwardIfN3c104HalfEfLi2ELb1ELb0ELi32EEEvPT0_PKT_S7_iiiPKb.num_agpr, 0
	.set _ZN12_GLOBAL__N_121softmax_warp_backwardIfN3c104HalfEfLi2ELb1ELb0ELi32EEEvPT0_PKT_S7_iiiPKb.numbered_sgpr, 12
	.set _ZN12_GLOBAL__N_121softmax_warp_backwardIfN3c104HalfEfLi2ELb1ELb0ELi32EEEvPT0_PKT_S7_iiiPKb.num_named_barrier, 0
	.set _ZN12_GLOBAL__N_121softmax_warp_backwardIfN3c104HalfEfLi2ELb1ELb0ELi32EEEvPT0_PKT_S7_iiiPKb.private_seg_size, 0
	.set _ZN12_GLOBAL__N_121softmax_warp_backwardIfN3c104HalfEfLi2ELb1ELb0ELi32EEEvPT0_PKT_S7_iiiPKb.uses_vcc, 1
	.set _ZN12_GLOBAL__N_121softmax_warp_backwardIfN3c104HalfEfLi2ELb1ELb0ELi32EEEvPT0_PKT_S7_iiiPKb.uses_flat_scratch, 0
	.set _ZN12_GLOBAL__N_121softmax_warp_backwardIfN3c104HalfEfLi2ELb1ELb0ELi32EEEvPT0_PKT_S7_iiiPKb.has_dyn_sized_stack, 0
	.set _ZN12_GLOBAL__N_121softmax_warp_backwardIfN3c104HalfEfLi2ELb1ELb0ELi32EEEvPT0_PKT_S7_iiiPKb.has_recursion, 0
	.set _ZN12_GLOBAL__N_121softmax_warp_backwardIfN3c104HalfEfLi2ELb1ELb0ELi32EEEvPT0_PKT_S7_iiiPKb.has_indirect_call, 0
	.section	.AMDGPU.csdata,"",@progbits
; Kernel info:
; codeLenInByte = 756
; TotalNumSgprs: 14
; NumVgprs: 14
; ScratchSize: 0
; MemoryBound: 0
; FloatMode: 240
; IeeeMode: 1
; LDSByteSize: 0 bytes/workgroup (compile time only)
; SGPRBlocks: 0
; VGPRBlocks: 1
; NumSGPRsForWavesPerEU: 14
; NumVGPRsForWavesPerEU: 14
; Occupancy: 16
; WaveLimiterHint : 0
; COMPUTE_PGM_RSRC2:SCRATCH_EN: 0
; COMPUTE_PGM_RSRC2:USER_SGPR: 6
; COMPUTE_PGM_RSRC2:TRAP_HANDLER: 0
; COMPUTE_PGM_RSRC2:TGID_X_EN: 1
; COMPUTE_PGM_RSRC2:TGID_Y_EN: 0
; COMPUTE_PGM_RSRC2:TGID_Z_EN: 0
; COMPUTE_PGM_RSRC2:TIDIG_COMP_CNT: 1
	.section	.text._ZN12_GLOBAL__N_121softmax_warp_backwardIfN3c104HalfEfLi3ELb1ELb0ELi64EEEvPT0_PKT_S7_iiiPKb,"axG",@progbits,_ZN12_GLOBAL__N_121softmax_warp_backwardIfN3c104HalfEfLi3ELb1ELb0ELi64EEEvPT0_PKT_S7_iiiPKb,comdat
	.globl	_ZN12_GLOBAL__N_121softmax_warp_backwardIfN3c104HalfEfLi3ELb1ELb0ELi64EEEvPT0_PKT_S7_iiiPKb ; -- Begin function _ZN12_GLOBAL__N_121softmax_warp_backwardIfN3c104HalfEfLi3ELb1ELb0ELi64EEEvPT0_PKT_S7_iiiPKb
	.p2align	8
	.type	_ZN12_GLOBAL__N_121softmax_warp_backwardIfN3c104HalfEfLi3ELb1ELb0ELi64EEEvPT0_PKT_S7_iiiPKb,@function
_ZN12_GLOBAL__N_121softmax_warp_backwardIfN3c104HalfEfLi3ELb1ELb0ELi64EEEvPT0_PKT_S7_iiiPKb: ; @_ZN12_GLOBAL__N_121softmax_warp_backwardIfN3c104HalfEfLi3ELb1ELb0ELi64EEEvPT0_PKT_S7_iiiPKb
; %bb.0:
	s_clause 0x1
	s_load_dword s7, s[4:5], 0x3c
	s_load_dwordx4 s[0:3], s[4:5], 0x18
	v_and_b32_e32 v2, 7, v0
	s_clause 0x1
	s_load_dwordx4 s[8:11], s[4:5], 0x0
	s_load_dwordx2 s[4:5], s[4:5], 0x10
	v_mov_b32_e32 v7, 0
	v_mov_b32_e32 v8, 0
	s_waitcnt lgkmcnt(0)
	s_lshr_b32 s3, s7, 16
	v_cmp_gt_i32_e32 vcc_lo, s2, v2
	s_and_b32 s3, s3, 0xffff
	s_mul_i32 s6, s6, s3
	v_add_lshl_u32 v3, s6, v1, 1
	v_mad_u64_u32 v[0:1], null, v3, s1, v[2:3]
	v_sub_nc_u32_e32 v6, s0, v3
	v_cmp_lt_i32_e64 s0, 0, v6
	v_ashrrev_i32_e32 v1, 31, v0
	s_and_b32 s3, vcc_lo, s0
	v_lshlrev_b64 v[4:5], 2, v[0:1]
	v_add_co_u32 v2, s1, s10, v4
	v_add_co_ci_u32_e64 v3, null, s11, v5, s1
	v_add_co_u32 v4, s1, s4, v4
	v_add_co_ci_u32_e64 v5, null, s5, v5, s1
	s_and_saveexec_b32 s1, s3
	s_cbranch_execz .LBB282_2
; %bb.1:
	global_load_dword v8, v[2:3], off
	global_load_dword v7, v[4:5], off
.LBB282_2:
	s_or_b32 exec_lo, exec_lo, s1
	v_cmp_gt_i32_e64 s1, 2, v6
	s_xor_b32 s3, vcc_lo, -1
	s_or_b32 s1, s3, s1
	s_and_saveexec_b32 s3, s1
	s_xor_b32 s1, exec_lo, s3
                                        ; implicit-def: $vgpr9
; %bb.3:
	v_mov_b32_e32 v9, 0
                                        ; implicit-def: $vgpr4
                                        ; implicit-def: $vgpr2
; %bb.4:
	s_or_saveexec_b32 s4, s1
	v_mov_b32_e32 v10, 1.0
	s_xor_b32 exec_lo, exec_lo, s4
	s_cbranch_execz .LBB282_6
; %bb.5:
	s_mov_b32 s3, 0
	s_lshl_b64 s[6:7], s[2:3], 2
	v_add_co_u32 v4, s1, v4, s6
	v_add_co_ci_u32_e64 v5, null, s7, v5, s1
	v_add_co_u32 v2, s1, v2, s6
	v_add_co_ci_u32_e64 v3, null, s7, v3, s1
	global_load_dword v4, v[4:5], off
	global_load_dword v9, v[2:3], off
	s_waitcnt vmcnt(1)
	v_mul_f32_e32 v2, 0x3fb8aa3b, v4
	v_cmp_ngt_f32_e64 s1, 0xc2ce8ed0, v4
	v_fma_f32 v3, 0x3fb8aa3b, v4, -v2
	v_rndne_f32_e32 v5, v2
	v_fmamk_f32 v3, v4, 0x32a5705f, v3
	v_sub_f32_e32 v2, v2, v5
	v_add_f32_e32 v2, v2, v3
	v_cvt_i32_f32_e32 v3, v5
	v_exp_f32_e32 v2, v2
	v_ldexp_f32 v2, v2, v3
	v_cndmask_b32_e64 v2, 0, v2, s1
	v_cmp_nlt_f32_e64 s1, 0x42b17218, v4
	v_cndmask_b32_e64 v10, 0x7f800000, v2, s1
.LBB282_6:
	s_or_b32 exec_lo, exec_lo, s4
	v_mbcnt_lo_u32_b32 v2, -1, 0
	s_waitcnt vmcnt(1)
	v_add_f32_e32 v5, 0, v8
	s_waitcnt vmcnt(0)
	v_add_f32_e32 v11, 0, v9
	v_and_b32_e32 v3, 24, v2
	v_xor_b32_e32 v4, 4, v2
	v_xor_b32_e32 v13, 2, v2
	v_add_nc_u32_e32 v3, 8, v3
	v_cmp_lt_i32_e64 s1, v4, v3
	v_cndmask_b32_e64 v4, v2, v4, s1
	v_cmp_lt_i32_e64 s1, v13, v3
	v_lshlrev_b32_e32 v4, 2, v4
	v_cndmask_b32_e64 v13, v2, v13, s1
	ds_bpermute_b32 v12, v4, v5
	ds_bpermute_b32 v4, v4, v11
	v_lshlrev_b32_e32 v13, 2, v13
	s_waitcnt lgkmcnt(1)
	v_add_f32_e32 v5, v5, v12
	s_waitcnt lgkmcnt(0)
	v_add_f32_e32 v11, v11, v4
	ds_bpermute_b32 v4, v13, v5
	ds_bpermute_b32 v12, v13, v11
	v_xor_b32_e32 v13, 1, v2
	v_cmp_lt_i32_e64 s1, v13, v3
	v_cndmask_b32_e64 v2, v2, v13, s1
	v_lshlrev_b32_e32 v3, 2, v2
	s_waitcnt lgkmcnt(1)
	v_add_f32_e32 v4, v5, v4
	s_waitcnt lgkmcnt(0)
	v_add_f32_e32 v2, v11, v12
	ds_bpermute_b32 v5, v3, v4
	ds_bpermute_b32 v3, v3, v2
	s_and_saveexec_b32 s1, s0
	s_cbranch_execz .LBB282_11
; %bb.7:
	v_lshlrev_b64 v[0:1], 1, v[0:1]
	v_add_co_u32 v0, s0, s8, v0
	v_add_co_ci_u32_e64 v1, null, s9, v1, s0
	s_and_saveexec_b32 s1, vcc_lo
	s_cbranch_execz .LBB282_9
; %bb.8:
	v_mul_f32_e32 v11, 0x3fb8aa3b, v7
	v_cmp_ngt_f32_e64 s0, 0xc2ce8ed0, v7
	s_waitcnt lgkmcnt(1)
	v_add_f32_e32 v4, v4, v5
	v_rndne_f32_e32 v12, v11
	v_fma_f32 v13, 0x3fb8aa3b, v7, -v11
	v_sub_f32_e32 v11, v11, v12
	v_fmamk_f32 v13, v7, 0x32a5705f, v13
	v_cvt_i32_f32_e32 v12, v12
	v_add_f32_e32 v11, v11, v13
	v_exp_f32_e32 v11, v11
	v_ldexp_f32 v11, v11, v12
	v_cndmask_b32_e64 v11, 0, v11, s0
	v_cmp_nlt_f32_e64 s0, 0x42b17218, v7
	v_cndmask_b32_e64 v5, 0x7f800000, v11, s0
	v_fma_mixlo_f16 v4, -v4, v5, v8
	global_store_short v[0:1], v4, off
.LBB282_9:
	s_or_b32 exec_lo, exec_lo, s1
	v_cmp_ne_u32_e64 s0, 1, v6
	s_and_b32 s0, s0, vcc_lo
	s_and_b32 exec_lo, exec_lo, s0
	s_cbranch_execz .LBB282_11
; %bb.10:
	s_mov_b32 s3, 0
	s_waitcnt lgkmcnt(0)
	v_add_f32_e32 v2, v2, v3
	s_lshl_b64 s[0:1], s[2:3], 1
	v_add_co_u32 v0, vcc_lo, v0, s0
	v_add_co_ci_u32_e64 v1, null, s1, v1, vcc_lo
	v_fma_mixlo_f16 v2, -v2, v10, v9
	global_store_short v[0:1], v2, off
.LBB282_11:
	s_endpgm
	.section	.rodata,"a",@progbits
	.p2align	6, 0x0
	.amdhsa_kernel _ZN12_GLOBAL__N_121softmax_warp_backwardIfN3c104HalfEfLi3ELb1ELb0ELi64EEEvPT0_PKT_S7_iiiPKb
		.amdhsa_group_segment_fixed_size 0
		.amdhsa_private_segment_fixed_size 0
		.amdhsa_kernarg_size 304
		.amdhsa_user_sgpr_count 6
		.amdhsa_user_sgpr_private_segment_buffer 1
		.amdhsa_user_sgpr_dispatch_ptr 0
		.amdhsa_user_sgpr_queue_ptr 0
		.amdhsa_user_sgpr_kernarg_segment_ptr 1
		.amdhsa_user_sgpr_dispatch_id 0
		.amdhsa_user_sgpr_flat_scratch_init 0
		.amdhsa_user_sgpr_private_segment_size 0
		.amdhsa_wavefront_size32 1
		.amdhsa_uses_dynamic_stack 0
		.amdhsa_system_sgpr_private_segment_wavefront_offset 0
		.amdhsa_system_sgpr_workgroup_id_x 1
		.amdhsa_system_sgpr_workgroup_id_y 0
		.amdhsa_system_sgpr_workgroup_id_z 0
		.amdhsa_system_sgpr_workgroup_info 0
		.amdhsa_system_vgpr_workitem_id 1
		.amdhsa_next_free_vgpr 14
		.amdhsa_next_free_sgpr 12
		.amdhsa_reserve_vcc 1
		.amdhsa_reserve_flat_scratch 0
		.amdhsa_float_round_mode_32 0
		.amdhsa_float_round_mode_16_64 0
		.amdhsa_float_denorm_mode_32 3
		.amdhsa_float_denorm_mode_16_64 3
		.amdhsa_dx10_clamp 1
		.amdhsa_ieee_mode 1
		.amdhsa_fp16_overflow 0
		.amdhsa_workgroup_processor_mode 1
		.amdhsa_memory_ordered 1
		.amdhsa_forward_progress 1
		.amdhsa_shared_vgpr_count 0
		.amdhsa_exception_fp_ieee_invalid_op 0
		.amdhsa_exception_fp_denorm_src 0
		.amdhsa_exception_fp_ieee_div_zero 0
		.amdhsa_exception_fp_ieee_overflow 0
		.amdhsa_exception_fp_ieee_underflow 0
		.amdhsa_exception_fp_ieee_inexact 0
		.amdhsa_exception_int_div_zero 0
	.end_amdhsa_kernel
	.section	.text._ZN12_GLOBAL__N_121softmax_warp_backwardIfN3c104HalfEfLi3ELb1ELb0ELi64EEEvPT0_PKT_S7_iiiPKb,"axG",@progbits,_ZN12_GLOBAL__N_121softmax_warp_backwardIfN3c104HalfEfLi3ELb1ELb0ELi64EEEvPT0_PKT_S7_iiiPKb,comdat
.Lfunc_end282:
	.size	_ZN12_GLOBAL__N_121softmax_warp_backwardIfN3c104HalfEfLi3ELb1ELb0ELi64EEEvPT0_PKT_S7_iiiPKb, .Lfunc_end282-_ZN12_GLOBAL__N_121softmax_warp_backwardIfN3c104HalfEfLi3ELb1ELb0ELi64EEEvPT0_PKT_S7_iiiPKb
                                        ; -- End function
	.set _ZN12_GLOBAL__N_121softmax_warp_backwardIfN3c104HalfEfLi3ELb1ELb0ELi64EEEvPT0_PKT_S7_iiiPKb.num_vgpr, 14
	.set _ZN12_GLOBAL__N_121softmax_warp_backwardIfN3c104HalfEfLi3ELb1ELb0ELi64EEEvPT0_PKT_S7_iiiPKb.num_agpr, 0
	.set _ZN12_GLOBAL__N_121softmax_warp_backwardIfN3c104HalfEfLi3ELb1ELb0ELi64EEEvPT0_PKT_S7_iiiPKb.numbered_sgpr, 12
	.set _ZN12_GLOBAL__N_121softmax_warp_backwardIfN3c104HalfEfLi3ELb1ELb0ELi64EEEvPT0_PKT_S7_iiiPKb.num_named_barrier, 0
	.set _ZN12_GLOBAL__N_121softmax_warp_backwardIfN3c104HalfEfLi3ELb1ELb0ELi64EEEvPT0_PKT_S7_iiiPKb.private_seg_size, 0
	.set _ZN12_GLOBAL__N_121softmax_warp_backwardIfN3c104HalfEfLi3ELb1ELb0ELi64EEEvPT0_PKT_S7_iiiPKb.uses_vcc, 1
	.set _ZN12_GLOBAL__N_121softmax_warp_backwardIfN3c104HalfEfLi3ELb1ELb0ELi64EEEvPT0_PKT_S7_iiiPKb.uses_flat_scratch, 0
	.set _ZN12_GLOBAL__N_121softmax_warp_backwardIfN3c104HalfEfLi3ELb1ELb0ELi64EEEvPT0_PKT_S7_iiiPKb.has_dyn_sized_stack, 0
	.set _ZN12_GLOBAL__N_121softmax_warp_backwardIfN3c104HalfEfLi3ELb1ELb0ELi64EEEvPT0_PKT_S7_iiiPKb.has_recursion, 0
	.set _ZN12_GLOBAL__N_121softmax_warp_backwardIfN3c104HalfEfLi3ELb1ELb0ELi64EEEvPT0_PKT_S7_iiiPKb.has_indirect_call, 0
	.section	.AMDGPU.csdata,"",@progbits
; Kernel info:
; codeLenInByte = 812
; TotalNumSgprs: 14
; NumVgprs: 14
; ScratchSize: 0
; MemoryBound: 0
; FloatMode: 240
; IeeeMode: 1
; LDSByteSize: 0 bytes/workgroup (compile time only)
; SGPRBlocks: 0
; VGPRBlocks: 1
; NumSGPRsForWavesPerEU: 14
; NumVGPRsForWavesPerEU: 14
; Occupancy: 16
; WaveLimiterHint : 0
; COMPUTE_PGM_RSRC2:SCRATCH_EN: 0
; COMPUTE_PGM_RSRC2:USER_SGPR: 6
; COMPUTE_PGM_RSRC2:TRAP_HANDLER: 0
; COMPUTE_PGM_RSRC2:TGID_X_EN: 1
; COMPUTE_PGM_RSRC2:TGID_Y_EN: 0
; COMPUTE_PGM_RSRC2:TGID_Z_EN: 0
; COMPUTE_PGM_RSRC2:TIDIG_COMP_CNT: 1
	.section	.text._ZN12_GLOBAL__N_121softmax_warp_backwardIfN3c104HalfEfLi3ELb1ELb0ELi32EEEvPT0_PKT_S7_iiiPKb,"axG",@progbits,_ZN12_GLOBAL__N_121softmax_warp_backwardIfN3c104HalfEfLi3ELb1ELb0ELi32EEEvPT0_PKT_S7_iiiPKb,comdat
	.globl	_ZN12_GLOBAL__N_121softmax_warp_backwardIfN3c104HalfEfLi3ELb1ELb0ELi32EEEvPT0_PKT_S7_iiiPKb ; -- Begin function _ZN12_GLOBAL__N_121softmax_warp_backwardIfN3c104HalfEfLi3ELb1ELb0ELi32EEEvPT0_PKT_S7_iiiPKb
	.p2align	8
	.type	_ZN12_GLOBAL__N_121softmax_warp_backwardIfN3c104HalfEfLi3ELb1ELb0ELi32EEEvPT0_PKT_S7_iiiPKb,@function
_ZN12_GLOBAL__N_121softmax_warp_backwardIfN3c104HalfEfLi3ELb1ELb0ELi32EEEvPT0_PKT_S7_iiiPKb: ; @_ZN12_GLOBAL__N_121softmax_warp_backwardIfN3c104HalfEfLi3ELb1ELb0ELi32EEEvPT0_PKT_S7_iiiPKb
; %bb.0:
	s_clause 0x1
	s_load_dword s7, s[4:5], 0x3c
	s_load_dwordx4 s[0:3], s[4:5], 0x18
	v_and_b32_e32 v2, 7, v0
	s_clause 0x1
	s_load_dwordx4 s[8:11], s[4:5], 0x0
	s_load_dwordx2 s[4:5], s[4:5], 0x10
	v_mov_b32_e32 v7, 0
	v_mov_b32_e32 v8, 0
	s_waitcnt lgkmcnt(0)
	s_lshr_b32 s3, s7, 16
	v_cmp_gt_i32_e32 vcc_lo, s2, v2
	s_and_b32 s3, s3, 0xffff
	s_mul_i32 s6, s6, s3
	v_add_lshl_u32 v3, s6, v1, 1
	v_mad_u64_u32 v[0:1], null, v3, s1, v[2:3]
	v_sub_nc_u32_e32 v6, s0, v3
	v_cmp_lt_i32_e64 s0, 0, v6
	v_ashrrev_i32_e32 v1, 31, v0
	s_and_b32 s3, vcc_lo, s0
	v_lshlrev_b64 v[4:5], 2, v[0:1]
	v_add_co_u32 v2, s1, s10, v4
	v_add_co_ci_u32_e64 v3, null, s11, v5, s1
	v_add_co_u32 v4, s1, s4, v4
	v_add_co_ci_u32_e64 v5, null, s5, v5, s1
	s_and_saveexec_b32 s1, s3
	s_cbranch_execz .LBB283_2
; %bb.1:
	global_load_dword v8, v[2:3], off
	global_load_dword v7, v[4:5], off
.LBB283_2:
	s_or_b32 exec_lo, exec_lo, s1
	v_cmp_gt_i32_e64 s1, 2, v6
	s_xor_b32 s3, vcc_lo, -1
	s_or_b32 s1, s3, s1
	s_and_saveexec_b32 s3, s1
	s_xor_b32 s1, exec_lo, s3
                                        ; implicit-def: $vgpr9
; %bb.3:
	v_mov_b32_e32 v9, 0
                                        ; implicit-def: $vgpr4
                                        ; implicit-def: $vgpr2
; %bb.4:
	s_or_saveexec_b32 s4, s1
	v_mov_b32_e32 v10, 1.0
	s_xor_b32 exec_lo, exec_lo, s4
	s_cbranch_execz .LBB283_6
; %bb.5:
	s_mov_b32 s3, 0
	s_lshl_b64 s[6:7], s[2:3], 2
	v_add_co_u32 v4, s1, v4, s6
	v_add_co_ci_u32_e64 v5, null, s7, v5, s1
	v_add_co_u32 v2, s1, v2, s6
	v_add_co_ci_u32_e64 v3, null, s7, v3, s1
	global_load_dword v4, v[4:5], off
	global_load_dword v9, v[2:3], off
	s_waitcnt vmcnt(1)
	v_mul_f32_e32 v2, 0x3fb8aa3b, v4
	v_cmp_ngt_f32_e64 s1, 0xc2ce8ed0, v4
	v_fma_f32 v3, 0x3fb8aa3b, v4, -v2
	v_rndne_f32_e32 v5, v2
	v_fmamk_f32 v3, v4, 0x32a5705f, v3
	v_sub_f32_e32 v2, v2, v5
	v_add_f32_e32 v2, v2, v3
	v_cvt_i32_f32_e32 v3, v5
	v_exp_f32_e32 v2, v2
	v_ldexp_f32 v2, v2, v3
	v_cndmask_b32_e64 v2, 0, v2, s1
	v_cmp_nlt_f32_e64 s1, 0x42b17218, v4
	v_cndmask_b32_e64 v10, 0x7f800000, v2, s1
.LBB283_6:
	s_or_b32 exec_lo, exec_lo, s4
	v_mbcnt_lo_u32_b32 v2, -1, 0
	s_waitcnt vmcnt(1)
	v_add_f32_e32 v5, 0, v8
	s_waitcnt vmcnt(0)
	v_add_f32_e32 v11, 0, v9
	v_and_b32_e32 v3, 24, v2
	v_xor_b32_e32 v4, 4, v2
	v_xor_b32_e32 v13, 2, v2
	v_add_nc_u32_e32 v3, 8, v3
	v_cmp_lt_i32_e64 s1, v4, v3
	v_cndmask_b32_e64 v4, v2, v4, s1
	v_cmp_lt_i32_e64 s1, v13, v3
	v_lshlrev_b32_e32 v4, 2, v4
	v_cndmask_b32_e64 v13, v2, v13, s1
	ds_bpermute_b32 v12, v4, v5
	ds_bpermute_b32 v4, v4, v11
	v_lshlrev_b32_e32 v13, 2, v13
	s_waitcnt lgkmcnt(1)
	v_add_f32_e32 v5, v5, v12
	s_waitcnt lgkmcnt(0)
	v_add_f32_e32 v11, v11, v4
	ds_bpermute_b32 v4, v13, v5
	ds_bpermute_b32 v12, v13, v11
	v_xor_b32_e32 v13, 1, v2
	v_cmp_lt_i32_e64 s1, v13, v3
	v_cndmask_b32_e64 v2, v2, v13, s1
	v_lshlrev_b32_e32 v3, 2, v2
	s_waitcnt lgkmcnt(1)
	v_add_f32_e32 v4, v5, v4
	s_waitcnt lgkmcnt(0)
	v_add_f32_e32 v2, v11, v12
	ds_bpermute_b32 v5, v3, v4
	ds_bpermute_b32 v3, v3, v2
	s_and_saveexec_b32 s1, s0
	s_cbranch_execz .LBB283_11
; %bb.7:
	v_lshlrev_b64 v[0:1], 1, v[0:1]
	v_add_co_u32 v0, s0, s8, v0
	v_add_co_ci_u32_e64 v1, null, s9, v1, s0
	s_and_saveexec_b32 s1, vcc_lo
	s_cbranch_execz .LBB283_9
; %bb.8:
	v_mul_f32_e32 v11, 0x3fb8aa3b, v7
	v_cmp_ngt_f32_e64 s0, 0xc2ce8ed0, v7
	s_waitcnt lgkmcnt(1)
	v_add_f32_e32 v4, v4, v5
	v_rndne_f32_e32 v12, v11
	v_fma_f32 v13, 0x3fb8aa3b, v7, -v11
	v_sub_f32_e32 v11, v11, v12
	v_fmamk_f32 v13, v7, 0x32a5705f, v13
	v_cvt_i32_f32_e32 v12, v12
	v_add_f32_e32 v11, v11, v13
	v_exp_f32_e32 v11, v11
	v_ldexp_f32 v11, v11, v12
	v_cndmask_b32_e64 v11, 0, v11, s0
	v_cmp_nlt_f32_e64 s0, 0x42b17218, v7
	v_cndmask_b32_e64 v5, 0x7f800000, v11, s0
	v_fma_mixlo_f16 v4, -v4, v5, v8
	global_store_short v[0:1], v4, off
.LBB283_9:
	s_or_b32 exec_lo, exec_lo, s1
	v_cmp_ne_u32_e64 s0, 1, v6
	s_and_b32 s0, s0, vcc_lo
	s_and_b32 exec_lo, exec_lo, s0
	s_cbranch_execz .LBB283_11
; %bb.10:
	s_mov_b32 s3, 0
	s_waitcnt lgkmcnt(0)
	v_add_f32_e32 v2, v2, v3
	s_lshl_b64 s[0:1], s[2:3], 1
	v_add_co_u32 v0, vcc_lo, v0, s0
	v_add_co_ci_u32_e64 v1, null, s1, v1, vcc_lo
	v_fma_mixlo_f16 v2, -v2, v10, v9
	global_store_short v[0:1], v2, off
.LBB283_11:
	s_endpgm
	.section	.rodata,"a",@progbits
	.p2align	6, 0x0
	.amdhsa_kernel _ZN12_GLOBAL__N_121softmax_warp_backwardIfN3c104HalfEfLi3ELb1ELb0ELi32EEEvPT0_PKT_S7_iiiPKb
		.amdhsa_group_segment_fixed_size 0
		.amdhsa_private_segment_fixed_size 0
		.amdhsa_kernarg_size 304
		.amdhsa_user_sgpr_count 6
		.amdhsa_user_sgpr_private_segment_buffer 1
		.amdhsa_user_sgpr_dispatch_ptr 0
		.amdhsa_user_sgpr_queue_ptr 0
		.amdhsa_user_sgpr_kernarg_segment_ptr 1
		.amdhsa_user_sgpr_dispatch_id 0
		.amdhsa_user_sgpr_flat_scratch_init 0
		.amdhsa_user_sgpr_private_segment_size 0
		.amdhsa_wavefront_size32 1
		.amdhsa_uses_dynamic_stack 0
		.amdhsa_system_sgpr_private_segment_wavefront_offset 0
		.amdhsa_system_sgpr_workgroup_id_x 1
		.amdhsa_system_sgpr_workgroup_id_y 0
		.amdhsa_system_sgpr_workgroup_id_z 0
		.amdhsa_system_sgpr_workgroup_info 0
		.amdhsa_system_vgpr_workitem_id 1
		.amdhsa_next_free_vgpr 14
		.amdhsa_next_free_sgpr 12
		.amdhsa_reserve_vcc 1
		.amdhsa_reserve_flat_scratch 0
		.amdhsa_float_round_mode_32 0
		.amdhsa_float_round_mode_16_64 0
		.amdhsa_float_denorm_mode_32 3
		.amdhsa_float_denorm_mode_16_64 3
		.amdhsa_dx10_clamp 1
		.amdhsa_ieee_mode 1
		.amdhsa_fp16_overflow 0
		.amdhsa_workgroup_processor_mode 1
		.amdhsa_memory_ordered 1
		.amdhsa_forward_progress 1
		.amdhsa_shared_vgpr_count 0
		.amdhsa_exception_fp_ieee_invalid_op 0
		.amdhsa_exception_fp_denorm_src 0
		.amdhsa_exception_fp_ieee_div_zero 0
		.amdhsa_exception_fp_ieee_overflow 0
		.amdhsa_exception_fp_ieee_underflow 0
		.amdhsa_exception_fp_ieee_inexact 0
		.amdhsa_exception_int_div_zero 0
	.end_amdhsa_kernel
	.section	.text._ZN12_GLOBAL__N_121softmax_warp_backwardIfN3c104HalfEfLi3ELb1ELb0ELi32EEEvPT0_PKT_S7_iiiPKb,"axG",@progbits,_ZN12_GLOBAL__N_121softmax_warp_backwardIfN3c104HalfEfLi3ELb1ELb0ELi32EEEvPT0_PKT_S7_iiiPKb,comdat
.Lfunc_end283:
	.size	_ZN12_GLOBAL__N_121softmax_warp_backwardIfN3c104HalfEfLi3ELb1ELb0ELi32EEEvPT0_PKT_S7_iiiPKb, .Lfunc_end283-_ZN12_GLOBAL__N_121softmax_warp_backwardIfN3c104HalfEfLi3ELb1ELb0ELi32EEEvPT0_PKT_S7_iiiPKb
                                        ; -- End function
	.set _ZN12_GLOBAL__N_121softmax_warp_backwardIfN3c104HalfEfLi3ELb1ELb0ELi32EEEvPT0_PKT_S7_iiiPKb.num_vgpr, 14
	.set _ZN12_GLOBAL__N_121softmax_warp_backwardIfN3c104HalfEfLi3ELb1ELb0ELi32EEEvPT0_PKT_S7_iiiPKb.num_agpr, 0
	.set _ZN12_GLOBAL__N_121softmax_warp_backwardIfN3c104HalfEfLi3ELb1ELb0ELi32EEEvPT0_PKT_S7_iiiPKb.numbered_sgpr, 12
	.set _ZN12_GLOBAL__N_121softmax_warp_backwardIfN3c104HalfEfLi3ELb1ELb0ELi32EEEvPT0_PKT_S7_iiiPKb.num_named_barrier, 0
	.set _ZN12_GLOBAL__N_121softmax_warp_backwardIfN3c104HalfEfLi3ELb1ELb0ELi32EEEvPT0_PKT_S7_iiiPKb.private_seg_size, 0
	.set _ZN12_GLOBAL__N_121softmax_warp_backwardIfN3c104HalfEfLi3ELb1ELb0ELi32EEEvPT0_PKT_S7_iiiPKb.uses_vcc, 1
	.set _ZN12_GLOBAL__N_121softmax_warp_backwardIfN3c104HalfEfLi3ELb1ELb0ELi32EEEvPT0_PKT_S7_iiiPKb.uses_flat_scratch, 0
	.set _ZN12_GLOBAL__N_121softmax_warp_backwardIfN3c104HalfEfLi3ELb1ELb0ELi32EEEvPT0_PKT_S7_iiiPKb.has_dyn_sized_stack, 0
	.set _ZN12_GLOBAL__N_121softmax_warp_backwardIfN3c104HalfEfLi3ELb1ELb0ELi32EEEvPT0_PKT_S7_iiiPKb.has_recursion, 0
	.set _ZN12_GLOBAL__N_121softmax_warp_backwardIfN3c104HalfEfLi3ELb1ELb0ELi32EEEvPT0_PKT_S7_iiiPKb.has_indirect_call, 0
	.section	.AMDGPU.csdata,"",@progbits
; Kernel info:
; codeLenInByte = 812
; TotalNumSgprs: 14
; NumVgprs: 14
; ScratchSize: 0
; MemoryBound: 0
; FloatMode: 240
; IeeeMode: 1
; LDSByteSize: 0 bytes/workgroup (compile time only)
; SGPRBlocks: 0
; VGPRBlocks: 1
; NumSGPRsForWavesPerEU: 14
; NumVGPRsForWavesPerEU: 14
; Occupancy: 16
; WaveLimiterHint : 0
; COMPUTE_PGM_RSRC2:SCRATCH_EN: 0
; COMPUTE_PGM_RSRC2:USER_SGPR: 6
; COMPUTE_PGM_RSRC2:TRAP_HANDLER: 0
; COMPUTE_PGM_RSRC2:TGID_X_EN: 1
; COMPUTE_PGM_RSRC2:TGID_Y_EN: 0
; COMPUTE_PGM_RSRC2:TGID_Z_EN: 0
; COMPUTE_PGM_RSRC2:TIDIG_COMP_CNT: 1
	.section	.text._ZN12_GLOBAL__N_121softmax_warp_backwardIfN3c104HalfEfLi4ELb1ELb0ELi64EEEvPT0_PKT_S7_iiiPKb,"axG",@progbits,_ZN12_GLOBAL__N_121softmax_warp_backwardIfN3c104HalfEfLi4ELb1ELb0ELi64EEEvPT0_PKT_S7_iiiPKb,comdat
	.globl	_ZN12_GLOBAL__N_121softmax_warp_backwardIfN3c104HalfEfLi4ELb1ELb0ELi64EEEvPT0_PKT_S7_iiiPKb ; -- Begin function _ZN12_GLOBAL__N_121softmax_warp_backwardIfN3c104HalfEfLi4ELb1ELb0ELi64EEEvPT0_PKT_S7_iiiPKb
	.p2align	8
	.type	_ZN12_GLOBAL__N_121softmax_warp_backwardIfN3c104HalfEfLi4ELb1ELb0ELi64EEEvPT0_PKT_S7_iiiPKb,@function
_ZN12_GLOBAL__N_121softmax_warp_backwardIfN3c104HalfEfLi4ELb1ELb0ELi64EEEvPT0_PKT_S7_iiiPKb: ; @_ZN12_GLOBAL__N_121softmax_warp_backwardIfN3c104HalfEfLi4ELb1ELb0ELi64EEEvPT0_PKT_S7_iiiPKb
; %bb.0:
	s_clause 0x1
	s_load_dword s7, s[4:5], 0x3c
	s_load_dwordx4 s[0:3], s[4:5], 0x18
	v_and_b32_e32 v2, 15, v0
	s_clause 0x1
	s_load_dwordx4 s[8:11], s[4:5], 0x0
	s_load_dwordx2 s[4:5], s[4:5], 0x10
	v_mov_b32_e32 v7, 0
	v_mov_b32_e32 v8, 0
	s_waitcnt lgkmcnt(0)
	s_lshr_b32 s3, s7, 16
	v_cmp_gt_i32_e32 vcc_lo, s2, v2
	s_and_b32 s3, s3, 0xffff
	s_mul_i32 s6, s6, s3
	v_add_lshl_u32 v3, s6, v1, 1
	v_mad_u64_u32 v[0:1], null, v3, s1, v[2:3]
	v_sub_nc_u32_e32 v6, s0, v3
	v_cmp_lt_i32_e64 s0, 0, v6
	v_ashrrev_i32_e32 v1, 31, v0
	s_and_b32 s3, vcc_lo, s0
	v_lshlrev_b64 v[4:5], 2, v[0:1]
	v_add_co_u32 v2, s1, s10, v4
	v_add_co_ci_u32_e64 v3, null, s11, v5, s1
	v_add_co_u32 v4, s1, s4, v4
	v_add_co_ci_u32_e64 v5, null, s5, v5, s1
	s_and_saveexec_b32 s1, s3
	s_cbranch_execz .LBB284_2
; %bb.1:
	global_load_dword v8, v[2:3], off
	global_load_dword v7, v[4:5], off
.LBB284_2:
	s_or_b32 exec_lo, exec_lo, s1
	v_cmp_gt_i32_e64 s1, 2, v6
	s_xor_b32 s3, vcc_lo, -1
	s_or_b32 s1, s3, s1
	s_and_saveexec_b32 s3, s1
	s_xor_b32 s1, exec_lo, s3
                                        ; implicit-def: $vgpr9
; %bb.3:
	v_mov_b32_e32 v9, 0
                                        ; implicit-def: $vgpr4
                                        ; implicit-def: $vgpr2
; %bb.4:
	s_or_saveexec_b32 s4, s1
	v_mov_b32_e32 v10, 1.0
	s_xor_b32 exec_lo, exec_lo, s4
	s_cbranch_execz .LBB284_6
; %bb.5:
	s_mov_b32 s3, 0
	s_lshl_b64 s[6:7], s[2:3], 2
	v_add_co_u32 v4, s1, v4, s6
	v_add_co_ci_u32_e64 v5, null, s7, v5, s1
	v_add_co_u32 v2, s1, v2, s6
	v_add_co_ci_u32_e64 v3, null, s7, v3, s1
	global_load_dword v4, v[4:5], off
	global_load_dword v9, v[2:3], off
	s_waitcnt vmcnt(1)
	v_mul_f32_e32 v2, 0x3fb8aa3b, v4
	v_cmp_ngt_f32_e64 s1, 0xc2ce8ed0, v4
	v_fma_f32 v3, 0x3fb8aa3b, v4, -v2
	v_rndne_f32_e32 v5, v2
	v_fmamk_f32 v3, v4, 0x32a5705f, v3
	v_sub_f32_e32 v2, v2, v5
	v_add_f32_e32 v2, v2, v3
	v_cvt_i32_f32_e32 v3, v5
	v_exp_f32_e32 v2, v2
	v_ldexp_f32 v2, v2, v3
	v_cndmask_b32_e64 v2, 0, v2, s1
	v_cmp_nlt_f32_e64 s1, 0x42b17218, v4
	v_cndmask_b32_e64 v10, 0x7f800000, v2, s1
.LBB284_6:
	s_or_b32 exec_lo, exec_lo, s4
	v_mbcnt_lo_u32_b32 v2, -1, 0
	s_waitcnt vmcnt(1)
	v_add_f32_e32 v5, 0, v8
	s_waitcnt vmcnt(0)
	v_add_f32_e32 v11, 0, v9
	v_and_b32_e32 v3, 16, v2
	v_xor_b32_e32 v4, 8, v2
	v_xor_b32_e32 v13, 4, v2
	v_add_nc_u32_e32 v3, 16, v3
	v_cmp_lt_i32_e64 s1, v4, v3
	v_cndmask_b32_e64 v4, v2, v4, s1
	v_cmp_lt_i32_e64 s1, v13, v3
	v_lshlrev_b32_e32 v4, 2, v4
	v_cndmask_b32_e64 v13, v2, v13, s1
	ds_bpermute_b32 v12, v4, v5
	ds_bpermute_b32 v4, v4, v11
	v_lshlrev_b32_e32 v13, 2, v13
	s_waitcnt lgkmcnt(1)
	v_add_f32_e32 v5, v5, v12
	s_waitcnt lgkmcnt(0)
	v_add_f32_e32 v4, v11, v4
	ds_bpermute_b32 v11, v13, v5
	ds_bpermute_b32 v12, v13, v4
	v_xor_b32_e32 v13, 2, v2
	v_cmp_lt_i32_e64 s1, v13, v3
	v_cndmask_b32_e64 v13, v2, v13, s1
	v_lshlrev_b32_e32 v13, 2, v13
	s_waitcnt lgkmcnt(1)
	v_add_f32_e32 v5, v5, v11
	s_waitcnt lgkmcnt(0)
	v_add_f32_e32 v11, v4, v12
	ds_bpermute_b32 v4, v13, v5
	ds_bpermute_b32 v12, v13, v11
	v_xor_b32_e32 v13, 1, v2
	v_cmp_lt_i32_e64 s1, v13, v3
	v_cndmask_b32_e64 v2, v2, v13, s1
	v_lshlrev_b32_e32 v3, 2, v2
	s_waitcnt lgkmcnt(1)
	v_add_f32_e32 v4, v5, v4
	s_waitcnt lgkmcnt(0)
	v_add_f32_e32 v2, v11, v12
	ds_bpermute_b32 v5, v3, v4
	ds_bpermute_b32 v3, v3, v2
	s_and_saveexec_b32 s1, s0
	s_cbranch_execz .LBB284_11
; %bb.7:
	v_lshlrev_b64 v[0:1], 1, v[0:1]
	v_add_co_u32 v0, s0, s8, v0
	v_add_co_ci_u32_e64 v1, null, s9, v1, s0
	s_and_saveexec_b32 s1, vcc_lo
	s_cbranch_execz .LBB284_9
; %bb.8:
	v_mul_f32_e32 v11, 0x3fb8aa3b, v7
	v_cmp_ngt_f32_e64 s0, 0xc2ce8ed0, v7
	s_waitcnt lgkmcnt(1)
	v_add_f32_e32 v4, v4, v5
	v_rndne_f32_e32 v12, v11
	v_fma_f32 v13, 0x3fb8aa3b, v7, -v11
	v_sub_f32_e32 v11, v11, v12
	v_fmamk_f32 v13, v7, 0x32a5705f, v13
	v_cvt_i32_f32_e32 v12, v12
	v_add_f32_e32 v11, v11, v13
	v_exp_f32_e32 v11, v11
	v_ldexp_f32 v11, v11, v12
	v_cndmask_b32_e64 v11, 0, v11, s0
	v_cmp_nlt_f32_e64 s0, 0x42b17218, v7
	v_cndmask_b32_e64 v5, 0x7f800000, v11, s0
	v_fma_mixlo_f16 v4, -v4, v5, v8
	global_store_short v[0:1], v4, off
.LBB284_9:
	s_or_b32 exec_lo, exec_lo, s1
	v_cmp_ne_u32_e64 s0, 1, v6
	s_and_b32 s0, s0, vcc_lo
	s_and_b32 exec_lo, exec_lo, s0
	s_cbranch_execz .LBB284_11
; %bb.10:
	s_mov_b32 s3, 0
	s_waitcnt lgkmcnt(0)
	v_add_f32_e32 v2, v2, v3
	s_lshl_b64 s[0:1], s[2:3], 1
	v_add_co_u32 v0, vcc_lo, v0, s0
	v_add_co_ci_u32_e64 v1, null, s1, v1, vcc_lo
	v_fma_mixlo_f16 v2, -v2, v10, v9
	global_store_short v[0:1], v2, off
.LBB284_11:
	s_endpgm
	.section	.rodata,"a",@progbits
	.p2align	6, 0x0
	.amdhsa_kernel _ZN12_GLOBAL__N_121softmax_warp_backwardIfN3c104HalfEfLi4ELb1ELb0ELi64EEEvPT0_PKT_S7_iiiPKb
		.amdhsa_group_segment_fixed_size 0
		.amdhsa_private_segment_fixed_size 0
		.amdhsa_kernarg_size 304
		.amdhsa_user_sgpr_count 6
		.amdhsa_user_sgpr_private_segment_buffer 1
		.amdhsa_user_sgpr_dispatch_ptr 0
		.amdhsa_user_sgpr_queue_ptr 0
		.amdhsa_user_sgpr_kernarg_segment_ptr 1
		.amdhsa_user_sgpr_dispatch_id 0
		.amdhsa_user_sgpr_flat_scratch_init 0
		.amdhsa_user_sgpr_private_segment_size 0
		.amdhsa_wavefront_size32 1
		.amdhsa_uses_dynamic_stack 0
		.amdhsa_system_sgpr_private_segment_wavefront_offset 0
		.amdhsa_system_sgpr_workgroup_id_x 1
		.amdhsa_system_sgpr_workgroup_id_y 0
		.amdhsa_system_sgpr_workgroup_id_z 0
		.amdhsa_system_sgpr_workgroup_info 0
		.amdhsa_system_vgpr_workitem_id 1
		.amdhsa_next_free_vgpr 14
		.amdhsa_next_free_sgpr 12
		.amdhsa_reserve_vcc 1
		.amdhsa_reserve_flat_scratch 0
		.amdhsa_float_round_mode_32 0
		.amdhsa_float_round_mode_16_64 0
		.amdhsa_float_denorm_mode_32 3
		.amdhsa_float_denorm_mode_16_64 3
		.amdhsa_dx10_clamp 1
		.amdhsa_ieee_mode 1
		.amdhsa_fp16_overflow 0
		.amdhsa_workgroup_processor_mode 1
		.amdhsa_memory_ordered 1
		.amdhsa_forward_progress 1
		.amdhsa_shared_vgpr_count 0
		.amdhsa_exception_fp_ieee_invalid_op 0
		.amdhsa_exception_fp_denorm_src 0
		.amdhsa_exception_fp_ieee_div_zero 0
		.amdhsa_exception_fp_ieee_overflow 0
		.amdhsa_exception_fp_ieee_underflow 0
		.amdhsa_exception_fp_ieee_inexact 0
		.amdhsa_exception_int_div_zero 0
	.end_amdhsa_kernel
	.section	.text._ZN12_GLOBAL__N_121softmax_warp_backwardIfN3c104HalfEfLi4ELb1ELb0ELi64EEEvPT0_PKT_S7_iiiPKb,"axG",@progbits,_ZN12_GLOBAL__N_121softmax_warp_backwardIfN3c104HalfEfLi4ELb1ELb0ELi64EEEvPT0_PKT_S7_iiiPKb,comdat
.Lfunc_end284:
	.size	_ZN12_GLOBAL__N_121softmax_warp_backwardIfN3c104HalfEfLi4ELb1ELb0ELi64EEEvPT0_PKT_S7_iiiPKb, .Lfunc_end284-_ZN12_GLOBAL__N_121softmax_warp_backwardIfN3c104HalfEfLi4ELb1ELb0ELi64EEEvPT0_PKT_S7_iiiPKb
                                        ; -- End function
	.set _ZN12_GLOBAL__N_121softmax_warp_backwardIfN3c104HalfEfLi4ELb1ELb0ELi64EEEvPT0_PKT_S7_iiiPKb.num_vgpr, 14
	.set _ZN12_GLOBAL__N_121softmax_warp_backwardIfN3c104HalfEfLi4ELb1ELb0ELi64EEEvPT0_PKT_S7_iiiPKb.num_agpr, 0
	.set _ZN12_GLOBAL__N_121softmax_warp_backwardIfN3c104HalfEfLi4ELb1ELb0ELi64EEEvPT0_PKT_S7_iiiPKb.numbered_sgpr, 12
	.set _ZN12_GLOBAL__N_121softmax_warp_backwardIfN3c104HalfEfLi4ELb1ELb0ELi64EEEvPT0_PKT_S7_iiiPKb.num_named_barrier, 0
	.set _ZN12_GLOBAL__N_121softmax_warp_backwardIfN3c104HalfEfLi4ELb1ELb0ELi64EEEvPT0_PKT_S7_iiiPKb.private_seg_size, 0
	.set _ZN12_GLOBAL__N_121softmax_warp_backwardIfN3c104HalfEfLi4ELb1ELb0ELi64EEEvPT0_PKT_S7_iiiPKb.uses_vcc, 1
	.set _ZN12_GLOBAL__N_121softmax_warp_backwardIfN3c104HalfEfLi4ELb1ELb0ELi64EEEvPT0_PKT_S7_iiiPKb.uses_flat_scratch, 0
	.set _ZN12_GLOBAL__N_121softmax_warp_backwardIfN3c104HalfEfLi4ELb1ELb0ELi64EEEvPT0_PKT_S7_iiiPKb.has_dyn_sized_stack, 0
	.set _ZN12_GLOBAL__N_121softmax_warp_backwardIfN3c104HalfEfLi4ELb1ELb0ELi64EEEvPT0_PKT_S7_iiiPKb.has_recursion, 0
	.set _ZN12_GLOBAL__N_121softmax_warp_backwardIfN3c104HalfEfLi4ELb1ELb0ELi64EEEvPT0_PKT_S7_iiiPKb.has_indirect_call, 0
	.section	.AMDGPU.csdata,"",@progbits
; Kernel info:
; codeLenInByte = 868
; TotalNumSgprs: 14
; NumVgprs: 14
; ScratchSize: 0
; MemoryBound: 0
; FloatMode: 240
; IeeeMode: 1
; LDSByteSize: 0 bytes/workgroup (compile time only)
; SGPRBlocks: 0
; VGPRBlocks: 1
; NumSGPRsForWavesPerEU: 14
; NumVGPRsForWavesPerEU: 14
; Occupancy: 16
; WaveLimiterHint : 0
; COMPUTE_PGM_RSRC2:SCRATCH_EN: 0
; COMPUTE_PGM_RSRC2:USER_SGPR: 6
; COMPUTE_PGM_RSRC2:TRAP_HANDLER: 0
; COMPUTE_PGM_RSRC2:TGID_X_EN: 1
; COMPUTE_PGM_RSRC2:TGID_Y_EN: 0
; COMPUTE_PGM_RSRC2:TGID_Z_EN: 0
; COMPUTE_PGM_RSRC2:TIDIG_COMP_CNT: 1
	.section	.text._ZN12_GLOBAL__N_121softmax_warp_backwardIfN3c104HalfEfLi4ELb1ELb0ELi32EEEvPT0_PKT_S7_iiiPKb,"axG",@progbits,_ZN12_GLOBAL__N_121softmax_warp_backwardIfN3c104HalfEfLi4ELb1ELb0ELi32EEEvPT0_PKT_S7_iiiPKb,comdat
	.globl	_ZN12_GLOBAL__N_121softmax_warp_backwardIfN3c104HalfEfLi4ELb1ELb0ELi32EEEvPT0_PKT_S7_iiiPKb ; -- Begin function _ZN12_GLOBAL__N_121softmax_warp_backwardIfN3c104HalfEfLi4ELb1ELb0ELi32EEEvPT0_PKT_S7_iiiPKb
	.p2align	8
	.type	_ZN12_GLOBAL__N_121softmax_warp_backwardIfN3c104HalfEfLi4ELb1ELb0ELi32EEEvPT0_PKT_S7_iiiPKb,@function
_ZN12_GLOBAL__N_121softmax_warp_backwardIfN3c104HalfEfLi4ELb1ELb0ELi32EEEvPT0_PKT_S7_iiiPKb: ; @_ZN12_GLOBAL__N_121softmax_warp_backwardIfN3c104HalfEfLi4ELb1ELb0ELi32EEEvPT0_PKT_S7_iiiPKb
; %bb.0:
	s_clause 0x1
	s_load_dword s7, s[4:5], 0x3c
	s_load_dwordx4 s[0:3], s[4:5], 0x18
	v_and_b32_e32 v2, 15, v0
	s_clause 0x1
	s_load_dwordx4 s[8:11], s[4:5], 0x0
	s_load_dwordx2 s[4:5], s[4:5], 0x10
	v_mov_b32_e32 v7, 0
	v_mov_b32_e32 v8, 0
	s_waitcnt lgkmcnt(0)
	s_lshr_b32 s3, s7, 16
	v_cmp_gt_i32_e32 vcc_lo, s2, v2
	s_and_b32 s3, s3, 0xffff
	s_mul_i32 s6, s6, s3
	v_add_lshl_u32 v3, s6, v1, 1
	v_mad_u64_u32 v[0:1], null, v3, s1, v[2:3]
	v_sub_nc_u32_e32 v6, s0, v3
	v_cmp_lt_i32_e64 s0, 0, v6
	v_ashrrev_i32_e32 v1, 31, v0
	s_and_b32 s3, vcc_lo, s0
	v_lshlrev_b64 v[4:5], 2, v[0:1]
	v_add_co_u32 v2, s1, s10, v4
	v_add_co_ci_u32_e64 v3, null, s11, v5, s1
	v_add_co_u32 v4, s1, s4, v4
	v_add_co_ci_u32_e64 v5, null, s5, v5, s1
	s_and_saveexec_b32 s1, s3
	s_cbranch_execz .LBB285_2
; %bb.1:
	global_load_dword v8, v[2:3], off
	global_load_dword v7, v[4:5], off
.LBB285_2:
	s_or_b32 exec_lo, exec_lo, s1
	v_cmp_gt_i32_e64 s1, 2, v6
	s_xor_b32 s3, vcc_lo, -1
	s_or_b32 s1, s3, s1
	s_and_saveexec_b32 s3, s1
	s_xor_b32 s1, exec_lo, s3
                                        ; implicit-def: $vgpr9
; %bb.3:
	v_mov_b32_e32 v9, 0
                                        ; implicit-def: $vgpr4
                                        ; implicit-def: $vgpr2
; %bb.4:
	s_or_saveexec_b32 s4, s1
	v_mov_b32_e32 v10, 1.0
	s_xor_b32 exec_lo, exec_lo, s4
	s_cbranch_execz .LBB285_6
; %bb.5:
	s_mov_b32 s3, 0
	s_lshl_b64 s[6:7], s[2:3], 2
	v_add_co_u32 v4, s1, v4, s6
	v_add_co_ci_u32_e64 v5, null, s7, v5, s1
	v_add_co_u32 v2, s1, v2, s6
	v_add_co_ci_u32_e64 v3, null, s7, v3, s1
	global_load_dword v4, v[4:5], off
	global_load_dword v9, v[2:3], off
	s_waitcnt vmcnt(1)
	v_mul_f32_e32 v2, 0x3fb8aa3b, v4
	v_cmp_ngt_f32_e64 s1, 0xc2ce8ed0, v4
	v_fma_f32 v3, 0x3fb8aa3b, v4, -v2
	v_rndne_f32_e32 v5, v2
	v_fmamk_f32 v3, v4, 0x32a5705f, v3
	v_sub_f32_e32 v2, v2, v5
	v_add_f32_e32 v2, v2, v3
	v_cvt_i32_f32_e32 v3, v5
	v_exp_f32_e32 v2, v2
	v_ldexp_f32 v2, v2, v3
	v_cndmask_b32_e64 v2, 0, v2, s1
	v_cmp_nlt_f32_e64 s1, 0x42b17218, v4
	v_cndmask_b32_e64 v10, 0x7f800000, v2, s1
.LBB285_6:
	s_or_b32 exec_lo, exec_lo, s4
	v_mbcnt_lo_u32_b32 v2, -1, 0
	s_waitcnt vmcnt(1)
	v_add_f32_e32 v5, 0, v8
	s_waitcnt vmcnt(0)
	v_add_f32_e32 v11, 0, v9
	v_and_b32_e32 v3, 16, v2
	v_xor_b32_e32 v4, 8, v2
	v_xor_b32_e32 v13, 4, v2
	v_add_nc_u32_e32 v3, 16, v3
	v_cmp_lt_i32_e64 s1, v4, v3
	v_cndmask_b32_e64 v4, v2, v4, s1
	v_cmp_lt_i32_e64 s1, v13, v3
	v_lshlrev_b32_e32 v4, 2, v4
	v_cndmask_b32_e64 v13, v2, v13, s1
	ds_bpermute_b32 v12, v4, v5
	ds_bpermute_b32 v4, v4, v11
	v_lshlrev_b32_e32 v13, 2, v13
	s_waitcnt lgkmcnt(1)
	v_add_f32_e32 v5, v5, v12
	s_waitcnt lgkmcnt(0)
	v_add_f32_e32 v4, v11, v4
	ds_bpermute_b32 v11, v13, v5
	ds_bpermute_b32 v12, v13, v4
	v_xor_b32_e32 v13, 2, v2
	v_cmp_lt_i32_e64 s1, v13, v3
	v_cndmask_b32_e64 v13, v2, v13, s1
	v_lshlrev_b32_e32 v13, 2, v13
	s_waitcnt lgkmcnt(1)
	v_add_f32_e32 v5, v5, v11
	s_waitcnt lgkmcnt(0)
	v_add_f32_e32 v11, v4, v12
	ds_bpermute_b32 v4, v13, v5
	ds_bpermute_b32 v12, v13, v11
	v_xor_b32_e32 v13, 1, v2
	v_cmp_lt_i32_e64 s1, v13, v3
	v_cndmask_b32_e64 v2, v2, v13, s1
	v_lshlrev_b32_e32 v3, 2, v2
	s_waitcnt lgkmcnt(1)
	v_add_f32_e32 v4, v5, v4
	s_waitcnt lgkmcnt(0)
	v_add_f32_e32 v2, v11, v12
	ds_bpermute_b32 v5, v3, v4
	ds_bpermute_b32 v3, v3, v2
	s_and_saveexec_b32 s1, s0
	s_cbranch_execz .LBB285_11
; %bb.7:
	v_lshlrev_b64 v[0:1], 1, v[0:1]
	v_add_co_u32 v0, s0, s8, v0
	v_add_co_ci_u32_e64 v1, null, s9, v1, s0
	s_and_saveexec_b32 s1, vcc_lo
	s_cbranch_execz .LBB285_9
; %bb.8:
	v_mul_f32_e32 v11, 0x3fb8aa3b, v7
	v_cmp_ngt_f32_e64 s0, 0xc2ce8ed0, v7
	s_waitcnt lgkmcnt(1)
	v_add_f32_e32 v4, v4, v5
	v_rndne_f32_e32 v12, v11
	v_fma_f32 v13, 0x3fb8aa3b, v7, -v11
	v_sub_f32_e32 v11, v11, v12
	v_fmamk_f32 v13, v7, 0x32a5705f, v13
	v_cvt_i32_f32_e32 v12, v12
	v_add_f32_e32 v11, v11, v13
	v_exp_f32_e32 v11, v11
	v_ldexp_f32 v11, v11, v12
	v_cndmask_b32_e64 v11, 0, v11, s0
	v_cmp_nlt_f32_e64 s0, 0x42b17218, v7
	v_cndmask_b32_e64 v5, 0x7f800000, v11, s0
	v_fma_mixlo_f16 v4, -v4, v5, v8
	global_store_short v[0:1], v4, off
.LBB285_9:
	s_or_b32 exec_lo, exec_lo, s1
	v_cmp_ne_u32_e64 s0, 1, v6
	s_and_b32 s0, s0, vcc_lo
	s_and_b32 exec_lo, exec_lo, s0
	s_cbranch_execz .LBB285_11
; %bb.10:
	s_mov_b32 s3, 0
	s_waitcnt lgkmcnt(0)
	v_add_f32_e32 v2, v2, v3
	s_lshl_b64 s[0:1], s[2:3], 1
	v_add_co_u32 v0, vcc_lo, v0, s0
	v_add_co_ci_u32_e64 v1, null, s1, v1, vcc_lo
	v_fma_mixlo_f16 v2, -v2, v10, v9
	global_store_short v[0:1], v2, off
.LBB285_11:
	s_endpgm
	.section	.rodata,"a",@progbits
	.p2align	6, 0x0
	.amdhsa_kernel _ZN12_GLOBAL__N_121softmax_warp_backwardIfN3c104HalfEfLi4ELb1ELb0ELi32EEEvPT0_PKT_S7_iiiPKb
		.amdhsa_group_segment_fixed_size 0
		.amdhsa_private_segment_fixed_size 0
		.amdhsa_kernarg_size 304
		.amdhsa_user_sgpr_count 6
		.amdhsa_user_sgpr_private_segment_buffer 1
		.amdhsa_user_sgpr_dispatch_ptr 0
		.amdhsa_user_sgpr_queue_ptr 0
		.amdhsa_user_sgpr_kernarg_segment_ptr 1
		.amdhsa_user_sgpr_dispatch_id 0
		.amdhsa_user_sgpr_flat_scratch_init 0
		.amdhsa_user_sgpr_private_segment_size 0
		.amdhsa_wavefront_size32 1
		.amdhsa_uses_dynamic_stack 0
		.amdhsa_system_sgpr_private_segment_wavefront_offset 0
		.amdhsa_system_sgpr_workgroup_id_x 1
		.amdhsa_system_sgpr_workgroup_id_y 0
		.amdhsa_system_sgpr_workgroup_id_z 0
		.amdhsa_system_sgpr_workgroup_info 0
		.amdhsa_system_vgpr_workitem_id 1
		.amdhsa_next_free_vgpr 14
		.amdhsa_next_free_sgpr 12
		.amdhsa_reserve_vcc 1
		.amdhsa_reserve_flat_scratch 0
		.amdhsa_float_round_mode_32 0
		.amdhsa_float_round_mode_16_64 0
		.amdhsa_float_denorm_mode_32 3
		.amdhsa_float_denorm_mode_16_64 3
		.amdhsa_dx10_clamp 1
		.amdhsa_ieee_mode 1
		.amdhsa_fp16_overflow 0
		.amdhsa_workgroup_processor_mode 1
		.amdhsa_memory_ordered 1
		.amdhsa_forward_progress 1
		.amdhsa_shared_vgpr_count 0
		.amdhsa_exception_fp_ieee_invalid_op 0
		.amdhsa_exception_fp_denorm_src 0
		.amdhsa_exception_fp_ieee_div_zero 0
		.amdhsa_exception_fp_ieee_overflow 0
		.amdhsa_exception_fp_ieee_underflow 0
		.amdhsa_exception_fp_ieee_inexact 0
		.amdhsa_exception_int_div_zero 0
	.end_amdhsa_kernel
	.section	.text._ZN12_GLOBAL__N_121softmax_warp_backwardIfN3c104HalfEfLi4ELb1ELb0ELi32EEEvPT0_PKT_S7_iiiPKb,"axG",@progbits,_ZN12_GLOBAL__N_121softmax_warp_backwardIfN3c104HalfEfLi4ELb1ELb0ELi32EEEvPT0_PKT_S7_iiiPKb,comdat
.Lfunc_end285:
	.size	_ZN12_GLOBAL__N_121softmax_warp_backwardIfN3c104HalfEfLi4ELb1ELb0ELi32EEEvPT0_PKT_S7_iiiPKb, .Lfunc_end285-_ZN12_GLOBAL__N_121softmax_warp_backwardIfN3c104HalfEfLi4ELb1ELb0ELi32EEEvPT0_PKT_S7_iiiPKb
                                        ; -- End function
	.set _ZN12_GLOBAL__N_121softmax_warp_backwardIfN3c104HalfEfLi4ELb1ELb0ELi32EEEvPT0_PKT_S7_iiiPKb.num_vgpr, 14
	.set _ZN12_GLOBAL__N_121softmax_warp_backwardIfN3c104HalfEfLi4ELb1ELb0ELi32EEEvPT0_PKT_S7_iiiPKb.num_agpr, 0
	.set _ZN12_GLOBAL__N_121softmax_warp_backwardIfN3c104HalfEfLi4ELb1ELb0ELi32EEEvPT0_PKT_S7_iiiPKb.numbered_sgpr, 12
	.set _ZN12_GLOBAL__N_121softmax_warp_backwardIfN3c104HalfEfLi4ELb1ELb0ELi32EEEvPT0_PKT_S7_iiiPKb.num_named_barrier, 0
	.set _ZN12_GLOBAL__N_121softmax_warp_backwardIfN3c104HalfEfLi4ELb1ELb0ELi32EEEvPT0_PKT_S7_iiiPKb.private_seg_size, 0
	.set _ZN12_GLOBAL__N_121softmax_warp_backwardIfN3c104HalfEfLi4ELb1ELb0ELi32EEEvPT0_PKT_S7_iiiPKb.uses_vcc, 1
	.set _ZN12_GLOBAL__N_121softmax_warp_backwardIfN3c104HalfEfLi4ELb1ELb0ELi32EEEvPT0_PKT_S7_iiiPKb.uses_flat_scratch, 0
	.set _ZN12_GLOBAL__N_121softmax_warp_backwardIfN3c104HalfEfLi4ELb1ELb0ELi32EEEvPT0_PKT_S7_iiiPKb.has_dyn_sized_stack, 0
	.set _ZN12_GLOBAL__N_121softmax_warp_backwardIfN3c104HalfEfLi4ELb1ELb0ELi32EEEvPT0_PKT_S7_iiiPKb.has_recursion, 0
	.set _ZN12_GLOBAL__N_121softmax_warp_backwardIfN3c104HalfEfLi4ELb1ELb0ELi32EEEvPT0_PKT_S7_iiiPKb.has_indirect_call, 0
	.section	.AMDGPU.csdata,"",@progbits
; Kernel info:
; codeLenInByte = 868
; TotalNumSgprs: 14
; NumVgprs: 14
; ScratchSize: 0
; MemoryBound: 0
; FloatMode: 240
; IeeeMode: 1
; LDSByteSize: 0 bytes/workgroup (compile time only)
; SGPRBlocks: 0
; VGPRBlocks: 1
; NumSGPRsForWavesPerEU: 14
; NumVGPRsForWavesPerEU: 14
; Occupancy: 16
; WaveLimiterHint : 0
; COMPUTE_PGM_RSRC2:SCRATCH_EN: 0
; COMPUTE_PGM_RSRC2:USER_SGPR: 6
; COMPUTE_PGM_RSRC2:TRAP_HANDLER: 0
; COMPUTE_PGM_RSRC2:TGID_X_EN: 1
; COMPUTE_PGM_RSRC2:TGID_Y_EN: 0
; COMPUTE_PGM_RSRC2:TGID_Z_EN: 0
; COMPUTE_PGM_RSRC2:TIDIG_COMP_CNT: 1
	.section	.text._ZN12_GLOBAL__N_121softmax_warp_backwardIfN3c104HalfEfLi5ELb1ELb0ELi64EEEvPT0_PKT_S7_iiiPKb,"axG",@progbits,_ZN12_GLOBAL__N_121softmax_warp_backwardIfN3c104HalfEfLi5ELb1ELb0ELi64EEEvPT0_PKT_S7_iiiPKb,comdat
	.globl	_ZN12_GLOBAL__N_121softmax_warp_backwardIfN3c104HalfEfLi5ELb1ELb0ELi64EEEvPT0_PKT_S7_iiiPKb ; -- Begin function _ZN12_GLOBAL__N_121softmax_warp_backwardIfN3c104HalfEfLi5ELb1ELb0ELi64EEEvPT0_PKT_S7_iiiPKb
	.p2align	8
	.type	_ZN12_GLOBAL__N_121softmax_warp_backwardIfN3c104HalfEfLi5ELb1ELb0ELi64EEEvPT0_PKT_S7_iiiPKb,@function
_ZN12_GLOBAL__N_121softmax_warp_backwardIfN3c104HalfEfLi5ELb1ELb0ELi64EEEvPT0_PKT_S7_iiiPKb: ; @_ZN12_GLOBAL__N_121softmax_warp_backwardIfN3c104HalfEfLi5ELb1ELb0ELi64EEEvPT0_PKT_S7_iiiPKb
; %bb.0:
	s_clause 0x1
	s_load_dword s7, s[4:5], 0x3c
	s_load_dwordx4 s[0:3], s[4:5], 0x18
	v_and_b32_e32 v2, 31, v0
	s_clause 0x1
	s_load_dwordx4 s[8:11], s[4:5], 0x0
	s_load_dwordx2 s[4:5], s[4:5], 0x10
	v_mov_b32_e32 v7, 0
	v_mov_b32_e32 v8, 0
	s_waitcnt lgkmcnt(0)
	s_lshr_b32 s3, s7, 16
	v_cmp_gt_i32_e32 vcc_lo, s2, v2
	s_and_b32 s3, s3, 0xffff
	s_mul_i32 s6, s6, s3
	v_add_lshl_u32 v3, s6, v1, 1
	v_mad_u64_u32 v[0:1], null, v3, s1, v[2:3]
	v_sub_nc_u32_e32 v6, s0, v3
	v_cmp_lt_i32_e64 s0, 0, v6
	v_ashrrev_i32_e32 v1, 31, v0
	s_and_b32 s3, vcc_lo, s0
	v_lshlrev_b64 v[4:5], 2, v[0:1]
	v_add_co_u32 v2, s1, s10, v4
	v_add_co_ci_u32_e64 v3, null, s11, v5, s1
	v_add_co_u32 v4, s1, s4, v4
	v_add_co_ci_u32_e64 v5, null, s5, v5, s1
	s_and_saveexec_b32 s1, s3
	s_cbranch_execz .LBB286_2
; %bb.1:
	global_load_dword v8, v[2:3], off
	global_load_dword v7, v[4:5], off
.LBB286_2:
	s_or_b32 exec_lo, exec_lo, s1
	v_cmp_gt_i32_e64 s1, 2, v6
	s_xor_b32 s3, vcc_lo, -1
	s_or_b32 s1, s3, s1
	s_and_saveexec_b32 s3, s1
	s_xor_b32 s1, exec_lo, s3
                                        ; implicit-def: $vgpr9
; %bb.3:
	v_mov_b32_e32 v9, 0
                                        ; implicit-def: $vgpr4
                                        ; implicit-def: $vgpr2
; %bb.4:
	s_or_saveexec_b32 s4, s1
	v_mov_b32_e32 v10, 1.0
	s_xor_b32 exec_lo, exec_lo, s4
	s_cbranch_execz .LBB286_6
; %bb.5:
	s_mov_b32 s3, 0
	s_lshl_b64 s[6:7], s[2:3], 2
	v_add_co_u32 v4, s1, v4, s6
	v_add_co_ci_u32_e64 v5, null, s7, v5, s1
	v_add_co_u32 v2, s1, v2, s6
	v_add_co_ci_u32_e64 v3, null, s7, v3, s1
	global_load_dword v4, v[4:5], off
	global_load_dword v9, v[2:3], off
	s_waitcnt vmcnt(1)
	v_mul_f32_e32 v2, 0x3fb8aa3b, v4
	v_cmp_ngt_f32_e64 s1, 0xc2ce8ed0, v4
	v_fma_f32 v3, 0x3fb8aa3b, v4, -v2
	v_rndne_f32_e32 v5, v2
	v_fmamk_f32 v3, v4, 0x32a5705f, v3
	v_sub_f32_e32 v2, v2, v5
	v_add_f32_e32 v2, v2, v3
	v_cvt_i32_f32_e32 v3, v5
	v_exp_f32_e32 v2, v2
	v_ldexp_f32 v2, v2, v3
	v_cndmask_b32_e64 v2, 0, v2, s1
	v_cmp_nlt_f32_e64 s1, 0x42b17218, v4
	v_cndmask_b32_e64 v10, 0x7f800000, v2, s1
.LBB286_6:
	s_or_b32 exec_lo, exec_lo, s4
	v_mbcnt_lo_u32_b32 v2, -1, 0
	s_waitcnt vmcnt(1)
	v_add_f32_e32 v4, 0, v8
	s_waitcnt vmcnt(0)
	v_add_f32_e32 v5, 0, v9
	v_xor_b32_e32 v3, 16, v2
	v_xor_b32_e32 v12, 8, v2
	v_cmp_gt_i32_e64 s1, 32, v3
	v_cndmask_b32_e64 v3, v2, v3, s1
	v_cmp_gt_i32_e64 s1, 32, v12
	v_lshlrev_b32_e32 v3, 2, v3
	v_cndmask_b32_e64 v12, v2, v12, s1
	ds_bpermute_b32 v11, v3, v4
	ds_bpermute_b32 v3, v3, v5
	v_lshlrev_b32_e32 v12, 2, v12
	s_waitcnt lgkmcnt(1)
	v_add_f32_e32 v4, v4, v11
	s_waitcnt lgkmcnt(0)
	v_add_f32_e32 v3, v5, v3
	ds_bpermute_b32 v5, v12, v4
	ds_bpermute_b32 v11, v12, v3
	v_xor_b32_e32 v12, 4, v2
	v_cmp_gt_i32_e64 s1, 32, v12
	v_cndmask_b32_e64 v12, v2, v12, s1
	v_lshlrev_b32_e32 v12, 2, v12
	s_waitcnt lgkmcnt(1)
	v_add_f32_e32 v4, v4, v5
	s_waitcnt lgkmcnt(0)
	v_add_f32_e32 v3, v3, v11
	ds_bpermute_b32 v5, v12, v4
	ds_bpermute_b32 v11, v12, v3
	v_xor_b32_e32 v12, 2, v2
	v_cmp_gt_i32_e64 s1, 32, v12
	v_cndmask_b32_e64 v12, v2, v12, s1
	v_lshlrev_b32_e32 v12, 2, v12
	s_waitcnt lgkmcnt(1)
	v_add_f32_e32 v4, v4, v5
	s_waitcnt lgkmcnt(0)
	v_add_f32_e32 v3, v3, v11
	ds_bpermute_b32 v5, v12, v4
	ds_bpermute_b32 v11, v12, v3
	v_xor_b32_e32 v12, 1, v2
	v_cmp_gt_i32_e64 s1, 32, v12
	v_cndmask_b32_e64 v2, v2, v12, s1
	v_lshlrev_b32_e32 v12, 2, v2
	s_waitcnt lgkmcnt(1)
	v_add_f32_e32 v4, v4, v5
	s_waitcnt lgkmcnt(0)
	v_add_f32_e32 v2, v3, v11
	ds_bpermute_b32 v5, v12, v4
	ds_bpermute_b32 v3, v12, v2
	s_and_saveexec_b32 s1, s0
	s_cbranch_execz .LBB286_11
; %bb.7:
	v_lshlrev_b64 v[0:1], 1, v[0:1]
	v_add_co_u32 v0, s0, s8, v0
	v_add_co_ci_u32_e64 v1, null, s9, v1, s0
	s_and_saveexec_b32 s1, vcc_lo
	s_cbranch_execz .LBB286_9
; %bb.8:
	v_mul_f32_e32 v11, 0x3fb8aa3b, v7
	v_cmp_ngt_f32_e64 s0, 0xc2ce8ed0, v7
	s_waitcnt lgkmcnt(1)
	v_add_f32_e32 v4, v4, v5
	v_rndne_f32_e32 v12, v11
	v_fma_f32 v13, 0x3fb8aa3b, v7, -v11
	v_sub_f32_e32 v11, v11, v12
	v_fmamk_f32 v13, v7, 0x32a5705f, v13
	v_cvt_i32_f32_e32 v12, v12
	v_add_f32_e32 v11, v11, v13
	v_exp_f32_e32 v11, v11
	v_ldexp_f32 v11, v11, v12
	v_cndmask_b32_e64 v11, 0, v11, s0
	v_cmp_nlt_f32_e64 s0, 0x42b17218, v7
	v_cndmask_b32_e64 v5, 0x7f800000, v11, s0
	v_fma_mixlo_f16 v4, -v4, v5, v8
	global_store_short v[0:1], v4, off
.LBB286_9:
	s_or_b32 exec_lo, exec_lo, s1
	v_cmp_ne_u32_e64 s0, 1, v6
	s_and_b32 s0, s0, vcc_lo
	s_and_b32 exec_lo, exec_lo, s0
	s_cbranch_execz .LBB286_11
; %bb.10:
	s_mov_b32 s3, 0
	s_waitcnt lgkmcnt(0)
	v_add_f32_e32 v2, v2, v3
	s_lshl_b64 s[0:1], s[2:3], 1
	v_add_co_u32 v0, vcc_lo, v0, s0
	v_add_co_ci_u32_e64 v1, null, s1, v1, vcc_lo
	v_fma_mixlo_f16 v2, -v2, v10, v9
	global_store_short v[0:1], v2, off
.LBB286_11:
	s_endpgm
	.section	.rodata,"a",@progbits
	.p2align	6, 0x0
	.amdhsa_kernel _ZN12_GLOBAL__N_121softmax_warp_backwardIfN3c104HalfEfLi5ELb1ELb0ELi64EEEvPT0_PKT_S7_iiiPKb
		.amdhsa_group_segment_fixed_size 0
		.amdhsa_private_segment_fixed_size 0
		.amdhsa_kernarg_size 304
		.amdhsa_user_sgpr_count 6
		.amdhsa_user_sgpr_private_segment_buffer 1
		.amdhsa_user_sgpr_dispatch_ptr 0
		.amdhsa_user_sgpr_queue_ptr 0
		.amdhsa_user_sgpr_kernarg_segment_ptr 1
		.amdhsa_user_sgpr_dispatch_id 0
		.amdhsa_user_sgpr_flat_scratch_init 0
		.amdhsa_user_sgpr_private_segment_size 0
		.amdhsa_wavefront_size32 1
		.amdhsa_uses_dynamic_stack 0
		.amdhsa_system_sgpr_private_segment_wavefront_offset 0
		.amdhsa_system_sgpr_workgroup_id_x 1
		.amdhsa_system_sgpr_workgroup_id_y 0
		.amdhsa_system_sgpr_workgroup_id_z 0
		.amdhsa_system_sgpr_workgroup_info 0
		.amdhsa_system_vgpr_workitem_id 1
		.amdhsa_next_free_vgpr 14
		.amdhsa_next_free_sgpr 12
		.amdhsa_reserve_vcc 1
		.amdhsa_reserve_flat_scratch 0
		.amdhsa_float_round_mode_32 0
		.amdhsa_float_round_mode_16_64 0
		.amdhsa_float_denorm_mode_32 3
		.amdhsa_float_denorm_mode_16_64 3
		.amdhsa_dx10_clamp 1
		.amdhsa_ieee_mode 1
		.amdhsa_fp16_overflow 0
		.amdhsa_workgroup_processor_mode 1
		.amdhsa_memory_ordered 1
		.amdhsa_forward_progress 1
		.amdhsa_shared_vgpr_count 0
		.amdhsa_exception_fp_ieee_invalid_op 0
		.amdhsa_exception_fp_denorm_src 0
		.amdhsa_exception_fp_ieee_div_zero 0
		.amdhsa_exception_fp_ieee_overflow 0
		.amdhsa_exception_fp_ieee_underflow 0
		.amdhsa_exception_fp_ieee_inexact 0
		.amdhsa_exception_int_div_zero 0
	.end_amdhsa_kernel
	.section	.text._ZN12_GLOBAL__N_121softmax_warp_backwardIfN3c104HalfEfLi5ELb1ELb0ELi64EEEvPT0_PKT_S7_iiiPKb,"axG",@progbits,_ZN12_GLOBAL__N_121softmax_warp_backwardIfN3c104HalfEfLi5ELb1ELb0ELi64EEEvPT0_PKT_S7_iiiPKb,comdat
.Lfunc_end286:
	.size	_ZN12_GLOBAL__N_121softmax_warp_backwardIfN3c104HalfEfLi5ELb1ELb0ELi64EEEvPT0_PKT_S7_iiiPKb, .Lfunc_end286-_ZN12_GLOBAL__N_121softmax_warp_backwardIfN3c104HalfEfLi5ELb1ELb0ELi64EEEvPT0_PKT_S7_iiiPKb
                                        ; -- End function
	.set _ZN12_GLOBAL__N_121softmax_warp_backwardIfN3c104HalfEfLi5ELb1ELb0ELi64EEEvPT0_PKT_S7_iiiPKb.num_vgpr, 14
	.set _ZN12_GLOBAL__N_121softmax_warp_backwardIfN3c104HalfEfLi5ELb1ELb0ELi64EEEvPT0_PKT_S7_iiiPKb.num_agpr, 0
	.set _ZN12_GLOBAL__N_121softmax_warp_backwardIfN3c104HalfEfLi5ELb1ELb0ELi64EEEvPT0_PKT_S7_iiiPKb.numbered_sgpr, 12
	.set _ZN12_GLOBAL__N_121softmax_warp_backwardIfN3c104HalfEfLi5ELb1ELb0ELi64EEEvPT0_PKT_S7_iiiPKb.num_named_barrier, 0
	.set _ZN12_GLOBAL__N_121softmax_warp_backwardIfN3c104HalfEfLi5ELb1ELb0ELi64EEEvPT0_PKT_S7_iiiPKb.private_seg_size, 0
	.set _ZN12_GLOBAL__N_121softmax_warp_backwardIfN3c104HalfEfLi5ELb1ELb0ELi64EEEvPT0_PKT_S7_iiiPKb.uses_vcc, 1
	.set _ZN12_GLOBAL__N_121softmax_warp_backwardIfN3c104HalfEfLi5ELb1ELb0ELi64EEEvPT0_PKT_S7_iiiPKb.uses_flat_scratch, 0
	.set _ZN12_GLOBAL__N_121softmax_warp_backwardIfN3c104HalfEfLi5ELb1ELb0ELi64EEEvPT0_PKT_S7_iiiPKb.has_dyn_sized_stack, 0
	.set _ZN12_GLOBAL__N_121softmax_warp_backwardIfN3c104HalfEfLi5ELb1ELb0ELi64EEEvPT0_PKT_S7_iiiPKb.has_recursion, 0
	.set _ZN12_GLOBAL__N_121softmax_warp_backwardIfN3c104HalfEfLi5ELb1ELb0ELi64EEEvPT0_PKT_S7_iiiPKb.has_indirect_call, 0
	.section	.AMDGPU.csdata,"",@progbits
; Kernel info:
; codeLenInByte = 916
; TotalNumSgprs: 14
; NumVgprs: 14
; ScratchSize: 0
; MemoryBound: 0
; FloatMode: 240
; IeeeMode: 1
; LDSByteSize: 0 bytes/workgroup (compile time only)
; SGPRBlocks: 0
; VGPRBlocks: 1
; NumSGPRsForWavesPerEU: 14
; NumVGPRsForWavesPerEU: 14
; Occupancy: 16
; WaveLimiterHint : 0
; COMPUTE_PGM_RSRC2:SCRATCH_EN: 0
; COMPUTE_PGM_RSRC2:USER_SGPR: 6
; COMPUTE_PGM_RSRC2:TRAP_HANDLER: 0
; COMPUTE_PGM_RSRC2:TGID_X_EN: 1
; COMPUTE_PGM_RSRC2:TGID_Y_EN: 0
; COMPUTE_PGM_RSRC2:TGID_Z_EN: 0
; COMPUTE_PGM_RSRC2:TIDIG_COMP_CNT: 1
	.section	.text._ZN12_GLOBAL__N_121softmax_warp_backwardIfN3c104HalfEfLi5ELb1ELb0ELi32EEEvPT0_PKT_S7_iiiPKb,"axG",@progbits,_ZN12_GLOBAL__N_121softmax_warp_backwardIfN3c104HalfEfLi5ELb1ELb0ELi32EEEvPT0_PKT_S7_iiiPKb,comdat
	.globl	_ZN12_GLOBAL__N_121softmax_warp_backwardIfN3c104HalfEfLi5ELb1ELb0ELi32EEEvPT0_PKT_S7_iiiPKb ; -- Begin function _ZN12_GLOBAL__N_121softmax_warp_backwardIfN3c104HalfEfLi5ELb1ELb0ELi32EEEvPT0_PKT_S7_iiiPKb
	.p2align	8
	.type	_ZN12_GLOBAL__N_121softmax_warp_backwardIfN3c104HalfEfLi5ELb1ELb0ELi32EEEvPT0_PKT_S7_iiiPKb,@function
_ZN12_GLOBAL__N_121softmax_warp_backwardIfN3c104HalfEfLi5ELb1ELb0ELi32EEEvPT0_PKT_S7_iiiPKb: ; @_ZN12_GLOBAL__N_121softmax_warp_backwardIfN3c104HalfEfLi5ELb1ELb0ELi32EEEvPT0_PKT_S7_iiiPKb
; %bb.0:
	s_clause 0x1
	s_load_dword s7, s[4:5], 0x3c
	s_load_dwordx4 s[0:3], s[4:5], 0x18
	v_and_b32_e32 v2, 31, v0
	s_clause 0x1
	s_load_dwordx4 s[8:11], s[4:5], 0x0
	s_load_dwordx2 s[4:5], s[4:5], 0x10
	v_mov_b32_e32 v7, 0
	v_mov_b32_e32 v8, 0
	s_waitcnt lgkmcnt(0)
	s_lshr_b32 s3, s7, 16
	v_cmp_gt_i32_e32 vcc_lo, s2, v2
	s_and_b32 s3, s3, 0xffff
	s_mul_i32 s6, s6, s3
	v_add_lshl_u32 v3, s6, v1, 1
	v_mad_u64_u32 v[0:1], null, v3, s1, v[2:3]
	v_sub_nc_u32_e32 v6, s0, v3
	v_cmp_lt_i32_e64 s0, 0, v6
	v_ashrrev_i32_e32 v1, 31, v0
	s_and_b32 s3, vcc_lo, s0
	v_lshlrev_b64 v[4:5], 2, v[0:1]
	v_add_co_u32 v2, s1, s10, v4
	v_add_co_ci_u32_e64 v3, null, s11, v5, s1
	v_add_co_u32 v4, s1, s4, v4
	v_add_co_ci_u32_e64 v5, null, s5, v5, s1
	s_and_saveexec_b32 s1, s3
	s_cbranch_execz .LBB287_2
; %bb.1:
	global_load_dword v8, v[2:3], off
	global_load_dword v7, v[4:5], off
.LBB287_2:
	s_or_b32 exec_lo, exec_lo, s1
	v_cmp_gt_i32_e64 s1, 2, v6
	s_xor_b32 s3, vcc_lo, -1
	s_or_b32 s1, s3, s1
	s_and_saveexec_b32 s3, s1
	s_xor_b32 s1, exec_lo, s3
                                        ; implicit-def: $vgpr9
; %bb.3:
	v_mov_b32_e32 v9, 0
                                        ; implicit-def: $vgpr4
                                        ; implicit-def: $vgpr2
; %bb.4:
	s_or_saveexec_b32 s4, s1
	v_mov_b32_e32 v10, 1.0
	s_xor_b32 exec_lo, exec_lo, s4
	s_cbranch_execz .LBB287_6
; %bb.5:
	s_mov_b32 s3, 0
	s_lshl_b64 s[6:7], s[2:3], 2
	v_add_co_u32 v4, s1, v4, s6
	v_add_co_ci_u32_e64 v5, null, s7, v5, s1
	v_add_co_u32 v2, s1, v2, s6
	v_add_co_ci_u32_e64 v3, null, s7, v3, s1
	global_load_dword v4, v[4:5], off
	global_load_dword v9, v[2:3], off
	s_waitcnt vmcnt(1)
	v_mul_f32_e32 v2, 0x3fb8aa3b, v4
	v_cmp_ngt_f32_e64 s1, 0xc2ce8ed0, v4
	v_fma_f32 v3, 0x3fb8aa3b, v4, -v2
	v_rndne_f32_e32 v5, v2
	v_fmamk_f32 v3, v4, 0x32a5705f, v3
	v_sub_f32_e32 v2, v2, v5
	v_add_f32_e32 v2, v2, v3
	v_cvt_i32_f32_e32 v3, v5
	v_exp_f32_e32 v2, v2
	v_ldexp_f32 v2, v2, v3
	v_cndmask_b32_e64 v2, 0, v2, s1
	v_cmp_nlt_f32_e64 s1, 0x42b17218, v4
	v_cndmask_b32_e64 v10, 0x7f800000, v2, s1
.LBB287_6:
	s_or_b32 exec_lo, exec_lo, s4
	v_mbcnt_lo_u32_b32 v2, -1, 0
	s_waitcnt vmcnt(1)
	v_add_f32_e32 v4, 0, v8
	s_waitcnt vmcnt(0)
	v_add_f32_e32 v5, 0, v9
	v_xor_b32_e32 v3, 16, v2
	v_xor_b32_e32 v12, 8, v2
	v_cmp_gt_i32_e64 s1, 32, v3
	v_cndmask_b32_e64 v3, v2, v3, s1
	v_cmp_gt_i32_e64 s1, 32, v12
	v_lshlrev_b32_e32 v3, 2, v3
	v_cndmask_b32_e64 v12, v2, v12, s1
	ds_bpermute_b32 v11, v3, v4
	ds_bpermute_b32 v3, v3, v5
	v_lshlrev_b32_e32 v12, 2, v12
	s_waitcnt lgkmcnt(1)
	v_add_f32_e32 v4, v4, v11
	s_waitcnt lgkmcnt(0)
	v_add_f32_e32 v3, v5, v3
	ds_bpermute_b32 v5, v12, v4
	ds_bpermute_b32 v11, v12, v3
	v_xor_b32_e32 v12, 4, v2
	v_cmp_gt_i32_e64 s1, 32, v12
	v_cndmask_b32_e64 v12, v2, v12, s1
	v_lshlrev_b32_e32 v12, 2, v12
	s_waitcnt lgkmcnt(1)
	v_add_f32_e32 v4, v4, v5
	s_waitcnt lgkmcnt(0)
	v_add_f32_e32 v3, v3, v11
	ds_bpermute_b32 v5, v12, v4
	ds_bpermute_b32 v11, v12, v3
	v_xor_b32_e32 v12, 2, v2
	v_cmp_gt_i32_e64 s1, 32, v12
	v_cndmask_b32_e64 v12, v2, v12, s1
	;; [unrolled: 10-line block ×3, first 2 shown]
	v_lshlrev_b32_e32 v12, 2, v2
	s_waitcnt lgkmcnt(1)
	v_add_f32_e32 v4, v4, v5
	s_waitcnt lgkmcnt(0)
	v_add_f32_e32 v2, v3, v11
	ds_bpermute_b32 v5, v12, v4
	ds_bpermute_b32 v3, v12, v2
	s_and_saveexec_b32 s1, s0
	s_cbranch_execz .LBB287_11
; %bb.7:
	v_lshlrev_b64 v[0:1], 1, v[0:1]
	v_add_co_u32 v0, s0, s8, v0
	v_add_co_ci_u32_e64 v1, null, s9, v1, s0
	s_and_saveexec_b32 s1, vcc_lo
	s_cbranch_execz .LBB287_9
; %bb.8:
	v_mul_f32_e32 v11, 0x3fb8aa3b, v7
	v_cmp_ngt_f32_e64 s0, 0xc2ce8ed0, v7
	s_waitcnt lgkmcnt(1)
	v_add_f32_e32 v4, v4, v5
	v_rndne_f32_e32 v12, v11
	v_fma_f32 v13, 0x3fb8aa3b, v7, -v11
	v_sub_f32_e32 v11, v11, v12
	v_fmamk_f32 v13, v7, 0x32a5705f, v13
	v_cvt_i32_f32_e32 v12, v12
	v_add_f32_e32 v11, v11, v13
	v_exp_f32_e32 v11, v11
	v_ldexp_f32 v11, v11, v12
	v_cndmask_b32_e64 v11, 0, v11, s0
	v_cmp_nlt_f32_e64 s0, 0x42b17218, v7
	v_cndmask_b32_e64 v5, 0x7f800000, v11, s0
	v_fma_mixlo_f16 v4, -v4, v5, v8
	global_store_short v[0:1], v4, off
.LBB287_9:
	s_or_b32 exec_lo, exec_lo, s1
	v_cmp_ne_u32_e64 s0, 1, v6
	s_and_b32 s0, s0, vcc_lo
	s_and_b32 exec_lo, exec_lo, s0
	s_cbranch_execz .LBB287_11
; %bb.10:
	s_mov_b32 s3, 0
	s_waitcnt lgkmcnt(0)
	v_add_f32_e32 v2, v2, v3
	s_lshl_b64 s[0:1], s[2:3], 1
	v_add_co_u32 v0, vcc_lo, v0, s0
	v_add_co_ci_u32_e64 v1, null, s1, v1, vcc_lo
	v_fma_mixlo_f16 v2, -v2, v10, v9
	global_store_short v[0:1], v2, off
.LBB287_11:
	s_endpgm
	.section	.rodata,"a",@progbits
	.p2align	6, 0x0
	.amdhsa_kernel _ZN12_GLOBAL__N_121softmax_warp_backwardIfN3c104HalfEfLi5ELb1ELb0ELi32EEEvPT0_PKT_S7_iiiPKb
		.amdhsa_group_segment_fixed_size 0
		.amdhsa_private_segment_fixed_size 0
		.amdhsa_kernarg_size 304
		.amdhsa_user_sgpr_count 6
		.amdhsa_user_sgpr_private_segment_buffer 1
		.amdhsa_user_sgpr_dispatch_ptr 0
		.amdhsa_user_sgpr_queue_ptr 0
		.amdhsa_user_sgpr_kernarg_segment_ptr 1
		.amdhsa_user_sgpr_dispatch_id 0
		.amdhsa_user_sgpr_flat_scratch_init 0
		.amdhsa_user_sgpr_private_segment_size 0
		.amdhsa_wavefront_size32 1
		.amdhsa_uses_dynamic_stack 0
		.amdhsa_system_sgpr_private_segment_wavefront_offset 0
		.amdhsa_system_sgpr_workgroup_id_x 1
		.amdhsa_system_sgpr_workgroup_id_y 0
		.amdhsa_system_sgpr_workgroup_id_z 0
		.amdhsa_system_sgpr_workgroup_info 0
		.amdhsa_system_vgpr_workitem_id 1
		.amdhsa_next_free_vgpr 14
		.amdhsa_next_free_sgpr 12
		.amdhsa_reserve_vcc 1
		.amdhsa_reserve_flat_scratch 0
		.amdhsa_float_round_mode_32 0
		.amdhsa_float_round_mode_16_64 0
		.amdhsa_float_denorm_mode_32 3
		.amdhsa_float_denorm_mode_16_64 3
		.amdhsa_dx10_clamp 1
		.amdhsa_ieee_mode 1
		.amdhsa_fp16_overflow 0
		.amdhsa_workgroup_processor_mode 1
		.amdhsa_memory_ordered 1
		.amdhsa_forward_progress 1
		.amdhsa_shared_vgpr_count 0
		.amdhsa_exception_fp_ieee_invalid_op 0
		.amdhsa_exception_fp_denorm_src 0
		.amdhsa_exception_fp_ieee_div_zero 0
		.amdhsa_exception_fp_ieee_overflow 0
		.amdhsa_exception_fp_ieee_underflow 0
		.amdhsa_exception_fp_ieee_inexact 0
		.amdhsa_exception_int_div_zero 0
	.end_amdhsa_kernel
	.section	.text._ZN12_GLOBAL__N_121softmax_warp_backwardIfN3c104HalfEfLi5ELb1ELb0ELi32EEEvPT0_PKT_S7_iiiPKb,"axG",@progbits,_ZN12_GLOBAL__N_121softmax_warp_backwardIfN3c104HalfEfLi5ELb1ELb0ELi32EEEvPT0_PKT_S7_iiiPKb,comdat
.Lfunc_end287:
	.size	_ZN12_GLOBAL__N_121softmax_warp_backwardIfN3c104HalfEfLi5ELb1ELb0ELi32EEEvPT0_PKT_S7_iiiPKb, .Lfunc_end287-_ZN12_GLOBAL__N_121softmax_warp_backwardIfN3c104HalfEfLi5ELb1ELb0ELi32EEEvPT0_PKT_S7_iiiPKb
                                        ; -- End function
	.set _ZN12_GLOBAL__N_121softmax_warp_backwardIfN3c104HalfEfLi5ELb1ELb0ELi32EEEvPT0_PKT_S7_iiiPKb.num_vgpr, 14
	.set _ZN12_GLOBAL__N_121softmax_warp_backwardIfN3c104HalfEfLi5ELb1ELb0ELi32EEEvPT0_PKT_S7_iiiPKb.num_agpr, 0
	.set _ZN12_GLOBAL__N_121softmax_warp_backwardIfN3c104HalfEfLi5ELb1ELb0ELi32EEEvPT0_PKT_S7_iiiPKb.numbered_sgpr, 12
	.set _ZN12_GLOBAL__N_121softmax_warp_backwardIfN3c104HalfEfLi5ELb1ELb0ELi32EEEvPT0_PKT_S7_iiiPKb.num_named_barrier, 0
	.set _ZN12_GLOBAL__N_121softmax_warp_backwardIfN3c104HalfEfLi5ELb1ELb0ELi32EEEvPT0_PKT_S7_iiiPKb.private_seg_size, 0
	.set _ZN12_GLOBAL__N_121softmax_warp_backwardIfN3c104HalfEfLi5ELb1ELb0ELi32EEEvPT0_PKT_S7_iiiPKb.uses_vcc, 1
	.set _ZN12_GLOBAL__N_121softmax_warp_backwardIfN3c104HalfEfLi5ELb1ELb0ELi32EEEvPT0_PKT_S7_iiiPKb.uses_flat_scratch, 0
	.set _ZN12_GLOBAL__N_121softmax_warp_backwardIfN3c104HalfEfLi5ELb1ELb0ELi32EEEvPT0_PKT_S7_iiiPKb.has_dyn_sized_stack, 0
	.set _ZN12_GLOBAL__N_121softmax_warp_backwardIfN3c104HalfEfLi5ELb1ELb0ELi32EEEvPT0_PKT_S7_iiiPKb.has_recursion, 0
	.set _ZN12_GLOBAL__N_121softmax_warp_backwardIfN3c104HalfEfLi5ELb1ELb0ELi32EEEvPT0_PKT_S7_iiiPKb.has_indirect_call, 0
	.section	.AMDGPU.csdata,"",@progbits
; Kernel info:
; codeLenInByte = 916
; TotalNumSgprs: 14
; NumVgprs: 14
; ScratchSize: 0
; MemoryBound: 0
; FloatMode: 240
; IeeeMode: 1
; LDSByteSize: 0 bytes/workgroup (compile time only)
; SGPRBlocks: 0
; VGPRBlocks: 1
; NumSGPRsForWavesPerEU: 14
; NumVGPRsForWavesPerEU: 14
; Occupancy: 16
; WaveLimiterHint : 0
; COMPUTE_PGM_RSRC2:SCRATCH_EN: 0
; COMPUTE_PGM_RSRC2:USER_SGPR: 6
; COMPUTE_PGM_RSRC2:TRAP_HANDLER: 0
; COMPUTE_PGM_RSRC2:TGID_X_EN: 1
; COMPUTE_PGM_RSRC2:TGID_Y_EN: 0
; COMPUTE_PGM_RSRC2:TGID_Z_EN: 0
; COMPUTE_PGM_RSRC2:TIDIG_COMP_CNT: 1
	.section	.text._ZN12_GLOBAL__N_121softmax_warp_backwardIfN3c104HalfEfLi6ELb1ELb0ELi64EEEvPT0_PKT_S7_iiiPKb,"axG",@progbits,_ZN12_GLOBAL__N_121softmax_warp_backwardIfN3c104HalfEfLi6ELb1ELb0ELi64EEEvPT0_PKT_S7_iiiPKb,comdat
	.globl	_ZN12_GLOBAL__N_121softmax_warp_backwardIfN3c104HalfEfLi6ELb1ELb0ELi64EEEvPT0_PKT_S7_iiiPKb ; -- Begin function _ZN12_GLOBAL__N_121softmax_warp_backwardIfN3c104HalfEfLi6ELb1ELb0ELi64EEEvPT0_PKT_S7_iiiPKb
	.p2align	8
	.type	_ZN12_GLOBAL__N_121softmax_warp_backwardIfN3c104HalfEfLi6ELb1ELb0ELi64EEEvPT0_PKT_S7_iiiPKb,@function
_ZN12_GLOBAL__N_121softmax_warp_backwardIfN3c104HalfEfLi6ELb1ELb0ELi64EEEvPT0_PKT_S7_iiiPKb: ; @_ZN12_GLOBAL__N_121softmax_warp_backwardIfN3c104HalfEfLi6ELb1ELb0ELi64EEEvPT0_PKT_S7_iiiPKb
; %bb.0:
	s_clause 0x1
	s_load_dword s7, s[4:5], 0x3c
	s_load_dwordx4 s[0:3], s[4:5], 0x18
	v_and_b32_e32 v2, 63, v0
	s_clause 0x1
	s_load_dwordx4 s[8:11], s[4:5], 0x0
	s_load_dwordx2 s[4:5], s[4:5], 0x10
	v_mov_b32_e32 v7, 0
	v_mov_b32_e32 v8, 0
	s_waitcnt lgkmcnt(0)
	s_lshr_b32 s3, s7, 16
	v_cmp_gt_i32_e32 vcc_lo, s2, v2
	s_and_b32 s3, s3, 0xffff
	s_mul_i32 s6, s6, s3
	v_add_lshl_u32 v3, s6, v1, 1
	v_mad_u64_u32 v[0:1], null, v3, s1, v[2:3]
	v_sub_nc_u32_e32 v6, s0, v3
	v_cmp_lt_i32_e64 s0, 0, v6
	v_ashrrev_i32_e32 v1, 31, v0
	s_and_b32 s3, vcc_lo, s0
	v_lshlrev_b64 v[4:5], 2, v[0:1]
	v_add_co_u32 v2, s1, s10, v4
	v_add_co_ci_u32_e64 v3, null, s11, v5, s1
	v_add_co_u32 v4, s1, s4, v4
	v_add_co_ci_u32_e64 v5, null, s5, v5, s1
	s_and_saveexec_b32 s1, s3
	s_cbranch_execz .LBB288_2
; %bb.1:
	global_load_dword v8, v[2:3], off
	global_load_dword v7, v[4:5], off
.LBB288_2:
	s_or_b32 exec_lo, exec_lo, s1
	v_cmp_gt_i32_e64 s1, 2, v6
	s_xor_b32 s3, vcc_lo, -1
	s_or_b32 s1, s3, s1
	s_and_saveexec_b32 s3, s1
	s_xor_b32 s1, exec_lo, s3
                                        ; implicit-def: $vgpr9
; %bb.3:
	v_mov_b32_e32 v9, 0
                                        ; implicit-def: $vgpr4
                                        ; implicit-def: $vgpr2
; %bb.4:
	s_or_saveexec_b32 s4, s1
	v_mov_b32_e32 v10, 1.0
	s_xor_b32 exec_lo, exec_lo, s4
	s_cbranch_execz .LBB288_6
; %bb.5:
	s_mov_b32 s3, 0
	s_lshl_b64 s[6:7], s[2:3], 2
	v_add_co_u32 v4, s1, v4, s6
	v_add_co_ci_u32_e64 v5, null, s7, v5, s1
	v_add_co_u32 v2, s1, v2, s6
	v_add_co_ci_u32_e64 v3, null, s7, v3, s1
	global_load_dword v4, v[4:5], off
	global_load_dword v9, v[2:3], off
	s_waitcnt vmcnt(1)
	v_mul_f32_e32 v2, 0x3fb8aa3b, v4
	v_cmp_ngt_f32_e64 s1, 0xc2ce8ed0, v4
	v_fma_f32 v3, 0x3fb8aa3b, v4, -v2
	v_rndne_f32_e32 v5, v2
	v_fmamk_f32 v3, v4, 0x32a5705f, v3
	v_sub_f32_e32 v2, v2, v5
	v_add_f32_e32 v2, v2, v3
	v_cvt_i32_f32_e32 v3, v5
	v_exp_f32_e32 v2, v2
	v_ldexp_f32 v2, v2, v3
	v_cndmask_b32_e64 v2, 0, v2, s1
	v_cmp_nlt_f32_e64 s1, 0x42b17218, v4
	v_cndmask_b32_e64 v10, 0x7f800000, v2, s1
.LBB288_6:
	s_or_b32 exec_lo, exec_lo, s4
	v_mbcnt_lo_u32_b32 v2, -1, 0
	s_waitcnt vmcnt(1)
	v_add_f32_e32 v4, 0, v8
	s_waitcnt vmcnt(0)
	v_add_f32_e32 v5, 0, v9
	v_or_b32_e32 v3, 32, v2
	v_xor_b32_e32 v12, 16, v2
	v_cmp_gt_i32_e64 s1, 64, v3
	v_cndmask_b32_e64 v3, v2, v3, s1
	v_cmp_gt_i32_e64 s1, 64, v12
	v_lshlrev_b32_e32 v3, 2, v3
	v_cndmask_b32_e64 v12, v2, v12, s1
	ds_bpermute_b32 v11, v3, v4
	ds_bpermute_b32 v3, v3, v5
	v_lshlrev_b32_e32 v12, 2, v12
	s_waitcnt lgkmcnt(1)
	v_add_f32_e32 v4, v4, v11
	s_waitcnt lgkmcnt(0)
	v_add_f32_e32 v3, v5, v3
	ds_bpermute_b32 v5, v12, v4
	ds_bpermute_b32 v11, v12, v3
	v_xor_b32_e32 v12, 8, v2
	v_cmp_gt_i32_e64 s1, 64, v12
	v_cndmask_b32_e64 v12, v2, v12, s1
	v_lshlrev_b32_e32 v12, 2, v12
	s_waitcnt lgkmcnt(1)
	v_add_f32_e32 v4, v4, v5
	s_waitcnt lgkmcnt(0)
	v_add_f32_e32 v3, v3, v11
	ds_bpermute_b32 v5, v12, v4
	ds_bpermute_b32 v11, v12, v3
	v_xor_b32_e32 v12, 4, v2
	v_cmp_gt_i32_e64 s1, 64, v12
	v_cndmask_b32_e64 v12, v2, v12, s1
	;; [unrolled: 10-line block ×4, first 2 shown]
	v_lshlrev_b32_e32 v12, 2, v2
	s_waitcnt lgkmcnt(1)
	v_add_f32_e32 v4, v4, v5
	s_waitcnt lgkmcnt(0)
	v_add_f32_e32 v2, v3, v11
	ds_bpermute_b32 v5, v12, v4
	ds_bpermute_b32 v3, v12, v2
	s_and_saveexec_b32 s1, s0
	s_cbranch_execz .LBB288_11
; %bb.7:
	v_lshlrev_b64 v[0:1], 1, v[0:1]
	v_add_co_u32 v0, s0, s8, v0
	v_add_co_ci_u32_e64 v1, null, s9, v1, s0
	s_and_saveexec_b32 s1, vcc_lo
	s_cbranch_execz .LBB288_9
; %bb.8:
	v_mul_f32_e32 v11, 0x3fb8aa3b, v7
	v_cmp_ngt_f32_e64 s0, 0xc2ce8ed0, v7
	s_waitcnt lgkmcnt(1)
	v_add_f32_e32 v4, v4, v5
	v_rndne_f32_e32 v12, v11
	v_fma_f32 v13, 0x3fb8aa3b, v7, -v11
	v_sub_f32_e32 v11, v11, v12
	v_fmamk_f32 v13, v7, 0x32a5705f, v13
	v_cvt_i32_f32_e32 v12, v12
	v_add_f32_e32 v11, v11, v13
	v_exp_f32_e32 v11, v11
	v_ldexp_f32 v11, v11, v12
	v_cndmask_b32_e64 v11, 0, v11, s0
	v_cmp_nlt_f32_e64 s0, 0x42b17218, v7
	v_cndmask_b32_e64 v5, 0x7f800000, v11, s0
	v_fma_mixlo_f16 v4, -v4, v5, v8
	global_store_short v[0:1], v4, off
.LBB288_9:
	s_or_b32 exec_lo, exec_lo, s1
	v_cmp_ne_u32_e64 s0, 1, v6
	s_and_b32 s0, s0, vcc_lo
	s_and_b32 exec_lo, exec_lo, s0
	s_cbranch_execz .LBB288_11
; %bb.10:
	s_mov_b32 s3, 0
	s_waitcnt lgkmcnt(0)
	v_add_f32_e32 v2, v2, v3
	s_lshl_b64 s[0:1], s[2:3], 1
	v_add_co_u32 v0, vcc_lo, v0, s0
	v_add_co_ci_u32_e64 v1, null, s1, v1, vcc_lo
	v_fma_mixlo_f16 v2, -v2, v10, v9
	global_store_short v[0:1], v2, off
.LBB288_11:
	s_endpgm
	.section	.rodata,"a",@progbits
	.p2align	6, 0x0
	.amdhsa_kernel _ZN12_GLOBAL__N_121softmax_warp_backwardIfN3c104HalfEfLi6ELb1ELb0ELi64EEEvPT0_PKT_S7_iiiPKb
		.amdhsa_group_segment_fixed_size 0
		.amdhsa_private_segment_fixed_size 0
		.amdhsa_kernarg_size 304
		.amdhsa_user_sgpr_count 6
		.amdhsa_user_sgpr_private_segment_buffer 1
		.amdhsa_user_sgpr_dispatch_ptr 0
		.amdhsa_user_sgpr_queue_ptr 0
		.amdhsa_user_sgpr_kernarg_segment_ptr 1
		.amdhsa_user_sgpr_dispatch_id 0
		.amdhsa_user_sgpr_flat_scratch_init 0
		.amdhsa_user_sgpr_private_segment_size 0
		.amdhsa_wavefront_size32 1
		.amdhsa_uses_dynamic_stack 0
		.amdhsa_system_sgpr_private_segment_wavefront_offset 0
		.amdhsa_system_sgpr_workgroup_id_x 1
		.amdhsa_system_sgpr_workgroup_id_y 0
		.amdhsa_system_sgpr_workgroup_id_z 0
		.amdhsa_system_sgpr_workgroup_info 0
		.amdhsa_system_vgpr_workitem_id 1
		.amdhsa_next_free_vgpr 14
		.amdhsa_next_free_sgpr 12
		.amdhsa_reserve_vcc 1
		.amdhsa_reserve_flat_scratch 0
		.amdhsa_float_round_mode_32 0
		.amdhsa_float_round_mode_16_64 0
		.amdhsa_float_denorm_mode_32 3
		.amdhsa_float_denorm_mode_16_64 3
		.amdhsa_dx10_clamp 1
		.amdhsa_ieee_mode 1
		.amdhsa_fp16_overflow 0
		.amdhsa_workgroup_processor_mode 1
		.amdhsa_memory_ordered 1
		.amdhsa_forward_progress 1
		.amdhsa_shared_vgpr_count 0
		.amdhsa_exception_fp_ieee_invalid_op 0
		.amdhsa_exception_fp_denorm_src 0
		.amdhsa_exception_fp_ieee_div_zero 0
		.amdhsa_exception_fp_ieee_overflow 0
		.amdhsa_exception_fp_ieee_underflow 0
		.amdhsa_exception_fp_ieee_inexact 0
		.amdhsa_exception_int_div_zero 0
	.end_amdhsa_kernel
	.section	.text._ZN12_GLOBAL__N_121softmax_warp_backwardIfN3c104HalfEfLi6ELb1ELb0ELi64EEEvPT0_PKT_S7_iiiPKb,"axG",@progbits,_ZN12_GLOBAL__N_121softmax_warp_backwardIfN3c104HalfEfLi6ELb1ELb0ELi64EEEvPT0_PKT_S7_iiiPKb,comdat
.Lfunc_end288:
	.size	_ZN12_GLOBAL__N_121softmax_warp_backwardIfN3c104HalfEfLi6ELb1ELb0ELi64EEEvPT0_PKT_S7_iiiPKb, .Lfunc_end288-_ZN12_GLOBAL__N_121softmax_warp_backwardIfN3c104HalfEfLi6ELb1ELb0ELi64EEEvPT0_PKT_S7_iiiPKb
                                        ; -- End function
	.set _ZN12_GLOBAL__N_121softmax_warp_backwardIfN3c104HalfEfLi6ELb1ELb0ELi64EEEvPT0_PKT_S7_iiiPKb.num_vgpr, 14
	.set _ZN12_GLOBAL__N_121softmax_warp_backwardIfN3c104HalfEfLi6ELb1ELb0ELi64EEEvPT0_PKT_S7_iiiPKb.num_agpr, 0
	.set _ZN12_GLOBAL__N_121softmax_warp_backwardIfN3c104HalfEfLi6ELb1ELb0ELi64EEEvPT0_PKT_S7_iiiPKb.numbered_sgpr, 12
	.set _ZN12_GLOBAL__N_121softmax_warp_backwardIfN3c104HalfEfLi6ELb1ELb0ELi64EEEvPT0_PKT_S7_iiiPKb.num_named_barrier, 0
	.set _ZN12_GLOBAL__N_121softmax_warp_backwardIfN3c104HalfEfLi6ELb1ELb0ELi64EEEvPT0_PKT_S7_iiiPKb.private_seg_size, 0
	.set _ZN12_GLOBAL__N_121softmax_warp_backwardIfN3c104HalfEfLi6ELb1ELb0ELi64EEEvPT0_PKT_S7_iiiPKb.uses_vcc, 1
	.set _ZN12_GLOBAL__N_121softmax_warp_backwardIfN3c104HalfEfLi6ELb1ELb0ELi64EEEvPT0_PKT_S7_iiiPKb.uses_flat_scratch, 0
	.set _ZN12_GLOBAL__N_121softmax_warp_backwardIfN3c104HalfEfLi6ELb1ELb0ELi64EEEvPT0_PKT_S7_iiiPKb.has_dyn_sized_stack, 0
	.set _ZN12_GLOBAL__N_121softmax_warp_backwardIfN3c104HalfEfLi6ELb1ELb0ELi64EEEvPT0_PKT_S7_iiiPKb.has_recursion, 0
	.set _ZN12_GLOBAL__N_121softmax_warp_backwardIfN3c104HalfEfLi6ELb1ELb0ELi64EEEvPT0_PKT_S7_iiiPKb.has_indirect_call, 0
	.section	.AMDGPU.csdata,"",@progbits
; Kernel info:
; codeLenInByte = 972
; TotalNumSgprs: 14
; NumVgprs: 14
; ScratchSize: 0
; MemoryBound: 0
; FloatMode: 240
; IeeeMode: 1
; LDSByteSize: 0 bytes/workgroup (compile time only)
; SGPRBlocks: 0
; VGPRBlocks: 1
; NumSGPRsForWavesPerEU: 14
; NumVGPRsForWavesPerEU: 14
; Occupancy: 16
; WaveLimiterHint : 0
; COMPUTE_PGM_RSRC2:SCRATCH_EN: 0
; COMPUTE_PGM_RSRC2:USER_SGPR: 6
; COMPUTE_PGM_RSRC2:TRAP_HANDLER: 0
; COMPUTE_PGM_RSRC2:TGID_X_EN: 1
; COMPUTE_PGM_RSRC2:TGID_Y_EN: 0
; COMPUTE_PGM_RSRC2:TGID_Z_EN: 0
; COMPUTE_PGM_RSRC2:TIDIG_COMP_CNT: 1
	.section	.text._ZN12_GLOBAL__N_121softmax_warp_backwardIfN3c104HalfEfLi6ELb1ELb0ELi32EEEvPT0_PKT_S7_iiiPKb,"axG",@progbits,_ZN12_GLOBAL__N_121softmax_warp_backwardIfN3c104HalfEfLi6ELb1ELb0ELi32EEEvPT0_PKT_S7_iiiPKb,comdat
	.globl	_ZN12_GLOBAL__N_121softmax_warp_backwardIfN3c104HalfEfLi6ELb1ELb0ELi32EEEvPT0_PKT_S7_iiiPKb ; -- Begin function _ZN12_GLOBAL__N_121softmax_warp_backwardIfN3c104HalfEfLi6ELb1ELb0ELi32EEEvPT0_PKT_S7_iiiPKb
	.p2align	8
	.type	_ZN12_GLOBAL__N_121softmax_warp_backwardIfN3c104HalfEfLi6ELb1ELb0ELi32EEEvPT0_PKT_S7_iiiPKb,@function
_ZN12_GLOBAL__N_121softmax_warp_backwardIfN3c104HalfEfLi6ELb1ELb0ELi32EEEvPT0_PKT_S7_iiiPKb: ; @_ZN12_GLOBAL__N_121softmax_warp_backwardIfN3c104HalfEfLi6ELb1ELb0ELi32EEEvPT0_PKT_S7_iiiPKb
; %bb.0:
	s_clause 0x1
	s_load_dword s0, s[4:5], 0x3c
	s_load_dwordx4 s[8:11], s[4:5], 0x18
	v_and_b32_e32 v6, 31, v0
	s_clause 0x1
	s_load_dwordx4 s[12:15], s[4:5], 0x0
	s_load_dwordx2 s[2:3], s[4:5], 0x10
	v_mov_b32_e32 v9, 1.0
	v_mov_b32_e32 v8, 0
	v_mov_b32_e32 v10, 0
	v_mov_b32_e32 v11, 1.0
	s_waitcnt lgkmcnt(0)
	s_lshr_b32 s0, s0, 16
	v_cmp_gt_i32_e32 vcc_lo, s10, v6
	s_and_b32 s0, s0, 0xffff
	s_mul_i32 s6, s6, s0
	v_add_lshl_u32 v2, s6, v1, 1
	v_mad_u64_u32 v[0:1], null, v2, s9, v[6:7]
	v_sub_nc_u32_e32 v7, s8, v2
	v_cmp_lt_i32_e64 s1, 0, v7
	v_ashrrev_i32_e32 v1, 31, v0
	v_lshlrev_b64 v[4:5], 2, v[0:1]
	v_add_co_u32 v2, s0, s14, v4
	v_add_co_ci_u32_e64 v3, null, s15, v5, s0
	v_add_co_u32 v4, s0, s2, v4
	v_add_co_ci_u32_e64 v5, null, s3, v5, s0
	s_and_b32 s0, s1, vcc_lo
	s_and_saveexec_b32 s2, s0
	s_cbranch_execz .LBB289_2
; %bb.1:
	global_load_dword v11, v[4:5], off
	global_load_dword v10, v[2:3], off
	s_waitcnt vmcnt(1)
	v_mul_f32_e32 v12, 0x3fb8aa3b, v11
	v_cmp_ngt_f32_e64 s0, 0xc2ce8ed0, v11
	v_rndne_f32_e32 v13, v12
	v_fma_f32 v14, 0x3fb8aa3b, v11, -v12
	v_sub_f32_e32 v12, v12, v13
	v_fmamk_f32 v14, v11, 0x32a5705f, v14
	v_cvt_i32_f32_e32 v13, v13
	v_add_f32_e32 v12, v12, v14
	v_exp_f32_e32 v12, v12
	v_ldexp_f32 v12, v12, v13
	v_cndmask_b32_e64 v12, 0, v12, s0
	v_cmp_nlt_f32_e64 s0, 0x42b17218, v11
	v_cndmask_b32_e64 v11, 0x7f800000, v12, s0
.LBB289_2:
	s_or_b32 exec_lo, exec_lo, s2
	v_or_b32_e32 v6, 32, v6
	v_cmp_gt_i32_e64 s0, s10, v6
	s_and_b32 s2, s1, s0
	s_and_saveexec_b32 s3, s2
	s_cbranch_execz .LBB289_4
; %bb.3:
	global_load_dword v6, v[4:5], off offset:128
	global_load_dword v8, v[2:3], off offset:128
	s_waitcnt vmcnt(1)
	v_mul_f32_e32 v9, 0x3fb8aa3b, v6
	v_cmp_ngt_f32_e64 s2, 0xc2ce8ed0, v6
	v_rndne_f32_e32 v12, v9
	v_fma_f32 v13, 0x3fb8aa3b, v6, -v9
	v_sub_f32_e32 v9, v9, v12
	v_fmamk_f32 v13, v6, 0x32a5705f, v13
	v_cvt_i32_f32_e32 v12, v12
	v_add_f32_e32 v9, v9, v13
	v_exp_f32_e32 v9, v9
	v_ldexp_f32 v9, v9, v12
	v_cndmask_b32_e64 v9, 0, v9, s2
	v_cmp_nlt_f32_e64 s2, 0x42b17218, v6
	v_cndmask_b32_e64 v9, 0x7f800000, v9, s2
.LBB289_4:
	s_or_b32 exec_lo, exec_lo, s3
	v_cmp_lt_i32_e64 s2, 1, v7
	v_mov_b32_e32 v12, 1.0
	v_mov_b32_e32 v6, 0
	v_mov_b32_e32 v13, 0
	v_mov_b32_e32 v14, 1.0
	s_and_b32 s3, s2, vcc_lo
	s_and_saveexec_b32 s4, s3
	s_cbranch_execz .LBB289_6
; %bb.5:
	s_mov_b32 s11, 0
	s_lshl_b64 s[6:7], s[10:11], 2
	v_add_co_u32 v13, s3, v4, s6
	v_add_co_ci_u32_e64 v14, null, s7, v5, s3
	global_load_dword v15, v[13:14], off
	v_add_co_u32 v13, s3, v2, s6
	v_add_co_ci_u32_e64 v14, null, s7, v3, s3
	global_load_dword v13, v[13:14], off
	s_waitcnt vmcnt(1)
	v_mul_f32_e32 v14, 0x3fb8aa3b, v15
	v_cmp_ngt_f32_e64 s3, 0xc2ce8ed0, v15
	v_fma_f32 v16, 0x3fb8aa3b, v15, -v14
	v_rndne_f32_e32 v17, v14
	v_fmamk_f32 v16, v15, 0x32a5705f, v16
	v_sub_f32_e32 v14, v14, v17
	v_add_f32_e32 v14, v14, v16
	v_cvt_i32_f32_e32 v16, v17
	v_exp_f32_e32 v14, v14
	v_ldexp_f32 v14, v14, v16
	v_cndmask_b32_e64 v14, 0, v14, s3
	v_cmp_nlt_f32_e64 s3, 0x42b17218, v15
	v_cndmask_b32_e64 v14, 0x7f800000, v14, s3
.LBB289_6:
	s_or_b32 exec_lo, exec_lo, s4
	s_and_b32 s2, s2, s0
	s_and_saveexec_b32 s3, s2
	s_cbranch_execz .LBB289_8
; %bb.7:
	s_mov_b32 s11, 0
	s_lshl_b64 s[4:5], s[10:11], 2
	v_add_co_u32 v4, s2, v4, s4
	v_add_co_ci_u32_e64 v5, null, s5, v5, s2
	v_add_co_u32 v2, s2, v2, s4
	v_add_co_ci_u32_e64 v3, null, s5, v3, s2
	global_load_dword v4, v[4:5], off offset:128
	global_load_dword v6, v[2:3], off offset:128
	s_waitcnt vmcnt(1)
	v_mul_f32_e32 v2, 0x3fb8aa3b, v4
	v_cmp_ngt_f32_e64 s2, 0xc2ce8ed0, v4
	v_fma_f32 v3, 0x3fb8aa3b, v4, -v2
	v_rndne_f32_e32 v5, v2
	v_fmamk_f32 v3, v4, 0x32a5705f, v3
	v_sub_f32_e32 v2, v2, v5
	v_add_f32_e32 v2, v2, v3
	v_cvt_i32_f32_e32 v3, v5
	v_exp_f32_e32 v2, v2
	v_ldexp_f32 v2, v2, v3
	v_cndmask_b32_e64 v2, 0, v2, s2
	v_cmp_nlt_f32_e64 s2, 0x42b17218, v4
	v_cndmask_b32_e64 v12, 0x7f800000, v2, s2
.LBB289_8:
	s_or_b32 exec_lo, exec_lo, s3
	v_mbcnt_lo_u32_b32 v2, -1, 0
	s_waitcnt vmcnt(0)
	v_add_f32_e32 v4, 0, v10
	v_add_f32_e32 v5, 0, v13
	v_xor_b32_e32 v3, 16, v2
	v_add_f32_e32 v4, v4, v8
	v_add_f32_e32 v5, v5, v6
	v_xor_b32_e32 v16, 8, v2
	v_cmp_gt_i32_e64 s2, 32, v3
	v_cndmask_b32_e64 v3, v2, v3, s2
	v_cmp_gt_i32_e64 s2, 32, v16
	v_lshlrev_b32_e32 v3, 2, v3
	v_cndmask_b32_e64 v16, v2, v16, s2
	ds_bpermute_b32 v15, v3, v4
	ds_bpermute_b32 v3, v3, v5
	v_lshlrev_b32_e32 v16, 2, v16
	s_waitcnt lgkmcnt(1)
	v_add_f32_e32 v4, v4, v15
	s_waitcnt lgkmcnt(0)
	v_add_f32_e32 v3, v5, v3
	ds_bpermute_b32 v5, v16, v4
	ds_bpermute_b32 v15, v16, v3
	v_xor_b32_e32 v16, 4, v2
	v_cmp_gt_i32_e64 s2, 32, v16
	v_cndmask_b32_e64 v16, v2, v16, s2
	v_lshlrev_b32_e32 v16, 2, v16
	s_waitcnt lgkmcnt(1)
	v_add_f32_e32 v4, v4, v5
	s_waitcnt lgkmcnt(0)
	v_add_f32_e32 v3, v3, v15
	ds_bpermute_b32 v5, v16, v4
	ds_bpermute_b32 v15, v16, v3
	v_xor_b32_e32 v16, 2, v2
	v_cmp_gt_i32_e64 s2, 32, v16
	v_cndmask_b32_e64 v16, v2, v16, s2
	;; [unrolled: 10-line block ×3, first 2 shown]
	v_lshlrev_b32_e32 v16, 2, v2
	s_waitcnt lgkmcnt(1)
	v_add_f32_e32 v4, v4, v5
	s_waitcnt lgkmcnt(0)
	v_add_f32_e32 v2, v3, v15
	ds_bpermute_b32 v5, v16, v4
	ds_bpermute_b32 v3, v16, v2
	s_and_saveexec_b32 s2, s1
	s_cbranch_execz .LBB289_12
; %bb.9:
	v_lshlrev_b64 v[0:1], 1, v[0:1]
	s_waitcnt lgkmcnt(1)
	v_add_f32_e32 v4, v4, v5
	v_add_co_u32 v0, s1, s12, v0
	v_add_co_ci_u32_e64 v1, null, s13, v1, s1
	s_and_saveexec_b32 s1, vcc_lo
	s_cbranch_execnz .LBB289_13
; %bb.10:
	s_or_b32 exec_lo, exec_lo, s1
	s_and_saveexec_b32 s1, s0
	s_cbranch_execnz .LBB289_14
.LBB289_11:
	s_or_b32 exec_lo, exec_lo, s1
	v_cmp_ne_u32_e64 s1, 1, v7
	s_and_b32 exec_lo, exec_lo, s1
	s_cbranch_execnz .LBB289_15
.LBB289_12:
	s_endpgm
.LBB289_13:
	v_fma_mixlo_f16 v5, -v4, v11, v10
	global_store_short v[0:1], v5, off
	s_or_b32 exec_lo, exec_lo, s1
	s_and_saveexec_b32 s1, s0
	s_cbranch_execz .LBB289_11
.LBB289_14:
	v_fma_mixlo_f16 v4, -v4, v9, v8
	global_store_short v[0:1], v4, off offset:64
	s_or_b32 exec_lo, exec_lo, s1
	v_cmp_ne_u32_e64 s1, 1, v7
	s_and_b32 exec_lo, exec_lo, s1
	s_cbranch_execz .LBB289_12
.LBB289_15:
	s_waitcnt lgkmcnt(0)
	v_add_f32_e32 v2, v2, v3
	s_and_saveexec_b32 s1, vcc_lo
	s_cbranch_execz .LBB289_17
; %bb.16:
	s_mov_b32 s11, 0
	v_fma_mixlo_f16 v5, -v2, v14, v13
	s_lshl_b64 s[2:3], s[10:11], 1
	v_add_co_u32 v3, vcc_lo, v0, s2
	v_add_co_ci_u32_e64 v4, null, s3, v1, vcc_lo
	global_store_short v[3:4], v5, off
.LBB289_17:
	s_or_b32 exec_lo, exec_lo, s1
	s_and_b32 exec_lo, exec_lo, s0
	s_cbranch_execz .LBB289_12
; %bb.18:
	s_mov_b32 s11, 0
	v_fma_mixlo_f16 v2, -v2, v12, v6
	s_lshl_b64 s[0:1], s[10:11], 1
	v_add_co_u32 v0, vcc_lo, v0, s0
	v_add_co_ci_u32_e64 v1, null, s1, v1, vcc_lo
	global_store_short v[0:1], v2, off offset:64
	s_endpgm
	.section	.rodata,"a",@progbits
	.p2align	6, 0x0
	.amdhsa_kernel _ZN12_GLOBAL__N_121softmax_warp_backwardIfN3c104HalfEfLi6ELb1ELb0ELi32EEEvPT0_PKT_S7_iiiPKb
		.amdhsa_group_segment_fixed_size 0
		.amdhsa_private_segment_fixed_size 0
		.amdhsa_kernarg_size 304
		.amdhsa_user_sgpr_count 6
		.amdhsa_user_sgpr_private_segment_buffer 1
		.amdhsa_user_sgpr_dispatch_ptr 0
		.amdhsa_user_sgpr_queue_ptr 0
		.amdhsa_user_sgpr_kernarg_segment_ptr 1
		.amdhsa_user_sgpr_dispatch_id 0
		.amdhsa_user_sgpr_flat_scratch_init 0
		.amdhsa_user_sgpr_private_segment_size 0
		.amdhsa_wavefront_size32 1
		.amdhsa_uses_dynamic_stack 0
		.amdhsa_system_sgpr_private_segment_wavefront_offset 0
		.amdhsa_system_sgpr_workgroup_id_x 1
		.amdhsa_system_sgpr_workgroup_id_y 0
		.amdhsa_system_sgpr_workgroup_id_z 0
		.amdhsa_system_sgpr_workgroup_info 0
		.amdhsa_system_vgpr_workitem_id 1
		.amdhsa_next_free_vgpr 18
		.amdhsa_next_free_sgpr 16
		.amdhsa_reserve_vcc 1
		.amdhsa_reserve_flat_scratch 0
		.amdhsa_float_round_mode_32 0
		.amdhsa_float_round_mode_16_64 0
		.amdhsa_float_denorm_mode_32 3
		.amdhsa_float_denorm_mode_16_64 3
		.amdhsa_dx10_clamp 1
		.amdhsa_ieee_mode 1
		.amdhsa_fp16_overflow 0
		.amdhsa_workgroup_processor_mode 1
		.amdhsa_memory_ordered 1
		.amdhsa_forward_progress 1
		.amdhsa_shared_vgpr_count 0
		.amdhsa_exception_fp_ieee_invalid_op 0
		.amdhsa_exception_fp_denorm_src 0
		.amdhsa_exception_fp_ieee_div_zero 0
		.amdhsa_exception_fp_ieee_overflow 0
		.amdhsa_exception_fp_ieee_underflow 0
		.amdhsa_exception_fp_ieee_inexact 0
		.amdhsa_exception_int_div_zero 0
	.end_amdhsa_kernel
	.section	.text._ZN12_GLOBAL__N_121softmax_warp_backwardIfN3c104HalfEfLi6ELb1ELb0ELi32EEEvPT0_PKT_S7_iiiPKb,"axG",@progbits,_ZN12_GLOBAL__N_121softmax_warp_backwardIfN3c104HalfEfLi6ELb1ELb0ELi32EEEvPT0_PKT_S7_iiiPKb,comdat
.Lfunc_end289:
	.size	_ZN12_GLOBAL__N_121softmax_warp_backwardIfN3c104HalfEfLi6ELb1ELb0ELi32EEEvPT0_PKT_S7_iiiPKb, .Lfunc_end289-_ZN12_GLOBAL__N_121softmax_warp_backwardIfN3c104HalfEfLi6ELb1ELb0ELi32EEEvPT0_PKT_S7_iiiPKb
                                        ; -- End function
	.set _ZN12_GLOBAL__N_121softmax_warp_backwardIfN3c104HalfEfLi6ELb1ELb0ELi32EEEvPT0_PKT_S7_iiiPKb.num_vgpr, 18
	.set _ZN12_GLOBAL__N_121softmax_warp_backwardIfN3c104HalfEfLi6ELb1ELb0ELi32EEEvPT0_PKT_S7_iiiPKb.num_agpr, 0
	.set _ZN12_GLOBAL__N_121softmax_warp_backwardIfN3c104HalfEfLi6ELb1ELb0ELi32EEEvPT0_PKT_S7_iiiPKb.numbered_sgpr, 16
	.set _ZN12_GLOBAL__N_121softmax_warp_backwardIfN3c104HalfEfLi6ELb1ELb0ELi32EEEvPT0_PKT_S7_iiiPKb.num_named_barrier, 0
	.set _ZN12_GLOBAL__N_121softmax_warp_backwardIfN3c104HalfEfLi6ELb1ELb0ELi32EEEvPT0_PKT_S7_iiiPKb.private_seg_size, 0
	.set _ZN12_GLOBAL__N_121softmax_warp_backwardIfN3c104HalfEfLi6ELb1ELb0ELi32EEEvPT0_PKT_S7_iiiPKb.uses_vcc, 1
	.set _ZN12_GLOBAL__N_121softmax_warp_backwardIfN3c104HalfEfLi6ELb1ELb0ELi32EEEvPT0_PKT_S7_iiiPKb.uses_flat_scratch, 0
	.set _ZN12_GLOBAL__N_121softmax_warp_backwardIfN3c104HalfEfLi6ELb1ELb0ELi32EEEvPT0_PKT_S7_iiiPKb.has_dyn_sized_stack, 0
	.set _ZN12_GLOBAL__N_121softmax_warp_backwardIfN3c104HalfEfLi6ELb1ELb0ELi32EEEvPT0_PKT_S7_iiiPKb.has_recursion, 0
	.set _ZN12_GLOBAL__N_121softmax_warp_backwardIfN3c104HalfEfLi6ELb1ELb0ELi32EEEvPT0_PKT_S7_iiiPKb.has_indirect_call, 0
	.section	.AMDGPU.csdata,"",@progbits
; Kernel info:
; codeLenInByte = 1368
; TotalNumSgprs: 18
; NumVgprs: 18
; ScratchSize: 0
; MemoryBound: 0
; FloatMode: 240
; IeeeMode: 1
; LDSByteSize: 0 bytes/workgroup (compile time only)
; SGPRBlocks: 0
; VGPRBlocks: 2
; NumSGPRsForWavesPerEU: 18
; NumVGPRsForWavesPerEU: 18
; Occupancy: 16
; WaveLimiterHint : 0
; COMPUTE_PGM_RSRC2:SCRATCH_EN: 0
; COMPUTE_PGM_RSRC2:USER_SGPR: 6
; COMPUTE_PGM_RSRC2:TRAP_HANDLER: 0
; COMPUTE_PGM_RSRC2:TGID_X_EN: 1
; COMPUTE_PGM_RSRC2:TGID_Y_EN: 0
; COMPUTE_PGM_RSRC2:TGID_Z_EN: 0
; COMPUTE_PGM_RSRC2:TIDIG_COMP_CNT: 1
	.section	.text._ZN12_GLOBAL__N_121softmax_warp_backwardIfN3c104HalfEfLi7ELb1ELb0ELi64EEEvPT0_PKT_S7_iiiPKb,"axG",@progbits,_ZN12_GLOBAL__N_121softmax_warp_backwardIfN3c104HalfEfLi7ELb1ELb0ELi64EEEvPT0_PKT_S7_iiiPKb,comdat
	.globl	_ZN12_GLOBAL__N_121softmax_warp_backwardIfN3c104HalfEfLi7ELb1ELb0ELi64EEEvPT0_PKT_S7_iiiPKb ; -- Begin function _ZN12_GLOBAL__N_121softmax_warp_backwardIfN3c104HalfEfLi7ELb1ELb0ELi64EEEvPT0_PKT_S7_iiiPKb
	.p2align	8
	.type	_ZN12_GLOBAL__N_121softmax_warp_backwardIfN3c104HalfEfLi7ELb1ELb0ELi64EEEvPT0_PKT_S7_iiiPKb,@function
_ZN12_GLOBAL__N_121softmax_warp_backwardIfN3c104HalfEfLi7ELb1ELb0ELi64EEEvPT0_PKT_S7_iiiPKb: ; @_ZN12_GLOBAL__N_121softmax_warp_backwardIfN3c104HalfEfLi7ELb1ELb0ELi64EEEvPT0_PKT_S7_iiiPKb
; %bb.0:
	s_clause 0x1
	s_load_dword s0, s[4:5], 0x3c
	s_load_dwordx4 s[8:11], s[4:5], 0x18
	v_and_b32_e32 v6, 63, v0
	s_clause 0x1
	s_load_dwordx4 s[12:15], s[4:5], 0x0
	s_load_dwordx2 s[2:3], s[4:5], 0x10
	v_mov_b32_e32 v9, 1.0
	v_mov_b32_e32 v8, 0
	v_mov_b32_e32 v10, 0
	v_mov_b32_e32 v11, 1.0
	s_waitcnt lgkmcnt(0)
	s_lshr_b32 s0, s0, 16
	v_cmp_gt_i32_e32 vcc_lo, s10, v6
	s_and_b32 s0, s0, 0xffff
	s_mul_i32 s6, s6, s0
	v_add_lshl_u32 v2, s6, v1, 1
	v_mad_u64_u32 v[0:1], null, v2, s9, v[6:7]
	v_sub_nc_u32_e32 v7, s8, v2
	v_cmp_lt_i32_e64 s1, 0, v7
	v_ashrrev_i32_e32 v1, 31, v0
	v_lshlrev_b64 v[4:5], 2, v[0:1]
	v_add_co_u32 v2, s0, s14, v4
	v_add_co_ci_u32_e64 v3, null, s15, v5, s0
	v_add_co_u32 v4, s0, s2, v4
	v_add_co_ci_u32_e64 v5, null, s3, v5, s0
	s_and_b32 s0, s1, vcc_lo
	s_and_saveexec_b32 s2, s0
	s_cbranch_execz .LBB290_2
; %bb.1:
	global_load_dword v11, v[4:5], off
	global_load_dword v10, v[2:3], off
	s_waitcnt vmcnt(1)
	v_mul_f32_e32 v12, 0x3fb8aa3b, v11
	v_cmp_ngt_f32_e64 s0, 0xc2ce8ed0, v11
	v_rndne_f32_e32 v13, v12
	v_fma_f32 v14, 0x3fb8aa3b, v11, -v12
	v_sub_f32_e32 v12, v12, v13
	v_fmamk_f32 v14, v11, 0x32a5705f, v14
	v_cvt_i32_f32_e32 v13, v13
	v_add_f32_e32 v12, v12, v14
	v_exp_f32_e32 v12, v12
	v_ldexp_f32 v12, v12, v13
	v_cndmask_b32_e64 v12, 0, v12, s0
	v_cmp_nlt_f32_e64 s0, 0x42b17218, v11
	v_cndmask_b32_e64 v11, 0x7f800000, v12, s0
.LBB290_2:
	s_or_b32 exec_lo, exec_lo, s2
	v_or_b32_e32 v6, 64, v6
	v_cmp_gt_i32_e64 s0, s10, v6
	s_and_b32 s2, s1, s0
	s_and_saveexec_b32 s3, s2
	s_cbranch_execz .LBB290_4
; %bb.3:
	global_load_dword v6, v[4:5], off offset:256
	global_load_dword v8, v[2:3], off offset:256
	s_waitcnt vmcnt(1)
	v_mul_f32_e32 v9, 0x3fb8aa3b, v6
	v_cmp_ngt_f32_e64 s2, 0xc2ce8ed0, v6
	v_rndne_f32_e32 v12, v9
	v_fma_f32 v13, 0x3fb8aa3b, v6, -v9
	v_sub_f32_e32 v9, v9, v12
	v_fmamk_f32 v13, v6, 0x32a5705f, v13
	v_cvt_i32_f32_e32 v12, v12
	v_add_f32_e32 v9, v9, v13
	v_exp_f32_e32 v9, v9
	v_ldexp_f32 v9, v9, v12
	v_cndmask_b32_e64 v9, 0, v9, s2
	v_cmp_nlt_f32_e64 s2, 0x42b17218, v6
	v_cndmask_b32_e64 v9, 0x7f800000, v9, s2
.LBB290_4:
	s_or_b32 exec_lo, exec_lo, s3
	v_cmp_lt_i32_e64 s2, 1, v7
	v_mov_b32_e32 v12, 1.0
	v_mov_b32_e32 v6, 0
	v_mov_b32_e32 v13, 0
	v_mov_b32_e32 v14, 1.0
	s_and_b32 s3, s2, vcc_lo
	s_and_saveexec_b32 s4, s3
	s_cbranch_execz .LBB290_6
; %bb.5:
	s_mov_b32 s11, 0
	s_lshl_b64 s[6:7], s[10:11], 2
	v_add_co_u32 v13, s3, v4, s6
	v_add_co_ci_u32_e64 v14, null, s7, v5, s3
	global_load_dword v15, v[13:14], off
	v_add_co_u32 v13, s3, v2, s6
	v_add_co_ci_u32_e64 v14, null, s7, v3, s3
	global_load_dword v13, v[13:14], off
	s_waitcnt vmcnt(1)
	v_mul_f32_e32 v14, 0x3fb8aa3b, v15
	v_cmp_ngt_f32_e64 s3, 0xc2ce8ed0, v15
	v_fma_f32 v16, 0x3fb8aa3b, v15, -v14
	v_rndne_f32_e32 v17, v14
	v_fmamk_f32 v16, v15, 0x32a5705f, v16
	v_sub_f32_e32 v14, v14, v17
	v_add_f32_e32 v14, v14, v16
	v_cvt_i32_f32_e32 v16, v17
	v_exp_f32_e32 v14, v14
	v_ldexp_f32 v14, v14, v16
	v_cndmask_b32_e64 v14, 0, v14, s3
	v_cmp_nlt_f32_e64 s3, 0x42b17218, v15
	v_cndmask_b32_e64 v14, 0x7f800000, v14, s3
.LBB290_6:
	s_or_b32 exec_lo, exec_lo, s4
	s_and_b32 s2, s2, s0
	s_and_saveexec_b32 s3, s2
	s_cbranch_execz .LBB290_8
; %bb.7:
	s_mov_b32 s11, 0
	s_lshl_b64 s[4:5], s[10:11], 2
	v_add_co_u32 v4, s2, v4, s4
	v_add_co_ci_u32_e64 v5, null, s5, v5, s2
	v_add_co_u32 v2, s2, v2, s4
	v_add_co_ci_u32_e64 v3, null, s5, v3, s2
	global_load_dword v4, v[4:5], off offset:256
	global_load_dword v6, v[2:3], off offset:256
	s_waitcnt vmcnt(1)
	v_mul_f32_e32 v2, 0x3fb8aa3b, v4
	v_cmp_ngt_f32_e64 s2, 0xc2ce8ed0, v4
	v_fma_f32 v3, 0x3fb8aa3b, v4, -v2
	v_rndne_f32_e32 v5, v2
	v_fmamk_f32 v3, v4, 0x32a5705f, v3
	v_sub_f32_e32 v2, v2, v5
	v_add_f32_e32 v2, v2, v3
	v_cvt_i32_f32_e32 v3, v5
	v_exp_f32_e32 v2, v2
	v_ldexp_f32 v2, v2, v3
	v_cndmask_b32_e64 v2, 0, v2, s2
	v_cmp_nlt_f32_e64 s2, 0x42b17218, v4
	v_cndmask_b32_e64 v12, 0x7f800000, v2, s2
.LBB290_8:
	s_or_b32 exec_lo, exec_lo, s3
	v_mbcnt_lo_u32_b32 v2, -1, 0
	s_waitcnt vmcnt(0)
	v_add_f32_e32 v4, 0, v10
	v_add_f32_e32 v5, 0, v13
	v_or_b32_e32 v3, 32, v2
	v_add_f32_e32 v4, v4, v8
	v_add_f32_e32 v5, v5, v6
	v_xor_b32_e32 v16, 16, v2
	v_cmp_gt_i32_e64 s2, 64, v3
	v_cndmask_b32_e64 v3, v2, v3, s2
	v_cmp_gt_i32_e64 s2, 64, v16
	v_lshlrev_b32_e32 v3, 2, v3
	v_cndmask_b32_e64 v16, v2, v16, s2
	ds_bpermute_b32 v15, v3, v4
	ds_bpermute_b32 v3, v3, v5
	v_lshlrev_b32_e32 v16, 2, v16
	s_waitcnt lgkmcnt(1)
	v_add_f32_e32 v4, v4, v15
	s_waitcnt lgkmcnt(0)
	v_add_f32_e32 v3, v5, v3
	ds_bpermute_b32 v5, v16, v4
	ds_bpermute_b32 v15, v16, v3
	v_xor_b32_e32 v16, 8, v2
	v_cmp_gt_i32_e64 s2, 64, v16
	v_cndmask_b32_e64 v16, v2, v16, s2
	v_lshlrev_b32_e32 v16, 2, v16
	s_waitcnt lgkmcnt(1)
	v_add_f32_e32 v4, v4, v5
	s_waitcnt lgkmcnt(0)
	v_add_f32_e32 v3, v3, v15
	ds_bpermute_b32 v5, v16, v4
	ds_bpermute_b32 v15, v16, v3
	v_xor_b32_e32 v16, 4, v2
	v_cmp_gt_i32_e64 s2, 64, v16
	v_cndmask_b32_e64 v16, v2, v16, s2
	;; [unrolled: 10-line block ×4, first 2 shown]
	v_lshlrev_b32_e32 v16, 2, v2
	s_waitcnt lgkmcnt(1)
	v_add_f32_e32 v4, v4, v5
	s_waitcnt lgkmcnt(0)
	v_add_f32_e32 v2, v3, v15
	ds_bpermute_b32 v5, v16, v4
	ds_bpermute_b32 v3, v16, v2
	s_and_saveexec_b32 s2, s1
	s_cbranch_execz .LBB290_12
; %bb.9:
	v_lshlrev_b64 v[0:1], 1, v[0:1]
	s_waitcnt lgkmcnt(1)
	v_add_f32_e32 v4, v4, v5
	v_add_co_u32 v0, s1, s12, v0
	v_add_co_ci_u32_e64 v1, null, s13, v1, s1
	s_and_saveexec_b32 s1, vcc_lo
	s_cbranch_execnz .LBB290_13
; %bb.10:
	s_or_b32 exec_lo, exec_lo, s1
	s_and_saveexec_b32 s1, s0
	s_cbranch_execnz .LBB290_14
.LBB290_11:
	s_or_b32 exec_lo, exec_lo, s1
	v_cmp_ne_u32_e64 s1, 1, v7
	s_and_b32 exec_lo, exec_lo, s1
	s_cbranch_execnz .LBB290_15
.LBB290_12:
	s_endpgm
.LBB290_13:
	v_fma_mixlo_f16 v5, -v4, v11, v10
	global_store_short v[0:1], v5, off
	s_or_b32 exec_lo, exec_lo, s1
	s_and_saveexec_b32 s1, s0
	s_cbranch_execz .LBB290_11
.LBB290_14:
	v_fma_mixlo_f16 v4, -v4, v9, v8
	global_store_short v[0:1], v4, off offset:128
	s_or_b32 exec_lo, exec_lo, s1
	v_cmp_ne_u32_e64 s1, 1, v7
	s_and_b32 exec_lo, exec_lo, s1
	s_cbranch_execz .LBB290_12
.LBB290_15:
	s_waitcnt lgkmcnt(0)
	v_add_f32_e32 v2, v2, v3
	s_and_saveexec_b32 s1, vcc_lo
	s_cbranch_execz .LBB290_17
; %bb.16:
	s_mov_b32 s11, 0
	v_fma_mixlo_f16 v5, -v2, v14, v13
	s_lshl_b64 s[2:3], s[10:11], 1
	v_add_co_u32 v3, vcc_lo, v0, s2
	v_add_co_ci_u32_e64 v4, null, s3, v1, vcc_lo
	global_store_short v[3:4], v5, off
.LBB290_17:
	s_or_b32 exec_lo, exec_lo, s1
	s_and_b32 exec_lo, exec_lo, s0
	s_cbranch_execz .LBB290_12
; %bb.18:
	s_mov_b32 s11, 0
	v_fma_mixlo_f16 v2, -v2, v12, v6
	s_lshl_b64 s[0:1], s[10:11], 1
	v_add_co_u32 v0, vcc_lo, v0, s0
	v_add_co_ci_u32_e64 v1, null, s1, v1, vcc_lo
	global_store_short v[0:1], v2, off offset:128
	s_endpgm
	.section	.rodata,"a",@progbits
	.p2align	6, 0x0
	.amdhsa_kernel _ZN12_GLOBAL__N_121softmax_warp_backwardIfN3c104HalfEfLi7ELb1ELb0ELi64EEEvPT0_PKT_S7_iiiPKb
		.amdhsa_group_segment_fixed_size 0
		.amdhsa_private_segment_fixed_size 0
		.amdhsa_kernarg_size 304
		.amdhsa_user_sgpr_count 6
		.amdhsa_user_sgpr_private_segment_buffer 1
		.amdhsa_user_sgpr_dispatch_ptr 0
		.amdhsa_user_sgpr_queue_ptr 0
		.amdhsa_user_sgpr_kernarg_segment_ptr 1
		.amdhsa_user_sgpr_dispatch_id 0
		.amdhsa_user_sgpr_flat_scratch_init 0
		.amdhsa_user_sgpr_private_segment_size 0
		.amdhsa_wavefront_size32 1
		.amdhsa_uses_dynamic_stack 0
		.amdhsa_system_sgpr_private_segment_wavefront_offset 0
		.amdhsa_system_sgpr_workgroup_id_x 1
		.amdhsa_system_sgpr_workgroup_id_y 0
		.amdhsa_system_sgpr_workgroup_id_z 0
		.amdhsa_system_sgpr_workgroup_info 0
		.amdhsa_system_vgpr_workitem_id 1
		.amdhsa_next_free_vgpr 18
		.amdhsa_next_free_sgpr 16
		.amdhsa_reserve_vcc 1
		.amdhsa_reserve_flat_scratch 0
		.amdhsa_float_round_mode_32 0
		.amdhsa_float_round_mode_16_64 0
		.amdhsa_float_denorm_mode_32 3
		.amdhsa_float_denorm_mode_16_64 3
		.amdhsa_dx10_clamp 1
		.amdhsa_ieee_mode 1
		.amdhsa_fp16_overflow 0
		.amdhsa_workgroup_processor_mode 1
		.amdhsa_memory_ordered 1
		.amdhsa_forward_progress 1
		.amdhsa_shared_vgpr_count 0
		.amdhsa_exception_fp_ieee_invalid_op 0
		.amdhsa_exception_fp_denorm_src 0
		.amdhsa_exception_fp_ieee_div_zero 0
		.amdhsa_exception_fp_ieee_overflow 0
		.amdhsa_exception_fp_ieee_underflow 0
		.amdhsa_exception_fp_ieee_inexact 0
		.amdhsa_exception_int_div_zero 0
	.end_amdhsa_kernel
	.section	.text._ZN12_GLOBAL__N_121softmax_warp_backwardIfN3c104HalfEfLi7ELb1ELb0ELi64EEEvPT0_PKT_S7_iiiPKb,"axG",@progbits,_ZN12_GLOBAL__N_121softmax_warp_backwardIfN3c104HalfEfLi7ELb1ELb0ELi64EEEvPT0_PKT_S7_iiiPKb,comdat
.Lfunc_end290:
	.size	_ZN12_GLOBAL__N_121softmax_warp_backwardIfN3c104HalfEfLi7ELb1ELb0ELi64EEEvPT0_PKT_S7_iiiPKb, .Lfunc_end290-_ZN12_GLOBAL__N_121softmax_warp_backwardIfN3c104HalfEfLi7ELb1ELb0ELi64EEEvPT0_PKT_S7_iiiPKb
                                        ; -- End function
	.set _ZN12_GLOBAL__N_121softmax_warp_backwardIfN3c104HalfEfLi7ELb1ELb0ELi64EEEvPT0_PKT_S7_iiiPKb.num_vgpr, 18
	.set _ZN12_GLOBAL__N_121softmax_warp_backwardIfN3c104HalfEfLi7ELb1ELb0ELi64EEEvPT0_PKT_S7_iiiPKb.num_agpr, 0
	.set _ZN12_GLOBAL__N_121softmax_warp_backwardIfN3c104HalfEfLi7ELb1ELb0ELi64EEEvPT0_PKT_S7_iiiPKb.numbered_sgpr, 16
	.set _ZN12_GLOBAL__N_121softmax_warp_backwardIfN3c104HalfEfLi7ELb1ELb0ELi64EEEvPT0_PKT_S7_iiiPKb.num_named_barrier, 0
	.set _ZN12_GLOBAL__N_121softmax_warp_backwardIfN3c104HalfEfLi7ELb1ELb0ELi64EEEvPT0_PKT_S7_iiiPKb.private_seg_size, 0
	.set _ZN12_GLOBAL__N_121softmax_warp_backwardIfN3c104HalfEfLi7ELb1ELb0ELi64EEEvPT0_PKT_S7_iiiPKb.uses_vcc, 1
	.set _ZN12_GLOBAL__N_121softmax_warp_backwardIfN3c104HalfEfLi7ELb1ELb0ELi64EEEvPT0_PKT_S7_iiiPKb.uses_flat_scratch, 0
	.set _ZN12_GLOBAL__N_121softmax_warp_backwardIfN3c104HalfEfLi7ELb1ELb0ELi64EEEvPT0_PKT_S7_iiiPKb.has_dyn_sized_stack, 0
	.set _ZN12_GLOBAL__N_121softmax_warp_backwardIfN3c104HalfEfLi7ELb1ELb0ELi64EEEvPT0_PKT_S7_iiiPKb.has_recursion, 0
	.set _ZN12_GLOBAL__N_121softmax_warp_backwardIfN3c104HalfEfLi7ELb1ELb0ELi64EEEvPT0_PKT_S7_iiiPKb.has_indirect_call, 0
	.section	.AMDGPU.csdata,"",@progbits
; Kernel info:
; codeLenInByte = 1424
; TotalNumSgprs: 18
; NumVgprs: 18
; ScratchSize: 0
; MemoryBound: 0
; FloatMode: 240
; IeeeMode: 1
; LDSByteSize: 0 bytes/workgroup (compile time only)
; SGPRBlocks: 0
; VGPRBlocks: 2
; NumSGPRsForWavesPerEU: 18
; NumVGPRsForWavesPerEU: 18
; Occupancy: 16
; WaveLimiterHint : 0
; COMPUTE_PGM_RSRC2:SCRATCH_EN: 0
; COMPUTE_PGM_RSRC2:USER_SGPR: 6
; COMPUTE_PGM_RSRC2:TRAP_HANDLER: 0
; COMPUTE_PGM_RSRC2:TGID_X_EN: 1
; COMPUTE_PGM_RSRC2:TGID_Y_EN: 0
; COMPUTE_PGM_RSRC2:TGID_Z_EN: 0
; COMPUTE_PGM_RSRC2:TIDIG_COMP_CNT: 1
	.section	.text._ZN12_GLOBAL__N_121softmax_warp_backwardIfN3c104HalfEfLi7ELb1ELb0ELi32EEEvPT0_PKT_S7_iiiPKb,"axG",@progbits,_ZN12_GLOBAL__N_121softmax_warp_backwardIfN3c104HalfEfLi7ELb1ELb0ELi32EEEvPT0_PKT_S7_iiiPKb,comdat
	.globl	_ZN12_GLOBAL__N_121softmax_warp_backwardIfN3c104HalfEfLi7ELb1ELb0ELi32EEEvPT0_PKT_S7_iiiPKb ; -- Begin function _ZN12_GLOBAL__N_121softmax_warp_backwardIfN3c104HalfEfLi7ELb1ELb0ELi32EEEvPT0_PKT_S7_iiiPKb
	.p2align	8
	.type	_ZN12_GLOBAL__N_121softmax_warp_backwardIfN3c104HalfEfLi7ELb1ELb0ELi32EEEvPT0_PKT_S7_iiiPKb,@function
_ZN12_GLOBAL__N_121softmax_warp_backwardIfN3c104HalfEfLi7ELb1ELb0ELi32EEEvPT0_PKT_S7_iiiPKb: ; @_ZN12_GLOBAL__N_121softmax_warp_backwardIfN3c104HalfEfLi7ELb1ELb0ELi32EEEvPT0_PKT_S7_iiiPKb
; %bb.0:
	s_clause 0x1
	s_load_dword s0, s[4:5], 0x3c
	s_load_dwordx4 s[8:11], s[4:5], 0x18
	v_and_b32_e32 v6, 31, v0
	s_clause 0x1
	s_load_dwordx4 s[12:15], s[4:5], 0x0
	s_load_dwordx2 s[4:5], s[4:5], 0x10
	v_mov_b32_e32 v9, 1.0
	v_mov_b32_e32 v8, 0
	v_mov_b32_e32 v10, 0
	v_mov_b32_e32 v11, 1.0
	s_waitcnt lgkmcnt(0)
	s_lshr_b32 s0, s0, 16
	v_cmp_gt_i32_e32 vcc_lo, s10, v6
	s_and_b32 s0, s0, 0xffff
	s_mul_i32 s6, s6, s0
	v_add_lshl_u32 v2, s6, v1, 1
	v_mad_u64_u32 v[0:1], null, v2, s9, v[6:7]
	v_sub_nc_u32_e32 v7, s8, v2
	v_cmp_lt_i32_e64 s3, 0, v7
	v_ashrrev_i32_e32 v1, 31, v0
	v_lshlrev_b64 v[4:5], 2, v[0:1]
	v_add_co_u32 v2, s0, s14, v4
	v_add_co_ci_u32_e64 v3, null, s15, v5, s0
	v_add_co_u32 v4, s0, s4, v4
	v_add_co_ci_u32_e64 v5, null, s5, v5, s0
	s_and_b32 s0, s3, vcc_lo
	s_and_saveexec_b32 s1, s0
	s_cbranch_execz .LBB291_2
; %bb.1:
	global_load_dword v11, v[4:5], off
	global_load_dword v10, v[2:3], off
	s_waitcnt vmcnt(1)
	v_mul_f32_e32 v12, 0x3fb8aa3b, v11
	v_cmp_ngt_f32_e64 s0, 0xc2ce8ed0, v11
	v_rndne_f32_e32 v13, v12
	v_fma_f32 v14, 0x3fb8aa3b, v11, -v12
	v_sub_f32_e32 v12, v12, v13
	v_fmamk_f32 v14, v11, 0x32a5705f, v14
	v_cvt_i32_f32_e32 v13, v13
	v_add_f32_e32 v12, v12, v14
	v_exp_f32_e32 v12, v12
	v_ldexp_f32 v12, v12, v13
	v_cndmask_b32_e64 v12, 0, v12, s0
	v_cmp_nlt_f32_e64 s0, 0x42b17218, v11
	v_cndmask_b32_e64 v11, 0x7f800000, v12, s0
.LBB291_2:
	s_or_b32 exec_lo, exec_lo, s1
	v_or_b32_e32 v12, 32, v6
	v_cmp_gt_i32_e64 s0, s10, v12
	s_and_b32 s1, s3, s0
	s_and_saveexec_b32 s2, s1
	s_cbranch_execz .LBB291_4
; %bb.3:
	global_load_dword v9, v[4:5], off offset:128
	global_load_dword v8, v[2:3], off offset:128
	s_waitcnt vmcnt(1)
	v_mul_f32_e32 v12, 0x3fb8aa3b, v9
	v_cmp_ngt_f32_e64 s1, 0xc2ce8ed0, v9
	v_rndne_f32_e32 v13, v12
	v_fma_f32 v14, 0x3fb8aa3b, v9, -v12
	v_sub_f32_e32 v12, v12, v13
	v_fmamk_f32 v14, v9, 0x32a5705f, v14
	v_cvt_i32_f32_e32 v13, v13
	v_add_f32_e32 v12, v12, v14
	v_exp_f32_e32 v12, v12
	v_ldexp_f32 v12, v12, v13
	v_cndmask_b32_e64 v12, 0, v12, s1
	v_cmp_nlt_f32_e64 s1, 0x42b17218, v9
	v_cndmask_b32_e64 v9, 0x7f800000, v12, s1
.LBB291_4:
	s_or_b32 exec_lo, exec_lo, s2
	v_or_b32_e32 v12, 64, v6
	v_mov_b32_e32 v14, 1.0
	v_mov_b32_e32 v13, 0
	v_mov_b32_e32 v15, 1.0
	v_cmp_gt_i32_e64 s1, s10, v12
	v_mov_b32_e32 v12, 0
	s_and_b32 s2, s3, s1
	s_and_saveexec_b32 s4, s2
	s_cbranch_execz .LBB291_6
; %bb.5:
	global_load_dword v15, v[4:5], off offset:256
	global_load_dword v13, v[2:3], off offset:256
	s_waitcnt vmcnt(1)
	v_mul_f32_e32 v16, 0x3fb8aa3b, v15
	v_cmp_ngt_f32_e64 s2, 0xc2ce8ed0, v15
	v_rndne_f32_e32 v17, v16
	v_fma_f32 v18, 0x3fb8aa3b, v15, -v16
	v_sub_f32_e32 v16, v16, v17
	v_fmamk_f32 v18, v15, 0x32a5705f, v18
	v_cvt_i32_f32_e32 v17, v17
	v_add_f32_e32 v16, v16, v18
	v_exp_f32_e32 v16, v16
	v_ldexp_f32 v16, v16, v17
	v_cndmask_b32_e64 v16, 0, v16, s2
	v_cmp_nlt_f32_e64 s2, 0x42b17218, v15
	v_cndmask_b32_e64 v15, 0x7f800000, v16, s2
.LBB291_6:
	s_or_b32 exec_lo, exec_lo, s4
	v_or_b32_e32 v6, 0x60, v6
	v_cmp_gt_i32_e64 s2, s10, v6
	s_and_b32 s4, s3, s2
	s_and_saveexec_b32 s5, s4
	s_cbranch_execz .LBB291_8
; %bb.7:
	global_load_dword v6, v[4:5], off offset:384
	global_load_dword v12, v[2:3], off offset:384
	s_waitcnt vmcnt(1)
	v_mul_f32_e32 v14, 0x3fb8aa3b, v6
	v_cmp_ngt_f32_e64 s4, 0xc2ce8ed0, v6
	v_rndne_f32_e32 v16, v14
	v_fma_f32 v17, 0x3fb8aa3b, v6, -v14
	v_sub_f32_e32 v14, v14, v16
	v_fmamk_f32 v17, v6, 0x32a5705f, v17
	v_cvt_i32_f32_e32 v16, v16
	v_add_f32_e32 v14, v14, v17
	v_exp_f32_e32 v14, v14
	v_ldexp_f32 v14, v14, v16
	v_cndmask_b32_e64 v14, 0, v14, s4
	v_cmp_nlt_f32_e64 s4, 0x42b17218, v6
	v_cndmask_b32_e64 v14, 0x7f800000, v14, s4
.LBB291_8:
	s_or_b32 exec_lo, exec_lo, s5
	v_cmp_lt_i32_e64 s4, 1, v7
	v_mov_b32_e32 v16, 1.0
	v_mov_b32_e32 v6, 0
	v_mov_b32_e32 v17, 0
	v_mov_b32_e32 v18, 1.0
	s_and_b32 s5, s4, vcc_lo
	s_and_saveexec_b32 s6, s5
	s_cbranch_execz .LBB291_10
; %bb.9:
	s_mov_b32 s11, 0
	s_lshl_b64 s[8:9], s[10:11], 2
	v_add_co_u32 v17, s5, v4, s8
	v_add_co_ci_u32_e64 v18, null, s9, v5, s5
	global_load_dword v19, v[17:18], off
	v_add_co_u32 v17, s5, v2, s8
	v_add_co_ci_u32_e64 v18, null, s9, v3, s5
	global_load_dword v17, v[17:18], off
	s_waitcnt vmcnt(1)
	v_mul_f32_e32 v18, 0x3fb8aa3b, v19
	v_cmp_ngt_f32_e64 s5, 0xc2ce8ed0, v19
	v_fma_f32 v20, 0x3fb8aa3b, v19, -v18
	v_rndne_f32_e32 v21, v18
	v_fmamk_f32 v20, v19, 0x32a5705f, v20
	v_sub_f32_e32 v18, v18, v21
	v_add_f32_e32 v18, v18, v20
	v_cvt_i32_f32_e32 v20, v21
	v_exp_f32_e32 v18, v18
	v_ldexp_f32 v18, v18, v20
	v_cndmask_b32_e64 v18, 0, v18, s5
	v_cmp_nlt_f32_e64 s5, 0x42b17218, v19
	v_cndmask_b32_e64 v18, 0x7f800000, v18, s5
.LBB291_10:
	s_or_b32 exec_lo, exec_lo, s6
	s_and_b32 s5, s4, s0
	s_and_saveexec_b32 s6, s5
	s_cbranch_execz .LBB291_12
; %bb.11:
	s_mov_b32 s11, 0
	s_lshl_b64 s[8:9], s[10:11], 2
	v_add_co_u32 v19, s5, v4, s8
	v_add_co_ci_u32_e64 v20, null, s9, v5, s5
	global_load_dword v16, v[19:20], off offset:128
	v_add_co_u32 v19, s5, v2, s8
	v_add_co_ci_u32_e64 v20, null, s9, v3, s5
	global_load_dword v6, v[19:20], off offset:128
	s_waitcnt vmcnt(1)
	v_mul_f32_e32 v19, 0x3fb8aa3b, v16
	v_cmp_ngt_f32_e64 s5, 0xc2ce8ed0, v16
	v_fma_f32 v20, 0x3fb8aa3b, v16, -v19
	v_rndne_f32_e32 v21, v19
	v_fmamk_f32 v20, v16, 0x32a5705f, v20
	v_sub_f32_e32 v19, v19, v21
	v_add_f32_e32 v19, v19, v20
	v_cvt_i32_f32_e32 v20, v21
	v_exp_f32_e32 v19, v19
	v_ldexp_f32 v19, v19, v20
	v_cndmask_b32_e64 v19, 0, v19, s5
	v_cmp_nlt_f32_e64 s5, 0x42b17218, v16
	v_cndmask_b32_e64 v16, 0x7f800000, v19, s5
.LBB291_12:
	s_or_b32 exec_lo, exec_lo, s6
	v_mov_b32_e32 v20, 1.0
	v_mov_b32_e32 v19, 0
	v_mov_b32_e32 v21, 0
	v_mov_b32_e32 v22, 1.0
	s_and_b32 s5, s4, s1
	s_and_saveexec_b32 s6, s5
	s_cbranch_execz .LBB291_14
; %bb.13:
	s_mov_b32 s11, 0
	s_lshl_b64 s[8:9], s[10:11], 2
	v_add_co_u32 v21, s5, v4, s8
	v_add_co_ci_u32_e64 v22, null, s9, v5, s5
	global_load_dword v23, v[21:22], off offset:256
	v_add_co_u32 v21, s5, v2, s8
	v_add_co_ci_u32_e64 v22, null, s9, v3, s5
	global_load_dword v21, v[21:22], off offset:256
	s_waitcnt vmcnt(1)
	v_mul_f32_e32 v22, 0x3fb8aa3b, v23
	v_cmp_ngt_f32_e64 s5, 0xc2ce8ed0, v23
	v_fma_f32 v24, 0x3fb8aa3b, v23, -v22
	v_rndne_f32_e32 v25, v22
	v_fmamk_f32 v24, v23, 0x32a5705f, v24
	v_sub_f32_e32 v22, v22, v25
	v_add_f32_e32 v22, v22, v24
	v_cvt_i32_f32_e32 v24, v25
	v_exp_f32_e32 v22, v22
	v_ldexp_f32 v22, v22, v24
	v_cndmask_b32_e64 v22, 0, v22, s5
	v_cmp_nlt_f32_e64 s5, 0x42b17218, v23
	v_cndmask_b32_e64 v22, 0x7f800000, v22, s5
.LBB291_14:
	s_or_b32 exec_lo, exec_lo, s6
	s_and_b32 s4, s4, s2
	s_and_saveexec_b32 s5, s4
	s_cbranch_execz .LBB291_16
; %bb.15:
	s_mov_b32 s11, 0
	s_lshl_b64 s[6:7], s[10:11], 2
	v_add_co_u32 v4, s4, v4, s6
	v_add_co_ci_u32_e64 v5, null, s7, v5, s4
	v_add_co_u32 v2, s4, v2, s6
	v_add_co_ci_u32_e64 v3, null, s7, v3, s4
	global_load_dword v4, v[4:5], off offset:384
	global_load_dword v19, v[2:3], off offset:384
	s_waitcnt vmcnt(1)
	v_mul_f32_e32 v2, 0x3fb8aa3b, v4
	v_cmp_ngt_f32_e64 s4, 0xc2ce8ed0, v4
	v_fma_f32 v3, 0x3fb8aa3b, v4, -v2
	v_rndne_f32_e32 v5, v2
	v_fmamk_f32 v3, v4, 0x32a5705f, v3
	v_sub_f32_e32 v2, v2, v5
	v_add_f32_e32 v2, v2, v3
	v_cvt_i32_f32_e32 v3, v5
	v_exp_f32_e32 v2, v2
	v_ldexp_f32 v2, v2, v3
	v_cndmask_b32_e64 v2, 0, v2, s4
	v_cmp_nlt_f32_e64 s4, 0x42b17218, v4
	v_cndmask_b32_e64 v20, 0x7f800000, v2, s4
.LBB291_16:
	s_or_b32 exec_lo, exec_lo, s5
	v_mbcnt_lo_u32_b32 v3, -1, 0
	s_waitcnt vmcnt(0)
	v_add_f32_e32 v2, 0, v10
	v_add_f32_e32 v4, 0, v17
	v_xor_b32_e32 v5, 16, v3
	v_add_f32_e32 v2, v2, v8
	v_add_f32_e32 v4, v4, v6
	v_xor_b32_e32 v24, 8, v3
	v_cmp_gt_i32_e64 s4, 32, v5
	v_add_f32_e32 v2, v2, v13
	v_add_f32_e32 v4, v4, v21
	v_cndmask_b32_e64 v5, v3, v5, s4
	v_add_f32_e32 v2, v2, v12
	v_add_f32_e32 v4, v4, v19
	v_cmp_gt_i32_e64 s4, 32, v24
	v_lshlrev_b32_e32 v5, 2, v5
	v_cndmask_b32_e64 v24, v3, v24, s4
	ds_bpermute_b32 v23, v5, v2
	ds_bpermute_b32 v5, v5, v4
	v_lshlrev_b32_e32 v24, 2, v24
	s_waitcnt lgkmcnt(1)
	v_add_f32_e32 v2, v2, v23
	s_waitcnt lgkmcnt(0)
	v_add_f32_e32 v4, v4, v5
	ds_bpermute_b32 v5, v24, v2
	ds_bpermute_b32 v23, v24, v4
	v_xor_b32_e32 v24, 4, v3
	v_cmp_gt_i32_e64 s4, 32, v24
	v_cndmask_b32_e64 v24, v3, v24, s4
	v_lshlrev_b32_e32 v24, 2, v24
	s_waitcnt lgkmcnt(1)
	v_add_f32_e32 v2, v2, v5
	s_waitcnt lgkmcnt(0)
	v_add_f32_e32 v4, v4, v23
	ds_bpermute_b32 v5, v24, v2
	ds_bpermute_b32 v23, v24, v4
	v_xor_b32_e32 v24, 2, v3
	v_cmp_gt_i32_e64 s4, 32, v24
	v_cndmask_b32_e64 v24, v3, v24, s4
	;; [unrolled: 10-line block ×3, first 2 shown]
	v_lshlrev_b32_e32 v3, 2, v3
	s_waitcnt lgkmcnt(1)
	v_add_f32_e32 v4, v2, v4
	s_waitcnt lgkmcnt(0)
	v_add_f32_e32 v2, v5, v23
	ds_bpermute_b32 v5, v3, v4
	ds_bpermute_b32 v3, v3, v2
	s_and_saveexec_b32 s4, s3
	s_cbranch_execz .LBB291_22
; %bb.17:
	v_lshlrev_b64 v[0:1], 1, v[0:1]
	s_waitcnt lgkmcnt(1)
	v_add_f32_e32 v4, v4, v5
	v_add_co_u32 v0, s3, s12, v0
	v_add_co_ci_u32_e64 v1, null, s13, v1, s3
	s_and_saveexec_b32 s3, vcc_lo
	s_cbranch_execnz .LBB291_23
; %bb.18:
	s_or_b32 exec_lo, exec_lo, s3
	s_and_saveexec_b32 s3, s0
	s_cbranch_execnz .LBB291_24
.LBB291_19:
	s_or_b32 exec_lo, exec_lo, s3
	s_and_saveexec_b32 s3, s1
	s_cbranch_execnz .LBB291_25
.LBB291_20:
	s_or_b32 exec_lo, exec_lo, s3
	s_and_saveexec_b32 s3, s2
	s_cbranch_execnz .LBB291_26
.LBB291_21:
	s_or_b32 exec_lo, exec_lo, s3
	v_cmp_ne_u32_e64 s3, 1, v7
	s_and_b32 exec_lo, exec_lo, s3
	s_cbranch_execnz .LBB291_27
.LBB291_22:
	s_endpgm
.LBB291_23:
	v_fma_mixlo_f16 v5, -v4, v11, v10
	global_store_short v[0:1], v5, off
	s_or_b32 exec_lo, exec_lo, s3
	s_and_saveexec_b32 s3, s0
	s_cbranch_execz .LBB291_19
.LBB291_24:
	v_fma_mixlo_f16 v5, -v4, v9, v8
	global_store_short v[0:1], v5, off offset:64
	s_or_b32 exec_lo, exec_lo, s3
	s_and_saveexec_b32 s3, s1
	s_cbranch_execz .LBB291_20
.LBB291_25:
	v_fma_mixlo_f16 v5, -v4, v15, v13
	global_store_short v[0:1], v5, off offset:128
	s_or_b32 exec_lo, exec_lo, s3
	s_and_saveexec_b32 s3, s2
	s_cbranch_execz .LBB291_21
.LBB291_26:
	v_fma_mixlo_f16 v4, -v4, v14, v12
	global_store_short v[0:1], v4, off offset:192
	s_or_b32 exec_lo, exec_lo, s3
	v_cmp_ne_u32_e64 s3, 1, v7
	s_and_b32 exec_lo, exec_lo, s3
	s_cbranch_execz .LBB291_22
.LBB291_27:
	s_waitcnt lgkmcnt(0)
	v_add_f32_e32 v2, v2, v3
	s_and_saveexec_b32 s3, vcc_lo
	s_cbranch_execnz .LBB291_31
; %bb.28:
	s_or_b32 exec_lo, exec_lo, s3
	s_and_saveexec_b32 s3, s0
	s_cbranch_execnz .LBB291_32
.LBB291_29:
	s_or_b32 exec_lo, exec_lo, s3
	s_and_saveexec_b32 s0, s1
	s_cbranch_execnz .LBB291_33
.LBB291_30:
	s_or_b32 exec_lo, exec_lo, s0
	s_and_b32 exec_lo, exec_lo, s2
	s_cbranch_execz .LBB291_22
	s_branch .LBB291_34
.LBB291_31:
	s_mov_b32 s11, 0
	v_fma_mixlo_f16 v5, -v2, v18, v17
	s_lshl_b64 s[4:5], s[10:11], 1
	v_add_co_u32 v3, vcc_lo, v0, s4
	v_add_co_ci_u32_e64 v4, null, s5, v1, vcc_lo
	global_store_short v[3:4], v5, off
	s_or_b32 exec_lo, exec_lo, s3
	s_and_saveexec_b32 s3, s0
	s_cbranch_execz .LBB291_29
.LBB291_32:
	s_mov_b32 s11, 0
	v_fma_mixlo_f16 v5, -v2, v16, v6
	s_lshl_b64 s[4:5], s[10:11], 1
	v_add_co_u32 v3, vcc_lo, v0, s4
	v_add_co_ci_u32_e64 v4, null, s5, v1, vcc_lo
	global_store_short v[3:4], v5, off offset:64
	s_or_b32 exec_lo, exec_lo, s3
	s_and_saveexec_b32 s0, s1
	s_cbranch_execz .LBB291_30
.LBB291_33:
	s_mov_b32 s11, 0
	v_fma_mixlo_f16 v5, -v2, v22, v21
	s_lshl_b64 s[4:5], s[10:11], 1
	v_add_co_u32 v3, vcc_lo, v0, s4
	v_add_co_ci_u32_e64 v4, null, s5, v1, vcc_lo
	global_store_short v[3:4], v5, off offset:128
	s_or_b32 exec_lo, exec_lo, s0
	s_and_b32 exec_lo, exec_lo, s2
	s_cbranch_execz .LBB291_22
.LBB291_34:
	s_mov_b32 s11, 0
	v_fma_mixlo_f16 v2, -v2, v20, v19
	s_lshl_b64 s[0:1], s[10:11], 1
	v_add_co_u32 v0, vcc_lo, v0, s0
	v_add_co_ci_u32_e64 v1, null, s1, v1, vcc_lo
	global_store_short v[0:1], v2, off offset:192
	s_endpgm
	.section	.rodata,"a",@progbits
	.p2align	6, 0x0
	.amdhsa_kernel _ZN12_GLOBAL__N_121softmax_warp_backwardIfN3c104HalfEfLi7ELb1ELb0ELi32EEEvPT0_PKT_S7_iiiPKb
		.amdhsa_group_segment_fixed_size 0
		.amdhsa_private_segment_fixed_size 0
		.amdhsa_kernarg_size 304
		.amdhsa_user_sgpr_count 6
		.amdhsa_user_sgpr_private_segment_buffer 1
		.amdhsa_user_sgpr_dispatch_ptr 0
		.amdhsa_user_sgpr_queue_ptr 0
		.amdhsa_user_sgpr_kernarg_segment_ptr 1
		.amdhsa_user_sgpr_dispatch_id 0
		.amdhsa_user_sgpr_flat_scratch_init 0
		.amdhsa_user_sgpr_private_segment_size 0
		.amdhsa_wavefront_size32 1
		.amdhsa_uses_dynamic_stack 0
		.amdhsa_system_sgpr_private_segment_wavefront_offset 0
		.amdhsa_system_sgpr_workgroup_id_x 1
		.amdhsa_system_sgpr_workgroup_id_y 0
		.amdhsa_system_sgpr_workgroup_id_z 0
		.amdhsa_system_sgpr_workgroup_info 0
		.amdhsa_system_vgpr_workitem_id 1
		.amdhsa_next_free_vgpr 26
		.amdhsa_next_free_sgpr 16
		.amdhsa_reserve_vcc 1
		.amdhsa_reserve_flat_scratch 0
		.amdhsa_float_round_mode_32 0
		.amdhsa_float_round_mode_16_64 0
		.amdhsa_float_denorm_mode_32 3
		.amdhsa_float_denorm_mode_16_64 3
		.amdhsa_dx10_clamp 1
		.amdhsa_ieee_mode 1
		.amdhsa_fp16_overflow 0
		.amdhsa_workgroup_processor_mode 1
		.amdhsa_memory_ordered 1
		.amdhsa_forward_progress 1
		.amdhsa_shared_vgpr_count 0
		.amdhsa_exception_fp_ieee_invalid_op 0
		.amdhsa_exception_fp_denorm_src 0
		.amdhsa_exception_fp_ieee_div_zero 0
		.amdhsa_exception_fp_ieee_overflow 0
		.amdhsa_exception_fp_ieee_underflow 0
		.amdhsa_exception_fp_ieee_inexact 0
		.amdhsa_exception_int_div_zero 0
	.end_amdhsa_kernel
	.section	.text._ZN12_GLOBAL__N_121softmax_warp_backwardIfN3c104HalfEfLi7ELb1ELb0ELi32EEEvPT0_PKT_S7_iiiPKb,"axG",@progbits,_ZN12_GLOBAL__N_121softmax_warp_backwardIfN3c104HalfEfLi7ELb1ELb0ELi32EEEvPT0_PKT_S7_iiiPKb,comdat
.Lfunc_end291:
	.size	_ZN12_GLOBAL__N_121softmax_warp_backwardIfN3c104HalfEfLi7ELb1ELb0ELi32EEEvPT0_PKT_S7_iiiPKb, .Lfunc_end291-_ZN12_GLOBAL__N_121softmax_warp_backwardIfN3c104HalfEfLi7ELb1ELb0ELi32EEEvPT0_PKT_S7_iiiPKb
                                        ; -- End function
	.set _ZN12_GLOBAL__N_121softmax_warp_backwardIfN3c104HalfEfLi7ELb1ELb0ELi32EEEvPT0_PKT_S7_iiiPKb.num_vgpr, 26
	.set _ZN12_GLOBAL__N_121softmax_warp_backwardIfN3c104HalfEfLi7ELb1ELb0ELi32EEEvPT0_PKT_S7_iiiPKb.num_agpr, 0
	.set _ZN12_GLOBAL__N_121softmax_warp_backwardIfN3c104HalfEfLi7ELb1ELb0ELi32EEEvPT0_PKT_S7_iiiPKb.numbered_sgpr, 16
	.set _ZN12_GLOBAL__N_121softmax_warp_backwardIfN3c104HalfEfLi7ELb1ELb0ELi32EEEvPT0_PKT_S7_iiiPKb.num_named_barrier, 0
	.set _ZN12_GLOBAL__N_121softmax_warp_backwardIfN3c104HalfEfLi7ELb1ELb0ELi32EEEvPT0_PKT_S7_iiiPKb.private_seg_size, 0
	.set _ZN12_GLOBAL__N_121softmax_warp_backwardIfN3c104HalfEfLi7ELb1ELb0ELi32EEEvPT0_PKT_S7_iiiPKb.uses_vcc, 1
	.set _ZN12_GLOBAL__N_121softmax_warp_backwardIfN3c104HalfEfLi7ELb1ELb0ELi32EEEvPT0_PKT_S7_iiiPKb.uses_flat_scratch, 0
	.set _ZN12_GLOBAL__N_121softmax_warp_backwardIfN3c104HalfEfLi7ELb1ELb0ELi32EEEvPT0_PKT_S7_iiiPKb.has_dyn_sized_stack, 0
	.set _ZN12_GLOBAL__N_121softmax_warp_backwardIfN3c104HalfEfLi7ELb1ELb0ELi32EEEvPT0_PKT_S7_iiiPKb.has_recursion, 0
	.set _ZN12_GLOBAL__N_121softmax_warp_backwardIfN3c104HalfEfLi7ELb1ELb0ELi32EEEvPT0_PKT_S7_iiiPKb.has_indirect_call, 0
	.section	.AMDGPU.csdata,"",@progbits
; Kernel info:
; codeLenInByte = 2292
; TotalNumSgprs: 18
; NumVgprs: 26
; ScratchSize: 0
; MemoryBound: 0
; FloatMode: 240
; IeeeMode: 1
; LDSByteSize: 0 bytes/workgroup (compile time only)
; SGPRBlocks: 0
; VGPRBlocks: 3
; NumSGPRsForWavesPerEU: 18
; NumVGPRsForWavesPerEU: 26
; Occupancy: 16
; WaveLimiterHint : 0
; COMPUTE_PGM_RSRC2:SCRATCH_EN: 0
; COMPUTE_PGM_RSRC2:USER_SGPR: 6
; COMPUTE_PGM_RSRC2:TRAP_HANDLER: 0
; COMPUTE_PGM_RSRC2:TGID_X_EN: 1
; COMPUTE_PGM_RSRC2:TGID_Y_EN: 0
; COMPUTE_PGM_RSRC2:TGID_Z_EN: 0
; COMPUTE_PGM_RSRC2:TIDIG_COMP_CNT: 1
	.section	.text._ZN12_GLOBAL__N_121softmax_warp_backwardIfN3c104HalfEfLi8ELb1ELb0ELi64EEEvPT0_PKT_S7_iiiPKb,"axG",@progbits,_ZN12_GLOBAL__N_121softmax_warp_backwardIfN3c104HalfEfLi8ELb1ELb0ELi64EEEvPT0_PKT_S7_iiiPKb,comdat
	.globl	_ZN12_GLOBAL__N_121softmax_warp_backwardIfN3c104HalfEfLi8ELb1ELb0ELi64EEEvPT0_PKT_S7_iiiPKb ; -- Begin function _ZN12_GLOBAL__N_121softmax_warp_backwardIfN3c104HalfEfLi8ELb1ELb0ELi64EEEvPT0_PKT_S7_iiiPKb
	.p2align	8
	.type	_ZN12_GLOBAL__N_121softmax_warp_backwardIfN3c104HalfEfLi8ELb1ELb0ELi64EEEvPT0_PKT_S7_iiiPKb,@function
_ZN12_GLOBAL__N_121softmax_warp_backwardIfN3c104HalfEfLi8ELb1ELb0ELi64EEEvPT0_PKT_S7_iiiPKb: ; @_ZN12_GLOBAL__N_121softmax_warp_backwardIfN3c104HalfEfLi8ELb1ELb0ELi64EEEvPT0_PKT_S7_iiiPKb
; %bb.0:
	s_clause 0x1
	s_load_dword s0, s[4:5], 0x3c
	s_load_dwordx4 s[12:15], s[4:5], 0x18
	v_and_b32_e32 v6, 63, v0
	s_clause 0x1
	s_load_dwordx4 s[8:11], s[4:5], 0x0
	s_load_dwordx2 s[4:5], s[4:5], 0x10
	v_mov_b32_e32 v8, 0
	s_waitcnt lgkmcnt(0)
	s_lshr_b32 s0, s0, 16
	v_cmp_gt_i32_e32 vcc_lo, s14, v6
	v_mad_u64_u32 v[2:3], null, s6, s0, v[1:2]
	v_mad_u64_u32 v[0:1], null, v2, s13, v[6:7]
	v_sub_nc_u32_e32 v9, s12, v2
	v_mov_b32_e32 v7, 0
	v_cmp_lt_i32_e64 s3, 0, v9
	v_ashrrev_i32_e32 v1, 31, v0
	s_and_b32 s1, s3, vcc_lo
	v_lshlrev_b64 v[4:5], 2, v[0:1]
	v_add_co_u32 v2, s0, s10, v4
	v_add_co_ci_u32_e64 v3, null, s11, v5, s0
	v_add_co_u32 v4, s0, s4, v4
	v_add_co_ci_u32_e64 v5, null, s5, v5, s0
	s_and_saveexec_b32 s0, s1
	s_cbranch_execz .LBB292_2
; %bb.1:
	global_load_dword v8, v[2:3], off
	global_load_dword v7, v[4:5], off
.LBB292_2:
	s_or_b32 exec_lo, exec_lo, s0
	v_or_b32_e32 v10, 64, v6
	v_cmp_gt_i32_e64 s0, s14, v10
	s_and_b32 s1, s3, s0
	s_xor_b32 s1, s1, -1
	s_and_saveexec_b32 s2, s1
	s_xor_b32 s1, exec_lo, s2
                                        ; implicit-def: $vgpr11
                                        ; implicit-def: $vgpr12
                                        ; implicit-def: $vgpr10
; %bb.3:
	s_mov_b32 s2, 0
                                        ; implicit-def: $vgpr11
                                        ; implicit-def: $vgpr10
	v_mov_b32_e32 v12, s2
; %bb.4:
	s_or_saveexec_b32 s2, s1
	v_mov_b32_e32 v13, 1.0
	s_xor_b32 exec_lo, exec_lo, s2
	s_cbranch_execz .LBB292_6
; %bb.5:
	global_load_dword v13, v[4:5], off offset:256
	global_load_dword v12, v[2:3], off offset:256
	s_waitcnt vmcnt(1)
	v_mul_f32_e32 v14, 0x3fb8aa3b, v13
	v_cmp_ngt_f32_e64 s1, 0xc2ce8ed0, v13
	v_rndne_f32_e32 v15, v14
	v_fma_f32 v16, 0x3fb8aa3b, v13, -v14
	v_sub_f32_e32 v14, v14, v15
	v_fmamk_f32 v16, v13, 0x32a5705f, v16
	v_cvt_i32_f32_e32 v15, v15
	v_add_f32_e32 v14, v14, v16
	v_exp_f32_e32 v14, v14
	v_ldexp_f32 v14, v14, v15
	v_cndmask_b32_e64 v14, 0, v14, s1
	v_cmp_nlt_f32_e64 s1, 0x42b17218, v13
	v_cndmask_b32_e64 v13, 0x7f800000, v14, s1
.LBB292_6:
	s_or_b32 exec_lo, exec_lo, s2
	v_or_b32_e32 v14, 0x80, v6
	v_cmp_gt_i32_e64 s1, s14, v14
	s_and_b32 s2, s3, s1
	s_xor_b32 s2, s2, -1
	s_and_saveexec_b32 s4, s2
	s_xor_b32 s2, exec_lo, s4
; %bb.7:
	s_mov_b32 s4, 0
	v_mov_b32_e32 v11, s4
; %bb.8:
	s_or_saveexec_b32 s4, s2
	v_mov_b32_e32 v14, 1.0
	s_xor_b32 exec_lo, exec_lo, s4
	s_cbranch_execz .LBB292_10
; %bb.9:
	global_load_dword v14, v[4:5], off offset:512
	global_load_dword v11, v[2:3], off offset:512
	s_waitcnt vmcnt(1)
	v_mul_f32_e32 v15, 0x3fb8aa3b, v14
	v_cmp_ngt_f32_e64 s2, 0xc2ce8ed0, v14
	v_rndne_f32_e32 v16, v15
	v_fma_f32 v17, 0x3fb8aa3b, v14, -v15
	v_sub_f32_e32 v15, v15, v16
	v_fmamk_f32 v17, v14, 0x32a5705f, v17
	v_cvt_i32_f32_e32 v16, v16
	v_add_f32_e32 v15, v15, v17
	v_exp_f32_e32 v15, v15
	v_ldexp_f32 v15, v15, v16
	v_cndmask_b32_e64 v15, 0, v15, s2
	v_cmp_nlt_f32_e64 s2, 0x42b17218, v14
	v_cndmask_b32_e64 v14, 0x7f800000, v15, s2
.LBB292_10:
	s_or_b32 exec_lo, exec_lo, s4
	v_or_b32_e32 v6, 0xc0, v6
	v_cmp_gt_i32_e64 s2, s14, v6
	s_and_b32 s3, s3, s2
	s_xor_b32 s3, s3, -1
	s_and_saveexec_b32 s4, s3
	s_xor_b32 s3, exec_lo, s4
; %bb.11:
	s_mov_b32 s4, 0
                                        ; implicit-def: $vgpr2_vgpr3
                                        ; implicit-def: $vgpr4_vgpr5
	v_mov_b32_e32 v10, s4
; %bb.12:
	s_or_saveexec_b32 s4, s3
	v_mov_b32_e32 v6, 1.0
	s_xor_b32 exec_lo, exec_lo, s4
	s_cbranch_execz .LBB292_14
; %bb.13:
	global_load_dword v4, v[4:5], off offset:768
	global_load_dword v10, v[2:3], off offset:768
	s_waitcnt vmcnt(1)
	v_mul_f32_e32 v2, 0x3fb8aa3b, v4
	v_cmp_ngt_f32_e64 s3, 0xc2ce8ed0, v4
	v_rndne_f32_e32 v3, v2
	v_fma_f32 v5, 0x3fb8aa3b, v4, -v2
	v_sub_f32_e32 v2, v2, v3
	v_fmamk_f32 v5, v4, 0x32a5705f, v5
	v_cvt_i32_f32_e32 v3, v3
	v_add_f32_e32 v2, v2, v5
	v_exp_f32_e32 v2, v2
	v_ldexp_f32 v2, v2, v3
	v_cndmask_b32_e64 v2, 0, v2, s3
	v_cmp_nlt_f32_e64 s3, 0x42b17218, v4
	v_cndmask_b32_e64 v6, 0x7f800000, v2, s3
.LBB292_14:
	s_or_b32 exec_lo, exec_lo, s4
	v_mbcnt_lo_u32_b32 v3, -1, 0
	s_waitcnt vmcnt(1)
	v_add_f32_e32 v2, 0, v8
	s_mov_b32 s4, exec_lo
	v_or_b32_e32 v4, 32, v3
	s_waitcnt vmcnt(0)
	v_add_f32_e32 v2, v2, v12
	v_xor_b32_e32 v5, 16, v3
	v_cmp_gt_i32_e64 s3, 64, v4
	v_add_f32_e32 v2, v2, v11
	v_cndmask_b32_e64 v4, v3, v4, s3
	v_add_f32_e32 v2, v2, v10
	v_cmp_gt_i32_e64 s3, 64, v5
	v_lshlrev_b32_e32 v4, 2, v4
	v_cndmask_b32_e64 v5, v3, v5, s3
	ds_bpermute_b32 v4, v4, v2
	v_lshlrev_b32_e32 v5, 2, v5
	s_waitcnt lgkmcnt(0)
	v_add_f32_e32 v2, v2, v4
	ds_bpermute_b32 v4, v5, v2
	v_xor_b32_e32 v5, 8, v3
	v_cmp_gt_i32_e64 s3, 64, v5
	v_cndmask_b32_e64 v5, v3, v5, s3
	v_lshlrev_b32_e32 v5, 2, v5
	s_waitcnt lgkmcnt(0)
	v_add_f32_e32 v2, v2, v4
	ds_bpermute_b32 v4, v5, v2
	v_xor_b32_e32 v5, 4, v3
	v_cmp_gt_i32_e64 s3, 64, v5
	v_cndmask_b32_e64 v5, v3, v5, s3
	;; [unrolled: 7-line block ×4, first 2 shown]
	v_lshlrev_b32_e32 v3, 2, v3
	s_waitcnt lgkmcnt(0)
	v_add_f32_e32 v2, v2, v4
	ds_bpermute_b32 v3, v3, v2
	v_cmpx_lt_i32_e32 0, v9
	s_cbranch_execz .LBB292_20
; %bb.15:
	v_lshlrev_b64 v[0:1], 1, v[0:1]
	s_waitcnt lgkmcnt(0)
	v_add_f32_e32 v2, v2, v3
	v_add_co_u32 v0, s3, s8, v0
	v_add_co_ci_u32_e64 v1, null, s9, v1, s3
	s_and_saveexec_b32 s3, vcc_lo
	s_cbranch_execnz .LBB292_21
; %bb.16:
	s_or_b32 exec_lo, exec_lo, s3
	s_and_saveexec_b32 s3, s0
	s_cbranch_execnz .LBB292_22
.LBB292_17:
	s_or_b32 exec_lo, exec_lo, s3
	s_and_saveexec_b32 s0, s1
	s_cbranch_execnz .LBB292_23
.LBB292_18:
	s_or_b32 exec_lo, exec_lo, s0
	s_and_b32 exec_lo, exec_lo, s2
	s_cbranch_execz .LBB292_20
.LBB292_19:
	v_fma_mixlo_f16 v2, -v2, v6, v10
	global_store_short v[0:1], v2, off offset:384
.LBB292_20:
	s_endpgm
.LBB292_21:
	v_mul_f32_e32 v3, 0x3fb8aa3b, v7
	v_cmp_ngt_f32_e32 vcc_lo, 0xc2ce8ed0, v7
	v_rndne_f32_e32 v4, v3
	v_fma_f32 v5, 0x3fb8aa3b, v7, -v3
	v_sub_f32_e32 v3, v3, v4
	v_fmamk_f32 v5, v7, 0x32a5705f, v5
	v_cvt_i32_f32_e32 v4, v4
	v_add_f32_e32 v3, v3, v5
	v_exp_f32_e32 v3, v3
	v_ldexp_f32 v3, v3, v4
	v_cndmask_b32_e32 v3, 0, v3, vcc_lo
	v_cmp_nlt_f32_e32 vcc_lo, 0x42b17218, v7
	v_cndmask_b32_e32 v3, 0x7f800000, v3, vcc_lo
	v_fma_mixlo_f16 v3, -v2, v3, v8
	global_store_short v[0:1], v3, off
	s_or_b32 exec_lo, exec_lo, s3
	s_and_saveexec_b32 s3, s0
	s_cbranch_execz .LBB292_17
.LBB292_22:
	v_fma_mixlo_f16 v3, -v2, v13, v12
	global_store_short v[0:1], v3, off offset:128
	s_or_b32 exec_lo, exec_lo, s3
	s_and_saveexec_b32 s0, s1
	s_cbranch_execz .LBB292_18
.LBB292_23:
	v_fma_mixlo_f16 v3, -v2, v14, v11
	global_store_short v[0:1], v3, off offset:256
	s_or_b32 exec_lo, exec_lo, s0
	s_and_b32 exec_lo, exec_lo, s2
	s_cbranch_execnz .LBB292_19
	s_branch .LBB292_20
	.section	.rodata,"a",@progbits
	.p2align	6, 0x0
	.amdhsa_kernel _ZN12_GLOBAL__N_121softmax_warp_backwardIfN3c104HalfEfLi8ELb1ELb0ELi64EEEvPT0_PKT_S7_iiiPKb
		.amdhsa_group_segment_fixed_size 0
		.amdhsa_private_segment_fixed_size 0
		.amdhsa_kernarg_size 304
		.amdhsa_user_sgpr_count 6
		.amdhsa_user_sgpr_private_segment_buffer 1
		.amdhsa_user_sgpr_dispatch_ptr 0
		.amdhsa_user_sgpr_queue_ptr 0
		.amdhsa_user_sgpr_kernarg_segment_ptr 1
		.amdhsa_user_sgpr_dispatch_id 0
		.amdhsa_user_sgpr_flat_scratch_init 0
		.amdhsa_user_sgpr_private_segment_size 0
		.amdhsa_wavefront_size32 1
		.amdhsa_uses_dynamic_stack 0
		.amdhsa_system_sgpr_private_segment_wavefront_offset 0
		.amdhsa_system_sgpr_workgroup_id_x 1
		.amdhsa_system_sgpr_workgroup_id_y 0
		.amdhsa_system_sgpr_workgroup_id_z 0
		.amdhsa_system_sgpr_workgroup_info 0
		.amdhsa_system_vgpr_workitem_id 1
		.amdhsa_next_free_vgpr 18
		.amdhsa_next_free_sgpr 16
		.amdhsa_reserve_vcc 1
		.amdhsa_reserve_flat_scratch 0
		.amdhsa_float_round_mode_32 0
		.amdhsa_float_round_mode_16_64 0
		.amdhsa_float_denorm_mode_32 3
		.amdhsa_float_denorm_mode_16_64 3
		.amdhsa_dx10_clamp 1
		.amdhsa_ieee_mode 1
		.amdhsa_fp16_overflow 0
		.amdhsa_workgroup_processor_mode 1
		.amdhsa_memory_ordered 1
		.amdhsa_forward_progress 1
		.amdhsa_shared_vgpr_count 0
		.amdhsa_exception_fp_ieee_invalid_op 0
		.amdhsa_exception_fp_denorm_src 0
		.amdhsa_exception_fp_ieee_div_zero 0
		.amdhsa_exception_fp_ieee_overflow 0
		.amdhsa_exception_fp_ieee_underflow 0
		.amdhsa_exception_fp_ieee_inexact 0
		.amdhsa_exception_int_div_zero 0
	.end_amdhsa_kernel
	.section	.text._ZN12_GLOBAL__N_121softmax_warp_backwardIfN3c104HalfEfLi8ELb1ELb0ELi64EEEvPT0_PKT_S7_iiiPKb,"axG",@progbits,_ZN12_GLOBAL__N_121softmax_warp_backwardIfN3c104HalfEfLi8ELb1ELb0ELi64EEEvPT0_PKT_S7_iiiPKb,comdat
.Lfunc_end292:
	.size	_ZN12_GLOBAL__N_121softmax_warp_backwardIfN3c104HalfEfLi8ELb1ELb0ELi64EEEvPT0_PKT_S7_iiiPKb, .Lfunc_end292-_ZN12_GLOBAL__N_121softmax_warp_backwardIfN3c104HalfEfLi8ELb1ELb0ELi64EEEvPT0_PKT_S7_iiiPKb
                                        ; -- End function
	.set _ZN12_GLOBAL__N_121softmax_warp_backwardIfN3c104HalfEfLi8ELb1ELb0ELi64EEEvPT0_PKT_S7_iiiPKb.num_vgpr, 18
	.set _ZN12_GLOBAL__N_121softmax_warp_backwardIfN3c104HalfEfLi8ELb1ELb0ELi64EEEvPT0_PKT_S7_iiiPKb.num_agpr, 0
	.set _ZN12_GLOBAL__N_121softmax_warp_backwardIfN3c104HalfEfLi8ELb1ELb0ELi64EEEvPT0_PKT_S7_iiiPKb.numbered_sgpr, 16
	.set _ZN12_GLOBAL__N_121softmax_warp_backwardIfN3c104HalfEfLi8ELb1ELb0ELi64EEEvPT0_PKT_S7_iiiPKb.num_named_barrier, 0
	.set _ZN12_GLOBAL__N_121softmax_warp_backwardIfN3c104HalfEfLi8ELb1ELb0ELi64EEEvPT0_PKT_S7_iiiPKb.private_seg_size, 0
	.set _ZN12_GLOBAL__N_121softmax_warp_backwardIfN3c104HalfEfLi8ELb1ELb0ELi64EEEvPT0_PKT_S7_iiiPKb.uses_vcc, 1
	.set _ZN12_GLOBAL__N_121softmax_warp_backwardIfN3c104HalfEfLi8ELb1ELb0ELi64EEEvPT0_PKT_S7_iiiPKb.uses_flat_scratch, 0
	.set _ZN12_GLOBAL__N_121softmax_warp_backwardIfN3c104HalfEfLi8ELb1ELb0ELi64EEEvPT0_PKT_S7_iiiPKb.has_dyn_sized_stack, 0
	.set _ZN12_GLOBAL__N_121softmax_warp_backwardIfN3c104HalfEfLi8ELb1ELb0ELi64EEEvPT0_PKT_S7_iiiPKb.has_recursion, 0
	.set _ZN12_GLOBAL__N_121softmax_warp_backwardIfN3c104HalfEfLi8ELb1ELb0ELi64EEEvPT0_PKT_S7_iiiPKb.has_indirect_call, 0
	.section	.AMDGPU.csdata,"",@progbits
; Kernel info:
; codeLenInByte = 1248
; TotalNumSgprs: 18
; NumVgprs: 18
; ScratchSize: 0
; MemoryBound: 0
; FloatMode: 240
; IeeeMode: 1
; LDSByteSize: 0 bytes/workgroup (compile time only)
; SGPRBlocks: 0
; VGPRBlocks: 2
; NumSGPRsForWavesPerEU: 18
; NumVGPRsForWavesPerEU: 18
; Occupancy: 16
; WaveLimiterHint : 0
; COMPUTE_PGM_RSRC2:SCRATCH_EN: 0
; COMPUTE_PGM_RSRC2:USER_SGPR: 6
; COMPUTE_PGM_RSRC2:TRAP_HANDLER: 0
; COMPUTE_PGM_RSRC2:TGID_X_EN: 1
; COMPUTE_PGM_RSRC2:TGID_Y_EN: 0
; COMPUTE_PGM_RSRC2:TGID_Z_EN: 0
; COMPUTE_PGM_RSRC2:TIDIG_COMP_CNT: 1
	.section	.text._ZN12_GLOBAL__N_121softmax_warp_backwardIfN3c104HalfEfLi8ELb1ELb0ELi32EEEvPT0_PKT_S7_iiiPKb,"axG",@progbits,_ZN12_GLOBAL__N_121softmax_warp_backwardIfN3c104HalfEfLi8ELb1ELb0ELi32EEEvPT0_PKT_S7_iiiPKb,comdat
	.globl	_ZN12_GLOBAL__N_121softmax_warp_backwardIfN3c104HalfEfLi8ELb1ELb0ELi32EEEvPT0_PKT_S7_iiiPKb ; -- Begin function _ZN12_GLOBAL__N_121softmax_warp_backwardIfN3c104HalfEfLi8ELb1ELb0ELi32EEEvPT0_PKT_S7_iiiPKb
	.p2align	8
	.type	_ZN12_GLOBAL__N_121softmax_warp_backwardIfN3c104HalfEfLi8ELb1ELb0ELi32EEEvPT0_PKT_S7_iiiPKb,@function
_ZN12_GLOBAL__N_121softmax_warp_backwardIfN3c104HalfEfLi8ELb1ELb0ELi32EEEvPT0_PKT_S7_iiiPKb: ; @_ZN12_GLOBAL__N_121softmax_warp_backwardIfN3c104HalfEfLi8ELb1ELb0ELi32EEEvPT0_PKT_S7_iiiPKb
; %bb.0:
	s_clause 0x1
	s_load_dword s0, s[4:5], 0x3c
	s_load_dwordx4 s[12:15], s[4:5], 0x18
	v_and_b32_e32 v6, 31, v0
	s_clause 0x1
	s_load_dwordx4 s[8:11], s[4:5], 0x0
	s_load_dwordx2 s[4:5], s[4:5], 0x10
	v_mov_b32_e32 v10, 0
	v_mov_b32_e32 v11, 0
	s_waitcnt lgkmcnt(0)
	s_lshr_b32 s0, s0, 16
	v_cmp_gt_i32_e32 vcc_lo, s14, v6
	v_mad_u64_u32 v[2:3], null, s6, s0, v[1:2]
	v_mad_u64_u32 v[0:1], null, v2, s13, v[6:7]
	v_sub_nc_u32_e32 v13, s12, v2
	v_cmp_lt_i32_e64 s3, 0, v13
	v_ashrrev_i32_e32 v1, 31, v0
	s_and_b32 s1, s3, vcc_lo
	v_lshlrev_b64 v[4:5], 2, v[0:1]
	v_add_co_u32 v2, s0, s10, v4
	v_add_co_ci_u32_e64 v3, null, s11, v5, s0
	v_add_co_u32 v4, s0, s4, v4
	v_add_co_ci_u32_e64 v5, null, s5, v5, s0
	s_and_saveexec_b32 s0, s1
	s_cbranch_execz .LBB293_2
; %bb.1:
	global_load_dword v11, v[2:3], off
	global_load_dword v10, v[4:5], off
.LBB293_2:
	s_or_b32 exec_lo, exec_lo, s0
	v_or_b32_e32 v7, 32, v6
	v_cmp_gt_i32_e64 s0, s14, v7
	s_and_b32 s1, s3, s0
	s_xor_b32 s1, s1, -1
	s_and_saveexec_b32 s2, s1
	s_xor_b32 s1, exec_lo, s2
                                        ; implicit-def: $vgpr7
                                        ; implicit-def: $vgpr9
                                        ; implicit-def: $vgpr12
                                        ; implicit-def: $vgpr14
                                        ; implicit-def: $vgpr15
                                        ; implicit-def: $vgpr16
                                        ; implicit-def: $vgpr8
; %bb.3:
	s_mov_b32 s2, 0
                                        ; implicit-def: $vgpr7
                                        ; implicit-def: $vgpr9
                                        ; implicit-def: $vgpr12
                                        ; implicit-def: $vgpr14
                                        ; implicit-def: $vgpr15
                                        ; implicit-def: $vgpr8
	v_mov_b32_e32 v16, s2
; %bb.4:
	s_or_saveexec_b32 s2, s1
	v_mov_b32_e32 v17, 1.0
	s_xor_b32 exec_lo, exec_lo, s2
	s_cbranch_execz .LBB293_6
; %bb.5:
	global_load_dword v17, v[4:5], off offset:128
	global_load_dword v16, v[2:3], off offset:128
	s_waitcnt vmcnt(1)
	v_mul_f32_e32 v18, 0x3fb8aa3b, v17
	v_cmp_ngt_f32_e64 s1, 0xc2ce8ed0, v17
	v_rndne_f32_e32 v19, v18
	v_fma_f32 v20, 0x3fb8aa3b, v17, -v18
	v_sub_f32_e32 v18, v18, v19
	v_fmamk_f32 v20, v17, 0x32a5705f, v20
	v_cvt_i32_f32_e32 v19, v19
	v_add_f32_e32 v18, v18, v20
	v_exp_f32_e32 v18, v18
	v_ldexp_f32 v18, v18, v19
	v_cndmask_b32_e64 v18, 0, v18, s1
	v_cmp_nlt_f32_e64 s1, 0x42b17218, v17
	v_cndmask_b32_e64 v17, 0x7f800000, v18, s1
.LBB293_6:
	s_or_b32 exec_lo, exec_lo, s2
	v_or_b32_e32 v18, 64, v6
	v_cmp_gt_i32_e64 s1, s14, v18
	s_and_b32 s2, s3, s1
	s_xor_b32 s2, s2, -1
	s_and_saveexec_b32 s4, s2
	s_xor_b32 s2, exec_lo, s4
; %bb.7:
	s_mov_b32 s4, 0
	v_mov_b32_e32 v15, s4
; %bb.8:
	s_or_saveexec_b32 s4, s2
	v_mov_b32_e32 v18, 1.0
	s_xor_b32 exec_lo, exec_lo, s4
	s_cbranch_execz .LBB293_10
; %bb.9:
	global_load_dword v18, v[4:5], off offset:256
	global_load_dword v15, v[2:3], off offset:256
	s_waitcnt vmcnt(1)
	v_mul_f32_e32 v19, 0x3fb8aa3b, v18
	v_cmp_ngt_f32_e64 s2, 0xc2ce8ed0, v18
	v_rndne_f32_e32 v20, v19
	v_fma_f32 v21, 0x3fb8aa3b, v18, -v19
	v_sub_f32_e32 v19, v19, v20
	v_fmamk_f32 v21, v18, 0x32a5705f, v21
	v_cvt_i32_f32_e32 v20, v20
	v_add_f32_e32 v19, v19, v21
	v_exp_f32_e32 v19, v19
	v_ldexp_f32 v19, v19, v20
	v_cndmask_b32_e64 v19, 0, v19, s2
	v_cmp_nlt_f32_e64 s2, 0x42b17218, v18
	v_cndmask_b32_e64 v18, 0x7f800000, v19, s2
.LBB293_10:
	s_or_b32 exec_lo, exec_lo, s4
	v_or_b32_e32 v19, 0x60, v6
	v_cmp_gt_i32_e64 s2, s14, v19
	s_and_b32 s4, s3, s2
	s_xor_b32 s4, s4, -1
	s_and_saveexec_b32 s5, s4
	s_xor_b32 s4, exec_lo, s5
; %bb.11:
	s_mov_b32 s5, 0
	;; [unrolled: 33-line block ×6, first 2 shown]
                                        ; implicit-def: $vgpr2_vgpr3
                                        ; implicit-def: $vgpr4_vgpr5
	v_mov_b32_e32 v8, s10
; %bb.28:
	s_or_saveexec_b32 s10, s3
	v_mov_b32_e32 v6, 1.0
	s_xor_b32 exec_lo, exec_lo, s10
	s_cbranch_execz .LBB293_30
; %bb.29:
	global_load_dword v4, v[4:5], off offset:896
	global_load_dword v8, v[2:3], off offset:896
	s_waitcnt vmcnt(1)
	v_mul_f32_e32 v2, 0x3fb8aa3b, v4
	v_cmp_ngt_f32_e64 s3, 0xc2ce8ed0, v4
	v_rndne_f32_e32 v3, v2
	v_fma_f32 v5, 0x3fb8aa3b, v4, -v2
	v_sub_f32_e32 v2, v2, v3
	v_fmamk_f32 v5, v4, 0x32a5705f, v5
	v_cvt_i32_f32_e32 v3, v3
	v_add_f32_e32 v2, v2, v5
	v_exp_f32_e32 v2, v2
	v_ldexp_f32 v2, v2, v3
	v_cndmask_b32_e64 v2, 0, v2, s3
	v_cmp_nlt_f32_e64 s3, 0x42b17218, v4
	v_cndmask_b32_e64 v6, 0x7f800000, v2, s3
.LBB293_30:
	s_or_b32 exec_lo, exec_lo, s10
	s_waitcnt vmcnt(1)
	v_add_f32_e32 v2, 0, v11
	v_mbcnt_lo_u32_b32 v3, -1, 0
	s_mov_b32 s10, exec_lo
	s_waitcnt vmcnt(0)
	v_add_f32_e32 v2, v2, v16
	v_xor_b32_e32 v4, 16, v3
	v_xor_b32_e32 v5, 8, v3
	v_add_f32_e32 v2, v2, v15
	v_cmp_gt_i32_e64 s3, 32, v4
	v_add_f32_e32 v2, v2, v14
	v_cndmask_b32_e64 v4, v3, v4, s3
	v_cmp_gt_i32_e64 s3, 32, v5
	v_add_f32_e32 v2, v2, v12
	v_lshlrev_b32_e32 v4, 2, v4
	v_cndmask_b32_e64 v5, v3, v5, s3
	v_add_f32_e32 v2, v2, v9
	v_lshlrev_b32_e32 v5, 2, v5
	v_add_f32_e32 v2, v2, v7
	v_add_f32_e32 v2, v2, v8
	ds_bpermute_b32 v4, v4, v2
	s_waitcnt lgkmcnt(0)
	v_add_f32_e32 v2, v2, v4
	ds_bpermute_b32 v4, v5, v2
	v_xor_b32_e32 v5, 4, v3
	v_cmp_gt_i32_e64 s3, 32, v5
	v_cndmask_b32_e64 v5, v3, v5, s3
	v_lshlrev_b32_e32 v5, 2, v5
	s_waitcnt lgkmcnt(0)
	v_add_f32_e32 v2, v2, v4
	ds_bpermute_b32 v4, v5, v2
	v_xor_b32_e32 v5, 2, v3
	v_cmp_gt_i32_e64 s3, 32, v5
	v_cndmask_b32_e64 v5, v3, v5, s3
	v_lshlrev_b32_e32 v5, 2, v5
	;; [unrolled: 7-line block ×3, first 2 shown]
	s_waitcnt lgkmcnt(0)
	v_add_f32_e32 v2, v2, v4
	ds_bpermute_b32 v3, v3, v2
	v_cmpx_lt_i32_e32 0, v13
	s_cbranch_execz .LBB293_40
; %bb.31:
	v_lshlrev_b64 v[0:1], 1, v[0:1]
	s_waitcnt lgkmcnt(0)
	v_add_f32_e32 v2, v2, v3
	v_add_co_u32 v0, s3, s8, v0
	v_add_co_ci_u32_e64 v1, null, s9, v1, s3
	s_and_saveexec_b32 s3, vcc_lo
	s_cbranch_execnz .LBB293_41
; %bb.32:
	s_or_b32 exec_lo, exec_lo, s3
	s_and_saveexec_b32 s3, s0
	s_cbranch_execnz .LBB293_42
.LBB293_33:
	s_or_b32 exec_lo, exec_lo, s3
	s_and_saveexec_b32 s0, s1
	s_cbranch_execnz .LBB293_43
.LBB293_34:
	s_or_b32 exec_lo, exec_lo, s0
	s_and_saveexec_b32 s0, s2
	s_cbranch_execnz .LBB293_44
.LBB293_35:
	s_or_b32 exec_lo, exec_lo, s0
	s_and_saveexec_b32 s0, s4
	s_cbranch_execnz .LBB293_45
.LBB293_36:
	s_or_b32 exec_lo, exec_lo, s0
	s_and_saveexec_b32 s0, s5
	s_cbranch_execnz .LBB293_46
.LBB293_37:
	s_or_b32 exec_lo, exec_lo, s0
	s_and_saveexec_b32 s0, s6
	s_cbranch_execnz .LBB293_47
.LBB293_38:
	s_or_b32 exec_lo, exec_lo, s0
	s_and_b32 exec_lo, exec_lo, s7
	s_cbranch_execz .LBB293_40
.LBB293_39:
	v_fma_mixlo_f16 v2, -v2, v6, v8
	global_store_short v[0:1], v2, off offset:448
.LBB293_40:
	s_endpgm
.LBB293_41:
	v_mul_f32_e32 v3, 0x3fb8aa3b, v10
	v_cmp_ngt_f32_e32 vcc_lo, 0xc2ce8ed0, v10
	v_rndne_f32_e32 v4, v3
	v_fma_f32 v5, 0x3fb8aa3b, v10, -v3
	v_sub_f32_e32 v3, v3, v4
	v_fmamk_f32 v5, v10, 0x32a5705f, v5
	v_cvt_i32_f32_e32 v4, v4
	v_add_f32_e32 v3, v3, v5
	v_exp_f32_e32 v3, v3
	v_ldexp_f32 v3, v3, v4
	v_cndmask_b32_e32 v3, 0, v3, vcc_lo
	v_cmp_nlt_f32_e32 vcc_lo, 0x42b17218, v10
	v_cndmask_b32_e32 v3, 0x7f800000, v3, vcc_lo
	v_fma_mixlo_f16 v3, -v2, v3, v11
	global_store_short v[0:1], v3, off
	s_or_b32 exec_lo, exec_lo, s3
	s_and_saveexec_b32 s3, s0
	s_cbranch_execz .LBB293_33
.LBB293_42:
	v_fma_mixlo_f16 v3, -v2, v17, v16
	global_store_short v[0:1], v3, off offset:64
	s_or_b32 exec_lo, exec_lo, s3
	s_and_saveexec_b32 s0, s1
	s_cbranch_execz .LBB293_34
.LBB293_43:
	v_fma_mixlo_f16 v3, -v2, v18, v15
	global_store_short v[0:1], v3, off offset:128
	s_or_b32 exec_lo, exec_lo, s0
	s_and_saveexec_b32 s0, s2
	s_cbranch_execz .LBB293_35
.LBB293_44:
	v_fma_mixlo_f16 v3, -v2, v19, v14
	global_store_short v[0:1], v3, off offset:192
	s_or_b32 exec_lo, exec_lo, s0
	s_and_saveexec_b32 s0, s4
	s_cbranch_execz .LBB293_36
.LBB293_45:
	v_fma_mixlo_f16 v3, -v2, v20, v12
	global_store_short v[0:1], v3, off offset:256
	s_or_b32 exec_lo, exec_lo, s0
	s_and_saveexec_b32 s0, s5
	s_cbranch_execz .LBB293_37
.LBB293_46:
	v_fma_mixlo_f16 v3, -v2, v21, v9
	global_store_short v[0:1], v3, off offset:320
	s_or_b32 exec_lo, exec_lo, s0
	s_and_saveexec_b32 s0, s6
	s_cbranch_execz .LBB293_38
.LBB293_47:
	v_fma_mixlo_f16 v3, -v2, v22, v7
	global_store_short v[0:1], v3, off offset:384
	s_or_b32 exec_lo, exec_lo, s0
	s_and_b32 exec_lo, exec_lo, s7
	s_cbranch_execnz .LBB293_39
	s_branch .LBB293_40
	.section	.rodata,"a",@progbits
	.p2align	6, 0x0
	.amdhsa_kernel _ZN12_GLOBAL__N_121softmax_warp_backwardIfN3c104HalfEfLi8ELb1ELb0ELi32EEEvPT0_PKT_S7_iiiPKb
		.amdhsa_group_segment_fixed_size 0
		.amdhsa_private_segment_fixed_size 0
		.amdhsa_kernarg_size 304
		.amdhsa_user_sgpr_count 6
		.amdhsa_user_sgpr_private_segment_buffer 1
		.amdhsa_user_sgpr_dispatch_ptr 0
		.amdhsa_user_sgpr_queue_ptr 0
		.amdhsa_user_sgpr_kernarg_segment_ptr 1
		.amdhsa_user_sgpr_dispatch_id 0
		.amdhsa_user_sgpr_flat_scratch_init 0
		.amdhsa_user_sgpr_private_segment_size 0
		.amdhsa_wavefront_size32 1
		.amdhsa_uses_dynamic_stack 0
		.amdhsa_system_sgpr_private_segment_wavefront_offset 0
		.amdhsa_system_sgpr_workgroup_id_x 1
		.amdhsa_system_sgpr_workgroup_id_y 0
		.amdhsa_system_sgpr_workgroup_id_z 0
		.amdhsa_system_sgpr_workgroup_info 0
		.amdhsa_system_vgpr_workitem_id 1
		.amdhsa_next_free_vgpr 26
		.amdhsa_next_free_sgpr 16
		.amdhsa_reserve_vcc 1
		.amdhsa_reserve_flat_scratch 0
		.amdhsa_float_round_mode_32 0
		.amdhsa_float_round_mode_16_64 0
		.amdhsa_float_denorm_mode_32 3
		.amdhsa_float_denorm_mode_16_64 3
		.amdhsa_dx10_clamp 1
		.amdhsa_ieee_mode 1
		.amdhsa_fp16_overflow 0
		.amdhsa_workgroup_processor_mode 1
		.amdhsa_memory_ordered 1
		.amdhsa_forward_progress 1
		.amdhsa_shared_vgpr_count 0
		.amdhsa_exception_fp_ieee_invalid_op 0
		.amdhsa_exception_fp_denorm_src 0
		.amdhsa_exception_fp_ieee_div_zero 0
		.amdhsa_exception_fp_ieee_overflow 0
		.amdhsa_exception_fp_ieee_underflow 0
		.amdhsa_exception_fp_ieee_inexact 0
		.amdhsa_exception_int_div_zero 0
	.end_amdhsa_kernel
	.section	.text._ZN12_GLOBAL__N_121softmax_warp_backwardIfN3c104HalfEfLi8ELb1ELb0ELi32EEEvPT0_PKT_S7_iiiPKb,"axG",@progbits,_ZN12_GLOBAL__N_121softmax_warp_backwardIfN3c104HalfEfLi8ELb1ELb0ELi32EEEvPT0_PKT_S7_iiiPKb,comdat
.Lfunc_end293:
	.size	_ZN12_GLOBAL__N_121softmax_warp_backwardIfN3c104HalfEfLi8ELb1ELb0ELi32EEEvPT0_PKT_S7_iiiPKb, .Lfunc_end293-_ZN12_GLOBAL__N_121softmax_warp_backwardIfN3c104HalfEfLi8ELb1ELb0ELi32EEEvPT0_PKT_S7_iiiPKb
                                        ; -- End function
	.set _ZN12_GLOBAL__N_121softmax_warp_backwardIfN3c104HalfEfLi8ELb1ELb0ELi32EEEvPT0_PKT_S7_iiiPKb.num_vgpr, 26
	.set _ZN12_GLOBAL__N_121softmax_warp_backwardIfN3c104HalfEfLi8ELb1ELb0ELi32EEEvPT0_PKT_S7_iiiPKb.num_agpr, 0
	.set _ZN12_GLOBAL__N_121softmax_warp_backwardIfN3c104HalfEfLi8ELb1ELb0ELi32EEEvPT0_PKT_S7_iiiPKb.numbered_sgpr, 16
	.set _ZN12_GLOBAL__N_121softmax_warp_backwardIfN3c104HalfEfLi8ELb1ELb0ELi32EEEvPT0_PKT_S7_iiiPKb.num_named_barrier, 0
	.set _ZN12_GLOBAL__N_121softmax_warp_backwardIfN3c104HalfEfLi8ELb1ELb0ELi32EEEvPT0_PKT_S7_iiiPKb.private_seg_size, 0
	.set _ZN12_GLOBAL__N_121softmax_warp_backwardIfN3c104HalfEfLi8ELb1ELb0ELi32EEEvPT0_PKT_S7_iiiPKb.uses_vcc, 1
	.set _ZN12_GLOBAL__N_121softmax_warp_backwardIfN3c104HalfEfLi8ELb1ELb0ELi32EEEvPT0_PKT_S7_iiiPKb.uses_flat_scratch, 0
	.set _ZN12_GLOBAL__N_121softmax_warp_backwardIfN3c104HalfEfLi8ELb1ELb0ELi32EEEvPT0_PKT_S7_iiiPKb.has_dyn_sized_stack, 0
	.set _ZN12_GLOBAL__N_121softmax_warp_backwardIfN3c104HalfEfLi8ELb1ELb0ELi32EEEvPT0_PKT_S7_iiiPKb.has_recursion, 0
	.set _ZN12_GLOBAL__N_121softmax_warp_backwardIfN3c104HalfEfLi8ELb1ELb0ELi32EEEvPT0_PKT_S7_iiiPKb.has_indirect_call, 0
	.section	.AMDGPU.csdata,"",@progbits
; Kernel info:
; codeLenInByte = 2100
; TotalNumSgprs: 18
; NumVgprs: 26
; ScratchSize: 0
; MemoryBound: 0
; FloatMode: 240
; IeeeMode: 1
; LDSByteSize: 0 bytes/workgroup (compile time only)
; SGPRBlocks: 0
; VGPRBlocks: 3
; NumSGPRsForWavesPerEU: 18
; NumVGPRsForWavesPerEU: 26
; Occupancy: 16
; WaveLimiterHint : 0
; COMPUTE_PGM_RSRC2:SCRATCH_EN: 0
; COMPUTE_PGM_RSRC2:USER_SGPR: 6
; COMPUTE_PGM_RSRC2:TRAP_HANDLER: 0
; COMPUTE_PGM_RSRC2:TGID_X_EN: 1
; COMPUTE_PGM_RSRC2:TGID_Y_EN: 0
; COMPUTE_PGM_RSRC2:TGID_Z_EN: 0
; COMPUTE_PGM_RSRC2:TIDIG_COMP_CNT: 1
	.section	.text._ZN12_GLOBAL__N_121softmax_warp_backwardIfN3c104HalfEfLi9ELb1ELb0ELi64EEEvPT0_PKT_S7_iiiPKb,"axG",@progbits,_ZN12_GLOBAL__N_121softmax_warp_backwardIfN3c104HalfEfLi9ELb1ELb0ELi64EEEvPT0_PKT_S7_iiiPKb,comdat
	.globl	_ZN12_GLOBAL__N_121softmax_warp_backwardIfN3c104HalfEfLi9ELb1ELb0ELi64EEEvPT0_PKT_S7_iiiPKb ; -- Begin function _ZN12_GLOBAL__N_121softmax_warp_backwardIfN3c104HalfEfLi9ELb1ELb0ELi64EEEvPT0_PKT_S7_iiiPKb
	.p2align	8
	.type	_ZN12_GLOBAL__N_121softmax_warp_backwardIfN3c104HalfEfLi9ELb1ELb0ELi64EEEvPT0_PKT_S7_iiiPKb,@function
_ZN12_GLOBAL__N_121softmax_warp_backwardIfN3c104HalfEfLi9ELb1ELb0ELi64EEEvPT0_PKT_S7_iiiPKb: ; @_ZN12_GLOBAL__N_121softmax_warp_backwardIfN3c104HalfEfLi9ELb1ELb0ELi64EEEvPT0_PKT_S7_iiiPKb
; %bb.0:
	s_clause 0x1
	s_load_dword s0, s[4:5], 0x3c
	s_load_dwordx4 s[12:15], s[4:5], 0x18
	v_and_b32_e32 v6, 63, v0
	s_clause 0x1
	s_load_dwordx4 s[8:11], s[4:5], 0x0
	s_load_dwordx2 s[4:5], s[4:5], 0x10
	v_mov_b32_e32 v10, 0
	v_mov_b32_e32 v11, 0
	s_waitcnt lgkmcnt(0)
	s_lshr_b32 s0, s0, 16
	v_cmp_gt_i32_e32 vcc_lo, s14, v6
	v_mad_u64_u32 v[2:3], null, s6, s0, v[1:2]
	v_mad_u64_u32 v[0:1], null, v2, s13, v[6:7]
	v_sub_nc_u32_e32 v13, s12, v2
	v_cmp_lt_i32_e64 s3, 0, v13
	v_ashrrev_i32_e32 v1, 31, v0
	s_and_b32 s1, s3, vcc_lo
	v_lshlrev_b64 v[4:5], 2, v[0:1]
	v_add_co_u32 v2, s0, s10, v4
	v_add_co_ci_u32_e64 v3, null, s11, v5, s0
	v_add_co_u32 v4, s0, s4, v4
	v_add_co_ci_u32_e64 v5, null, s5, v5, s0
	s_and_saveexec_b32 s0, s1
	s_cbranch_execz .LBB294_2
; %bb.1:
	global_load_dword v11, v[2:3], off
	global_load_dword v10, v[4:5], off
.LBB294_2:
	s_or_b32 exec_lo, exec_lo, s0
	v_or_b32_e32 v7, 64, v6
	v_cmp_gt_i32_e64 s0, s14, v7
	s_and_b32 s1, s3, s0
	s_xor_b32 s1, s1, -1
	s_and_saveexec_b32 s2, s1
	s_xor_b32 s1, exec_lo, s2
                                        ; implicit-def: $vgpr7
                                        ; implicit-def: $vgpr9
                                        ; implicit-def: $vgpr12
                                        ; implicit-def: $vgpr14
                                        ; implicit-def: $vgpr15
                                        ; implicit-def: $vgpr16
                                        ; implicit-def: $vgpr8
; %bb.3:
	s_mov_b32 s2, 0
                                        ; implicit-def: $vgpr7
                                        ; implicit-def: $vgpr9
                                        ; implicit-def: $vgpr12
                                        ; implicit-def: $vgpr14
                                        ; implicit-def: $vgpr15
                                        ; implicit-def: $vgpr8
	v_mov_b32_e32 v16, s2
; %bb.4:
	s_or_saveexec_b32 s2, s1
	v_mov_b32_e32 v17, 1.0
	s_xor_b32 exec_lo, exec_lo, s2
	s_cbranch_execz .LBB294_6
; %bb.5:
	global_load_dword v17, v[4:5], off offset:256
	global_load_dword v16, v[2:3], off offset:256
	s_waitcnt vmcnt(1)
	v_mul_f32_e32 v18, 0x3fb8aa3b, v17
	v_cmp_ngt_f32_e64 s1, 0xc2ce8ed0, v17
	v_rndne_f32_e32 v19, v18
	v_fma_f32 v20, 0x3fb8aa3b, v17, -v18
	v_sub_f32_e32 v18, v18, v19
	v_fmamk_f32 v20, v17, 0x32a5705f, v20
	v_cvt_i32_f32_e32 v19, v19
	v_add_f32_e32 v18, v18, v20
	v_exp_f32_e32 v18, v18
	v_ldexp_f32 v18, v18, v19
	v_cndmask_b32_e64 v18, 0, v18, s1
	v_cmp_nlt_f32_e64 s1, 0x42b17218, v17
	v_cndmask_b32_e64 v17, 0x7f800000, v18, s1
.LBB294_6:
	s_or_b32 exec_lo, exec_lo, s2
	v_or_b32_e32 v18, 0x80, v6
	v_cmp_gt_i32_e64 s1, s14, v18
	s_and_b32 s2, s3, s1
	s_xor_b32 s2, s2, -1
	s_and_saveexec_b32 s4, s2
	s_xor_b32 s2, exec_lo, s4
; %bb.7:
	s_mov_b32 s4, 0
	v_mov_b32_e32 v15, s4
; %bb.8:
	s_or_saveexec_b32 s4, s2
	v_mov_b32_e32 v18, 1.0
	s_xor_b32 exec_lo, exec_lo, s4
	s_cbranch_execz .LBB294_10
; %bb.9:
	global_load_dword v18, v[4:5], off offset:512
	global_load_dword v15, v[2:3], off offset:512
	s_waitcnt vmcnt(1)
	v_mul_f32_e32 v19, 0x3fb8aa3b, v18
	v_cmp_ngt_f32_e64 s2, 0xc2ce8ed0, v18
	v_rndne_f32_e32 v20, v19
	v_fma_f32 v21, 0x3fb8aa3b, v18, -v19
	v_sub_f32_e32 v19, v19, v20
	v_fmamk_f32 v21, v18, 0x32a5705f, v21
	v_cvt_i32_f32_e32 v20, v20
	v_add_f32_e32 v19, v19, v21
	v_exp_f32_e32 v19, v19
	v_ldexp_f32 v19, v19, v20
	v_cndmask_b32_e64 v19, 0, v19, s2
	v_cmp_nlt_f32_e64 s2, 0x42b17218, v18
	v_cndmask_b32_e64 v18, 0x7f800000, v19, s2
.LBB294_10:
	s_or_b32 exec_lo, exec_lo, s4
	v_or_b32_e32 v19, 0xc0, v6
	v_cmp_gt_i32_e64 s2, s14, v19
	s_and_b32 s4, s3, s2
	s_xor_b32 s4, s4, -1
	s_and_saveexec_b32 s5, s4
	s_xor_b32 s4, exec_lo, s5
; %bb.11:
	s_mov_b32 s5, 0
	;; [unrolled: 33-line block ×6, first 2 shown]
                                        ; implicit-def: $vgpr2_vgpr3
                                        ; implicit-def: $vgpr4_vgpr5
	v_mov_b32_e32 v8, s10
; %bb.28:
	s_or_saveexec_b32 s10, s3
	v_mov_b32_e32 v6, 1.0
	s_xor_b32 exec_lo, exec_lo, s10
	s_cbranch_execz .LBB294_30
; %bb.29:
	global_load_dword v4, v[4:5], off offset:1792
	global_load_dword v8, v[2:3], off offset:1792
	s_waitcnt vmcnt(1)
	v_mul_f32_e32 v2, 0x3fb8aa3b, v4
	v_cmp_ngt_f32_e64 s3, 0xc2ce8ed0, v4
	v_rndne_f32_e32 v3, v2
	v_fma_f32 v5, 0x3fb8aa3b, v4, -v2
	v_sub_f32_e32 v2, v2, v3
	v_fmamk_f32 v5, v4, 0x32a5705f, v5
	v_cvt_i32_f32_e32 v3, v3
	v_add_f32_e32 v2, v2, v5
	v_exp_f32_e32 v2, v2
	v_ldexp_f32 v2, v2, v3
	v_cndmask_b32_e64 v2, 0, v2, s3
	v_cmp_nlt_f32_e64 s3, 0x42b17218, v4
	v_cndmask_b32_e64 v6, 0x7f800000, v2, s3
.LBB294_30:
	s_or_b32 exec_lo, exec_lo, s10
	s_waitcnt vmcnt(1)
	v_add_f32_e32 v2, 0, v11
	v_mbcnt_lo_u32_b32 v3, -1, 0
	s_mov_b32 s10, exec_lo
	s_waitcnt vmcnt(0)
	v_add_f32_e32 v2, v2, v16
	v_or_b32_e32 v4, 32, v3
	v_xor_b32_e32 v5, 16, v3
	v_add_f32_e32 v2, v2, v15
	v_cmp_gt_i32_e64 s3, 64, v4
	v_add_f32_e32 v2, v2, v14
	v_cndmask_b32_e64 v4, v3, v4, s3
	v_cmp_gt_i32_e64 s3, 64, v5
	v_add_f32_e32 v2, v2, v12
	v_lshlrev_b32_e32 v4, 2, v4
	v_cndmask_b32_e64 v5, v3, v5, s3
	v_add_f32_e32 v2, v2, v9
	v_lshlrev_b32_e32 v5, 2, v5
	v_add_f32_e32 v2, v2, v7
	v_add_f32_e32 v2, v2, v8
	ds_bpermute_b32 v4, v4, v2
	s_waitcnt lgkmcnt(0)
	v_add_f32_e32 v2, v2, v4
	ds_bpermute_b32 v4, v5, v2
	v_xor_b32_e32 v5, 8, v3
	v_cmp_gt_i32_e64 s3, 64, v5
	v_cndmask_b32_e64 v5, v3, v5, s3
	v_lshlrev_b32_e32 v5, 2, v5
	s_waitcnt lgkmcnt(0)
	v_add_f32_e32 v2, v2, v4
	ds_bpermute_b32 v4, v5, v2
	v_xor_b32_e32 v5, 4, v3
	v_cmp_gt_i32_e64 s3, 64, v5
	v_cndmask_b32_e64 v5, v3, v5, s3
	v_lshlrev_b32_e32 v5, 2, v5
	;; [unrolled: 7-line block ×4, first 2 shown]
	s_waitcnt lgkmcnt(0)
	v_add_f32_e32 v2, v2, v4
	ds_bpermute_b32 v3, v3, v2
	v_cmpx_lt_i32_e32 0, v13
	s_cbranch_execz .LBB294_40
; %bb.31:
	v_lshlrev_b64 v[0:1], 1, v[0:1]
	s_waitcnt lgkmcnt(0)
	v_add_f32_e32 v2, v2, v3
	v_add_co_u32 v0, s3, s8, v0
	v_add_co_ci_u32_e64 v1, null, s9, v1, s3
	s_and_saveexec_b32 s3, vcc_lo
	s_cbranch_execnz .LBB294_41
; %bb.32:
	s_or_b32 exec_lo, exec_lo, s3
	s_and_saveexec_b32 s3, s0
	s_cbranch_execnz .LBB294_42
.LBB294_33:
	s_or_b32 exec_lo, exec_lo, s3
	s_and_saveexec_b32 s0, s1
	s_cbranch_execnz .LBB294_43
.LBB294_34:
	s_or_b32 exec_lo, exec_lo, s0
	s_and_saveexec_b32 s0, s2
	s_cbranch_execnz .LBB294_44
.LBB294_35:
	s_or_b32 exec_lo, exec_lo, s0
	s_and_saveexec_b32 s0, s4
	s_cbranch_execnz .LBB294_45
.LBB294_36:
	s_or_b32 exec_lo, exec_lo, s0
	s_and_saveexec_b32 s0, s5
	s_cbranch_execnz .LBB294_46
.LBB294_37:
	s_or_b32 exec_lo, exec_lo, s0
	s_and_saveexec_b32 s0, s6
	s_cbranch_execnz .LBB294_47
.LBB294_38:
	s_or_b32 exec_lo, exec_lo, s0
	s_and_b32 exec_lo, exec_lo, s7
	s_cbranch_execz .LBB294_40
.LBB294_39:
	v_fma_mixlo_f16 v2, -v2, v6, v8
	global_store_short v[0:1], v2, off offset:896
.LBB294_40:
	s_endpgm
.LBB294_41:
	v_mul_f32_e32 v3, 0x3fb8aa3b, v10
	v_cmp_ngt_f32_e32 vcc_lo, 0xc2ce8ed0, v10
	v_rndne_f32_e32 v4, v3
	v_fma_f32 v5, 0x3fb8aa3b, v10, -v3
	v_sub_f32_e32 v3, v3, v4
	v_fmamk_f32 v5, v10, 0x32a5705f, v5
	v_cvt_i32_f32_e32 v4, v4
	v_add_f32_e32 v3, v3, v5
	v_exp_f32_e32 v3, v3
	v_ldexp_f32 v3, v3, v4
	v_cndmask_b32_e32 v3, 0, v3, vcc_lo
	v_cmp_nlt_f32_e32 vcc_lo, 0x42b17218, v10
	v_cndmask_b32_e32 v3, 0x7f800000, v3, vcc_lo
	v_fma_mixlo_f16 v3, -v2, v3, v11
	global_store_short v[0:1], v3, off
	s_or_b32 exec_lo, exec_lo, s3
	s_and_saveexec_b32 s3, s0
	s_cbranch_execz .LBB294_33
.LBB294_42:
	v_fma_mixlo_f16 v3, -v2, v17, v16
	global_store_short v[0:1], v3, off offset:128
	s_or_b32 exec_lo, exec_lo, s3
	s_and_saveexec_b32 s0, s1
	s_cbranch_execz .LBB294_34
.LBB294_43:
	v_fma_mixlo_f16 v3, -v2, v18, v15
	global_store_short v[0:1], v3, off offset:256
	s_or_b32 exec_lo, exec_lo, s0
	s_and_saveexec_b32 s0, s2
	s_cbranch_execz .LBB294_35
.LBB294_44:
	v_fma_mixlo_f16 v3, -v2, v19, v14
	global_store_short v[0:1], v3, off offset:384
	s_or_b32 exec_lo, exec_lo, s0
	s_and_saveexec_b32 s0, s4
	s_cbranch_execz .LBB294_36
.LBB294_45:
	v_fma_mixlo_f16 v3, -v2, v20, v12
	global_store_short v[0:1], v3, off offset:512
	s_or_b32 exec_lo, exec_lo, s0
	s_and_saveexec_b32 s0, s5
	s_cbranch_execz .LBB294_37
.LBB294_46:
	v_fma_mixlo_f16 v3, -v2, v21, v9
	global_store_short v[0:1], v3, off offset:640
	s_or_b32 exec_lo, exec_lo, s0
	s_and_saveexec_b32 s0, s6
	s_cbranch_execz .LBB294_38
.LBB294_47:
	v_fma_mixlo_f16 v3, -v2, v22, v7
	global_store_short v[0:1], v3, off offset:768
	s_or_b32 exec_lo, exec_lo, s0
	s_and_b32 exec_lo, exec_lo, s7
	s_cbranch_execnz .LBB294_39
	s_branch .LBB294_40
	.section	.rodata,"a",@progbits
	.p2align	6, 0x0
	.amdhsa_kernel _ZN12_GLOBAL__N_121softmax_warp_backwardIfN3c104HalfEfLi9ELb1ELb0ELi64EEEvPT0_PKT_S7_iiiPKb
		.amdhsa_group_segment_fixed_size 0
		.amdhsa_private_segment_fixed_size 0
		.amdhsa_kernarg_size 304
		.amdhsa_user_sgpr_count 6
		.amdhsa_user_sgpr_private_segment_buffer 1
		.amdhsa_user_sgpr_dispatch_ptr 0
		.amdhsa_user_sgpr_queue_ptr 0
		.amdhsa_user_sgpr_kernarg_segment_ptr 1
		.amdhsa_user_sgpr_dispatch_id 0
		.amdhsa_user_sgpr_flat_scratch_init 0
		.amdhsa_user_sgpr_private_segment_size 0
		.amdhsa_wavefront_size32 1
		.amdhsa_uses_dynamic_stack 0
		.amdhsa_system_sgpr_private_segment_wavefront_offset 0
		.amdhsa_system_sgpr_workgroup_id_x 1
		.amdhsa_system_sgpr_workgroup_id_y 0
		.amdhsa_system_sgpr_workgroup_id_z 0
		.amdhsa_system_sgpr_workgroup_info 0
		.amdhsa_system_vgpr_workitem_id 1
		.amdhsa_next_free_vgpr 26
		.amdhsa_next_free_sgpr 16
		.amdhsa_reserve_vcc 1
		.amdhsa_reserve_flat_scratch 0
		.amdhsa_float_round_mode_32 0
		.amdhsa_float_round_mode_16_64 0
		.amdhsa_float_denorm_mode_32 3
		.amdhsa_float_denorm_mode_16_64 3
		.amdhsa_dx10_clamp 1
		.amdhsa_ieee_mode 1
		.amdhsa_fp16_overflow 0
		.amdhsa_workgroup_processor_mode 1
		.amdhsa_memory_ordered 1
		.amdhsa_forward_progress 1
		.amdhsa_shared_vgpr_count 0
		.amdhsa_exception_fp_ieee_invalid_op 0
		.amdhsa_exception_fp_denorm_src 0
		.amdhsa_exception_fp_ieee_div_zero 0
		.amdhsa_exception_fp_ieee_overflow 0
		.amdhsa_exception_fp_ieee_underflow 0
		.amdhsa_exception_fp_ieee_inexact 0
		.amdhsa_exception_int_div_zero 0
	.end_amdhsa_kernel
	.section	.text._ZN12_GLOBAL__N_121softmax_warp_backwardIfN3c104HalfEfLi9ELb1ELb0ELi64EEEvPT0_PKT_S7_iiiPKb,"axG",@progbits,_ZN12_GLOBAL__N_121softmax_warp_backwardIfN3c104HalfEfLi9ELb1ELb0ELi64EEEvPT0_PKT_S7_iiiPKb,comdat
.Lfunc_end294:
	.size	_ZN12_GLOBAL__N_121softmax_warp_backwardIfN3c104HalfEfLi9ELb1ELb0ELi64EEEvPT0_PKT_S7_iiiPKb, .Lfunc_end294-_ZN12_GLOBAL__N_121softmax_warp_backwardIfN3c104HalfEfLi9ELb1ELb0ELi64EEEvPT0_PKT_S7_iiiPKb
                                        ; -- End function
	.set _ZN12_GLOBAL__N_121softmax_warp_backwardIfN3c104HalfEfLi9ELb1ELb0ELi64EEEvPT0_PKT_S7_iiiPKb.num_vgpr, 26
	.set _ZN12_GLOBAL__N_121softmax_warp_backwardIfN3c104HalfEfLi9ELb1ELb0ELi64EEEvPT0_PKT_S7_iiiPKb.num_agpr, 0
	.set _ZN12_GLOBAL__N_121softmax_warp_backwardIfN3c104HalfEfLi9ELb1ELb0ELi64EEEvPT0_PKT_S7_iiiPKb.numbered_sgpr, 16
	.set _ZN12_GLOBAL__N_121softmax_warp_backwardIfN3c104HalfEfLi9ELb1ELb0ELi64EEEvPT0_PKT_S7_iiiPKb.num_named_barrier, 0
	.set _ZN12_GLOBAL__N_121softmax_warp_backwardIfN3c104HalfEfLi9ELb1ELb0ELi64EEEvPT0_PKT_S7_iiiPKb.private_seg_size, 0
	.set _ZN12_GLOBAL__N_121softmax_warp_backwardIfN3c104HalfEfLi9ELb1ELb0ELi64EEEvPT0_PKT_S7_iiiPKb.uses_vcc, 1
	.set _ZN12_GLOBAL__N_121softmax_warp_backwardIfN3c104HalfEfLi9ELb1ELb0ELi64EEEvPT0_PKT_S7_iiiPKb.uses_flat_scratch, 0
	.set _ZN12_GLOBAL__N_121softmax_warp_backwardIfN3c104HalfEfLi9ELb1ELb0ELi64EEEvPT0_PKT_S7_iiiPKb.has_dyn_sized_stack, 0
	.set _ZN12_GLOBAL__N_121softmax_warp_backwardIfN3c104HalfEfLi9ELb1ELb0ELi64EEEvPT0_PKT_S7_iiiPKb.has_recursion, 0
	.set _ZN12_GLOBAL__N_121softmax_warp_backwardIfN3c104HalfEfLi9ELb1ELb0ELi64EEEvPT0_PKT_S7_iiiPKb.has_indirect_call, 0
	.section	.AMDGPU.csdata,"",@progbits
; Kernel info:
; codeLenInByte = 2144
; TotalNumSgprs: 18
; NumVgprs: 26
; ScratchSize: 0
; MemoryBound: 0
; FloatMode: 240
; IeeeMode: 1
; LDSByteSize: 0 bytes/workgroup (compile time only)
; SGPRBlocks: 0
; VGPRBlocks: 3
; NumSGPRsForWavesPerEU: 18
; NumVGPRsForWavesPerEU: 26
; Occupancy: 16
; WaveLimiterHint : 0
; COMPUTE_PGM_RSRC2:SCRATCH_EN: 0
; COMPUTE_PGM_RSRC2:USER_SGPR: 6
; COMPUTE_PGM_RSRC2:TRAP_HANDLER: 0
; COMPUTE_PGM_RSRC2:TGID_X_EN: 1
; COMPUTE_PGM_RSRC2:TGID_Y_EN: 0
; COMPUTE_PGM_RSRC2:TGID_Z_EN: 0
; COMPUTE_PGM_RSRC2:TIDIG_COMP_CNT: 1
	.section	.text._ZN12_GLOBAL__N_121softmax_warp_backwardIfN3c104HalfEfLi9ELb1ELb0ELi32EEEvPT0_PKT_S7_iiiPKb,"axG",@progbits,_ZN12_GLOBAL__N_121softmax_warp_backwardIfN3c104HalfEfLi9ELb1ELb0ELi32EEEvPT0_PKT_S7_iiiPKb,comdat
	.globl	_ZN12_GLOBAL__N_121softmax_warp_backwardIfN3c104HalfEfLi9ELb1ELb0ELi32EEEvPT0_PKT_S7_iiiPKb ; -- Begin function _ZN12_GLOBAL__N_121softmax_warp_backwardIfN3c104HalfEfLi9ELb1ELb0ELi32EEEvPT0_PKT_S7_iiiPKb
	.p2align	8
	.type	_ZN12_GLOBAL__N_121softmax_warp_backwardIfN3c104HalfEfLi9ELb1ELb0ELi32EEEvPT0_PKT_S7_iiiPKb,@function
_ZN12_GLOBAL__N_121softmax_warp_backwardIfN3c104HalfEfLi9ELb1ELb0ELi32EEEvPT0_PKT_S7_iiiPKb: ; @_ZN12_GLOBAL__N_121softmax_warp_backwardIfN3c104HalfEfLi9ELb1ELb0ELi32EEEvPT0_PKT_S7_iiiPKb
; %bb.0:
	s_clause 0x1
	s_load_dword s0, s[4:5], 0x3c
	s_load_dwordx4 s[20:23], s[4:5], 0x18
	v_and_b32_e32 v6, 31, v0
	s_clause 0x1
	s_load_dwordx4 s[16:19], s[4:5], 0x0
	s_load_dwordx2 s[4:5], s[4:5], 0x10
	v_mov_b32_e32 v17, 0
	v_mov_b32_e32 v18, 0
	s_waitcnt lgkmcnt(0)
	s_lshr_b32 s0, s0, 16
	v_cmp_gt_i32_e32 vcc_lo, s22, v6
	v_mad_u64_u32 v[2:3], null, s6, s0, v[1:2]
	v_mad_u64_u32 v[0:1], null, v2, s21, v[6:7]
	v_sub_nc_u32_e32 v20, s20, v2
	v_cmp_lt_i32_e64 s3, 0, v20
	v_ashrrev_i32_e32 v1, 31, v0
	s_and_b32 s1, s3, vcc_lo
	v_lshlrev_b64 v[4:5], 2, v[0:1]
	v_add_co_u32 v2, s0, s18, v4
	v_add_co_ci_u32_e64 v3, null, s19, v5, s0
	v_add_co_u32 v4, s0, s4, v4
	v_add_co_ci_u32_e64 v5, null, s5, v5, s0
	s_and_saveexec_b32 s0, s1
	s_cbranch_execz .LBB295_2
; %bb.1:
	global_load_dword v18, v[2:3], off
	global_load_dword v17, v[4:5], off
.LBB295_2:
	s_or_b32 exec_lo, exec_lo, s0
	v_or_b32_e32 v7, 32, v6
	v_cmp_gt_i32_e64 s0, s22, v7
	s_and_b32 s1, s3, s0
	s_xor_b32 s1, s1, -1
	s_and_saveexec_b32 s2, s1
	s_xor_b32 s1, exec_lo, s2
                                        ; implicit-def: $vgpr7
                                        ; implicit-def: $vgpr8
                                        ; implicit-def: $vgpr10
                                        ; implicit-def: $vgpr11
                                        ; implicit-def: $vgpr12
                                        ; implicit-def: $vgpr13
                                        ; implicit-def: $vgpr14
                                        ; implicit-def: $vgpr15
                                        ; implicit-def: $vgpr16
                                        ; implicit-def: $vgpr19
                                        ; implicit-def: $vgpr21
                                        ; implicit-def: $vgpr22
                                        ; implicit-def: $vgpr24
                                        ; implicit-def: $vgpr23
                                        ; implicit-def: $vgpr9
; %bb.3:
	s_mov_b32 s2, 0
                                        ; implicit-def: $vgpr7
                                        ; implicit-def: $vgpr8
                                        ; implicit-def: $vgpr10
                                        ; implicit-def: $vgpr11
                                        ; implicit-def: $vgpr12
                                        ; implicit-def: $vgpr13
                                        ; implicit-def: $vgpr14
                                        ; implicit-def: $vgpr15
                                        ; implicit-def: $vgpr16
                                        ; implicit-def: $vgpr19
                                        ; implicit-def: $vgpr21
                                        ; implicit-def: $vgpr22
                                        ; implicit-def: $vgpr24
                                        ; implicit-def: $vgpr9
	v_mov_b32_e32 v23, s2
; %bb.4:
	s_or_saveexec_b32 s2, s1
	v_mov_b32_e32 v25, 1.0
	s_xor_b32 exec_lo, exec_lo, s2
	s_cbranch_execz .LBB295_6
; %bb.5:
	global_load_dword v25, v[4:5], off offset:128
	global_load_dword v23, v[2:3], off offset:128
	s_waitcnt vmcnt(1)
	v_mul_f32_e32 v26, 0x3fb8aa3b, v25
	v_cmp_ngt_f32_e64 s1, 0xc2ce8ed0, v25
	v_rndne_f32_e32 v27, v26
	v_fma_f32 v28, 0x3fb8aa3b, v25, -v26
	v_sub_f32_e32 v26, v26, v27
	v_fmamk_f32 v28, v25, 0x32a5705f, v28
	v_cvt_i32_f32_e32 v27, v27
	v_add_f32_e32 v26, v26, v28
	v_exp_f32_e32 v26, v26
	v_ldexp_f32 v26, v26, v27
	v_cndmask_b32_e64 v26, 0, v26, s1
	v_cmp_nlt_f32_e64 s1, 0x42b17218, v25
	v_cndmask_b32_e64 v25, 0x7f800000, v26, s1
.LBB295_6:
	s_or_b32 exec_lo, exec_lo, s2
	v_or_b32_e32 v26, 64, v6
	v_cmp_gt_i32_e64 s1, s22, v26
	s_and_b32 s2, s3, s1
	s_xor_b32 s2, s2, -1
	s_and_saveexec_b32 s4, s2
	s_xor_b32 s2, exec_lo, s4
; %bb.7:
	s_mov_b32 s4, 0
	v_mov_b32_e32 v24, s4
; %bb.8:
	s_or_saveexec_b32 s4, s2
	v_mov_b32_e32 v26, 1.0
	s_xor_b32 exec_lo, exec_lo, s4
	s_cbranch_execz .LBB295_10
; %bb.9:
	global_load_dword v26, v[4:5], off offset:256
	global_load_dword v24, v[2:3], off offset:256
	s_waitcnt vmcnt(1)
	v_mul_f32_e32 v27, 0x3fb8aa3b, v26
	v_cmp_ngt_f32_e64 s2, 0xc2ce8ed0, v26
	v_rndne_f32_e32 v28, v27
	v_fma_f32 v29, 0x3fb8aa3b, v26, -v27
	v_sub_f32_e32 v27, v27, v28
	v_fmamk_f32 v29, v26, 0x32a5705f, v29
	v_cvt_i32_f32_e32 v28, v28
	v_add_f32_e32 v27, v27, v29
	v_exp_f32_e32 v27, v27
	v_ldexp_f32 v27, v27, v28
	v_cndmask_b32_e64 v27, 0, v27, s2
	v_cmp_nlt_f32_e64 s2, 0x42b17218, v26
	v_cndmask_b32_e64 v26, 0x7f800000, v27, s2
.LBB295_10:
	s_or_b32 exec_lo, exec_lo, s4
	v_or_b32_e32 v27, 0x60, v6
	v_cmp_gt_i32_e64 s2, s22, v27
	s_and_b32 s4, s3, s2
	s_xor_b32 s4, s4, -1
	s_and_saveexec_b32 s5, s4
	s_xor_b32 s4, exec_lo, s5
; %bb.11:
	s_mov_b32 s5, 0
	;; [unrolled: 33-line block ×14, first 2 shown]
                                        ; implicit-def: $vgpr2_vgpr3
                                        ; implicit-def: $vgpr4_vgpr5
	v_mov_b32_e32 v9, s18
; %bb.60:
	s_or_saveexec_b32 s18, s3
	v_mov_b32_e32 v6, 1.0
	s_xor_b32 exec_lo, exec_lo, s18
	s_cbranch_execz .LBB295_62
; %bb.61:
	global_load_dword v4, v[4:5], off offset:1920
	global_load_dword v9, v[2:3], off offset:1920
	s_waitcnt vmcnt(1)
	v_mul_f32_e32 v2, 0x3fb8aa3b, v4
	v_cmp_ngt_f32_e64 s3, 0xc2ce8ed0, v4
	v_rndne_f32_e32 v3, v2
	v_fma_f32 v5, 0x3fb8aa3b, v4, -v2
	v_sub_f32_e32 v2, v2, v3
	v_fmamk_f32 v5, v4, 0x32a5705f, v5
	v_cvt_i32_f32_e32 v3, v3
	v_add_f32_e32 v2, v2, v5
	v_exp_f32_e32 v2, v2
	v_ldexp_f32 v2, v2, v3
	v_cndmask_b32_e64 v2, 0, v2, s3
	v_cmp_nlt_f32_e64 s3, 0x42b17218, v4
	v_cndmask_b32_e64 v6, 0x7f800000, v2, s3
.LBB295_62:
	s_or_b32 exec_lo, exec_lo, s18
	s_waitcnt vmcnt(1)
	v_add_f32_e32 v2, 0, v18
	v_mbcnt_lo_u32_b32 v3, -1, 0
	s_mov_b32 s18, exec_lo
	s_waitcnt vmcnt(0)
	v_add_f32_e32 v2, v2, v23
	v_xor_b32_e32 v4, 16, v3
	v_xor_b32_e32 v5, 8, v3
	v_add_f32_e32 v2, v2, v24
	v_cmp_gt_i32_e64 s3, 32, v4
	v_add_f32_e32 v2, v2, v22
	v_cndmask_b32_e64 v4, v3, v4, s3
	v_cmp_gt_i32_e64 s3, 32, v5
	v_add_f32_e32 v2, v2, v21
	v_lshlrev_b32_e32 v4, 2, v4
	v_cndmask_b32_e64 v5, v3, v5, s3
	v_add_f32_e32 v2, v2, v19
	v_lshlrev_b32_e32 v5, 2, v5
	v_add_f32_e32 v2, v2, v16
	v_add_f32_e32 v2, v2, v15
	;; [unrolled: 1-line block ×10, first 2 shown]
	ds_bpermute_b32 v4, v4, v2
	s_waitcnt lgkmcnt(0)
	v_add_f32_e32 v2, v2, v4
	ds_bpermute_b32 v4, v5, v2
	v_xor_b32_e32 v5, 4, v3
	v_cmp_gt_i32_e64 s3, 32, v5
	v_cndmask_b32_e64 v5, v3, v5, s3
	v_lshlrev_b32_e32 v5, 2, v5
	s_waitcnt lgkmcnt(0)
	v_add_f32_e32 v2, v2, v4
	ds_bpermute_b32 v4, v5, v2
	v_xor_b32_e32 v5, 2, v3
	v_cmp_gt_i32_e64 s3, 32, v5
	v_cndmask_b32_e64 v5, v3, v5, s3
	v_lshlrev_b32_e32 v5, 2, v5
	s_waitcnt lgkmcnt(0)
	v_add_f32_e32 v2, v2, v4
	ds_bpermute_b32 v4, v5, v2
	v_xor_b32_e32 v5, 1, v3
	v_cmp_gt_i32_e64 s3, 32, v5
	v_cndmask_b32_e64 v3, v3, v5, s3
	v_lshlrev_b32_e32 v3, 2, v3
	s_waitcnt lgkmcnt(0)
	v_add_f32_e32 v2, v2, v4
	ds_bpermute_b32 v3, v3, v2
	v_cmpx_lt_i32_e32 0, v20
	s_cbranch_execz .LBB295_80
; %bb.63:
	v_lshlrev_b64 v[0:1], 1, v[0:1]
	s_waitcnt lgkmcnt(0)
	v_add_f32_e32 v2, v2, v3
	v_add_co_u32 v0, s3, s16, v0
	v_add_co_ci_u32_e64 v1, null, s17, v1, s3
	s_and_saveexec_b32 s3, vcc_lo
	s_cbranch_execnz .LBB295_81
; %bb.64:
	s_or_b32 exec_lo, exec_lo, s3
	s_and_saveexec_b32 s3, s0
	s_cbranch_execnz .LBB295_82
.LBB295_65:
	s_or_b32 exec_lo, exec_lo, s3
	s_and_saveexec_b32 s0, s1
	s_cbranch_execnz .LBB295_83
.LBB295_66:
	s_or_b32 exec_lo, exec_lo, s0
	s_and_saveexec_b32 s0, s2
	s_cbranch_execnz .LBB295_84
.LBB295_67:
	s_or_b32 exec_lo, exec_lo, s0
	s_and_saveexec_b32 s0, s4
	s_cbranch_execnz .LBB295_85
.LBB295_68:
	s_or_b32 exec_lo, exec_lo, s0
	s_and_saveexec_b32 s0, s5
	s_cbranch_execnz .LBB295_86
.LBB295_69:
	s_or_b32 exec_lo, exec_lo, s0
	s_and_saveexec_b32 s0, s6
	s_cbranch_execnz .LBB295_87
.LBB295_70:
	s_or_b32 exec_lo, exec_lo, s0
	s_and_saveexec_b32 s0, s7
	s_cbranch_execnz .LBB295_88
.LBB295_71:
	s_or_b32 exec_lo, exec_lo, s0
	s_and_saveexec_b32 s0, s8
	s_cbranch_execnz .LBB295_89
.LBB295_72:
	s_or_b32 exec_lo, exec_lo, s0
	s_and_saveexec_b32 s0, s9
	s_cbranch_execnz .LBB295_90
.LBB295_73:
	s_or_b32 exec_lo, exec_lo, s0
	s_and_saveexec_b32 s0, s10
	s_cbranch_execnz .LBB295_91
.LBB295_74:
	s_or_b32 exec_lo, exec_lo, s0
	s_and_saveexec_b32 s0, s11
	s_cbranch_execnz .LBB295_92
.LBB295_75:
	s_or_b32 exec_lo, exec_lo, s0
	s_and_saveexec_b32 s0, s12
	s_cbranch_execnz .LBB295_93
.LBB295_76:
	s_or_b32 exec_lo, exec_lo, s0
	s_and_saveexec_b32 s0, s13
	s_cbranch_execnz .LBB295_94
.LBB295_77:
	s_or_b32 exec_lo, exec_lo, s0
	s_and_saveexec_b32 s0, s14
	s_cbranch_execnz .LBB295_95
.LBB295_78:
	s_or_b32 exec_lo, exec_lo, s0
	s_and_b32 exec_lo, exec_lo, s15
	s_cbranch_execz .LBB295_80
.LBB295_79:
	v_fma_mixlo_f16 v2, -v2, v6, v9
	global_store_short v[0:1], v2, off offset:960
.LBB295_80:
	s_endpgm
.LBB295_81:
	v_mul_f32_e32 v3, 0x3fb8aa3b, v17
	v_cmp_ngt_f32_e32 vcc_lo, 0xc2ce8ed0, v17
	v_rndne_f32_e32 v4, v3
	v_fma_f32 v5, 0x3fb8aa3b, v17, -v3
	v_sub_f32_e32 v3, v3, v4
	v_fmamk_f32 v5, v17, 0x32a5705f, v5
	v_cvt_i32_f32_e32 v4, v4
	v_add_f32_e32 v3, v3, v5
	v_exp_f32_e32 v3, v3
	v_ldexp_f32 v3, v3, v4
	v_cndmask_b32_e32 v3, 0, v3, vcc_lo
	v_cmp_nlt_f32_e32 vcc_lo, 0x42b17218, v17
	v_cndmask_b32_e32 v3, 0x7f800000, v3, vcc_lo
	v_fma_mixlo_f16 v3, -v2, v3, v18
	global_store_short v[0:1], v3, off
	s_or_b32 exec_lo, exec_lo, s3
	s_and_saveexec_b32 s3, s0
	s_cbranch_execz .LBB295_65
.LBB295_82:
	v_fma_mixlo_f16 v3, -v2, v25, v23
	global_store_short v[0:1], v3, off offset:64
	s_or_b32 exec_lo, exec_lo, s3
	s_and_saveexec_b32 s0, s1
	s_cbranch_execz .LBB295_66
.LBB295_83:
	v_fma_mixlo_f16 v3, -v2, v26, v24
	global_store_short v[0:1], v3, off offset:128
	s_or_b32 exec_lo, exec_lo, s0
	s_and_saveexec_b32 s0, s2
	s_cbranch_execz .LBB295_67
.LBB295_84:
	v_fma_mixlo_f16 v3, -v2, v27, v22
	global_store_short v[0:1], v3, off offset:192
	s_or_b32 exec_lo, exec_lo, s0
	s_and_saveexec_b32 s0, s4
	s_cbranch_execz .LBB295_68
.LBB295_85:
	v_fma_mixlo_f16 v3, -v2, v28, v21
	global_store_short v[0:1], v3, off offset:256
	s_or_b32 exec_lo, exec_lo, s0
	s_and_saveexec_b32 s0, s5
	s_cbranch_execz .LBB295_69
.LBB295_86:
	v_fma_mixlo_f16 v3, -v2, v29, v19
	global_store_short v[0:1], v3, off offset:320
	s_or_b32 exec_lo, exec_lo, s0
	s_and_saveexec_b32 s0, s6
	s_cbranch_execz .LBB295_70
.LBB295_87:
	v_fma_mixlo_f16 v3, -v2, v30, v16
	global_store_short v[0:1], v3, off offset:384
	s_or_b32 exec_lo, exec_lo, s0
	s_and_saveexec_b32 s0, s7
	s_cbranch_execz .LBB295_71
.LBB295_88:
	v_fma_mixlo_f16 v3, -v2, v31, v15
	global_store_short v[0:1], v3, off offset:448
	s_or_b32 exec_lo, exec_lo, s0
	s_and_saveexec_b32 s0, s8
	s_cbranch_execz .LBB295_72
.LBB295_89:
	v_fma_mixlo_f16 v3, -v2, v32, v14
	global_store_short v[0:1], v3, off offset:512
	s_or_b32 exec_lo, exec_lo, s0
	s_and_saveexec_b32 s0, s9
	s_cbranch_execz .LBB295_73
.LBB295_90:
	v_fma_mixlo_f16 v3, -v2, v33, v13
	global_store_short v[0:1], v3, off offset:576
	s_or_b32 exec_lo, exec_lo, s0
	s_and_saveexec_b32 s0, s10
	s_cbranch_execz .LBB295_74
.LBB295_91:
	v_fma_mixlo_f16 v3, -v2, v34, v12
	global_store_short v[0:1], v3, off offset:640
	s_or_b32 exec_lo, exec_lo, s0
	s_and_saveexec_b32 s0, s11
	s_cbranch_execz .LBB295_75
.LBB295_92:
	v_fma_mixlo_f16 v3, -v2, v35, v11
	global_store_short v[0:1], v3, off offset:704
	s_or_b32 exec_lo, exec_lo, s0
	s_and_saveexec_b32 s0, s12
	s_cbranch_execz .LBB295_76
.LBB295_93:
	v_fma_mixlo_f16 v3, -v2, v36, v10
	global_store_short v[0:1], v3, off offset:768
	s_or_b32 exec_lo, exec_lo, s0
	s_and_saveexec_b32 s0, s13
	s_cbranch_execz .LBB295_77
.LBB295_94:
	v_fma_mixlo_f16 v3, -v2, v37, v8
	global_store_short v[0:1], v3, off offset:832
	s_or_b32 exec_lo, exec_lo, s0
	s_and_saveexec_b32 s0, s14
	s_cbranch_execz .LBB295_78
.LBB295_95:
	v_fma_mixlo_f16 v3, -v2, v38, v7
	global_store_short v[0:1], v3, off offset:896
	s_or_b32 exec_lo, exec_lo, s0
	s_and_b32 exec_lo, exec_lo, s15
	s_cbranch_execnz .LBB295_79
	s_branch .LBB295_80
	.section	.rodata,"a",@progbits
	.p2align	6, 0x0
	.amdhsa_kernel _ZN12_GLOBAL__N_121softmax_warp_backwardIfN3c104HalfEfLi9ELb1ELb0ELi32EEEvPT0_PKT_S7_iiiPKb
		.amdhsa_group_segment_fixed_size 0
		.amdhsa_private_segment_fixed_size 0
		.amdhsa_kernarg_size 304
		.amdhsa_user_sgpr_count 6
		.amdhsa_user_sgpr_private_segment_buffer 1
		.amdhsa_user_sgpr_dispatch_ptr 0
		.amdhsa_user_sgpr_queue_ptr 0
		.amdhsa_user_sgpr_kernarg_segment_ptr 1
		.amdhsa_user_sgpr_dispatch_id 0
		.amdhsa_user_sgpr_flat_scratch_init 0
		.amdhsa_user_sgpr_private_segment_size 0
		.amdhsa_wavefront_size32 1
		.amdhsa_uses_dynamic_stack 0
		.amdhsa_system_sgpr_private_segment_wavefront_offset 0
		.amdhsa_system_sgpr_workgroup_id_x 1
		.amdhsa_system_sgpr_workgroup_id_y 0
		.amdhsa_system_sgpr_workgroup_id_z 0
		.amdhsa_system_sgpr_workgroup_info 0
		.amdhsa_system_vgpr_workitem_id 1
		.amdhsa_next_free_vgpr 42
		.amdhsa_next_free_sgpr 24
		.amdhsa_reserve_vcc 1
		.amdhsa_reserve_flat_scratch 0
		.amdhsa_float_round_mode_32 0
		.amdhsa_float_round_mode_16_64 0
		.amdhsa_float_denorm_mode_32 3
		.amdhsa_float_denorm_mode_16_64 3
		.amdhsa_dx10_clamp 1
		.amdhsa_ieee_mode 1
		.amdhsa_fp16_overflow 0
		.amdhsa_workgroup_processor_mode 1
		.amdhsa_memory_ordered 1
		.amdhsa_forward_progress 1
		.amdhsa_shared_vgpr_count 0
		.amdhsa_exception_fp_ieee_invalid_op 0
		.amdhsa_exception_fp_denorm_src 0
		.amdhsa_exception_fp_ieee_div_zero 0
		.amdhsa_exception_fp_ieee_overflow 0
		.amdhsa_exception_fp_ieee_underflow 0
		.amdhsa_exception_fp_ieee_inexact 0
		.amdhsa_exception_int_div_zero 0
	.end_amdhsa_kernel
	.section	.text._ZN12_GLOBAL__N_121softmax_warp_backwardIfN3c104HalfEfLi9ELb1ELb0ELi32EEEvPT0_PKT_S7_iiiPKb,"axG",@progbits,_ZN12_GLOBAL__N_121softmax_warp_backwardIfN3c104HalfEfLi9ELb1ELb0ELi32EEEvPT0_PKT_S7_iiiPKb,comdat
.Lfunc_end295:
	.size	_ZN12_GLOBAL__N_121softmax_warp_backwardIfN3c104HalfEfLi9ELb1ELb0ELi32EEEvPT0_PKT_S7_iiiPKb, .Lfunc_end295-_ZN12_GLOBAL__N_121softmax_warp_backwardIfN3c104HalfEfLi9ELb1ELb0ELi32EEEvPT0_PKT_S7_iiiPKb
                                        ; -- End function
	.set _ZN12_GLOBAL__N_121softmax_warp_backwardIfN3c104HalfEfLi9ELb1ELb0ELi32EEEvPT0_PKT_S7_iiiPKb.num_vgpr, 42
	.set _ZN12_GLOBAL__N_121softmax_warp_backwardIfN3c104HalfEfLi9ELb1ELb0ELi32EEEvPT0_PKT_S7_iiiPKb.num_agpr, 0
	.set _ZN12_GLOBAL__N_121softmax_warp_backwardIfN3c104HalfEfLi9ELb1ELb0ELi32EEEvPT0_PKT_S7_iiiPKb.numbered_sgpr, 24
	.set _ZN12_GLOBAL__N_121softmax_warp_backwardIfN3c104HalfEfLi9ELb1ELb0ELi32EEEvPT0_PKT_S7_iiiPKb.num_named_barrier, 0
	.set _ZN12_GLOBAL__N_121softmax_warp_backwardIfN3c104HalfEfLi9ELb1ELb0ELi32EEEvPT0_PKT_S7_iiiPKb.private_seg_size, 0
	.set _ZN12_GLOBAL__N_121softmax_warp_backwardIfN3c104HalfEfLi9ELb1ELb0ELi32EEEvPT0_PKT_S7_iiiPKb.uses_vcc, 1
	.set _ZN12_GLOBAL__N_121softmax_warp_backwardIfN3c104HalfEfLi9ELb1ELb0ELi32EEEvPT0_PKT_S7_iiiPKb.uses_flat_scratch, 0
	.set _ZN12_GLOBAL__N_121softmax_warp_backwardIfN3c104HalfEfLi9ELb1ELb0ELi32EEEvPT0_PKT_S7_iiiPKb.has_dyn_sized_stack, 0
	.set _ZN12_GLOBAL__N_121softmax_warp_backwardIfN3c104HalfEfLi9ELb1ELb0ELi32EEEvPT0_PKT_S7_iiiPKb.has_recursion, 0
	.set _ZN12_GLOBAL__N_121softmax_warp_backwardIfN3c104HalfEfLi9ELb1ELb0ELi32EEEvPT0_PKT_S7_iiiPKb.has_indirect_call, 0
	.section	.AMDGPU.csdata,"",@progbits
; Kernel info:
; codeLenInByte = 3892
; TotalNumSgprs: 26
; NumVgprs: 42
; ScratchSize: 0
; MemoryBound: 0
; FloatMode: 240
; IeeeMode: 1
; LDSByteSize: 0 bytes/workgroup (compile time only)
; SGPRBlocks: 0
; VGPRBlocks: 5
; NumSGPRsForWavesPerEU: 26
; NumVGPRsForWavesPerEU: 42
; Occupancy: 16
; WaveLimiterHint : 0
; COMPUTE_PGM_RSRC2:SCRATCH_EN: 0
; COMPUTE_PGM_RSRC2:USER_SGPR: 6
; COMPUTE_PGM_RSRC2:TRAP_HANDLER: 0
; COMPUTE_PGM_RSRC2:TGID_X_EN: 1
; COMPUTE_PGM_RSRC2:TGID_Y_EN: 0
; COMPUTE_PGM_RSRC2:TGID_Z_EN: 0
; COMPUTE_PGM_RSRC2:TIDIG_COMP_CNT: 1
	.section	.text._ZN12_GLOBAL__N_121softmax_warp_backwardIfN3c104HalfEfLi10ELb1ELb0ELi64EEEvPT0_PKT_S7_iiiPKb,"axG",@progbits,_ZN12_GLOBAL__N_121softmax_warp_backwardIfN3c104HalfEfLi10ELb1ELb0ELi64EEEvPT0_PKT_S7_iiiPKb,comdat
	.globl	_ZN12_GLOBAL__N_121softmax_warp_backwardIfN3c104HalfEfLi10ELb1ELb0ELi64EEEvPT0_PKT_S7_iiiPKb ; -- Begin function _ZN12_GLOBAL__N_121softmax_warp_backwardIfN3c104HalfEfLi10ELb1ELb0ELi64EEEvPT0_PKT_S7_iiiPKb
	.p2align	8
	.type	_ZN12_GLOBAL__N_121softmax_warp_backwardIfN3c104HalfEfLi10ELb1ELb0ELi64EEEvPT0_PKT_S7_iiiPKb,@function
_ZN12_GLOBAL__N_121softmax_warp_backwardIfN3c104HalfEfLi10ELb1ELb0ELi64EEEvPT0_PKT_S7_iiiPKb: ; @_ZN12_GLOBAL__N_121softmax_warp_backwardIfN3c104HalfEfLi10ELb1ELb0ELi64EEEvPT0_PKT_S7_iiiPKb
; %bb.0:
	s_clause 0x1
	s_load_dword s0, s[4:5], 0x3c
	s_load_dwordx4 s[20:23], s[4:5], 0x18
	v_and_b32_e32 v7, 63, v0
	s_clause 0x1
	s_load_dwordx4 s[16:19], s[4:5], 0x0
	s_load_dwordx2 s[4:5], s[4:5], 0x10
	v_mov_b32_e32 v18, 0
	v_mov_b32_e32 v19, 0
	s_waitcnt lgkmcnt(0)
	s_lshr_b32 s0, s0, 16
	v_cmp_gt_i32_e32 vcc_lo, s22, v7
	v_mad_u64_u32 v[3:4], null, s6, s0, v[1:2]
	v_mad_u64_u32 v[1:2], null, v3, s21, v[7:8]
	v_sub_nc_u32_e32 v21, s20, v3
	v_cmp_lt_i32_e64 s3, 0, v21
	v_ashrrev_i32_e32 v2, 31, v1
	s_and_b32 s1, s3, vcc_lo
	v_lshlrev_b64 v[5:6], 2, v[1:2]
	v_add_co_u32 v3, s0, s18, v5
	v_add_co_ci_u32_e64 v4, null, s19, v6, s0
	v_add_co_u32 v5, s0, s4, v5
	v_add_co_ci_u32_e64 v6, null, s5, v6, s0
	s_and_saveexec_b32 s0, s1
	s_cbranch_execz .LBB296_2
; %bb.1:
	global_load_dword v19, v[3:4], off
	global_load_dword v18, v[5:6], off
.LBB296_2:
	s_or_b32 exec_lo, exec_lo, s0
	v_or_b32_e32 v8, 64, v7
	v_cmp_gt_i32_e64 s0, s22, v8
	s_and_b32 s1, s3, s0
	s_xor_b32 s1, s1, -1
	s_and_saveexec_b32 s2, s1
	s_xor_b32 s1, exec_lo, s2
                                        ; implicit-def: $vgpr8
                                        ; implicit-def: $vgpr9
                                        ; implicit-def: $vgpr11
                                        ; implicit-def: $vgpr12
                                        ; implicit-def: $vgpr13
                                        ; implicit-def: $vgpr14
                                        ; implicit-def: $vgpr15
                                        ; implicit-def: $vgpr16
                                        ; implicit-def: $vgpr17
                                        ; implicit-def: $vgpr20
                                        ; implicit-def: $vgpr22
                                        ; implicit-def: $vgpr23
                                        ; implicit-def: $vgpr25
                                        ; implicit-def: $vgpr24
                                        ; implicit-def: $vgpr10
; %bb.3:
	s_mov_b32 s2, 0
                                        ; implicit-def: $vgpr8
                                        ; implicit-def: $vgpr9
                                        ; implicit-def: $vgpr11
                                        ; implicit-def: $vgpr12
                                        ; implicit-def: $vgpr13
                                        ; implicit-def: $vgpr14
                                        ; implicit-def: $vgpr15
                                        ; implicit-def: $vgpr16
                                        ; implicit-def: $vgpr17
                                        ; implicit-def: $vgpr20
                                        ; implicit-def: $vgpr22
                                        ; implicit-def: $vgpr23
                                        ; implicit-def: $vgpr25
                                        ; implicit-def: $vgpr10
	v_mov_b32_e32 v24, s2
; %bb.4:
	s_or_saveexec_b32 s2, s1
	v_mov_b32_e32 v26, 1.0
	s_xor_b32 exec_lo, exec_lo, s2
	s_cbranch_execz .LBB296_6
; %bb.5:
	global_load_dword v26, v[5:6], off offset:256
	global_load_dword v24, v[3:4], off offset:256
	s_waitcnt vmcnt(1)
	v_mul_f32_e32 v27, 0x3fb8aa3b, v26
	v_cmp_ngt_f32_e64 s1, 0xc2ce8ed0, v26
	v_rndne_f32_e32 v28, v27
	v_fma_f32 v29, 0x3fb8aa3b, v26, -v27
	v_sub_f32_e32 v27, v27, v28
	v_fmamk_f32 v29, v26, 0x32a5705f, v29
	v_cvt_i32_f32_e32 v28, v28
	v_add_f32_e32 v27, v27, v29
	v_exp_f32_e32 v27, v27
	v_ldexp_f32 v27, v27, v28
	v_cndmask_b32_e64 v27, 0, v27, s1
	v_cmp_nlt_f32_e64 s1, 0x42b17218, v26
	v_cndmask_b32_e64 v26, 0x7f800000, v27, s1
.LBB296_6:
	s_or_b32 exec_lo, exec_lo, s2
	v_or_b32_e32 v27, 0x80, v7
	v_cmp_gt_i32_e64 s1, s22, v27
	s_and_b32 s2, s3, s1
	s_xor_b32 s2, s2, -1
	s_and_saveexec_b32 s4, s2
	s_xor_b32 s2, exec_lo, s4
; %bb.7:
	s_mov_b32 s4, 0
	v_mov_b32_e32 v25, s4
; %bb.8:
	s_or_saveexec_b32 s4, s2
	v_mov_b32_e32 v27, 1.0
	s_xor_b32 exec_lo, exec_lo, s4
	s_cbranch_execz .LBB296_10
; %bb.9:
	global_load_dword v27, v[5:6], off offset:512
	global_load_dword v25, v[3:4], off offset:512
	s_waitcnt vmcnt(1)
	v_mul_f32_e32 v28, 0x3fb8aa3b, v27
	v_cmp_ngt_f32_e64 s2, 0xc2ce8ed0, v27
	v_rndne_f32_e32 v29, v28
	v_fma_f32 v30, 0x3fb8aa3b, v27, -v28
	v_sub_f32_e32 v28, v28, v29
	v_fmamk_f32 v30, v27, 0x32a5705f, v30
	v_cvt_i32_f32_e32 v29, v29
	v_add_f32_e32 v28, v28, v30
	v_exp_f32_e32 v28, v28
	v_ldexp_f32 v28, v28, v29
	v_cndmask_b32_e64 v28, 0, v28, s2
	v_cmp_nlt_f32_e64 s2, 0x42b17218, v27
	v_cndmask_b32_e64 v27, 0x7f800000, v28, s2
.LBB296_10:
	s_or_b32 exec_lo, exec_lo, s4
	v_or_b32_e32 v28, 0xc0, v7
	v_cmp_gt_i32_e64 s2, s22, v28
	s_and_b32 s4, s3, s2
	s_xor_b32 s4, s4, -1
	s_and_saveexec_b32 s5, s4
	s_xor_b32 s4, exec_lo, s5
; %bb.11:
	s_mov_b32 s5, 0
	;; [unrolled: 33-line block ×7, first 2 shown]
	v_mov_b32_e32 v15, s10
; %bb.32:
	s_or_saveexec_b32 s10, s9
	v_mov_b32_e32 v33, 1.0
	s_xor_b32 exec_lo, exec_lo, s10
	s_cbranch_execz .LBB296_34
; %bb.33:
	v_add_co_u32 v33, s9, 0x800, v5
	v_add_co_ci_u32_e64 v34, null, 0, v6, s9
	global_load_dword v35, v[33:34], off
	v_add_co_u32 v33, s9, 0x800, v3
	v_add_co_ci_u32_e64 v34, null, 0, v4, s9
	global_load_dword v15, v[33:34], off
	s_waitcnt vmcnt(1)
	v_mul_f32_e32 v33, 0x3fb8aa3b, v35
	v_cmp_ngt_f32_e64 s9, 0xc2ce8ed0, v35
	v_fma_f32 v34, 0x3fb8aa3b, v35, -v33
	v_rndne_f32_e32 v36, v33
	v_fmamk_f32 v34, v35, 0x32a5705f, v34
	v_sub_f32_e32 v33, v33, v36
	v_add_f32_e32 v33, v33, v34
	v_cvt_i32_f32_e32 v34, v36
	v_exp_f32_e32 v33, v33
	v_ldexp_f32 v33, v33, v34
	v_cndmask_b32_e64 v33, 0, v33, s9
	v_cmp_nlt_f32_e64 s9, 0x42b17218, v35
	v_cndmask_b32_e64 v33, 0x7f800000, v33, s9
.LBB296_34:
	s_or_b32 exec_lo, exec_lo, s10
	v_or_b32_e32 v34, 0x240, v7
	v_cmp_gt_i32_e64 s9, s22, v34
	s_and_b32 s10, s3, s9
	s_xor_b32 s10, s10, -1
	s_and_saveexec_b32 s11, s10
	s_xor_b32 s10, exec_lo, s11
; %bb.35:
	s_mov_b32 s11, 0
	v_mov_b32_e32 v14, s11
; %bb.36:
	s_or_saveexec_b32 s11, s10
	v_mov_b32_e32 v34, 1.0
	s_xor_b32 exec_lo, exec_lo, s11
	s_cbranch_execz .LBB296_38
; %bb.37:
	v_add_co_u32 v34, s10, 0x800, v5
	v_add_co_ci_u32_e64 v35, null, 0, v6, s10
	global_load_dword v36, v[34:35], off offset:256
	v_add_co_u32 v34, s10, 0x800, v3
	v_add_co_ci_u32_e64 v35, null, 0, v4, s10
	global_load_dword v14, v[34:35], off offset:256
	s_waitcnt vmcnt(1)
	v_mul_f32_e32 v34, 0x3fb8aa3b, v36
	v_cmp_ngt_f32_e64 s10, 0xc2ce8ed0, v36
	v_fma_f32 v35, 0x3fb8aa3b, v36, -v34
	v_rndne_f32_e32 v37, v34
	v_fmamk_f32 v35, v36, 0x32a5705f, v35
	v_sub_f32_e32 v34, v34, v37
	v_add_f32_e32 v34, v34, v35
	v_cvt_i32_f32_e32 v35, v37
	v_exp_f32_e32 v34, v34
	v_ldexp_f32 v34, v34, v35
	v_cndmask_b32_e64 v34, 0, v34, s10
	v_cmp_nlt_f32_e64 s10, 0x42b17218, v36
	v_cndmask_b32_e64 v34, 0x7f800000, v34, s10
.LBB296_38:
	s_or_b32 exec_lo, exec_lo, s11
	v_or_b32_e32 v35, 0x280, v7
	v_cmp_gt_i32_e64 s10, s22, v35
	s_and_b32 s11, s3, s10
	s_xor_b32 s11, s11, -1
	s_and_saveexec_b32 s12, s11
	s_xor_b32 s11, exec_lo, s12
; %bb.39:
	s_mov_b32 s12, 0
	v_mov_b32_e32 v13, s12
; %bb.40:
	s_or_saveexec_b32 s12, s11
	v_mov_b32_e32 v35, 1.0
	s_xor_b32 exec_lo, exec_lo, s12
	s_cbranch_execz .LBB296_42
; %bb.41:
	v_add_co_u32 v35, s11, 0x800, v5
	v_add_co_ci_u32_e64 v36, null, 0, v6, s11
	global_load_dword v37, v[35:36], off offset:512
	v_add_co_u32 v35, s11, 0x800, v3
	v_add_co_ci_u32_e64 v36, null, 0, v4, s11
	global_load_dword v13, v[35:36], off offset:512
	s_waitcnt vmcnt(1)
	v_mul_f32_e32 v35, 0x3fb8aa3b, v37
	v_cmp_ngt_f32_e64 s11, 0xc2ce8ed0, v37
	v_fma_f32 v36, 0x3fb8aa3b, v37, -v35
	v_rndne_f32_e32 v38, v35
	v_fmamk_f32 v36, v37, 0x32a5705f, v36
	v_sub_f32_e32 v35, v35, v38
	v_add_f32_e32 v35, v35, v36
	v_cvt_i32_f32_e32 v36, v38
	v_exp_f32_e32 v35, v35
	v_ldexp_f32 v35, v35, v36
	v_cndmask_b32_e64 v35, 0, v35, s11
	v_cmp_nlt_f32_e64 s11, 0x42b17218, v37
	v_cndmask_b32_e64 v35, 0x7f800000, v35, s11
.LBB296_42:
	;; [unrolled: 37-line block ×6, first 2 shown]
	s_or_b32 exec_lo, exec_lo, s18
	v_or_b32_e32 v0, 0x3c0, v0
	v_cmp_gt_i32_e64 s15, s22, v0
	s_and_b32 s3, s3, s15
	s_xor_b32 s3, s3, -1
	s_and_saveexec_b32 s18, s3
	s_xor_b32 s3, exec_lo, s18
; %bb.59:
	s_mov_b32 s18, 0
                                        ; implicit-def: $vgpr3
                                        ; implicit-def: $vgpr5
	v_mov_b32_e32 v10, s18
; %bb.60:
	s_or_saveexec_b32 s18, s3
	v_mov_b32_e32 v39, 1.0
	s_xor_b32 exec_lo, exec_lo, s18
	s_cbranch_execz .LBB296_62
; %bb.61:
	v_add_co_u32 v5, s3, 0x800, v5
	v_add_co_ci_u32_e64 v6, null, 0, v6, s3
	v_add_co_u32 v3, s3, 0x800, v3
	v_add_co_ci_u32_e64 v4, null, 0, v4, s3
	global_load_dword v0, v[5:6], off offset:1792
	global_load_dword v10, v[3:4], off offset:1792
	s_waitcnt vmcnt(1)
	v_mul_f32_e32 v3, 0x3fb8aa3b, v0
	v_cmp_ngt_f32_e64 s3, 0xc2ce8ed0, v0
	v_fma_f32 v4, 0x3fb8aa3b, v0, -v3
	v_rndne_f32_e32 v5, v3
	v_fmamk_f32 v4, v0, 0x32a5705f, v4
	v_sub_f32_e32 v3, v3, v5
	v_add_f32_e32 v3, v3, v4
	v_cvt_i32_f32_e32 v4, v5
	v_exp_f32_e32 v3, v3
	v_ldexp_f32 v3, v3, v4
	v_cndmask_b32_e64 v3, 0, v3, s3
	v_cmp_nlt_f32_e64 s3, 0x42b17218, v0
	v_cndmask_b32_e64 v39, 0x7f800000, v3, s3
.LBB296_62:
	s_or_b32 exec_lo, exec_lo, s18
	s_waitcnt vmcnt(1)
	v_add_f32_e32 v0, 0, v19
	v_mbcnt_lo_u32_b32 v3, -1, 0
	s_mov_b32 s18, exec_lo
	s_waitcnt vmcnt(0)
	v_add_f32_e32 v0, v0, v24
	v_or_b32_e32 v4, 32, v3
	v_xor_b32_e32 v5, 16, v3
	v_add_f32_e32 v0, v0, v25
	v_cmp_gt_i32_e64 s3, 64, v4
	v_add_f32_e32 v0, v0, v23
	v_cndmask_b32_e64 v4, v3, v4, s3
	v_cmp_gt_i32_e64 s3, 64, v5
	v_add_f32_e32 v0, v0, v22
	v_lshlrev_b32_e32 v4, 2, v4
	v_cndmask_b32_e64 v5, v3, v5, s3
	v_add_f32_e32 v0, v0, v20
	v_lshlrev_b32_e32 v5, 2, v5
	v_add_f32_e32 v0, v0, v17
	v_add_f32_e32 v0, v0, v16
	;; [unrolled: 1-line block ×10, first 2 shown]
	ds_bpermute_b32 v4, v4, v0
	s_waitcnt lgkmcnt(0)
	v_add_f32_e32 v0, v0, v4
	ds_bpermute_b32 v4, v5, v0
	v_xor_b32_e32 v5, 8, v3
	v_cmp_gt_i32_e64 s3, 64, v5
	v_cndmask_b32_e64 v5, v3, v5, s3
	v_lshlrev_b32_e32 v5, 2, v5
	s_waitcnt lgkmcnt(0)
	v_add_f32_e32 v0, v0, v4
	ds_bpermute_b32 v4, v5, v0
	v_xor_b32_e32 v5, 4, v3
	v_cmp_gt_i32_e64 s3, 64, v5
	v_cndmask_b32_e64 v5, v3, v5, s3
	v_lshlrev_b32_e32 v5, 2, v5
	;; [unrolled: 7-line block ×3, first 2 shown]
	s_waitcnt lgkmcnt(0)
	v_add_f32_e32 v0, v0, v4
	ds_bpermute_b32 v4, v5, v0
	v_xor_b32_e32 v5, 1, v3
	v_cmp_gt_i32_e64 s3, 64, v5
	v_cndmask_b32_e64 v5, v3, v5, s3
	s_waitcnt lgkmcnt(0)
	v_add_f32_e32 v3, v0, v4
	v_lshlrev_b32_e32 v0, 2, v5
	ds_bpermute_b32 v4, v0, v3
	v_cmpx_lt_i32_e32 0, v21
	s_cbranch_execz .LBB296_80
; %bb.63:
	v_lshlrev_b64 v[0:1], 1, v[1:2]
	s_waitcnt lgkmcnt(0)
	v_add_f32_e32 v2, v3, v4
	v_add_co_u32 v0, s3, s16, v0
	v_add_co_ci_u32_e64 v1, null, s17, v1, s3
	s_and_saveexec_b32 s3, vcc_lo
	s_cbranch_execnz .LBB296_81
; %bb.64:
	s_or_b32 exec_lo, exec_lo, s3
	s_and_saveexec_b32 s3, s0
	s_cbranch_execnz .LBB296_82
.LBB296_65:
	s_or_b32 exec_lo, exec_lo, s3
	s_and_saveexec_b32 s0, s1
	s_cbranch_execnz .LBB296_83
.LBB296_66:
	s_or_b32 exec_lo, exec_lo, s0
	s_and_saveexec_b32 s0, s2
	s_cbranch_execnz .LBB296_84
.LBB296_67:
	s_or_b32 exec_lo, exec_lo, s0
	s_and_saveexec_b32 s0, s4
	s_cbranch_execnz .LBB296_85
.LBB296_68:
	s_or_b32 exec_lo, exec_lo, s0
	s_and_saveexec_b32 s0, s5
	s_cbranch_execnz .LBB296_86
.LBB296_69:
	s_or_b32 exec_lo, exec_lo, s0
	s_and_saveexec_b32 s0, s6
	s_cbranch_execnz .LBB296_87
.LBB296_70:
	s_or_b32 exec_lo, exec_lo, s0
	s_and_saveexec_b32 s0, s7
	s_cbranch_execnz .LBB296_88
.LBB296_71:
	s_or_b32 exec_lo, exec_lo, s0
	s_and_saveexec_b32 s0, s8
	s_cbranch_execnz .LBB296_89
.LBB296_72:
	s_or_b32 exec_lo, exec_lo, s0
	s_and_saveexec_b32 s0, s9
	s_cbranch_execnz .LBB296_90
.LBB296_73:
	s_or_b32 exec_lo, exec_lo, s0
	s_and_saveexec_b32 s0, s10
	s_cbranch_execnz .LBB296_91
.LBB296_74:
	s_or_b32 exec_lo, exec_lo, s0
	s_and_saveexec_b32 s0, s11
	s_cbranch_execnz .LBB296_92
.LBB296_75:
	s_or_b32 exec_lo, exec_lo, s0
	s_and_saveexec_b32 s0, s12
	s_cbranch_execnz .LBB296_93
.LBB296_76:
	s_or_b32 exec_lo, exec_lo, s0
	s_and_saveexec_b32 s0, s13
	s_cbranch_execnz .LBB296_94
.LBB296_77:
	s_or_b32 exec_lo, exec_lo, s0
	s_and_saveexec_b32 s0, s14
	s_cbranch_execnz .LBB296_95
.LBB296_78:
	s_or_b32 exec_lo, exec_lo, s0
	s_and_b32 exec_lo, exec_lo, s15
	s_cbranch_execz .LBB296_80
.LBB296_79:
	v_fma_mixlo_f16 v2, -v2, v39, v10
	global_store_short v[0:1], v2, off offset:1920
.LBB296_80:
	s_endpgm
.LBB296_81:
	v_mul_f32_e32 v3, 0x3fb8aa3b, v18
	v_cmp_ngt_f32_e32 vcc_lo, 0xc2ce8ed0, v18
	v_rndne_f32_e32 v4, v3
	v_fma_f32 v5, 0x3fb8aa3b, v18, -v3
	v_sub_f32_e32 v3, v3, v4
	v_fmamk_f32 v5, v18, 0x32a5705f, v5
	v_cvt_i32_f32_e32 v4, v4
	v_add_f32_e32 v3, v3, v5
	v_exp_f32_e32 v3, v3
	v_ldexp_f32 v3, v3, v4
	v_cndmask_b32_e32 v3, 0, v3, vcc_lo
	v_cmp_nlt_f32_e32 vcc_lo, 0x42b17218, v18
	v_cndmask_b32_e32 v3, 0x7f800000, v3, vcc_lo
	v_fma_mixlo_f16 v3, -v2, v3, v19
	global_store_short v[0:1], v3, off
	s_or_b32 exec_lo, exec_lo, s3
	s_and_saveexec_b32 s3, s0
	s_cbranch_execz .LBB296_65
.LBB296_82:
	v_fma_mixlo_f16 v3, -v2, v26, v24
	global_store_short v[0:1], v3, off offset:128
	s_or_b32 exec_lo, exec_lo, s3
	s_and_saveexec_b32 s0, s1
	s_cbranch_execz .LBB296_66
.LBB296_83:
	v_fma_mixlo_f16 v3, -v2, v27, v25
	global_store_short v[0:1], v3, off offset:256
	s_or_b32 exec_lo, exec_lo, s0
	s_and_saveexec_b32 s0, s2
	s_cbranch_execz .LBB296_67
.LBB296_84:
	v_fma_mixlo_f16 v3, -v2, v28, v23
	global_store_short v[0:1], v3, off offset:384
	s_or_b32 exec_lo, exec_lo, s0
	s_and_saveexec_b32 s0, s4
	s_cbranch_execz .LBB296_68
.LBB296_85:
	v_fma_mixlo_f16 v3, -v2, v29, v22
	global_store_short v[0:1], v3, off offset:512
	s_or_b32 exec_lo, exec_lo, s0
	s_and_saveexec_b32 s0, s5
	s_cbranch_execz .LBB296_69
.LBB296_86:
	v_fma_mixlo_f16 v3, -v2, v30, v20
	global_store_short v[0:1], v3, off offset:640
	s_or_b32 exec_lo, exec_lo, s0
	s_and_saveexec_b32 s0, s6
	s_cbranch_execz .LBB296_70
.LBB296_87:
	v_fma_mixlo_f16 v3, -v2, v31, v17
	global_store_short v[0:1], v3, off offset:768
	s_or_b32 exec_lo, exec_lo, s0
	s_and_saveexec_b32 s0, s7
	s_cbranch_execz .LBB296_71
.LBB296_88:
	v_fma_mixlo_f16 v3, -v2, v32, v16
	global_store_short v[0:1], v3, off offset:896
	s_or_b32 exec_lo, exec_lo, s0
	s_and_saveexec_b32 s0, s8
	s_cbranch_execz .LBB296_72
.LBB296_89:
	v_fma_mixlo_f16 v3, -v2, v33, v15
	global_store_short v[0:1], v3, off offset:1024
	s_or_b32 exec_lo, exec_lo, s0
	s_and_saveexec_b32 s0, s9
	s_cbranch_execz .LBB296_73
.LBB296_90:
	v_fma_mixlo_f16 v3, -v2, v34, v14
	global_store_short v[0:1], v3, off offset:1152
	s_or_b32 exec_lo, exec_lo, s0
	s_and_saveexec_b32 s0, s10
	s_cbranch_execz .LBB296_74
.LBB296_91:
	v_fma_mixlo_f16 v3, -v2, v35, v13
	global_store_short v[0:1], v3, off offset:1280
	s_or_b32 exec_lo, exec_lo, s0
	s_and_saveexec_b32 s0, s11
	s_cbranch_execz .LBB296_75
.LBB296_92:
	v_fma_mixlo_f16 v3, -v2, v36, v12
	global_store_short v[0:1], v3, off offset:1408
	s_or_b32 exec_lo, exec_lo, s0
	s_and_saveexec_b32 s0, s12
	s_cbranch_execz .LBB296_76
.LBB296_93:
	v_fma_mixlo_f16 v3, -v2, v37, v11
	global_store_short v[0:1], v3, off offset:1536
	s_or_b32 exec_lo, exec_lo, s0
	s_and_saveexec_b32 s0, s13
	s_cbranch_execz .LBB296_77
.LBB296_94:
	v_fma_mixlo_f16 v3, -v2, v38, v9
	global_store_short v[0:1], v3, off offset:1664
	s_or_b32 exec_lo, exec_lo, s0
	s_and_saveexec_b32 s0, s14
	s_cbranch_execz .LBB296_78
.LBB296_95:
	v_fma_mixlo_f16 v3, -v2, v7, v8
	global_store_short v[0:1], v3, off offset:1792
	s_or_b32 exec_lo, exec_lo, s0
	s_and_b32 exec_lo, exec_lo, s15
	s_cbranch_execnz .LBB296_79
	s_branch .LBB296_80
	.section	.rodata,"a",@progbits
	.p2align	6, 0x0
	.amdhsa_kernel _ZN12_GLOBAL__N_121softmax_warp_backwardIfN3c104HalfEfLi10ELb1ELb0ELi64EEEvPT0_PKT_S7_iiiPKb
		.amdhsa_group_segment_fixed_size 0
		.amdhsa_private_segment_fixed_size 0
		.amdhsa_kernarg_size 304
		.amdhsa_user_sgpr_count 6
		.amdhsa_user_sgpr_private_segment_buffer 1
		.amdhsa_user_sgpr_dispatch_ptr 0
		.amdhsa_user_sgpr_queue_ptr 0
		.amdhsa_user_sgpr_kernarg_segment_ptr 1
		.amdhsa_user_sgpr_dispatch_id 0
		.amdhsa_user_sgpr_flat_scratch_init 0
		.amdhsa_user_sgpr_private_segment_size 0
		.amdhsa_wavefront_size32 1
		.amdhsa_uses_dynamic_stack 0
		.amdhsa_system_sgpr_private_segment_wavefront_offset 0
		.amdhsa_system_sgpr_workgroup_id_x 1
		.amdhsa_system_sgpr_workgroup_id_y 0
		.amdhsa_system_sgpr_workgroup_id_z 0
		.amdhsa_system_sgpr_workgroup_info 0
		.amdhsa_system_vgpr_workitem_id 1
		.amdhsa_next_free_vgpr 42
		.amdhsa_next_free_sgpr 24
		.amdhsa_reserve_vcc 1
		.amdhsa_reserve_flat_scratch 0
		.amdhsa_float_round_mode_32 0
		.amdhsa_float_round_mode_16_64 0
		.amdhsa_float_denorm_mode_32 3
		.amdhsa_float_denorm_mode_16_64 3
		.amdhsa_dx10_clamp 1
		.amdhsa_ieee_mode 1
		.amdhsa_fp16_overflow 0
		.amdhsa_workgroup_processor_mode 1
		.amdhsa_memory_ordered 1
		.amdhsa_forward_progress 1
		.amdhsa_shared_vgpr_count 0
		.amdhsa_exception_fp_ieee_invalid_op 0
		.amdhsa_exception_fp_denorm_src 0
		.amdhsa_exception_fp_ieee_div_zero 0
		.amdhsa_exception_fp_ieee_overflow 0
		.amdhsa_exception_fp_ieee_underflow 0
		.amdhsa_exception_fp_ieee_inexact 0
		.amdhsa_exception_int_div_zero 0
	.end_amdhsa_kernel
	.section	.text._ZN12_GLOBAL__N_121softmax_warp_backwardIfN3c104HalfEfLi10ELb1ELb0ELi64EEEvPT0_PKT_S7_iiiPKb,"axG",@progbits,_ZN12_GLOBAL__N_121softmax_warp_backwardIfN3c104HalfEfLi10ELb1ELb0ELi64EEEvPT0_PKT_S7_iiiPKb,comdat
.Lfunc_end296:
	.size	_ZN12_GLOBAL__N_121softmax_warp_backwardIfN3c104HalfEfLi10ELb1ELb0ELi64EEEvPT0_PKT_S7_iiiPKb, .Lfunc_end296-_ZN12_GLOBAL__N_121softmax_warp_backwardIfN3c104HalfEfLi10ELb1ELb0ELi64EEEvPT0_PKT_S7_iiiPKb
                                        ; -- End function
	.set _ZN12_GLOBAL__N_121softmax_warp_backwardIfN3c104HalfEfLi10ELb1ELb0ELi64EEEvPT0_PKT_S7_iiiPKb.num_vgpr, 42
	.set _ZN12_GLOBAL__N_121softmax_warp_backwardIfN3c104HalfEfLi10ELb1ELb0ELi64EEEvPT0_PKT_S7_iiiPKb.num_agpr, 0
	.set _ZN12_GLOBAL__N_121softmax_warp_backwardIfN3c104HalfEfLi10ELb1ELb0ELi64EEEvPT0_PKT_S7_iiiPKb.numbered_sgpr, 24
	.set _ZN12_GLOBAL__N_121softmax_warp_backwardIfN3c104HalfEfLi10ELb1ELb0ELi64EEEvPT0_PKT_S7_iiiPKb.num_named_barrier, 0
	.set _ZN12_GLOBAL__N_121softmax_warp_backwardIfN3c104HalfEfLi10ELb1ELb0ELi64EEEvPT0_PKT_S7_iiiPKb.private_seg_size, 0
	.set _ZN12_GLOBAL__N_121softmax_warp_backwardIfN3c104HalfEfLi10ELb1ELb0ELi64EEEvPT0_PKT_S7_iiiPKb.uses_vcc, 1
	.set _ZN12_GLOBAL__N_121softmax_warp_backwardIfN3c104HalfEfLi10ELb1ELb0ELi64EEEvPT0_PKT_S7_iiiPKb.uses_flat_scratch, 0
	.set _ZN12_GLOBAL__N_121softmax_warp_backwardIfN3c104HalfEfLi10ELb1ELb0ELi64EEEvPT0_PKT_S7_iiiPKb.has_dyn_sized_stack, 0
	.set _ZN12_GLOBAL__N_121softmax_warp_backwardIfN3c104HalfEfLi10ELb1ELb0ELi64EEEvPT0_PKT_S7_iiiPKb.has_recursion, 0
	.set _ZN12_GLOBAL__N_121softmax_warp_backwardIfN3c104HalfEfLi10ELb1ELb0ELi64EEEvPT0_PKT_S7_iiiPKb.has_indirect_call, 0
	.section	.AMDGPU.csdata,"",@progbits
; Kernel info:
; codeLenInByte = 4256
; TotalNumSgprs: 26
; NumVgprs: 42
; ScratchSize: 0
; MemoryBound: 0
; FloatMode: 240
; IeeeMode: 1
; LDSByteSize: 0 bytes/workgroup (compile time only)
; SGPRBlocks: 0
; VGPRBlocks: 5
; NumSGPRsForWavesPerEU: 26
; NumVGPRsForWavesPerEU: 42
; Occupancy: 16
; WaveLimiterHint : 0
; COMPUTE_PGM_RSRC2:SCRATCH_EN: 0
; COMPUTE_PGM_RSRC2:USER_SGPR: 6
; COMPUTE_PGM_RSRC2:TRAP_HANDLER: 0
; COMPUTE_PGM_RSRC2:TGID_X_EN: 1
; COMPUTE_PGM_RSRC2:TGID_Y_EN: 0
; COMPUTE_PGM_RSRC2:TGID_Z_EN: 0
; COMPUTE_PGM_RSRC2:TIDIG_COMP_CNT: 1
	.section	.text._ZN12_GLOBAL__N_121softmax_warp_backwardIfN3c104HalfEfLi10ELb1ELb0ELi32EEEvPT0_PKT_S7_iiiPKb,"axG",@progbits,_ZN12_GLOBAL__N_121softmax_warp_backwardIfN3c104HalfEfLi10ELb1ELb0ELi32EEEvPT0_PKT_S7_iiiPKb,comdat
	.globl	_ZN12_GLOBAL__N_121softmax_warp_backwardIfN3c104HalfEfLi10ELb1ELb0ELi32EEEvPT0_PKT_S7_iiiPKb ; -- Begin function _ZN12_GLOBAL__N_121softmax_warp_backwardIfN3c104HalfEfLi10ELb1ELb0ELi32EEEvPT0_PKT_S7_iiiPKb
	.p2align	8
	.type	_ZN12_GLOBAL__N_121softmax_warp_backwardIfN3c104HalfEfLi10ELb1ELb0ELi32EEEvPT0_PKT_S7_iiiPKb,@function
_ZN12_GLOBAL__N_121softmax_warp_backwardIfN3c104HalfEfLi10ELb1ELb0ELi32EEEvPT0_PKT_S7_iiiPKb: ; @_ZN12_GLOBAL__N_121softmax_warp_backwardIfN3c104HalfEfLi10ELb1ELb0ELi32EEEvPT0_PKT_S7_iiiPKb
; %bb.0:
	s_clause 0x1
	s_load_dword s0, s[4:5], 0x3c
	s_load_dwordx4 s[40:43], s[4:5], 0x18
	v_and_b32_e32 v7, 31, v0
	s_clause 0x1
	s_load_dwordx4 s[36:39], s[4:5], 0x0
	s_load_dwordx2 s[4:5], s[4:5], 0x10
	v_mov_b32_e32 v30, 0
	v_mov_b32_e32 v33, 1.0
	s_waitcnt lgkmcnt(0)
	s_lshr_b32 s0, s0, 16
	v_cmp_gt_i32_e32 vcc_lo, s42, v7
	v_mad_u64_u32 v[3:4], null, s6, s0, v[1:2]
	v_mad_u64_u32 v[1:2], null, v3, s41, v[7:8]
	v_sub_nc_u32_e32 v31, s40, v3
	v_cmp_lt_i32_e64 s2, 0, v31
	v_ashrrev_i32_e32 v2, 31, v1
	v_lshlrev_b64 v[5:6], 2, v[1:2]
	v_add_co_u32 v3, s0, s38, v5
	v_add_co_ci_u32_e64 v4, null, s39, v6, s0
	v_add_co_u32 v5, s0, s4, v5
	v_add_co_ci_u32_e64 v6, null, s5, v6, s0
	s_and_b32 s0, s2, vcc_lo
	s_and_saveexec_b32 s1, s0
	s_cbranch_execz .LBB297_2
; %bb.1:
	global_load_dword v8, v[5:6], off
	global_load_dword v30, v[3:4], off
	s_waitcnt vmcnt(1)
	v_mul_f32_e32 v9, 0x3fb8aa3b, v8
	v_cmp_ngt_f32_e64 s0, 0xc2ce8ed0, v8
	v_rndne_f32_e32 v10, v9
	v_fma_f32 v11, 0x3fb8aa3b, v8, -v9
	v_sub_f32_e32 v9, v9, v10
	v_fmamk_f32 v11, v8, 0x32a5705f, v11
	v_cvt_i32_f32_e32 v10, v10
	v_add_f32_e32 v9, v9, v11
	v_exp_f32_e32 v9, v9
	v_ldexp_f32 v9, v9, v10
	v_cndmask_b32_e64 v9, 0, v9, s0
	v_cmp_nlt_f32_e64 s0, 0x42b17218, v8
	v_cndmask_b32_e64 v33, 0x7f800000, v9, s0
.LBB297_2:
	s_or_b32 exec_lo, exec_lo, s1
	v_or_b32_e32 v8, 32, v7
	v_cmp_gt_i32_e64 s0, s42, v8
	s_and_b32 s1, s2, s0
	s_xor_b32 s1, s1, -1
	s_mov_b32 s3, exec_lo
	s_and_b32 s4, s3, s1
                                        ; implicit-def: $vgpr8
                                        ; implicit-def: $vgpr9
                                        ; implicit-def: $vgpr10
                                        ; implicit-def: $vgpr11
                                        ; implicit-def: $vgpr12
                                        ; implicit-def: $vgpr14
                                        ; implicit-def: $vgpr15
                                        ; implicit-def: $vgpr16
                                        ; implicit-def: $vgpr17
                                        ; implicit-def: $vgpr18
                                        ; implicit-def: $vgpr19
                                        ; implicit-def: $vgpr20
                                        ; implicit-def: $vgpr21
                                        ; implicit-def: $vgpr22
                                        ; implicit-def: $vgpr23
                                        ; implicit-def: $vgpr24
                                        ; implicit-def: $vgpr25
                                        ; implicit-def: $vgpr26
                                        ; implicit-def: $vgpr27
                                        ; implicit-def: $vgpr28
                                        ; implicit-def: $vgpr29
                                        ; implicit-def: $vgpr32
                                        ; implicit-def: $vgpr34
                                        ; implicit-def: $vgpr35
                                        ; implicit-def: $vgpr36
                                        ; implicit-def: $vgpr37
                                        ; implicit-def: $vgpr38
                                        ; implicit-def: $vgpr40
                                        ; implicit-def: $vgpr41
                                        ; implicit-def: $vgpr39
                                        ; implicit-def: $vgpr13
	s_xor_b32 s1, s4, s3
	s_mov_b32 exec_lo, s4
; %bb.3:
	s_mov_b32 s3, 0
                                        ; implicit-def: $vgpr8
                                        ; implicit-def: $vgpr9
                                        ; implicit-def: $vgpr10
                                        ; implicit-def: $vgpr11
                                        ; implicit-def: $vgpr12
                                        ; implicit-def: $vgpr14
                                        ; implicit-def: $vgpr15
                                        ; implicit-def: $vgpr16
                                        ; implicit-def: $vgpr17
                                        ; implicit-def: $vgpr18
                                        ; implicit-def: $vgpr19
                                        ; implicit-def: $vgpr20
                                        ; implicit-def: $vgpr21
                                        ; implicit-def: $vgpr22
                                        ; implicit-def: $vgpr23
                                        ; implicit-def: $vgpr24
                                        ; implicit-def: $vgpr25
                                        ; implicit-def: $vgpr26
                                        ; implicit-def: $vgpr27
                                        ; implicit-def: $vgpr28
                                        ; implicit-def: $vgpr29
                                        ; implicit-def: $vgpr32
                                        ; implicit-def: $vgpr34
                                        ; implicit-def: $vgpr35
                                        ; implicit-def: $vgpr36
                                        ; implicit-def: $vgpr37
                                        ; implicit-def: $vgpr38
                                        ; implicit-def: $vgpr40
                                        ; implicit-def: $vgpr41
                                        ; implicit-def: $vgpr13
	v_mov_b32_e32 v39, s3
; %bb.4:
	s_or_saveexec_b32 s3, s1
	v_mov_b32_e32 v42, 1.0
	s_xor_b32 exec_lo, exec_lo, s3
	s_cbranch_execz .LBB297_6
; %bb.5:
	global_load_dword v42, v[5:6], off offset:128
	global_load_dword v39, v[3:4], off offset:128
	s_waitcnt vmcnt(1)
	v_mul_f32_e32 v43, 0x3fb8aa3b, v42
	v_cmp_ngt_f32_e64 s1, 0xc2ce8ed0, v42
	v_rndne_f32_e32 v44, v43
	v_fma_f32 v45, 0x3fb8aa3b, v42, -v43
	v_sub_f32_e32 v43, v43, v44
	v_fmamk_f32 v45, v42, 0x32a5705f, v45
	v_cvt_i32_f32_e32 v44, v44
	v_add_f32_e32 v43, v43, v45
	v_exp_f32_e32 v43, v43
	v_ldexp_f32 v43, v43, v44
	v_cndmask_b32_e64 v43, 0, v43, s1
	v_cmp_nlt_f32_e64 s1, 0x42b17218, v42
	v_cndmask_b32_e64 v42, 0x7f800000, v43, s1
.LBB297_6:
	s_or_b32 exec_lo, exec_lo, s3
	v_or_b32_e32 v43, 64, v7
	v_cmp_gt_i32_e64 s1, s42, v43
	s_and_b32 s3, s2, s1
	s_xor_b32 s3, s3, -1
	s_and_saveexec_b32 s4, s3
	s_xor_b32 s3, exec_lo, s4
; %bb.7:
	s_mov_b32 s4, 0
	v_mov_b32_e32 v41, s4
; %bb.8:
	s_or_saveexec_b32 s4, s3
	v_mov_b32_e32 v43, 1.0
	s_xor_b32 exec_lo, exec_lo, s4
	s_cbranch_execz .LBB297_10
; %bb.9:
	global_load_dword v43, v[5:6], off offset:256
	global_load_dword v41, v[3:4], off offset:256
	s_waitcnt vmcnt(1)
	v_mul_f32_e32 v44, 0x3fb8aa3b, v43
	v_cmp_ngt_f32_e64 s3, 0xc2ce8ed0, v43
	v_rndne_f32_e32 v45, v44
	v_fma_f32 v46, 0x3fb8aa3b, v43, -v44
	v_sub_f32_e32 v44, v44, v45
	v_fmamk_f32 v46, v43, 0x32a5705f, v46
	v_cvt_i32_f32_e32 v45, v45
	v_add_f32_e32 v44, v44, v46
	v_exp_f32_e32 v44, v44
	v_ldexp_f32 v44, v44, v45
	v_cndmask_b32_e64 v44, 0, v44, s3
	v_cmp_nlt_f32_e64 s3, 0x42b17218, v43
	v_cndmask_b32_e64 v43, 0x7f800000, v44, s3
.LBB297_10:
	s_or_b32 exec_lo, exec_lo, s4
	v_or_b32_e32 v44, 0x60, v7
	v_cmp_gt_i32_e64 s3, s42, v44
	s_and_b32 s4, s2, s3
	s_xor_b32 s4, s4, -1
	s_and_saveexec_b32 s5, s4
	s_xor_b32 s4, exec_lo, s5
; %bb.11:
	s_mov_b32 s5, 0
	v_mov_b32_e32 v40, s5
; %bb.12:
	s_or_saveexec_b32 s5, s4
	v_mov_b32_e32 v44, 1.0
	s_xor_b32 exec_lo, exec_lo, s5
	s_cbranch_execz .LBB297_14
; %bb.13:
	global_load_dword v44, v[5:6], off offset:384
	global_load_dword v40, v[3:4], off offset:384
	s_waitcnt vmcnt(1)
	v_mul_f32_e32 v45, 0x3fb8aa3b, v44
	v_cmp_ngt_f32_e64 s4, 0xc2ce8ed0, v44
	v_rndne_f32_e32 v46, v45
	v_fma_f32 v47, 0x3fb8aa3b, v44, -v45
	v_sub_f32_e32 v45, v45, v46
	v_fmamk_f32 v47, v44, 0x32a5705f, v47
	v_cvt_i32_f32_e32 v46, v46
	v_add_f32_e32 v45, v45, v47
	v_exp_f32_e32 v45, v45
	v_ldexp_f32 v45, v45, v46
	v_cndmask_b32_e64 v45, 0, v45, s4
	v_cmp_nlt_f32_e64 s4, 0x42b17218, v44
	v_cndmask_b32_e64 v44, 0x7f800000, v45, s4
.LBB297_14:
	s_or_b32 exec_lo, exec_lo, s5
	v_or_b32_e32 v45, 0x80, v7
	v_cmp_gt_i32_e64 s4, s42, v45
	s_and_b32 s5, s2, s4
	s_xor_b32 s5, s5, -1
	s_and_saveexec_b32 s6, s5
	s_xor_b32 s5, exec_lo, s6
; %bb.15:
	s_mov_b32 s6, 0
	v_mov_b32_e32 v38, s6
; %bb.16:
	s_or_saveexec_b32 s6, s5
	v_mov_b32_e32 v45, 1.0
	s_xor_b32 exec_lo, exec_lo, s6
	s_cbranch_execz .LBB297_18
; %bb.17:
	global_load_dword v45, v[5:6], off offset:512
	global_load_dword v38, v[3:4], off offset:512
	s_waitcnt vmcnt(1)
	v_mul_f32_e32 v46, 0x3fb8aa3b, v45
	v_cmp_ngt_f32_e64 s5, 0xc2ce8ed0, v45
	v_rndne_f32_e32 v47, v46
	v_fma_f32 v48, 0x3fb8aa3b, v45, -v46
	v_sub_f32_e32 v46, v46, v47
	v_fmamk_f32 v48, v45, 0x32a5705f, v48
	v_cvt_i32_f32_e32 v47, v47
	v_add_f32_e32 v46, v46, v48
	v_exp_f32_e32 v46, v46
	v_ldexp_f32 v46, v46, v47
	v_cndmask_b32_e64 v46, 0, v46, s5
	v_cmp_nlt_f32_e64 s5, 0x42b17218, v45
	v_cndmask_b32_e64 v45, 0x7f800000, v46, s5
.LBB297_18:
	s_or_b32 exec_lo, exec_lo, s6
	v_or_b32_e32 v46, 0xa0, v7
	v_cmp_gt_i32_e64 s5, s42, v46
	s_and_b32 s6, s2, s5
	s_xor_b32 s6, s6, -1
	s_and_saveexec_b32 s7, s6
	s_xor_b32 s6, exec_lo, s7
; %bb.19:
	s_mov_b32 s7, 0
	v_mov_b32_e32 v37, s7
; %bb.20:
	s_or_saveexec_b32 s7, s6
	v_mov_b32_e32 v46, 1.0
	s_xor_b32 exec_lo, exec_lo, s7
	s_cbranch_execz .LBB297_22
; %bb.21:
	global_load_dword v46, v[5:6], off offset:640
	global_load_dword v37, v[3:4], off offset:640
	s_waitcnt vmcnt(1)
	v_mul_f32_e32 v47, 0x3fb8aa3b, v46
	v_cmp_ngt_f32_e64 s6, 0xc2ce8ed0, v46
	v_rndne_f32_e32 v48, v47
	v_fma_f32 v49, 0x3fb8aa3b, v46, -v47
	v_sub_f32_e32 v47, v47, v48
	v_fmamk_f32 v49, v46, 0x32a5705f, v49
	v_cvt_i32_f32_e32 v48, v48
	v_add_f32_e32 v47, v47, v49
	v_exp_f32_e32 v47, v47
	v_ldexp_f32 v47, v47, v48
	v_cndmask_b32_e64 v47, 0, v47, s6
	v_cmp_nlt_f32_e64 s6, 0x42b17218, v46
	v_cndmask_b32_e64 v46, 0x7f800000, v47, s6
.LBB297_22:
	s_or_b32 exec_lo, exec_lo, s7
	v_or_b32_e32 v47, 0xc0, v7
	v_cmp_gt_i32_e64 s6, s42, v47
	s_and_b32 s7, s2, s6
	s_xor_b32 s7, s7, -1
	s_and_saveexec_b32 s8, s7
	s_xor_b32 s7, exec_lo, s8
; %bb.23:
	s_mov_b32 s8, 0
	v_mov_b32_e32 v36, s8
; %bb.24:
	s_or_saveexec_b32 s8, s7
	v_mov_b32_e32 v47, 1.0
	s_xor_b32 exec_lo, exec_lo, s8
	s_cbranch_execz .LBB297_26
; %bb.25:
	global_load_dword v47, v[5:6], off offset:768
	global_load_dword v36, v[3:4], off offset:768
	s_waitcnt vmcnt(1)
	v_mul_f32_e32 v48, 0x3fb8aa3b, v47
	v_cmp_ngt_f32_e64 s7, 0xc2ce8ed0, v47
	v_rndne_f32_e32 v49, v48
	v_fma_f32 v50, 0x3fb8aa3b, v47, -v48
	v_sub_f32_e32 v48, v48, v49
	v_fmamk_f32 v50, v47, 0x32a5705f, v50
	v_cvt_i32_f32_e32 v49, v49
	v_add_f32_e32 v48, v48, v50
	v_exp_f32_e32 v48, v48
	v_ldexp_f32 v48, v48, v49
	v_cndmask_b32_e64 v48, 0, v48, s7
	v_cmp_nlt_f32_e64 s7, 0x42b17218, v47
	v_cndmask_b32_e64 v47, 0x7f800000, v48, s7
.LBB297_26:
	s_or_b32 exec_lo, exec_lo, s8
	v_or_b32_e32 v48, 0xe0, v7
	v_cmp_gt_i32_e64 s7, s42, v48
	s_and_b32 s8, s2, s7
	s_xor_b32 s8, s8, -1
	s_and_saveexec_b32 s9, s8
	s_xor_b32 s8, exec_lo, s9
; %bb.27:
	s_mov_b32 s9, 0
	v_mov_b32_e32 v35, s9
; %bb.28:
	s_or_saveexec_b32 s9, s8
	v_mov_b32_e32 v48, 1.0
	s_xor_b32 exec_lo, exec_lo, s9
	s_cbranch_execz .LBB297_30
; %bb.29:
	global_load_dword v48, v[5:6], off offset:896
	global_load_dword v35, v[3:4], off offset:896
	s_waitcnt vmcnt(1)
	v_mul_f32_e32 v49, 0x3fb8aa3b, v48
	v_cmp_ngt_f32_e64 s8, 0xc2ce8ed0, v48
	v_rndne_f32_e32 v50, v49
	v_fma_f32 v51, 0x3fb8aa3b, v48, -v49
	v_sub_f32_e32 v49, v49, v50
	v_fmamk_f32 v51, v48, 0x32a5705f, v51
	v_cvt_i32_f32_e32 v50, v50
	v_add_f32_e32 v49, v49, v51
	v_exp_f32_e32 v49, v49
	v_ldexp_f32 v49, v49, v50
	v_cndmask_b32_e64 v49, 0, v49, s8
	v_cmp_nlt_f32_e64 s8, 0x42b17218, v48
	v_cndmask_b32_e64 v48, 0x7f800000, v49, s8
.LBB297_30:
	s_or_b32 exec_lo, exec_lo, s9
	v_or_b32_e32 v49, 0x100, v7
	v_cmp_gt_i32_e64 s8, s42, v49
	s_and_b32 s9, s2, s8
	s_xor_b32 s9, s9, -1
	s_and_saveexec_b32 s10, s9
	s_xor_b32 s9, exec_lo, s10
; %bb.31:
	s_mov_b32 s10, 0
	v_mov_b32_e32 v34, s10
; %bb.32:
	s_or_saveexec_b32 s10, s9
	v_mov_b32_e32 v49, 1.0
	s_xor_b32 exec_lo, exec_lo, s10
	s_cbranch_execz .LBB297_34
; %bb.33:
	global_load_dword v49, v[5:6], off offset:1024
	global_load_dword v34, v[3:4], off offset:1024
	s_waitcnt vmcnt(1)
	v_mul_f32_e32 v50, 0x3fb8aa3b, v49
	v_cmp_ngt_f32_e64 s9, 0xc2ce8ed0, v49
	v_rndne_f32_e32 v51, v50
	v_fma_f32 v52, 0x3fb8aa3b, v49, -v50
	v_sub_f32_e32 v50, v50, v51
	v_fmamk_f32 v52, v49, 0x32a5705f, v52
	v_cvt_i32_f32_e32 v51, v51
	v_add_f32_e32 v50, v50, v52
	v_exp_f32_e32 v50, v50
	v_ldexp_f32 v50, v50, v51
	v_cndmask_b32_e64 v50, 0, v50, s9
	v_cmp_nlt_f32_e64 s9, 0x42b17218, v49
	v_cndmask_b32_e64 v49, 0x7f800000, v50, s9
.LBB297_34:
	s_or_b32 exec_lo, exec_lo, s10
	v_or_b32_e32 v50, 0x120, v7
	v_cmp_gt_i32_e64 s9, s42, v50
	s_and_b32 s10, s2, s9
	s_xor_b32 s10, s10, -1
	s_and_saveexec_b32 s11, s10
	s_xor_b32 s10, exec_lo, s11
; %bb.35:
	s_mov_b32 s11, 0
	v_mov_b32_e32 v32, s11
; %bb.36:
	s_or_saveexec_b32 s11, s10
	v_mov_b32_e32 v50, 1.0
	s_xor_b32 exec_lo, exec_lo, s11
	s_cbranch_execz .LBB297_38
; %bb.37:
	global_load_dword v50, v[5:6], off offset:1152
	global_load_dword v32, v[3:4], off offset:1152
	s_waitcnt vmcnt(1)
	v_mul_f32_e32 v51, 0x3fb8aa3b, v50
	v_cmp_ngt_f32_e64 s10, 0xc2ce8ed0, v50
	v_rndne_f32_e32 v52, v51
	v_fma_f32 v53, 0x3fb8aa3b, v50, -v51
	v_sub_f32_e32 v51, v51, v52
	v_fmamk_f32 v53, v50, 0x32a5705f, v53
	v_cvt_i32_f32_e32 v52, v52
	v_add_f32_e32 v51, v51, v53
	v_exp_f32_e32 v51, v51
	v_ldexp_f32 v51, v51, v52
	v_cndmask_b32_e64 v51, 0, v51, s10
	v_cmp_nlt_f32_e64 s10, 0x42b17218, v50
	v_cndmask_b32_e64 v50, 0x7f800000, v51, s10
.LBB297_38:
	s_or_b32 exec_lo, exec_lo, s11
	v_or_b32_e32 v51, 0x140, v7
	v_cmp_gt_i32_e64 s10, s42, v51
	s_and_b32 s11, s2, s10
	s_xor_b32 s11, s11, -1
	s_and_saveexec_b32 s12, s11
	s_xor_b32 s11, exec_lo, s12
; %bb.39:
	s_mov_b32 s12, 0
	v_mov_b32_e32 v29, s12
; %bb.40:
	s_or_saveexec_b32 s12, s11
	v_mov_b32_e32 v51, 1.0
	s_xor_b32 exec_lo, exec_lo, s12
	s_cbranch_execz .LBB297_42
; %bb.41:
	global_load_dword v51, v[5:6], off offset:1280
	global_load_dword v29, v[3:4], off offset:1280
	s_waitcnt vmcnt(1)
	v_mul_f32_e32 v52, 0x3fb8aa3b, v51
	v_cmp_ngt_f32_e64 s11, 0xc2ce8ed0, v51
	v_rndne_f32_e32 v53, v52
	v_fma_f32 v54, 0x3fb8aa3b, v51, -v52
	v_sub_f32_e32 v52, v52, v53
	v_fmamk_f32 v54, v51, 0x32a5705f, v54
	v_cvt_i32_f32_e32 v53, v53
	v_add_f32_e32 v52, v52, v54
	v_exp_f32_e32 v52, v52
	v_ldexp_f32 v52, v52, v53
	v_cndmask_b32_e64 v52, 0, v52, s11
	v_cmp_nlt_f32_e64 s11, 0x42b17218, v51
	v_cndmask_b32_e64 v51, 0x7f800000, v52, s11
.LBB297_42:
	s_or_b32 exec_lo, exec_lo, s12
	v_or_b32_e32 v52, 0x160, v7
	v_cmp_gt_i32_e64 s11, s42, v52
	s_and_b32 s12, s2, s11
	s_xor_b32 s12, s12, -1
	s_and_saveexec_b32 s13, s12
	s_xor_b32 s12, exec_lo, s13
; %bb.43:
	s_mov_b32 s13, 0
	v_mov_b32_e32 v28, s13
; %bb.44:
	s_or_saveexec_b32 s13, s12
	v_mov_b32_e32 v52, 1.0
	s_xor_b32 exec_lo, exec_lo, s13
	s_cbranch_execz .LBB297_46
; %bb.45:
	global_load_dword v52, v[5:6], off offset:1408
	global_load_dword v28, v[3:4], off offset:1408
	s_waitcnt vmcnt(1)
	v_mul_f32_e32 v53, 0x3fb8aa3b, v52
	v_cmp_ngt_f32_e64 s12, 0xc2ce8ed0, v52
	v_rndne_f32_e32 v54, v53
	v_fma_f32 v55, 0x3fb8aa3b, v52, -v53
	v_sub_f32_e32 v53, v53, v54
	v_fmamk_f32 v55, v52, 0x32a5705f, v55
	v_cvt_i32_f32_e32 v54, v54
	v_add_f32_e32 v53, v53, v55
	v_exp_f32_e32 v53, v53
	v_ldexp_f32 v53, v53, v54
	v_cndmask_b32_e64 v53, 0, v53, s12
	v_cmp_nlt_f32_e64 s12, 0x42b17218, v52
	v_cndmask_b32_e64 v52, 0x7f800000, v53, s12
.LBB297_46:
	s_or_b32 exec_lo, exec_lo, s13
	v_or_b32_e32 v53, 0x180, v7
	v_cmp_gt_i32_e64 s12, s42, v53
	s_and_b32 s13, s2, s12
	s_xor_b32 s13, s13, -1
	s_and_saveexec_b32 s14, s13
	s_xor_b32 s13, exec_lo, s14
; %bb.47:
	s_mov_b32 s14, 0
	v_mov_b32_e32 v27, s14
; %bb.48:
	s_or_saveexec_b32 s14, s13
	v_mov_b32_e32 v53, 1.0
	s_xor_b32 exec_lo, exec_lo, s14
	s_cbranch_execz .LBB297_50
; %bb.49:
	global_load_dword v53, v[5:6], off offset:1536
	global_load_dword v27, v[3:4], off offset:1536
	s_waitcnt vmcnt(1)
	v_mul_f32_e32 v54, 0x3fb8aa3b, v53
	v_cmp_ngt_f32_e64 s13, 0xc2ce8ed0, v53
	v_rndne_f32_e32 v55, v54
	v_fma_f32 v56, 0x3fb8aa3b, v53, -v54
	v_sub_f32_e32 v54, v54, v55
	v_fmamk_f32 v56, v53, 0x32a5705f, v56
	v_cvt_i32_f32_e32 v55, v55
	v_add_f32_e32 v54, v54, v56
	v_exp_f32_e32 v54, v54
	v_ldexp_f32 v54, v54, v55
	v_cndmask_b32_e64 v54, 0, v54, s13
	v_cmp_nlt_f32_e64 s13, 0x42b17218, v53
	v_cndmask_b32_e64 v53, 0x7f800000, v54, s13
.LBB297_50:
	s_or_b32 exec_lo, exec_lo, s14
	v_or_b32_e32 v54, 0x1a0, v7
	v_cmp_gt_i32_e64 s13, s42, v54
	s_and_b32 s14, s2, s13
	s_xor_b32 s14, s14, -1
	s_and_saveexec_b32 s15, s14
	s_xor_b32 s14, exec_lo, s15
; %bb.51:
	s_mov_b32 s15, 0
	v_mov_b32_e32 v26, s15
; %bb.52:
	s_or_saveexec_b32 s15, s14
	v_mov_b32_e32 v54, 1.0
	s_xor_b32 exec_lo, exec_lo, s15
	s_cbranch_execz .LBB297_54
; %bb.53:
	global_load_dword v54, v[5:6], off offset:1664
	global_load_dword v26, v[3:4], off offset:1664
	s_waitcnt vmcnt(1)
	v_mul_f32_e32 v55, 0x3fb8aa3b, v54
	v_cmp_ngt_f32_e64 s14, 0xc2ce8ed0, v54
	v_rndne_f32_e32 v56, v55
	v_fma_f32 v57, 0x3fb8aa3b, v54, -v55
	v_sub_f32_e32 v55, v55, v56
	v_fmamk_f32 v57, v54, 0x32a5705f, v57
	v_cvt_i32_f32_e32 v56, v56
	v_add_f32_e32 v55, v55, v57
	v_exp_f32_e32 v55, v55
	v_ldexp_f32 v55, v55, v56
	v_cndmask_b32_e64 v55, 0, v55, s14
	v_cmp_nlt_f32_e64 s14, 0x42b17218, v54
	v_cndmask_b32_e64 v54, 0x7f800000, v55, s14
.LBB297_54:
	s_or_b32 exec_lo, exec_lo, s15
	v_or_b32_e32 v55, 0x1c0, v7
	v_cmp_gt_i32_e64 s14, s42, v55
	s_and_b32 s15, s2, s14
	s_xor_b32 s15, s15, -1
	s_and_saveexec_b32 s16, s15
	s_xor_b32 s15, exec_lo, s16
; %bb.55:
	s_mov_b32 s16, 0
	v_mov_b32_e32 v25, s16
; %bb.56:
	s_or_saveexec_b32 s16, s15
	v_mov_b32_e32 v55, 1.0
	s_xor_b32 exec_lo, exec_lo, s16
	s_cbranch_execz .LBB297_58
; %bb.57:
	global_load_dword v55, v[5:6], off offset:1792
	global_load_dword v25, v[3:4], off offset:1792
	s_waitcnt vmcnt(1)
	v_mul_f32_e32 v56, 0x3fb8aa3b, v55
	v_cmp_ngt_f32_e64 s15, 0xc2ce8ed0, v55
	v_rndne_f32_e32 v57, v56
	v_fma_f32 v58, 0x3fb8aa3b, v55, -v56
	v_sub_f32_e32 v56, v56, v57
	v_fmamk_f32 v58, v55, 0x32a5705f, v58
	v_cvt_i32_f32_e32 v57, v57
	v_add_f32_e32 v56, v56, v58
	v_exp_f32_e32 v56, v56
	v_ldexp_f32 v56, v56, v57
	v_cndmask_b32_e64 v56, 0, v56, s15
	v_cmp_nlt_f32_e64 s15, 0x42b17218, v55
	v_cndmask_b32_e64 v55, 0x7f800000, v56, s15
.LBB297_58:
	s_or_b32 exec_lo, exec_lo, s16
	v_or_b32_e32 v56, 0x1e0, v7
	v_cmp_gt_i32_e64 s15, s42, v56
	s_and_b32 s16, s2, s15
	s_xor_b32 s16, s16, -1
	s_and_saveexec_b32 s17, s16
	s_xor_b32 s16, exec_lo, s17
; %bb.59:
	s_mov_b32 s17, 0
	v_mov_b32_e32 v24, s17
; %bb.60:
	s_or_saveexec_b32 s17, s16
	v_mov_b32_e32 v56, 1.0
	s_xor_b32 exec_lo, exec_lo, s17
	s_cbranch_execz .LBB297_62
; %bb.61:
	global_load_dword v56, v[5:6], off offset:1920
	global_load_dword v24, v[3:4], off offset:1920
	s_waitcnt vmcnt(1)
	v_mul_f32_e32 v57, 0x3fb8aa3b, v56
	v_cmp_ngt_f32_e64 s16, 0xc2ce8ed0, v56
	v_rndne_f32_e32 v58, v57
	v_fma_f32 v59, 0x3fb8aa3b, v56, -v57
	v_sub_f32_e32 v57, v57, v58
	v_fmamk_f32 v59, v56, 0x32a5705f, v59
	v_cvt_i32_f32_e32 v58, v58
	v_add_f32_e32 v57, v57, v59
	v_exp_f32_e32 v57, v57
	v_ldexp_f32 v57, v57, v58
	v_cndmask_b32_e64 v57, 0, v57, s16
	v_cmp_nlt_f32_e64 s16, 0x42b17218, v56
	v_cndmask_b32_e64 v56, 0x7f800000, v57, s16
.LBB297_62:
	s_or_b32 exec_lo, exec_lo, s17
	v_or_b32_e32 v57, 0x200, v7
	v_cmp_gt_i32_e64 s16, s42, v57
	s_and_b32 s17, s2, s16
	s_xor_b32 s17, s17, -1
	s_and_saveexec_b32 s18, s17
	s_xor_b32 s17, exec_lo, s18
; %bb.63:
	s_mov_b32 s18, 0
	v_mov_b32_e32 v23, s18
; %bb.64:
	s_or_saveexec_b32 s18, s17
	v_mov_b32_e32 v57, 1.0
	s_xor_b32 exec_lo, exec_lo, s18
	s_cbranch_execz .LBB297_66
; %bb.65:
	v_add_co_u32 v57, s17, 0x800, v5
	v_add_co_ci_u32_e64 v58, null, 0, v6, s17
	global_load_dword v59, v[57:58], off
	v_add_co_u32 v57, s17, 0x800, v3
	v_add_co_ci_u32_e64 v58, null, 0, v4, s17
	global_load_dword v23, v[57:58], off
	s_waitcnt vmcnt(1)
	v_mul_f32_e32 v57, 0x3fb8aa3b, v59
	v_cmp_ngt_f32_e64 s17, 0xc2ce8ed0, v59
	v_fma_f32 v58, 0x3fb8aa3b, v59, -v57
	v_rndne_f32_e32 v60, v57
	v_fmamk_f32 v58, v59, 0x32a5705f, v58
	v_sub_f32_e32 v57, v57, v60
	v_add_f32_e32 v57, v57, v58
	v_cvt_i32_f32_e32 v58, v60
	v_exp_f32_e32 v57, v57
	v_ldexp_f32 v57, v57, v58
	v_cndmask_b32_e64 v57, 0, v57, s17
	v_cmp_nlt_f32_e64 s17, 0x42b17218, v59
	v_cndmask_b32_e64 v57, 0x7f800000, v57, s17
.LBB297_66:
	s_or_b32 exec_lo, exec_lo, s18
	v_or_b32_e32 v58, 0x220, v7
	v_cmp_gt_i32_e64 s17, s42, v58
	s_and_b32 s18, s2, s17
	s_xor_b32 s18, s18, -1
	s_and_saveexec_b32 s19, s18
	s_xor_b32 s18, exec_lo, s19
; %bb.67:
	s_mov_b32 s19, 0
	v_mov_b32_e32 v22, s19
; %bb.68:
	s_or_saveexec_b32 s19, s18
	v_mov_b32_e32 v58, 1.0
	s_xor_b32 exec_lo, exec_lo, s19
	s_cbranch_execz .LBB297_70
; %bb.69:
	v_add_co_u32 v58, s18, 0x800, v5
	v_add_co_ci_u32_e64 v59, null, 0, v6, s18
	global_load_dword v60, v[58:59], off offset:128
	v_add_co_u32 v58, s18, 0x800, v3
	v_add_co_ci_u32_e64 v59, null, 0, v4, s18
	global_load_dword v22, v[58:59], off offset:128
	s_waitcnt vmcnt(1)
	v_mul_f32_e32 v58, 0x3fb8aa3b, v60
	v_cmp_ngt_f32_e64 s18, 0xc2ce8ed0, v60
	v_fma_f32 v59, 0x3fb8aa3b, v60, -v58
	v_rndne_f32_e32 v61, v58
	v_fmamk_f32 v59, v60, 0x32a5705f, v59
	v_sub_f32_e32 v58, v58, v61
	v_add_f32_e32 v58, v58, v59
	v_cvt_i32_f32_e32 v59, v61
	v_exp_f32_e32 v58, v58
	v_ldexp_f32 v58, v58, v59
	v_cndmask_b32_e64 v58, 0, v58, s18
	v_cmp_nlt_f32_e64 s18, 0x42b17218, v60
	v_cndmask_b32_e64 v58, 0x7f800000, v58, s18
.LBB297_70:
	s_or_b32 exec_lo, exec_lo, s19
	v_or_b32_e32 v59, 0x240, v7
	v_cmp_gt_i32_e64 s18, s42, v59
	s_and_b32 s19, s2, s18
	s_xor_b32 s19, s19, -1
	s_and_saveexec_b32 s20, s19
	s_xor_b32 s19, exec_lo, s20
; %bb.71:
	s_mov_b32 s20, 0
	v_mov_b32_e32 v21, s20
; %bb.72:
	s_or_saveexec_b32 s20, s19
	v_mov_b32_e32 v59, 1.0
	s_xor_b32 exec_lo, exec_lo, s20
	s_cbranch_execz .LBB297_74
; %bb.73:
	v_add_co_u32 v59, s19, 0x800, v5
	v_add_co_ci_u32_e64 v60, null, 0, v6, s19
	global_load_dword v61, v[59:60], off offset:256
	v_add_co_u32 v59, s19, 0x800, v3
	v_add_co_ci_u32_e64 v60, null, 0, v4, s19
	global_load_dword v21, v[59:60], off offset:256
	s_waitcnt vmcnt(1)
	v_mul_f32_e32 v59, 0x3fb8aa3b, v61
	v_cmp_ngt_f32_e64 s19, 0xc2ce8ed0, v61
	v_fma_f32 v60, 0x3fb8aa3b, v61, -v59
	v_rndne_f32_e32 v62, v59
	v_fmamk_f32 v60, v61, 0x32a5705f, v60
	v_sub_f32_e32 v59, v59, v62
	v_add_f32_e32 v59, v59, v60
	v_cvt_i32_f32_e32 v60, v62
	v_exp_f32_e32 v59, v59
	v_ldexp_f32 v59, v59, v60
	v_cndmask_b32_e64 v59, 0, v59, s19
	v_cmp_nlt_f32_e64 s19, 0x42b17218, v61
	v_cndmask_b32_e64 v59, 0x7f800000, v59, s19
.LBB297_74:
	;; [unrolled: 37-line block ×14, first 2 shown]
	s_or_b32 exec_lo, exec_lo, s33
	v_or_b32_e32 v0, 0x3e0, v0
	v_cmp_gt_i32_e64 s31, s42, v0
	s_and_b32 s2, s2, s31
	s_xor_b32 s2, s2, -1
	s_and_saveexec_b32 s33, s2
	s_xor_b32 s2, exec_lo, s33
; %bb.123:
	s_mov_b32 s33, 0
                                        ; implicit-def: $vgpr3
                                        ; implicit-def: $vgpr5
	v_mov_b32_e32 v13, s33
; %bb.124:
	s_or_saveexec_b32 s33, s2
	v_mov_b32_e32 v71, 1.0
	s_xor_b32 exec_lo, exec_lo, s33
	s_cbranch_execz .LBB297_126
; %bb.125:
	v_add_co_u32 v5, s2, 0x800, v5
	v_add_co_ci_u32_e64 v6, null, 0, v6, s2
	v_add_co_u32 v3, s2, 0x800, v3
	v_add_co_ci_u32_e64 v4, null, 0, v4, s2
	global_load_dword v0, v[5:6], off offset:1920
	global_load_dword v13, v[3:4], off offset:1920
	s_waitcnt vmcnt(1)
	v_mul_f32_e32 v3, 0x3fb8aa3b, v0
	v_cmp_ngt_f32_e64 s2, 0xc2ce8ed0, v0
	v_fma_f32 v4, 0x3fb8aa3b, v0, -v3
	v_rndne_f32_e32 v5, v3
	v_fmamk_f32 v4, v0, 0x32a5705f, v4
	v_sub_f32_e32 v3, v3, v5
	v_add_f32_e32 v3, v3, v4
	v_cvt_i32_f32_e32 v4, v5
	v_exp_f32_e32 v3, v3
	v_ldexp_f32 v3, v3, v4
	v_cndmask_b32_e64 v3, 0, v3, s2
	v_cmp_nlt_f32_e64 s2, 0x42b17218, v0
	v_cndmask_b32_e64 v71, 0x7f800000, v3, s2
.LBB297_126:
	s_or_b32 exec_lo, exec_lo, s33
	s_waitcnt vmcnt(0)
	v_add_f32_e32 v0, 0, v30
	v_mbcnt_lo_u32_b32 v3, -1, 0
	s_mov_b32 s33, exec_lo
	v_add_f32_e32 v0, v0, v39
	v_xor_b32_e32 v4, 16, v3
	v_xor_b32_e32 v5, 8, v3
	v_add_f32_e32 v0, v0, v41
	v_cmp_gt_i32_e64 s2, 32, v4
	v_add_f32_e32 v0, v0, v40
	v_cndmask_b32_e64 v4, v3, v4, s2
	v_cmp_gt_i32_e64 s2, 32, v5
	v_add_f32_e32 v0, v0, v38
	v_lshlrev_b32_e32 v4, 2, v4
	v_cndmask_b32_e64 v5, v3, v5, s2
	v_add_f32_e32 v0, v0, v37
	v_lshlrev_b32_e32 v5, 2, v5
	v_add_f32_e32 v0, v0, v36
	v_add_f32_e32 v0, v0, v35
	;; [unrolled: 1-line block ×26, first 2 shown]
	ds_bpermute_b32 v4, v4, v0
	s_waitcnt lgkmcnt(0)
	v_add_f32_e32 v0, v0, v4
	ds_bpermute_b32 v4, v5, v0
	v_xor_b32_e32 v5, 4, v3
	v_cmp_gt_i32_e64 s2, 32, v5
	v_cndmask_b32_e64 v5, v3, v5, s2
	v_lshlrev_b32_e32 v5, 2, v5
	s_waitcnt lgkmcnt(0)
	v_add_f32_e32 v0, v0, v4
	ds_bpermute_b32 v4, v5, v0
	v_xor_b32_e32 v5, 2, v3
	v_cmp_gt_i32_e64 s2, 32, v5
	v_cndmask_b32_e64 v5, v3, v5, s2
	v_lshlrev_b32_e32 v5, 2, v5
	s_waitcnt lgkmcnt(0)
	v_add_f32_e32 v0, v0, v4
	ds_bpermute_b32 v4, v5, v0
	v_xor_b32_e32 v5, 1, v3
	v_cmp_gt_i32_e64 s2, 32, v5
	v_cndmask_b32_e64 v5, v3, v5, s2
	s_waitcnt lgkmcnt(0)
	v_add_f32_e32 v3, v0, v4
	v_lshlrev_b32_e32 v0, 2, v5
	ds_bpermute_b32 v4, v0, v3
	v_cmpx_lt_i32_e32 0, v31
	s_cbranch_execz .LBB297_160
; %bb.127:
	v_lshlrev_b64 v[0:1], 1, v[1:2]
	s_waitcnt lgkmcnt(0)
	v_add_f32_e32 v2, v3, v4
	v_add_co_u32 v0, s2, s36, v0
	v_add_co_ci_u32_e64 v1, null, s37, v1, s2
	s_and_saveexec_b32 s2, vcc_lo
	s_cbranch_execnz .LBB297_161
; %bb.128:
	s_or_b32 exec_lo, exec_lo, s2
	s_and_saveexec_b32 s2, s0
	s_cbranch_execnz .LBB297_162
.LBB297_129:
	s_or_b32 exec_lo, exec_lo, s2
	s_and_saveexec_b32 s0, s1
	s_cbranch_execnz .LBB297_163
.LBB297_130:
	s_or_b32 exec_lo, exec_lo, s0
	s_and_saveexec_b32 s0, s3
	s_cbranch_execnz .LBB297_164
.LBB297_131:
	s_or_b32 exec_lo, exec_lo, s0
	s_and_saveexec_b32 s0, s4
	s_cbranch_execnz .LBB297_165
.LBB297_132:
	s_or_b32 exec_lo, exec_lo, s0
	s_and_saveexec_b32 s0, s5
	s_cbranch_execnz .LBB297_166
.LBB297_133:
	s_or_b32 exec_lo, exec_lo, s0
	s_and_saveexec_b32 s0, s6
	s_cbranch_execnz .LBB297_167
.LBB297_134:
	s_or_b32 exec_lo, exec_lo, s0
	s_and_saveexec_b32 s0, s7
	s_cbranch_execnz .LBB297_168
.LBB297_135:
	s_or_b32 exec_lo, exec_lo, s0
	s_and_saveexec_b32 s0, s8
	s_cbranch_execnz .LBB297_169
.LBB297_136:
	s_or_b32 exec_lo, exec_lo, s0
	s_and_saveexec_b32 s0, s9
	s_cbranch_execnz .LBB297_170
.LBB297_137:
	s_or_b32 exec_lo, exec_lo, s0
	s_and_saveexec_b32 s0, s10
	s_cbranch_execnz .LBB297_171
.LBB297_138:
	s_or_b32 exec_lo, exec_lo, s0
	s_and_saveexec_b32 s0, s11
	s_cbranch_execnz .LBB297_172
.LBB297_139:
	s_or_b32 exec_lo, exec_lo, s0
	s_and_saveexec_b32 s0, s12
	s_cbranch_execnz .LBB297_173
.LBB297_140:
	s_or_b32 exec_lo, exec_lo, s0
	s_and_saveexec_b32 s0, s13
	s_cbranch_execnz .LBB297_174
.LBB297_141:
	s_or_b32 exec_lo, exec_lo, s0
	s_and_saveexec_b32 s0, s14
	s_cbranch_execnz .LBB297_175
.LBB297_142:
	s_or_b32 exec_lo, exec_lo, s0
	s_and_saveexec_b32 s0, s15
	s_cbranch_execnz .LBB297_176
.LBB297_143:
	s_or_b32 exec_lo, exec_lo, s0
	s_and_saveexec_b32 s0, s16
	s_cbranch_execnz .LBB297_177
.LBB297_144:
	s_or_b32 exec_lo, exec_lo, s0
	s_and_saveexec_b32 s0, s17
	s_cbranch_execnz .LBB297_178
.LBB297_145:
	s_or_b32 exec_lo, exec_lo, s0
	s_and_saveexec_b32 s0, s18
	s_cbranch_execnz .LBB297_179
.LBB297_146:
	s_or_b32 exec_lo, exec_lo, s0
	s_and_saveexec_b32 s0, s19
	s_cbranch_execnz .LBB297_180
.LBB297_147:
	s_or_b32 exec_lo, exec_lo, s0
	s_and_saveexec_b32 s0, s20
	s_cbranch_execnz .LBB297_181
.LBB297_148:
	s_or_b32 exec_lo, exec_lo, s0
	s_and_saveexec_b32 s0, s21
	s_cbranch_execnz .LBB297_182
.LBB297_149:
	s_or_b32 exec_lo, exec_lo, s0
	s_and_saveexec_b32 s0, s22
	s_cbranch_execnz .LBB297_183
.LBB297_150:
	s_or_b32 exec_lo, exec_lo, s0
	s_and_saveexec_b32 s0, s23
	s_cbranch_execnz .LBB297_184
.LBB297_151:
	s_or_b32 exec_lo, exec_lo, s0
	s_and_saveexec_b32 s0, s24
	s_cbranch_execnz .LBB297_185
.LBB297_152:
	s_or_b32 exec_lo, exec_lo, s0
	s_and_saveexec_b32 s0, s25
	s_cbranch_execnz .LBB297_186
.LBB297_153:
	s_or_b32 exec_lo, exec_lo, s0
	s_and_saveexec_b32 s0, s26
	s_cbranch_execnz .LBB297_187
.LBB297_154:
	s_or_b32 exec_lo, exec_lo, s0
	s_and_saveexec_b32 s0, s27
	s_cbranch_execnz .LBB297_188
.LBB297_155:
	s_or_b32 exec_lo, exec_lo, s0
	s_and_saveexec_b32 s0, s28
	s_cbranch_execnz .LBB297_189
.LBB297_156:
	s_or_b32 exec_lo, exec_lo, s0
	s_and_saveexec_b32 s0, s29
	s_cbranch_execnz .LBB297_190
.LBB297_157:
	s_or_b32 exec_lo, exec_lo, s0
	s_and_saveexec_b32 s0, s30
	s_cbranch_execnz .LBB297_191
.LBB297_158:
	s_or_b32 exec_lo, exec_lo, s0
	s_and_b32 exec_lo, exec_lo, s31
	s_cbranch_execz .LBB297_160
.LBB297_159:
	v_fma_mixlo_f16 v2, -v2, v71, v13
	global_store_short v[0:1], v2, off offset:1984
.LBB297_160:
	s_endpgm
.LBB297_161:
	v_fma_mixlo_f16 v3, -v2, v33, v30
	global_store_short v[0:1], v3, off
	s_or_b32 exec_lo, exec_lo, s2
	s_and_saveexec_b32 s2, s0
	s_cbranch_execz .LBB297_129
.LBB297_162:
	v_fma_mixlo_f16 v3, -v2, v42, v39
	global_store_short v[0:1], v3, off offset:64
	s_or_b32 exec_lo, exec_lo, s2
	s_and_saveexec_b32 s0, s1
	s_cbranch_execz .LBB297_130
.LBB297_163:
	v_fma_mixlo_f16 v3, -v2, v43, v41
	global_store_short v[0:1], v3, off offset:128
	s_or_b32 exec_lo, exec_lo, s0
	s_and_saveexec_b32 s0, s3
	s_cbranch_execz .LBB297_131
.LBB297_164:
	v_fma_mixlo_f16 v3, -v2, v44, v40
	global_store_short v[0:1], v3, off offset:192
	s_or_b32 exec_lo, exec_lo, s0
	s_and_saveexec_b32 s0, s4
	s_cbranch_execz .LBB297_132
.LBB297_165:
	v_fma_mixlo_f16 v3, -v2, v45, v38
	global_store_short v[0:1], v3, off offset:256
	s_or_b32 exec_lo, exec_lo, s0
	s_and_saveexec_b32 s0, s5
	s_cbranch_execz .LBB297_133
.LBB297_166:
	v_fma_mixlo_f16 v3, -v2, v46, v37
	global_store_short v[0:1], v3, off offset:320
	s_or_b32 exec_lo, exec_lo, s0
	s_and_saveexec_b32 s0, s6
	s_cbranch_execz .LBB297_134
.LBB297_167:
	v_fma_mixlo_f16 v3, -v2, v47, v36
	global_store_short v[0:1], v3, off offset:384
	s_or_b32 exec_lo, exec_lo, s0
	s_and_saveexec_b32 s0, s7
	s_cbranch_execz .LBB297_135
.LBB297_168:
	v_fma_mixlo_f16 v3, -v2, v48, v35
	global_store_short v[0:1], v3, off offset:448
	s_or_b32 exec_lo, exec_lo, s0
	s_and_saveexec_b32 s0, s8
	s_cbranch_execz .LBB297_136
.LBB297_169:
	v_fma_mixlo_f16 v3, -v2, v49, v34
	global_store_short v[0:1], v3, off offset:512
	s_or_b32 exec_lo, exec_lo, s0
	s_and_saveexec_b32 s0, s9
	s_cbranch_execz .LBB297_137
.LBB297_170:
	v_fma_mixlo_f16 v3, -v2, v50, v32
	global_store_short v[0:1], v3, off offset:576
	s_or_b32 exec_lo, exec_lo, s0
	s_and_saveexec_b32 s0, s10
	s_cbranch_execz .LBB297_138
.LBB297_171:
	v_fma_mixlo_f16 v3, -v2, v51, v29
	global_store_short v[0:1], v3, off offset:640
	s_or_b32 exec_lo, exec_lo, s0
	s_and_saveexec_b32 s0, s11
	s_cbranch_execz .LBB297_139
.LBB297_172:
	v_fma_mixlo_f16 v3, -v2, v52, v28
	global_store_short v[0:1], v3, off offset:704
	s_or_b32 exec_lo, exec_lo, s0
	s_and_saveexec_b32 s0, s12
	s_cbranch_execz .LBB297_140
.LBB297_173:
	v_fma_mixlo_f16 v3, -v2, v53, v27
	global_store_short v[0:1], v3, off offset:768
	s_or_b32 exec_lo, exec_lo, s0
	s_and_saveexec_b32 s0, s13
	s_cbranch_execz .LBB297_141
.LBB297_174:
	v_fma_mixlo_f16 v3, -v2, v54, v26
	global_store_short v[0:1], v3, off offset:832
	s_or_b32 exec_lo, exec_lo, s0
	s_and_saveexec_b32 s0, s14
	s_cbranch_execz .LBB297_142
.LBB297_175:
	v_fma_mixlo_f16 v3, -v2, v55, v25
	global_store_short v[0:1], v3, off offset:896
	s_or_b32 exec_lo, exec_lo, s0
	s_and_saveexec_b32 s0, s15
	s_cbranch_execz .LBB297_143
.LBB297_176:
	v_fma_mixlo_f16 v3, -v2, v56, v24
	global_store_short v[0:1], v3, off offset:960
	s_or_b32 exec_lo, exec_lo, s0
	s_and_saveexec_b32 s0, s16
	s_cbranch_execz .LBB297_144
.LBB297_177:
	v_fma_mixlo_f16 v3, -v2, v57, v23
	global_store_short v[0:1], v3, off offset:1024
	s_or_b32 exec_lo, exec_lo, s0
	s_and_saveexec_b32 s0, s17
	s_cbranch_execz .LBB297_145
.LBB297_178:
	v_fma_mixlo_f16 v3, -v2, v58, v22
	global_store_short v[0:1], v3, off offset:1088
	s_or_b32 exec_lo, exec_lo, s0
	s_and_saveexec_b32 s0, s18
	s_cbranch_execz .LBB297_146
.LBB297_179:
	v_fma_mixlo_f16 v3, -v2, v59, v21
	global_store_short v[0:1], v3, off offset:1152
	s_or_b32 exec_lo, exec_lo, s0
	s_and_saveexec_b32 s0, s19
	s_cbranch_execz .LBB297_147
.LBB297_180:
	v_fma_mixlo_f16 v3, -v2, v60, v20
	global_store_short v[0:1], v3, off offset:1216
	s_or_b32 exec_lo, exec_lo, s0
	s_and_saveexec_b32 s0, s20
	s_cbranch_execz .LBB297_148
.LBB297_181:
	v_fma_mixlo_f16 v3, -v2, v61, v19
	global_store_short v[0:1], v3, off offset:1280
	s_or_b32 exec_lo, exec_lo, s0
	s_and_saveexec_b32 s0, s21
	s_cbranch_execz .LBB297_149
.LBB297_182:
	v_fma_mixlo_f16 v3, -v2, v62, v18
	global_store_short v[0:1], v3, off offset:1344
	s_or_b32 exec_lo, exec_lo, s0
	s_and_saveexec_b32 s0, s22
	s_cbranch_execz .LBB297_150
.LBB297_183:
	v_fma_mixlo_f16 v3, -v2, v63, v17
	global_store_short v[0:1], v3, off offset:1408
	s_or_b32 exec_lo, exec_lo, s0
	s_and_saveexec_b32 s0, s23
	s_cbranch_execz .LBB297_151
.LBB297_184:
	v_fma_mixlo_f16 v3, -v2, v64, v16
	global_store_short v[0:1], v3, off offset:1472
	s_or_b32 exec_lo, exec_lo, s0
	s_and_saveexec_b32 s0, s24
	s_cbranch_execz .LBB297_152
.LBB297_185:
	v_fma_mixlo_f16 v3, -v2, v65, v15
	global_store_short v[0:1], v3, off offset:1536
	s_or_b32 exec_lo, exec_lo, s0
	s_and_saveexec_b32 s0, s25
	s_cbranch_execz .LBB297_153
.LBB297_186:
	v_fma_mixlo_f16 v3, -v2, v66, v14
	global_store_short v[0:1], v3, off offset:1600
	s_or_b32 exec_lo, exec_lo, s0
	s_and_saveexec_b32 s0, s26
	s_cbranch_execz .LBB297_154
.LBB297_187:
	v_fma_mixlo_f16 v3, -v2, v67, v12
	global_store_short v[0:1], v3, off offset:1664
	s_or_b32 exec_lo, exec_lo, s0
	s_and_saveexec_b32 s0, s27
	s_cbranch_execz .LBB297_155
.LBB297_188:
	v_fma_mixlo_f16 v3, -v2, v68, v11
	global_store_short v[0:1], v3, off offset:1728
	s_or_b32 exec_lo, exec_lo, s0
	s_and_saveexec_b32 s0, s28
	s_cbranch_execz .LBB297_156
.LBB297_189:
	v_fma_mixlo_f16 v3, -v2, v69, v10
	global_store_short v[0:1], v3, off offset:1792
	s_or_b32 exec_lo, exec_lo, s0
	s_and_saveexec_b32 s0, s29
	s_cbranch_execz .LBB297_157
.LBB297_190:
	v_fma_mixlo_f16 v3, -v2, v70, v9
	global_store_short v[0:1], v3, off offset:1856
	s_or_b32 exec_lo, exec_lo, s0
	s_and_saveexec_b32 s0, s30
	s_cbranch_execz .LBB297_158
.LBB297_191:
	v_fma_mixlo_f16 v3, -v2, v7, v8
	global_store_short v[0:1], v3, off offset:1920
	s_or_b32 exec_lo, exec_lo, s0
	s_and_b32 exec_lo, exec_lo, s31
	s_cbranch_execnz .LBB297_159
	s_branch .LBB297_160
	.section	.rodata,"a",@progbits
	.p2align	6, 0x0
	.amdhsa_kernel _ZN12_GLOBAL__N_121softmax_warp_backwardIfN3c104HalfEfLi10ELb1ELb0ELi32EEEvPT0_PKT_S7_iiiPKb
		.amdhsa_group_segment_fixed_size 0
		.amdhsa_private_segment_fixed_size 0
		.amdhsa_kernarg_size 304
		.amdhsa_user_sgpr_count 6
		.amdhsa_user_sgpr_private_segment_buffer 1
		.amdhsa_user_sgpr_dispatch_ptr 0
		.amdhsa_user_sgpr_queue_ptr 0
		.amdhsa_user_sgpr_kernarg_segment_ptr 1
		.amdhsa_user_sgpr_dispatch_id 0
		.amdhsa_user_sgpr_flat_scratch_init 0
		.amdhsa_user_sgpr_private_segment_size 0
		.amdhsa_wavefront_size32 1
		.amdhsa_uses_dynamic_stack 0
		.amdhsa_system_sgpr_private_segment_wavefront_offset 0
		.amdhsa_system_sgpr_workgroup_id_x 1
		.amdhsa_system_sgpr_workgroup_id_y 0
		.amdhsa_system_sgpr_workgroup_id_z 0
		.amdhsa_system_sgpr_workgroup_info 0
		.amdhsa_system_vgpr_workitem_id 1
		.amdhsa_next_free_vgpr 74
		.amdhsa_next_free_sgpr 44
		.amdhsa_reserve_vcc 1
		.amdhsa_reserve_flat_scratch 0
		.amdhsa_float_round_mode_32 0
		.amdhsa_float_round_mode_16_64 0
		.amdhsa_float_denorm_mode_32 3
		.amdhsa_float_denorm_mode_16_64 3
		.amdhsa_dx10_clamp 1
		.amdhsa_ieee_mode 1
		.amdhsa_fp16_overflow 0
		.amdhsa_workgroup_processor_mode 1
		.amdhsa_memory_ordered 1
		.amdhsa_forward_progress 1
		.amdhsa_shared_vgpr_count 0
		.amdhsa_exception_fp_ieee_invalid_op 0
		.amdhsa_exception_fp_denorm_src 0
		.amdhsa_exception_fp_ieee_div_zero 0
		.amdhsa_exception_fp_ieee_overflow 0
		.amdhsa_exception_fp_ieee_underflow 0
		.amdhsa_exception_fp_ieee_inexact 0
		.amdhsa_exception_int_div_zero 0
	.end_amdhsa_kernel
	.section	.text._ZN12_GLOBAL__N_121softmax_warp_backwardIfN3c104HalfEfLi10ELb1ELb0ELi32EEEvPT0_PKT_S7_iiiPKb,"axG",@progbits,_ZN12_GLOBAL__N_121softmax_warp_backwardIfN3c104HalfEfLi10ELb1ELb0ELi32EEEvPT0_PKT_S7_iiiPKb,comdat
.Lfunc_end297:
	.size	_ZN12_GLOBAL__N_121softmax_warp_backwardIfN3c104HalfEfLi10ELb1ELb0ELi32EEEvPT0_PKT_S7_iiiPKb, .Lfunc_end297-_ZN12_GLOBAL__N_121softmax_warp_backwardIfN3c104HalfEfLi10ELb1ELb0ELi32EEEvPT0_PKT_S7_iiiPKb
                                        ; -- End function
	.set _ZN12_GLOBAL__N_121softmax_warp_backwardIfN3c104HalfEfLi10ELb1ELb0ELi32EEEvPT0_PKT_S7_iiiPKb.num_vgpr, 74
	.set _ZN12_GLOBAL__N_121softmax_warp_backwardIfN3c104HalfEfLi10ELb1ELb0ELi32EEEvPT0_PKT_S7_iiiPKb.num_agpr, 0
	.set _ZN12_GLOBAL__N_121softmax_warp_backwardIfN3c104HalfEfLi10ELb1ELb0ELi32EEEvPT0_PKT_S7_iiiPKb.numbered_sgpr, 44
	.set _ZN12_GLOBAL__N_121softmax_warp_backwardIfN3c104HalfEfLi10ELb1ELb0ELi32EEEvPT0_PKT_S7_iiiPKb.num_named_barrier, 0
	.set _ZN12_GLOBAL__N_121softmax_warp_backwardIfN3c104HalfEfLi10ELb1ELb0ELi32EEEvPT0_PKT_S7_iiiPKb.private_seg_size, 0
	.set _ZN12_GLOBAL__N_121softmax_warp_backwardIfN3c104HalfEfLi10ELb1ELb0ELi32EEEvPT0_PKT_S7_iiiPKb.uses_vcc, 1
	.set _ZN12_GLOBAL__N_121softmax_warp_backwardIfN3c104HalfEfLi10ELb1ELb0ELi32EEEvPT0_PKT_S7_iiiPKb.uses_flat_scratch, 0
	.set _ZN12_GLOBAL__N_121softmax_warp_backwardIfN3c104HalfEfLi10ELb1ELb0ELi32EEEvPT0_PKT_S7_iiiPKb.has_dyn_sized_stack, 0
	.set _ZN12_GLOBAL__N_121softmax_warp_backwardIfN3c104HalfEfLi10ELb1ELb0ELi32EEEvPT0_PKT_S7_iiiPKb.has_recursion, 0
	.set _ZN12_GLOBAL__N_121softmax_warp_backwardIfN3c104HalfEfLi10ELb1ELb0ELi32EEEvPT0_PKT_S7_iiiPKb.has_indirect_call, 0
	.section	.AMDGPU.csdata,"",@progbits
; Kernel info:
; codeLenInByte = 8140
; TotalNumSgprs: 46
; NumVgprs: 74
; ScratchSize: 0
; MemoryBound: 0
; FloatMode: 240
; IeeeMode: 1
; LDSByteSize: 0 bytes/workgroup (compile time only)
; SGPRBlocks: 0
; VGPRBlocks: 9
; NumSGPRsForWavesPerEU: 46
; NumVGPRsForWavesPerEU: 74
; Occupancy: 12
; WaveLimiterHint : 0
; COMPUTE_PGM_RSRC2:SCRATCH_EN: 0
; COMPUTE_PGM_RSRC2:USER_SGPR: 6
; COMPUTE_PGM_RSRC2:TRAP_HANDLER: 0
; COMPUTE_PGM_RSRC2:TGID_X_EN: 1
; COMPUTE_PGM_RSRC2:TGID_Y_EN: 0
; COMPUTE_PGM_RSRC2:TGID_Z_EN: 0
; COMPUTE_PGM_RSRC2:TIDIG_COMP_CNT: 1
	.section	.text._ZN2at6native12_GLOBAL__N_124cunn_SoftMaxBackwardSmemILi4EN3c104HalfEffNS1_26LogSoftMaxBackwardEpilogueEEEvPT0_PKT2_SA_l,"axG",@progbits,_ZN2at6native12_GLOBAL__N_124cunn_SoftMaxBackwardSmemILi4EN3c104HalfEffNS1_26LogSoftMaxBackwardEpilogueEEEvPT0_PKT2_SA_l,comdat
	.globl	_ZN2at6native12_GLOBAL__N_124cunn_SoftMaxBackwardSmemILi4EN3c104HalfEffNS1_26LogSoftMaxBackwardEpilogueEEEvPT0_PKT2_SA_l ; -- Begin function _ZN2at6native12_GLOBAL__N_124cunn_SoftMaxBackwardSmemILi4EN3c104HalfEffNS1_26LogSoftMaxBackwardEpilogueEEEvPT0_PKT2_SA_l
	.p2align	8
	.type	_ZN2at6native12_GLOBAL__N_124cunn_SoftMaxBackwardSmemILi4EN3c104HalfEffNS1_26LogSoftMaxBackwardEpilogueEEEvPT0_PKT2_SA_l,@function
_ZN2at6native12_GLOBAL__N_124cunn_SoftMaxBackwardSmemILi4EN3c104HalfEffNS1_26LogSoftMaxBackwardEpilogueEEEvPT0_PKT2_SA_l: ; @_ZN2at6native12_GLOBAL__N_124cunn_SoftMaxBackwardSmemILi4EN3c104HalfEffNS1_26LogSoftMaxBackwardEpilogueEEEvPT0_PKT2_SA_l
; %bb.0:
	s_load_dwordx8 s[8:15], s[4:5], 0x0
	v_mov_b32_e32 v2, 0
	v_lshlrev_b32_e32 v1, 2, v0
	v_lshl_add_u32 v5, v0, 4, 0
	s_waitcnt lgkmcnt(0)
	v_cmp_gt_i64_e32 vcc_lo, s[14:15], v[1:2]
	s_mul_i32 s0, s15, s6
	s_mul_hi_u32 s1, s14, s6
	s_mul_i32 s2, s14, s6
	s_add_i32 s3, s1, s0
	s_and_saveexec_b32 s1, vcc_lo
	s_cbranch_execz .LBB298_4
; %bb.1:
	s_load_dword s0, s[4:5], 0x2c
	s_lshl_b64 s[6:7], s[2:3], 2
	v_lshl_add_u32 v6, v0, 4, 0
	s_add_u32 s6, s12, s6
	s_addc_u32 s7, s13, s7
	v_mov_b32_e32 v2, 0
	v_mov_b32_e32 v3, v0
	s_mov_b32 s13, 0
	s_waitcnt lgkmcnt(0)
	s_and_b32 s12, s0, 0xffff
	v_add_lshl_u32 v1, v0, s12, 2
	s_lshl_b32 s16, s12, 2
	s_lshl_b32 s17, s12, 4
	.p2align	6
.LBB298_2:                              ; =>This Inner Loop Header: Depth=1
	v_ashrrev_i32_e32 v4, 31, v3
	v_lshlrev_b64 v[7:8], 4, v[3:4]
	v_add_nc_u32_e32 v3, s12, v3
	v_add_co_u32 v7, s0, s6, v7
	v_add_co_ci_u32_e64 v8, null, s7, v8, s0
	global_load_dwordx4 v[7:10], v[7:8], off
	s_waitcnt vmcnt(0)
	v_add_f32_e32 v2, v2, v7
	ds_write_b128 v6, v[7:10]
	v_add_nc_u32_e32 v6, s17, v6
	v_add_f32_e32 v4, v2, v8
	v_ashrrev_i32_e32 v2, 31, v1
	v_add_f32_e32 v4, v4, v9
	v_cmp_le_i64_e64 s0, s[14:15], v[1:2]
	v_add_nc_u32_e32 v1, s16, v1
	v_add_f32_e32 v2, v4, v10
	s_or_b32 s13, s0, s13
	s_andn2_b32 exec_lo, exec_lo, s13
	s_cbranch_execnz .LBB298_2
; %bb.3:
	s_or_b32 exec_lo, exec_lo, s13
.LBB298_4:
	s_or_b32 exec_lo, exec_lo, s1
	v_mbcnt_lo_u32_b32 v6, -1, 0
	s_lshl_b32 s1, s14, 2
	s_mov_b32 s6, exec_lo
	s_add_i32 s1, s1, 0
	s_waitcnt lgkmcnt(0)
	v_lshl_or_b32 v1, v6, 2, 64
	v_cmp_gt_u32_e64 s0, 24, v6
	s_barrier
	buffer_gl0_inv
	ds_bpermute_b32 v4, v1, v2
	v_cndmask_b32_e64 v3, 0, 8, s0
	v_cmp_gt_u32_e64 s0, 28, v6
	v_add_lshl_u32 v3, v3, v6, 2
	s_waitcnt lgkmcnt(0)
	v_add_f32_e32 v4, v2, v4
	v_cndmask_b32_e64 v2, 0, 4, s0
	v_cmp_gt_u32_e64 s0, 30, v6
	ds_bpermute_b32 v7, v3, v4
	v_add_lshl_u32 v2, v2, v6, 2
	s_waitcnt lgkmcnt(0)
	v_add_f32_e32 v7, v4, v7
	v_cndmask_b32_e64 v4, 0, 2, s0
	v_cmp_ne_u32_e64 s0, 31, v6
	ds_bpermute_b32 v8, v2, v7
	v_add_lshl_u32 v4, v4, v6, 2
	v_add_co_ci_u32_e64 v6, null, 0, v6, s0
	v_lshlrev_b32_e32 v6, 2, v6
	s_waitcnt lgkmcnt(0)
	v_add_f32_e32 v7, v7, v8
	ds_bpermute_b32 v8, v4, v7
	s_waitcnt lgkmcnt(0)
	v_add_f32_e32 v8, v7, v8
	v_and_b32_e32 v7, 31, v0
	ds_bpermute_b32 v9, v6, v8
	v_cmpx_eq_u32_e32 0, v7
	s_cbranch_execz .LBB298_6
; %bb.5:
	v_lshrrev_b32_e32 v10, 3, v0
	s_waitcnt lgkmcnt(0)
	v_add_f32_e32 v8, v8, v9
	v_add_nc_u32_e32 v10, s1, v10
	ds_write_b32 v10, v8
.LBB298_6:
	s_or_b32 exec_lo, exec_lo, s6
	s_waitcnt lgkmcnt(0)
	s_barrier
	buffer_gl0_inv
	s_load_dword s4, s[4:5], 0x2c
	v_mov_b32_e32 v8, 0
	s_mov_b32 s5, exec_lo
	s_waitcnt lgkmcnt(0)
	s_bfe_u32 s0, s4, 0xb0005
	v_cmpx_gt_u32_e64 s0, v0
; %bb.7:
	v_lshl_add_u32 v7, v7, 2, s1
	ds_read_b32 v8, v7
; %bb.8:
	s_or_b32 exec_lo, exec_lo, s5
	s_mov_b32 s5, exec_lo
	v_cmpx_gt_u32_e32 32, v0
	s_cbranch_execz .LBB298_10
; %bb.9:
	s_waitcnt lgkmcnt(0)
	ds_bpermute_b32 v1, v1, v8
	s_waitcnt lgkmcnt(0)
	v_add_f32_e32 v1, v8, v1
	ds_bpermute_b32 v3, v3, v1
	s_waitcnt lgkmcnt(0)
	v_add_f32_e32 v1, v1, v3
	;; [unrolled: 3-line block ×5, first 2 shown]
.LBB298_10:
	s_or_b32 exec_lo, exec_lo, s5
	s_mov_b32 s5, exec_lo
	v_cmpx_eq_u32_e32 0, v0
	s_cbranch_execz .LBB298_12
; %bb.11:
	v_mov_b32_e32 v1, s1
	s_waitcnt lgkmcnt(0)
	ds_write_b32 v1, v8
.LBB298_12:
	s_or_b32 exec_lo, exec_lo, s5
	s_waitcnt lgkmcnt(0)
	s_barrier
	buffer_gl0_inv
	s_and_saveexec_b32 s0, vcc_lo
	s_cbranch_execz .LBB298_15
; %bb.13:
	v_mov_b32_e32 v1, s1
	s_lshl_b64 s[0:1], s[2:3], 1
	s_and_b32 s4, 0xffff, s4
	s_add_u32 s5, s8, s0
	s_addc_u32 s6, s9, s1
	ds_read_b32 v4, v1
	s_lshl_b64 s[0:1], s[2:3], 2
	v_add_lshl_u32 v2, v0, s4, 2
	s_add_u32 s7, s10, s0
	s_addc_u32 s8, s11, s1
	s_lshl_b32 s9, s4, 2
	s_mov_b32 s10, 0
	s_lshl_b32 s11, s4, 4
.LBB298_14:                             ; =>This Inner Loop Header: Depth=1
	v_ashrrev_i32_e32 v1, 31, v0
	v_ashrrev_i32_e32 v3, 31, v2
	ds_read_b128 v[10:13], v5
	v_add_nc_u32_e32 v5, s11, v5
	v_lshlrev_b64 v[6:7], 4, v[0:1]
	v_lshlrev_b64 v[14:15], 3, v[0:1]
	v_add_nc_u32_e32 v0, s4, v0
	v_add_co_u32 v6, vcc_lo, s7, v6
	v_add_co_ci_u32_e64 v7, null, s8, v7, vcc_lo
	v_cmp_le_i64_e32 vcc_lo, s[14:15], v[2:3]
	v_add_nc_u32_e32 v2, s9, v2
	global_load_dwordx4 v[6:9], v[6:7], off
	s_or_b32 s10, vcc_lo, s10
	s_waitcnt vmcnt(0)
	v_mul_f32_e32 v1, 0x3fb8aa3b, v6
	v_mul_f32_e32 v3, 0x3fb8aa3b, v7
	;; [unrolled: 1-line block ×4, first 2 shown]
	v_cmp_ngt_f32_e64 s0, 0xc2ce8ed0, v7
	v_fma_f32 v18, 0x3fb8aa3b, v6, -v1
	v_rndne_f32_e32 v19, v1
	v_fma_f32 v20, 0x3fb8aa3b, v7, -v3
	v_rndne_f32_e32 v21, v3
	;; [unrolled: 2-line block ×4, first 2 shown]
	v_fmac_f32_e32 v18, 0x32a5705f, v6
	v_sub_f32_e32 v1, v1, v19
	v_fmac_f32_e32 v20, 0x32a5705f, v7
	v_sub_f32_e32 v3, v3, v21
	;; [unrolled: 2-line block ×4, first 2 shown]
	v_add_f32_e32 v1, v1, v18
	v_add_f32_e32 v3, v3, v20
	;; [unrolled: 1-line block ×3, first 2 shown]
	v_cvt_i32_f32_e32 v19, v19
	v_add_f32_e32 v17, v17, v24
	v_exp_f32_e32 v1, v1
	v_exp_f32_e32 v3, v3
	;; [unrolled: 1-line block ×3, first 2 shown]
	v_cvt_i32_f32_e32 v21, v21
	v_cvt_i32_f32_e32 v23, v23
	v_exp_f32_e32 v17, v17
	v_cvt_i32_f32_e32 v25, v25
	v_cmp_ngt_f32_e64 s1, 0xc2ce8ed0, v8
	v_cmp_ngt_f32_e64 s3, 0xc2ce8ed0, v6
	;; [unrolled: 1-line block ×3, first 2 shown]
	v_ldexp_f32 v1, v1, v19
	v_ldexp_f32 v3, v3, v21
	;; [unrolled: 1-line block ×4, first 2 shown]
	v_cndmask_b32_e64 v1, 0, v1, s3
	v_cndmask_b32_e64 v3, 0, v3, s0
	v_cmp_nlt_f32_e64 s0, 0x42b17218, v7
	v_cndmask_b32_e64 v7, 0, v16, s1
	v_cmp_nlt_f32_e64 s1, 0x42b17218, v8
	v_cmp_nlt_f32_e64 s3, 0x42b17218, v6
	v_cndmask_b32_e64 v8, 0, v17, s2
	v_cmp_nlt_f32_e64 s2, 0x42b17218, v9
	v_cndmask_b32_e64 v3, 0x7f800000, v3, s0
	v_cndmask_b32_e64 v7, 0x7f800000, v7, s1
	;; [unrolled: 1-line block ×4, first 2 shown]
	v_add_co_u32 v8, s0, s5, v14
	s_waitcnt lgkmcnt(0)
	v_fma_mixlo_f16 v6, -v4, v1, v10
	v_fma_mixlo_f16 v7, -v4, v7, v12
	v_add_co_ci_u32_e64 v9, null, s6, v15, s0
	v_fma_mixhi_f16 v6, -v4, v3, v11
	v_fma_mixhi_f16 v7, -v4, v16, v13
	global_store_dwordx2 v[8:9], v[6:7], off
	s_andn2_b32 exec_lo, exec_lo, s10
	s_cbranch_execnz .LBB298_14
.LBB298_15:
	s_endpgm
	.section	.rodata,"a",@progbits
	.p2align	6, 0x0
	.amdhsa_kernel _ZN2at6native12_GLOBAL__N_124cunn_SoftMaxBackwardSmemILi4EN3c104HalfEffNS1_26LogSoftMaxBackwardEpilogueEEEvPT0_PKT2_SA_l
		.amdhsa_group_segment_fixed_size 0
		.amdhsa_private_segment_fixed_size 0
		.amdhsa_kernarg_size 288
		.amdhsa_user_sgpr_count 6
		.amdhsa_user_sgpr_private_segment_buffer 1
		.amdhsa_user_sgpr_dispatch_ptr 0
		.amdhsa_user_sgpr_queue_ptr 0
		.amdhsa_user_sgpr_kernarg_segment_ptr 1
		.amdhsa_user_sgpr_dispatch_id 0
		.amdhsa_user_sgpr_flat_scratch_init 0
		.amdhsa_user_sgpr_private_segment_size 0
		.amdhsa_wavefront_size32 1
		.amdhsa_uses_dynamic_stack 0
		.amdhsa_system_sgpr_private_segment_wavefront_offset 0
		.amdhsa_system_sgpr_workgroup_id_x 1
		.amdhsa_system_sgpr_workgroup_id_y 0
		.amdhsa_system_sgpr_workgroup_id_z 0
		.amdhsa_system_sgpr_workgroup_info 0
		.amdhsa_system_vgpr_workitem_id 0
		.amdhsa_next_free_vgpr 26
		.amdhsa_next_free_sgpr 18
		.amdhsa_reserve_vcc 1
		.amdhsa_reserve_flat_scratch 0
		.amdhsa_float_round_mode_32 0
		.amdhsa_float_round_mode_16_64 0
		.amdhsa_float_denorm_mode_32 3
		.amdhsa_float_denorm_mode_16_64 3
		.amdhsa_dx10_clamp 1
		.amdhsa_ieee_mode 1
		.amdhsa_fp16_overflow 0
		.amdhsa_workgroup_processor_mode 1
		.amdhsa_memory_ordered 1
		.amdhsa_forward_progress 1
		.amdhsa_shared_vgpr_count 0
		.amdhsa_exception_fp_ieee_invalid_op 0
		.amdhsa_exception_fp_denorm_src 0
		.amdhsa_exception_fp_ieee_div_zero 0
		.amdhsa_exception_fp_ieee_overflow 0
		.amdhsa_exception_fp_ieee_underflow 0
		.amdhsa_exception_fp_ieee_inexact 0
		.amdhsa_exception_int_div_zero 0
	.end_amdhsa_kernel
	.section	.text._ZN2at6native12_GLOBAL__N_124cunn_SoftMaxBackwardSmemILi4EN3c104HalfEffNS1_26LogSoftMaxBackwardEpilogueEEEvPT0_PKT2_SA_l,"axG",@progbits,_ZN2at6native12_GLOBAL__N_124cunn_SoftMaxBackwardSmemILi4EN3c104HalfEffNS1_26LogSoftMaxBackwardEpilogueEEEvPT0_PKT2_SA_l,comdat
.Lfunc_end298:
	.size	_ZN2at6native12_GLOBAL__N_124cunn_SoftMaxBackwardSmemILi4EN3c104HalfEffNS1_26LogSoftMaxBackwardEpilogueEEEvPT0_PKT2_SA_l, .Lfunc_end298-_ZN2at6native12_GLOBAL__N_124cunn_SoftMaxBackwardSmemILi4EN3c104HalfEffNS1_26LogSoftMaxBackwardEpilogueEEEvPT0_PKT2_SA_l
                                        ; -- End function
	.set _ZN2at6native12_GLOBAL__N_124cunn_SoftMaxBackwardSmemILi4EN3c104HalfEffNS1_26LogSoftMaxBackwardEpilogueEEEvPT0_PKT2_SA_l.num_vgpr, 26
	.set _ZN2at6native12_GLOBAL__N_124cunn_SoftMaxBackwardSmemILi4EN3c104HalfEffNS1_26LogSoftMaxBackwardEpilogueEEEvPT0_PKT2_SA_l.num_agpr, 0
	.set _ZN2at6native12_GLOBAL__N_124cunn_SoftMaxBackwardSmemILi4EN3c104HalfEffNS1_26LogSoftMaxBackwardEpilogueEEEvPT0_PKT2_SA_l.numbered_sgpr, 18
	.set _ZN2at6native12_GLOBAL__N_124cunn_SoftMaxBackwardSmemILi4EN3c104HalfEffNS1_26LogSoftMaxBackwardEpilogueEEEvPT0_PKT2_SA_l.num_named_barrier, 0
	.set _ZN2at6native12_GLOBAL__N_124cunn_SoftMaxBackwardSmemILi4EN3c104HalfEffNS1_26LogSoftMaxBackwardEpilogueEEEvPT0_PKT2_SA_l.private_seg_size, 0
	.set _ZN2at6native12_GLOBAL__N_124cunn_SoftMaxBackwardSmemILi4EN3c104HalfEffNS1_26LogSoftMaxBackwardEpilogueEEEvPT0_PKT2_SA_l.uses_vcc, 1
	.set _ZN2at6native12_GLOBAL__N_124cunn_SoftMaxBackwardSmemILi4EN3c104HalfEffNS1_26LogSoftMaxBackwardEpilogueEEEvPT0_PKT2_SA_l.uses_flat_scratch, 0
	.set _ZN2at6native12_GLOBAL__N_124cunn_SoftMaxBackwardSmemILi4EN3c104HalfEffNS1_26LogSoftMaxBackwardEpilogueEEEvPT0_PKT2_SA_l.has_dyn_sized_stack, 0
	.set _ZN2at6native12_GLOBAL__N_124cunn_SoftMaxBackwardSmemILi4EN3c104HalfEffNS1_26LogSoftMaxBackwardEpilogueEEEvPT0_PKT2_SA_l.has_recursion, 0
	.set _ZN2at6native12_GLOBAL__N_124cunn_SoftMaxBackwardSmemILi4EN3c104HalfEffNS1_26LogSoftMaxBackwardEpilogueEEEvPT0_PKT2_SA_l.has_indirect_call, 0
	.section	.AMDGPU.csdata,"",@progbits
; Kernel info:
; codeLenInByte = 1328
; TotalNumSgprs: 20
; NumVgprs: 26
; ScratchSize: 0
; MemoryBound: 0
; FloatMode: 240
; IeeeMode: 1
; LDSByteSize: 0 bytes/workgroup (compile time only)
; SGPRBlocks: 0
; VGPRBlocks: 3
; NumSGPRsForWavesPerEU: 20
; NumVGPRsForWavesPerEU: 26
; Occupancy: 16
; WaveLimiterHint : 0
; COMPUTE_PGM_RSRC2:SCRATCH_EN: 0
; COMPUTE_PGM_RSRC2:USER_SGPR: 6
; COMPUTE_PGM_RSRC2:TRAP_HANDLER: 0
; COMPUTE_PGM_RSRC2:TGID_X_EN: 1
; COMPUTE_PGM_RSRC2:TGID_Y_EN: 0
; COMPUTE_PGM_RSRC2:TGID_Z_EN: 0
; COMPUTE_PGM_RSRC2:TIDIG_COMP_CNT: 0
	.section	.text._ZN2at6native12_GLOBAL__N_120cunn_SoftMaxBackwardILi4EN3c104HalfEffNS1_26LogSoftMaxBackwardEpilogueEEEvPT0_PKT2_SA_l,"axG",@progbits,_ZN2at6native12_GLOBAL__N_120cunn_SoftMaxBackwardILi4EN3c104HalfEffNS1_26LogSoftMaxBackwardEpilogueEEEvPT0_PKT2_SA_l,comdat
	.globl	_ZN2at6native12_GLOBAL__N_120cunn_SoftMaxBackwardILi4EN3c104HalfEffNS1_26LogSoftMaxBackwardEpilogueEEEvPT0_PKT2_SA_l ; -- Begin function _ZN2at6native12_GLOBAL__N_120cunn_SoftMaxBackwardILi4EN3c104HalfEffNS1_26LogSoftMaxBackwardEpilogueEEEvPT0_PKT2_SA_l
	.p2align	8
	.type	_ZN2at6native12_GLOBAL__N_120cunn_SoftMaxBackwardILi4EN3c104HalfEffNS1_26LogSoftMaxBackwardEpilogueEEEvPT0_PKT2_SA_l,@function
_ZN2at6native12_GLOBAL__N_120cunn_SoftMaxBackwardILi4EN3c104HalfEffNS1_26LogSoftMaxBackwardEpilogueEEEvPT0_PKT2_SA_l: ; @_ZN2at6native12_GLOBAL__N_120cunn_SoftMaxBackwardILi4EN3c104HalfEffNS1_26LogSoftMaxBackwardEpilogueEEEvPT0_PKT2_SA_l
; %bb.0:
	s_load_dwordx8 s[8:15], s[4:5], 0x0
	s_mov_b32 s3, 0
	s_waitcnt lgkmcnt(0)
	s_mul_i32 s0, s15, s6
	s_mul_hi_u32 s1, s14, s6
	s_mul_i32 s22, s14, s6
	s_add_i32 s23, s1, s0
	v_cmp_lt_i64_e64 s7, 0x7ffffffe, s[14:15]
	s_lshl_b64 s[28:29], s[22:23], 2
	s_mov_b64 s[18:19], s[14:15]
	s_add_u32 s16, s12, s28
	s_addc_u32 s17, s13, s29
	s_bfe_u32 s2, s16, 0x20002
	s_cmp_lg_u32 s2, 0
	s_cselect_b32 s30, -1, 0
	s_and_b32 vcc_lo, exec_lo, s7
	s_cbranch_vccz .LBB299_16
; %bb.1:
	v_mov_b32_e32 v1, 0
	s_add_u32 s0, s4, 32
	s_addc_u32 s1, s5, 0
	s_and_b32 vcc_lo, exec_lo, s30
	s_cbranch_vccz .LBB299_39
; %bb.2:
	s_lshl_b32 s0, s2, 2
	v_mov_b32_e32 v6, v1
	s_sub_u32 s24, s16, s0
	s_mov_b32 s26, 0
	s_subb_u32 s25, s17, 0
	s_mov_b32 s0, exec_lo
	v_cmpx_le_u64_e64 s[2:3], v[0:1]
	s_cbranch_execz .LBB299_4
; %bb.3:
	v_lshlrev_b32_e32 v2, 2, v0
	global_load_dword v2, v2, s[24:25]
	s_waitcnt vmcnt(0)
	v_add_f32_e32 v6, 0, v2
.LBB299_4:
	s_or_b32 exec_lo, exec_lo, s0
	s_load_dword s20, s[4:5], 0x2c
	s_add_u32 s21, s2, s14
	s_addc_u32 s27, 0, s15
	s_add_u32 s0, s4, 32
	s_addc_u32 s1, s5, 0
	s_waitcnt lgkmcnt(0)
	s_and_b32 s31, s20, 0xffff
	s_sub_u32 s20, s21, s31
	s_subb_u32 s21, s27, 0
	s_lshl_b32 s27, s31, 2
	s_add_u32 s24, s24, s27
	s_addc_u32 s25, s25, 0
	s_and_b32 vcc_lo, exec_lo, s26
	s_cbranch_vccz .LBB299_6
.LBB299_5:
	v_mov_b32_e32 v6, 0
	s_mov_b64 s[20:21], s[18:19]
	s_mov_b64 s[24:25], s[16:17]
.LBB299_6:
	s_load_dword s26, s[0:1], 0x0
	v_mov_b32_e32 v2, 0
	s_waitcnt lgkmcnt(0)
	s_cmp_lt_u32 s6, s26
	s_cselect_b32 s26, 12, 18
	s_add_u32 s0, s0, s26
	s_addc_u32 s1, s1, 0
	global_load_ushort v2, v2, s[0:1]
	s_mov_b32 s0, 0
	s_waitcnt vmcnt(0)
	v_readfirstlane_b32 s1, v2
	v_and_b32_e32 v7, 0xffff, v2
	s_and_b32 s26, 0xffff, s1
	s_mov_b32 s1, s21
	s_lshl_b32 s31, s26, 2
	s_cmp_lg_u64 s[0:1], 0
	s_cbranch_scc0 .LBB299_40
; %bb.7:
	v_cvt_f32_u32_e32 v2, s31
	s_sub_u32 s27, 0, s31
	s_subb_u32 s33, 0, 0
	v_fmamk_f32 v2, 0, 0x4f800000, v2
	v_rcp_f32_e32 v2, v2
	v_mul_f32_e32 v2, 0x5f7ffffc, v2
	v_mul_f32_e32 v3, 0x2f800000, v2
	v_trunc_f32_e32 v3, v3
	v_fmamk_f32 v2, v3, 0xcf800000, v2
	v_cvt_u32_f32_e32 v3, v3
	v_cvt_u32_f32_e32 v2, v2
	v_readfirstlane_b32 s1, v3
	v_readfirstlane_b32 s26, v2
	s_mul_i32 s34, s27, s1
	s_mul_hi_u32 s36, s27, s26
	s_mul_i32 s35, s33, s26
	s_add_i32 s34, s36, s34
	s_mul_i32 s37, s27, s26
	s_add_i32 s34, s34, s35
	s_mul_hi_u32 s36, s26, s37
	s_mul_i32 s39, s26, s34
	s_mul_hi_u32 s38, s1, s37
	s_mul_i32 s35, s1, s37
	s_mul_hi_u32 s37, s26, s34
	s_add_u32 s36, s36, s39
	s_addc_u32 s37, 0, s37
	s_mul_hi_u32 s40, s1, s34
	s_add_u32 s35, s36, s35
	s_mul_i32 s34, s1, s34
	s_addc_u32 s35, s37, s38
	s_addc_u32 s36, s40, 0
	s_add_u32 s34, s35, s34
	s_addc_u32 s35, 0, s36
	s_add_u32 s26, s26, s34
	s_cselect_b32 s34, -1, 0
	s_mul_hi_u32 s36, s27, s26
	s_cmp_lg_u32 s34, 0
	s_mul_i32 s34, s27, s26
	s_addc_u32 s1, s1, s35
	s_mul_i32 s33, s33, s26
	s_mul_i32 s27, s27, s1
	s_mul_hi_u32 s35, s26, s34
	s_add_i32 s27, s36, s27
	s_mul_hi_u32 s36, s1, s34
	s_add_i32 s27, s27, s33
	s_mul_i32 s33, s1, s34
	s_mul_i32 s38, s26, s27
	s_mul_hi_u32 s37, s26, s27
	s_add_u32 s35, s35, s38
	s_addc_u32 s37, 0, s37
	s_mul_hi_u32 s34, s1, s27
	s_add_u32 s33, s35, s33
	s_mul_i32 s27, s1, s27
	s_addc_u32 s33, s37, s36
	s_addc_u32 s34, s34, 0
	s_add_u32 s27, s33, s27
	s_addc_u32 s33, 0, s34
	s_add_u32 s26, s26, s27
	s_cselect_b32 s27, -1, 0
	s_mul_hi_u32 s34, s20, s26
	s_cmp_lg_u32 s27, 0
	s_mul_hi_u32 s27, s21, s26
	s_addc_u32 s1, s1, s33
	s_mul_i32 s26, s21, s26
	s_mul_i32 s35, s20, s1
	s_mul_hi_u32 s33, s20, s1
	s_add_u32 s34, s34, s35
	s_addc_u32 s33, 0, s33
	s_mul_hi_u32 s36, s21, s1
	s_add_u32 s26, s34, s26
	s_mul_i32 s1, s21, s1
	s_addc_u32 s26, s33, s27
	s_addc_u32 s27, s36, 0
	s_add_u32 s1, s26, s1
	s_addc_u32 s26, 0, s27
	s_mul_hi_u32 s27, s31, s1
	s_mul_i32 s26, s31, s26
	s_mul_i32 s1, s31, s1
	s_add_i32 s27, s27, s26
	s_sub_u32 s1, s20, s1
	s_cselect_b32 s26, -1, 0
	s_cmp_lg_u32 s26, 0
	s_subb_u32 s26, s21, s27
	s_sub_u32 s27, s1, s31
	s_cselect_b32 s33, -1, 0
	s_cmp_lg_u32 s33, 0
	s_subb_u32 s33, s26, 0
	;; [unrolled: 4-line block ×3, first 2 shown]
	s_cmp_ge_u32 s27, s31
	s_cselect_b32 s36, -1, 0
	s_cmp_eq_u32 s33, 0
	s_cselect_b32 s36, s36, -1
	s_cmp_lg_u32 s36, 0
	s_cselect_b32 s33, s35, s33
	s_cselect_b32 s34, s34, s27
	s_cmp_ge_u32 s1, s31
	s_cselect_b32 s27, -1, 0
	s_cmp_eq_u32 s26, 0
	s_cselect_b32 s27, s27, -1
	s_cmp_lg_u32 s27, 0
	s_cselect_b32 s27, s33, s26
	s_cselect_b32 s26, s34, s1
	s_andn2_b32 vcc_lo, exec_lo, s0
	s_cbranch_vccnz .LBB299_9
.LBB299_8:
	v_cvt_f32_u32_e32 v2, s31
	s_sub_i32 s1, 0, s31
	s_mov_b32 s27, 0
	v_rcp_iflag_f32_e32 v2, v2
	v_mul_f32_e32 v2, 0x4f7ffffe, v2
	v_cvt_u32_f32_e32 v2, v2
	v_readfirstlane_b32 s0, v2
	s_mul_i32 s1, s1, s0
	s_mul_hi_u32 s1, s0, s1
	s_add_i32 s0, s0, s1
	s_mul_hi_u32 s0, s20, s0
	s_mul_i32 s0, s0, s31
	s_sub_i32 s0, s20, s0
	s_sub_i32 s1, s0, s31
	s_cmp_ge_u32 s0, s31
	s_cselect_b32 s0, s1, s0
	s_sub_i32 s1, s0, s31
	s_cmp_ge_u32 s0, s31
	s_cselect_b32 s26, s1, s0
.LBB299_9:
	v_lshlrev_b32_e32 v2, 4, v0
	v_mov_b32_e32 v5, v1
	v_lshlrev_b32_e32 v8, 4, v7
	v_mov_b32_e32 v4, v0
	s_sub_u32 s26, s20, s26
	v_add_co_u32 v2, s0, s24, v2
	v_add_co_ci_u32_e64 v3, null, s25, 0, s0
	s_subb_u32 s27, s21, s27
	v_add_co_u32 v2, vcc_lo, v2, 8
	v_add_co_ci_u32_e64 v3, null, 0, v3, vcc_lo
	s_mov_b32 s1, 0
	.p2align	6
.LBB299_10:                             ; =>This Inner Loop Header: Depth=1
	global_load_dwordx4 v[9:12], v[2:3], off offset:-8
	v_add_co_u32 v4, vcc_lo, v4, v7
	v_add_co_ci_u32_e64 v5, null, 0, v5, vcc_lo
	v_add_co_u32 v2, s0, v2, v8
	v_add_co_ci_u32_e64 v3, null, 0, v3, s0
	v_lshlrev_b64 v[13:14], 2, v[4:5]
	v_cmp_le_i64_e32 vcc_lo, s[26:27], v[13:14]
	s_or_b32 s1, vcc_lo, s1
	s_waitcnt vmcnt(0)
	v_add_f32_e32 v1, v6, v9
	v_add_f32_e32 v1, v1, v10
	;; [unrolled: 1-line block ×4, first 2 shown]
	s_andn2_b32 exec_lo, exec_lo, s1
	s_cbranch_execnz .LBB299_10
; %bb.11:
	s_or_b32 exec_lo, exec_lo, s1
	v_add_co_u32 v1, s0, s26, v0
	v_add_co_ci_u32_e64 v2, null, s27, 0, s0
	s_mov_b32 s0, exec_lo
	v_cmpx_gt_u64_e64 s[20:21], v[1:2]
	s_cbranch_execz .LBB299_15
; %bb.12:
	s_mov_b32 s1, 0
	.p2align	6
.LBB299_13:                             ; =>This Inner Loop Header: Depth=1
	v_lshlrev_b64 v[3:4], 2, v[1:2]
	v_add_co_u32 v3, vcc_lo, s24, v3
	v_add_co_ci_u32_e64 v4, null, s25, v4, vcc_lo
	v_add_co_u32 v1, vcc_lo, v1, v7
	v_add_co_ci_u32_e64 v2, null, 0, v2, vcc_lo
	global_load_dword v3, v[3:4], off
	v_cmp_le_i64_e32 vcc_lo, s[20:21], v[1:2]
	s_or_b32 s1, vcc_lo, s1
	s_waitcnt vmcnt(0)
	v_add_f32_e32 v6, v6, v3
	s_andn2_b32 exec_lo, exec_lo, s1
	s_cbranch_execnz .LBB299_13
; %bb.14:
	s_or_b32 exec_lo, exec_lo, s1
.LBB299_15:
	s_or_b32 exec_lo, exec_lo, s0
	s_branch .LBB299_31
.LBB299_16:
                                        ; implicit-def: $vgpr6
	s_cbranch_execz .LBB299_31
; %bb.17:
	s_add_u32 s20, s4, 32
	s_addc_u32 s21, s5, 0
	s_and_b32 vcc_lo, exec_lo, s30
	s_cbranch_vccz .LBB299_41
; %bb.18:
	s_lshl_b64 s[0:1], s[2:3], 2
	v_cmp_le_u32_e32 vcc_lo, s2, v0
	s_sub_u32 s24, s16, s0
	s_subb_u32 s25, s17, s1
	s_add_i32 s1, s2, s14
	v_mov_b32_e32 v6, 0
	v_cmp_gt_i32_e64 s0, s1, v0
	s_and_b32 s20, vcc_lo, s0
	s_and_saveexec_b32 s0, s20
	s_cbranch_execz .LBB299_20
; %bb.19:
	v_lshlrev_b32_e32 v1, 2, v0
	global_load_dword v1, v1, s[24:25]
	s_waitcnt vmcnt(0)
	v_add_f32_e32 v6, 0, v1
.LBB299_20:
	s_or_b32 exec_lo, exec_lo, s0
	s_load_dword s0, s[4:5], 0x2c
	s_add_u32 s20, s4, 32
	s_addc_u32 s21, s5, 0
	s_waitcnt lgkmcnt(0)
	s_and_b32 s0, s0, 0xffff
	v_sub_nc_u32_e64 v1, s1, s0 clamp
	s_lshl_b32 s0, s0, 2
	s_add_u32 s0, s24, s0
	s_addc_u32 s1, s25, 0
	v_readfirstlane_b32 s26, v1
	s_branch .LBB299_22
.LBB299_21:
	v_mov_b32_e32 v6, 0
	s_mov_b32 s26, s14
	s_mov_b64 s[0:1], s[16:17]
.LBB299_22:
	s_load_dword s24, s[20:21], 0x0
	v_mov_b32_e32 v1, 0
	s_waitcnt lgkmcnt(0)
	s_cmp_lt_u32 s6, s24
	s_cselect_b32 s24, 12, 18
	s_add_u32 s20, s20, s24
	s_addc_u32 s21, s21, 0
	global_load_ushort v3, v1, s[20:21]
	s_waitcnt vmcnt(0)
	v_readfirstlane_b32 s20, v3
	s_lshl_b32 s20, s20, 2
	v_cvt_f32_u32_e32 v1, s20
	s_sub_i32 s24, 0, s20
	v_rcp_iflag_f32_e32 v1, v1
	v_mul_f32_e32 v1, 0x4f7ffffe, v1
	v_cvt_u32_f32_e32 v1, v1
	v_readfirstlane_b32 s21, v1
	v_lshlrev_b32_e32 v1, 2, v0
	s_mul_i32 s24, s24, s21
	s_mul_hi_u32 s24, s21, s24
	s_add_i32 s21, s21, s24
	s_mul_hi_u32 s21, s26, s21
	s_mul_i32 s21, s21, s20
	s_sub_i32 s21, s26, s21
	s_sub_i32 s24, s21, s20
	s_cmp_ge_u32 s21, s20
	s_cselect_b32 s21, s24, s21
	s_sub_i32 s24, s21, s20
	s_cmp_ge_u32 s21, s20
	s_cselect_b32 s20, s24, s21
	s_mov_b32 s24, 0
	s_sub_i32 s20, s26, s20
	s_mov_b32 s21, exec_lo
	v_cmpx_gt_i32_e64 s20, v1
	s_cbranch_execz .LBB299_26
; %bb.23:
	v_mov_b32_e32 v1, v0
	.p2align	6
.LBB299_24:                             ; =>This Inner Loop Header: Depth=1
	v_ashrrev_i32_e32 v2, 31, v1
	v_lshlrev_b64 v[4:5], 4, v[1:2]
	v_add_nc_u32_e32 v1, v1, v3
	v_add_co_u32 v4, vcc_lo, s0, v4
	v_add_co_ci_u32_e64 v5, null, s1, v5, vcc_lo
	global_load_dwordx4 v[7:10], v[4:5], off
	v_lshlrev_b32_e32 v4, 2, v1
	v_cmp_le_i32_e32 vcc_lo, s20, v4
	s_or_b32 s24, vcc_lo, s24
	s_waitcnt vmcnt(0)
	v_add_f32_e32 v2, v6, v7
	v_add_f32_e32 v2, v2, v8
	v_add_f32_e32 v2, v2, v9
	v_add_f32_e32 v6, v2, v10
	s_andn2_b32 exec_lo, exec_lo, s24
	s_cbranch_execnz .LBB299_24
; %bb.25:
	s_or_b32 exec_lo, exec_lo, s24
.LBB299_26:
	s_or_b32 exec_lo, exec_lo, s21
	v_add_nc_u32_e32 v1, s20, v0
	s_mov_b32 s20, exec_lo
	v_cmpx_gt_i32_e64 s26, v1
	s_cbranch_execz .LBB299_30
; %bb.27:
	s_mov_b32 s21, 0
.LBB299_28:                             ; =>This Inner Loop Header: Depth=1
	v_ashrrev_i32_e32 v2, 31, v1
	v_lshlrev_b64 v[4:5], 2, v[1:2]
	v_add_nc_u32_e32 v1, v1, v3
	v_add_co_u32 v4, vcc_lo, s0, v4
	v_add_co_ci_u32_e64 v5, null, s1, v5, vcc_lo
	v_cmp_le_i32_e32 vcc_lo, s26, v1
	global_load_dword v2, v[4:5], off
	s_or_b32 s21, vcc_lo, s21
	s_waitcnt vmcnt(0)
	v_add_f32_e32 v6, v6, v2
	s_andn2_b32 exec_lo, exec_lo, s21
	s_cbranch_execnz .LBB299_28
; %bb.29:
	s_or_b32 exec_lo, exec_lo, s21
.LBB299_30:
	s_or_b32 exec_lo, exec_lo, s20
.LBB299_31:
	v_lshl_add_u32 v1, v0, 2, 0
	s_barrier
	buffer_gl0_inv
	s_add_u32 s20, s4, 32
	ds_write_b32 v1, v6
	s_waitcnt lgkmcnt(0)
	s_barrier
	buffer_gl0_inv
	s_load_dword s1, s[4:5], 0x2c
	s_addc_u32 s21, s5, 0
	s_waitcnt lgkmcnt(0)
	s_bfe_u32 s0, s1, 0xb0005
	s_and_b32 s0, s0, 0xffff
	s_min_u32 s4, s0, 32
	v_cmp_gt_u32_e32 vcc_lo, s4, v0
	s_and_saveexec_b32 s4, vcc_lo
	s_cbranch_execz .LBB299_33
; %bb.32:
	v_mad_u32_u24 v10, 0x7c, v0, v1
	ds_read2_b32 v[2:3], v10 offset1:1
	ds_read2_b32 v[4:5], v10 offset0:2 offset1:3
	ds_read2_b32 v[6:7], v10 offset0:4 offset1:5
	;; [unrolled: 1-line block ×3, first 2 shown]
	s_waitcnt lgkmcnt(3)
	v_add_f32_e32 v2, 0, v2
	v_add_f32_e32 v2, v2, v3
	s_waitcnt lgkmcnt(2)
	v_add_f32_e32 v2, v2, v4
	v_add_f32_e32 v4, v2, v5
	ds_read2_b32 v[2:3], v10 offset0:8 offset1:9
	s_waitcnt lgkmcnt(2)
	v_add_f32_e32 v4, v4, v6
	v_add_f32_e32 v6, v4, v7
	ds_read2_b32 v[4:5], v10 offset0:10 offset1:11
	;; [unrolled: 4-line block ×3, first 2 shown]
	ds_read2_b32 v[8:9], v10 offset0:14 offset1:15
	s_waitcnt lgkmcnt(3)
	v_add_f32_e32 v2, v11, v2
	v_add_f32_e32 v2, v2, v3
	s_waitcnt lgkmcnt(2)
	v_add_f32_e32 v2, v2, v4
	v_add_f32_e32 v4, v2, v5
	ds_read2_b32 v[2:3], v10 offset0:16 offset1:17
	s_waitcnt lgkmcnt(2)
	v_add_f32_e32 v4, v4, v6
	v_add_f32_e32 v6, v4, v7
	ds_read2_b32 v[4:5], v10 offset0:18 offset1:19
	;; [unrolled: 4-line block ×3, first 2 shown]
	ds_read2_b32 v[8:9], v10 offset0:22 offset1:23
	s_waitcnt lgkmcnt(3)
	v_add_f32_e32 v2, v11, v2
	v_add_f32_e32 v2, v2, v3
	s_waitcnt lgkmcnt(2)
	v_add_f32_e32 v2, v2, v4
	v_add_f32_e32 v2, v2, v5
	s_waitcnt lgkmcnt(1)
	v_add_f32_e32 v4, v2, v6
	ds_read2_b32 v[2:3], v10 offset0:24 offset1:25
	v_add_f32_e32 v4, v4, v7
	s_waitcnt lgkmcnt(1)
	v_add_f32_e32 v6, v4, v8
	ds_read2_b32 v[4:5], v10 offset0:26 offset1:27
	v_add_f32_e32 v11, v6, v9
	ds_read2_b32 v[6:7], v10 offset0:28 offset1:29
	ds_read2_b32 v[8:9], v10 offset0:30 offset1:31
	s_waitcnt lgkmcnt(3)
	v_add_f32_e32 v2, v11, v2
	v_add_f32_e32 v2, v2, v3
	s_waitcnt lgkmcnt(2)
	v_add_f32_e32 v2, v2, v4
	v_add_f32_e32 v2, v2, v5
	;; [unrolled: 3-line block ×4, first 2 shown]
	ds_write_b32 v1, v2
.LBB299_33:
	s_or_b32 exec_lo, exec_lo, s4
	s_and_b32 s33, 0xffff, s1
	s_mov_b32 s1, exec_lo
	s_waitcnt lgkmcnt(0)
	s_barrier
	buffer_gl0_inv
	v_cmpx_eq_u32_e32 0, v0
	s_cbranch_execz .LBB299_46
; %bb.34:
	v_mov_b32_e32 v1, 0
	s_cmp_lt_u32 s33, 32
	s_cbranch_scc1 .LBB299_45
; %bb.35:
	s_add_i32 s4, s0, -1
	v_mov_b32_e32 v1, 0
	s_and_b32 s4, s4, 0xffff
	s_cmp_lt_u32 s4, 7
	s_cbranch_scc1 .LBB299_42
; %bb.36:
	s_and_b32 s4, s0, 0x7f8
	s_mov_b32 s5, 0
	s_mov_b32 s24, 0
	.p2align	6
.LBB299_37:                             ; =>This Inner Loop Header: Depth=1
	v_mov_b32_e32 v8, s24
	s_add_i32 s5, s5, 8
	s_add_i32 s24, s24, 32
	s_cmp_eq_u32 s4, s5
	ds_read2_b32 v[2:3], v8 offset1:1
	ds_read2_b32 v[4:5], v8 offset0:2 offset1:3
	ds_read2_b32 v[6:7], v8 offset0:4 offset1:5
	;; [unrolled: 1-line block ×3, first 2 shown]
	s_waitcnt lgkmcnt(3)
	v_add_f32_e32 v1, v1, v2
	v_add_f32_e32 v1, v1, v3
	s_waitcnt lgkmcnt(2)
	v_add_f32_e32 v1, v1, v4
	v_add_f32_e32 v1, v1, v5
	;; [unrolled: 3-line block ×4, first 2 shown]
	s_cbranch_scc0 .LBB299_37
; %bb.38:
	s_and_b32 s0, s0, 7
	s_cmp_eq_u32 s0, 0
	s_cbranch_scc0 .LBB299_43
	s_branch .LBB299_45
.LBB299_39:
                                        ; implicit-def: $sgpr24_sgpr25
                                        ; implicit-def: $sgpr20_sgpr21
                                        ; implicit-def: $vgpr6
	s_cbranch_execnz .LBB299_5
	s_branch .LBB299_6
.LBB299_40:
                                        ; implicit-def: $sgpr26_sgpr27
	s_branch .LBB299_8
.LBB299_41:
                                        ; implicit-def: $sgpr0_sgpr1
                                        ; implicit-def: $sgpr26
                                        ; implicit-def: $vgpr6
	s_cbranch_execnz .LBB299_21
	s_branch .LBB299_22
.LBB299_42:
	s_mov_b32 s4, 0
	s_and_b32 s0, s0, 7
	s_cmp_eq_u32 s0, 0
	s_cbranch_scc1 .LBB299_45
.LBB299_43:
	s_lshl_b32 s4, s4, 2
	s_add_i32 s4, s4, 0
.LBB299_44:                             ; =>This Inner Loop Header: Depth=1
	v_mov_b32_e32 v2, s4
	s_add_i32 s0, s0, -1
	s_add_i32 s4, s4, 4
	s_cmp_lg_u32 s0, 0
	ds_read_b32 v2, v2
	s_waitcnt lgkmcnt(0)
	v_add_f32_e32 v1, v1, v2
	s_cbranch_scc1 .LBB299_44
.LBB299_45:
	v_mov_b32_e32 v2, 0
	ds_write_b32 v2, v1
.LBB299_46:
	s_or_b32 exec_lo, exec_lo, s1
	v_mov_b32_e32 v1, 0
	s_waitcnt lgkmcnt(0)
	s_barrier
	buffer_gl0_inv
	s_lshl_b64 s[30:31], s[22:23], 1
	ds_read_b32 v8, v1
	s_add_u32 s22, s8, s30
	s_addc_u32 s23, s9, s31
	s_add_u32 s24, s10, s28
	s_addc_u32 s25, s11, s29
	s_lshr_b64 s[0:1], s[22:23], 1
	s_mov_b32 s27, 0
	s_and_b32 s26, s0, 7
	s_bfe_u32 s0, s24, 0x20002
	s_mov_b32 s1, s27
	s_cmp_eq_u64 s[26:27], s[0:1]
	s_cselect_b32 s0, -1, 0
	s_cmp_eq_u64 s[26:27], s[2:3]
	s_cselect_b32 s1, -1, 0
	s_and_b32 s0, s0, s1
	s_andn2_b32 vcc_lo, exec_lo, s0
	s_mov_b32 s0, -1
	s_cbranch_vccz .LBB299_65
; %bb.47:
	s_and_b32 vcc_lo, exec_lo, s7
	s_cbranch_vccz .LBB299_56
; %bb.48:
	s_lshl_b32 s40, s33, 2
	s_mov_b32 s42, 0
	v_cvt_f32_u32_e32 v1, s40
	s_sub_i32 s1, 0, s40
	s_mov_b32 s41, exec_lo
	v_rcp_iflag_f32_e32 v1, v1
	v_mul_f32_e32 v1, 0x4f7ffffe, v1
	v_cvt_u32_f32_e32 v1, v1
	v_readfirstlane_b32 s0, v1
	v_mov_b32_e32 v1, 0
	s_mul_i32 s1, s1, s0
	v_mov_b32_e32 v3, v1
	s_mul_hi_u32 s1, s0, s1
	v_mov_b32_e32 v2, v0
	s_add_i32 s0, s0, s1
	s_mul_hi_u32 s0, s14, s0
	s_mul_i32 s0, s0, s40
	s_sub_i32 s0, s14, s0
	s_sub_i32 s1, s0, s40
	s_cmp_ge_u32 s0, s40
	s_cselect_b32 s0, s1, s0
	s_sub_i32 s1, s0, s40
	s_cmp_ge_u32 s0, s40
	s_cselect_b32 s0, s1, s0
	s_bfe_i64 s[4:5], s[14:15], 0x200000
	s_sub_u32 s34, s4, s0
	s_subb_u32 s35, s5, 0
	v_cmpx_gt_i64_e64 s[34:35], v[0:1]
	s_cbranch_execz .LBB299_52
; %bb.49:
	s_lshl_b32 s43, s33, 1
	s_lshl_b32 s44, s33, 4
	s_add_u32 s0, s28, s40
	s_addc_u32 s1, s29, 0
	s_add_u32 s45, s10, s0
	s_addc_u32 s46, s11, s1
	s_lshl_b32 s47, s33, 3
	s_mul_i32 s36, s33, 12
	s_add_u32 s2, s28, s47
	s_addc_u32 s3, s29, 0
	s_add_u32 s48, s10, s2
	s_addc_u32 s49, s11, s3
	;; [unrolled: 2-line block ×5, first 2 shown]
	s_add_u32 s54, s12, s2
	v_lshlrev_b64 v[2:3], 1, v[0:1]
	s_addc_u32 s55, s13, s3
	s_add_u32 s56, s12, s36
	s_addc_u32 s57, s13, s37
	s_add_u32 s0, s8, s30
	s_addc_u32 s1, s9, s31
	v_add_co_u32 v6, vcc_lo, s0, v2
	v_lshlrev_b64 v[4:5], 2, v[0:1]
	v_add_co_ci_u32_e64 v7, null, s1, v3, vcc_lo
	v_mov_b32_e32 v3, v1
	v_mov_b32_e32 v2, v0
	s_mul_i32 s58, s33, 6
	s_mov_b64 s[36:37], s[16:17]
	s_mov_b64 s[38:39], s[24:25]
.LBB299_50:                             ; =>This Inner Loop Header: Depth=1
	v_add_co_u32 v9, vcc_lo, s38, v4
	v_add_co_ci_u32_e64 v10, null, s39, v5, vcc_lo
	v_add_co_u32 v11, vcc_lo, s45, v4
	v_add_co_ci_u32_e64 v12, null, s46, v5, vcc_lo
	;; [unrolled: 2-line block ×4, first 2 shown]
	global_load_dword v1, v[9:10], off
	global_load_dword v17, v[11:12], off
	;; [unrolled: 1-line block ×4, first 2 shown]
	v_add_co_u32 v9, vcc_lo, s36, v4
	v_add_co_ci_u32_e64 v10, null, s37, v5, vcc_lo
	v_add_co_u32 v11, vcc_lo, s52, v4
	v_add_co_ci_u32_e64 v12, null, s53, v5, vcc_lo
	;; [unrolled: 2-line block ×4, first 2 shown]
	global_load_dword v20, v[9:10], off
	global_load_dword v21, v[11:12], off
	;; [unrolled: 1-line block ×4, first 2 shown]
	v_add_co_u32 v9, vcc_lo, v6, s43
	v_add_co_ci_u32_e64 v10, null, 0, v7, vcc_lo
	v_add_co_u32 v11, vcc_lo, v6, s40
	s_add_u32 s38, s38, s44
	v_add_co_ci_u32_e64 v12, null, 0, v7, vcc_lo
	v_add_co_u32 v13, vcc_lo, v6, s58
	s_addc_u32 s39, s39, 0
	s_add_u32 s45, s45, s44
	v_add_co_ci_u32_e64 v14, null, 0, v7, vcc_lo
	v_add_co_u32 v2, vcc_lo, v2, s40
	s_addc_u32 s46, s46, 0
	s_add_u32 s48, s48, s44
	v_add_co_ci_u32_e64 v3, null, 0, v3, vcc_lo
	s_addc_u32 s49, s49, 0
	s_add_u32 s50, s50, s44
	s_addc_u32 s51, s51, 0
	s_add_u32 s36, s36, s44
	s_addc_u32 s37, s37, 0
	v_cmp_le_i64_e32 vcc_lo, s[34:35], v[2:3]
	s_add_u32 s52, s52, s44
	s_addc_u32 s53, s53, 0
	s_add_u32 s54, s54, s44
	s_addc_u32 s55, s55, 0
	;; [unrolled: 2-line block ×3, first 2 shown]
	s_or_b32 s42, vcc_lo, s42
	s_waitcnt vmcnt(7)
	v_mul_f32_e32 v16, 0x3fb8aa3b, v1
	s_waitcnt vmcnt(6)
	v_mul_f32_e32 v23, 0x3fb8aa3b, v17
	;; [unrolled: 2-line block ×4, first 2 shown]
	v_cmp_ngt_f32_e64 s3, 0xc2ce8ed0, v1
	v_fma_f32 v26, 0x3fb8aa3b, v1, -v16
	v_rndne_f32_e32 v27, v16
	v_fma_f32 v28, 0x3fb8aa3b, v17, -v23
	v_rndne_f32_e32 v29, v23
	v_fma_f32 v30, 0x3fb8aa3b, v18, -v24
	v_fmac_f32_e32 v26, 0x32a5705f, v1
	v_sub_f32_e32 v16, v16, v27
	v_rndne_f32_e32 v31, v24
	v_fma_f32 v32, 0x3fb8aa3b, v19, -v25
	v_rndne_f32_e32 v33, v25
	v_fmac_f32_e32 v28, 0x32a5705f, v17
	v_add_f32_e32 v16, v16, v26
	v_sub_f32_e32 v23, v23, v29
	v_fmac_f32_e32 v30, 0x32a5705f, v18
	v_sub_f32_e32 v24, v24, v31
	v_fmac_f32_e32 v32, 0x32a5705f, v19
	v_sub_f32_e32 v25, v25, v33
	v_exp_f32_e32 v16, v16
	v_add_f32_e32 v23, v23, v28
	v_add_f32_e32 v24, v24, v30
	v_cvt_i32_f32_e32 v27, v27
	v_add_f32_e32 v25, v25, v32
	v_cvt_i32_f32_e32 v29, v29
	v_exp_f32_e32 v23, v23
	v_exp_f32_e32 v24, v24
	v_cvt_i32_f32_e32 v31, v31
	v_exp_f32_e32 v25, v25
	v_ldexp_f32 v16, v16, v27
	v_cvt_i32_f32_e32 v33, v33
	v_cmp_ngt_f32_e64 s0, 0xc2ce8ed0, v17
	v_cmp_ngt_f32_e64 s1, 0xc2ce8ed0, v18
	;; [unrolled: 1-line block ×3, first 2 shown]
	v_cndmask_b32_e64 v16, 0, v16, s3
	v_cmp_nlt_f32_e64 s3, 0x42b17218, v1
	v_ldexp_f32 v23, v23, v29
	v_ldexp_f32 v24, v24, v31
	;; [unrolled: 1-line block ×3, first 2 shown]
	v_cndmask_b32_e64 v1, 0x7f800000, v16, s3
	v_cndmask_b32_e64 v23, 0, v23, s0
	v_cmp_nlt_f32_e64 s0, 0x42b17218, v17
	v_cndmask_b32_e64 v17, 0, v24, s1
	v_cmp_nlt_f32_e64 s1, 0x42b17218, v18
	;; [unrolled: 2-line block ×3, first 2 shown]
	s_waitcnt vmcnt(3) lgkmcnt(0)
	v_fma_mixlo_f16 v1, -v8, v1, v20
	v_cndmask_b32_e64 v16, 0x7f800000, v23, s0
	v_cndmask_b32_e64 v17, 0x7f800000, v17, s1
	;; [unrolled: 1-line block ×3, first 2 shown]
	global_store_short v[6:7], v1, off
	v_add_co_u32 v6, s0, v6, s47
	s_waitcnt vmcnt(2)
	v_fma_mixlo_f16 v16, -v8, v16, v21
	v_add_co_ci_u32_e64 v7, null, 0, v7, s0
	s_waitcnt vmcnt(1)
	v_fma_mixlo_f16 v17, -v8, v17, v22
	s_waitcnt vmcnt(0)
	v_fma_mixlo_f16 v15, -v8, v18, v15
	global_store_short v[9:10], v16, off
	global_store_short v[11:12], v17, off
	;; [unrolled: 1-line block ×3, first 2 shown]
	s_andn2_b32 exec_lo, exec_lo, s42
	s_cbranch_execnz .LBB299_50
; %bb.51:
	s_or_b32 exec_lo, exec_lo, s42
.LBB299_52:
	s_or_b32 exec_lo, exec_lo, s41
	s_mov_b32 s1, exec_lo
	v_cmpx_gt_i64_e64 s[4:5], v[2:3]
	s_cbranch_execz .LBB299_55
; %bb.53:
	v_lshlrev_b64 v[4:5], 2, v[2:3]
	v_lshlrev_b64 v[9:10], 1, v[2:3]
	s_add_u32 s0, s8, s30
	s_addc_u32 s2, s9, s31
	s_lshl_b32 s3, s33, 1
	v_add_co_u32 v1, vcc_lo, s28, v4
	v_add_co_ci_u32_e64 v6, null, s29, v5, vcc_lo
	v_add_co_u32 v4, vcc_lo, s0, v9
	v_add_co_ci_u32_e64 v5, null, s2, v10, vcc_lo
	s_mov_b32 s2, 0
.LBB299_54:                             ; =>This Inner Loop Header: Depth=1
	v_add_co_u32 v9, vcc_lo, s10, v1
	v_add_co_ci_u32_e64 v10, null, s11, v6, vcc_lo
	global_load_dword v7, v[9:10], off
	v_add_co_u32 v9, vcc_lo, s12, v1
	v_add_co_ci_u32_e64 v10, null, s13, v6, vcc_lo
	v_add_co_u32 v2, vcc_lo, v2, s33
	v_add_co_ci_u32_e64 v3, null, 0, v3, vcc_lo
	global_load_dword v9, v[9:10], off
	v_add_co_u32 v1, vcc_lo, v1, s40
	v_add_co_ci_u32_e64 v6, null, 0, v6, vcc_lo
	v_cmp_le_i64_e32 vcc_lo, s[4:5], v[2:3]
	s_or_b32 s2, vcc_lo, s2
	s_waitcnt vmcnt(1)
	v_mul_f32_e32 v10, 0x3fb8aa3b, v7
	v_cmp_ngt_f32_e64 s0, 0xc2ce8ed0, v7
	v_fma_f32 v11, 0x3fb8aa3b, v7, -v10
	v_rndne_f32_e32 v12, v10
	v_fmac_f32_e32 v11, 0x32a5705f, v7
	v_sub_f32_e32 v10, v10, v12
	v_add_f32_e32 v10, v10, v11
	v_cvt_i32_f32_e32 v11, v12
	v_exp_f32_e32 v10, v10
	v_ldexp_f32 v10, v10, v11
	v_cndmask_b32_e64 v10, 0, v10, s0
	v_cmp_nlt_f32_e64 s0, 0x42b17218, v7
	v_cndmask_b32_e64 v7, 0x7f800000, v10, s0
	s_waitcnt vmcnt(0) lgkmcnt(0)
	v_fma_mixlo_f16 v7, -v8, v7, v9
	global_store_short v[4:5], v7, off
	v_add_co_u32 v4, s0, v4, s3
	v_add_co_ci_u32_e64 v5, null, 0, v5, s0
	s_andn2_b32 exec_lo, exec_lo, s2
	s_cbranch_execnz .LBB299_54
.LBB299_55:
	s_or_b32 exec_lo, exec_lo, s1
	s_mov_b32 s0, 0
.LBB299_56:
	s_and_b32 vcc_lo, exec_lo, s0
	s_cbranch_vccz .LBB299_91
; %bb.57:
	s_lshl_b32 s0, s33, 2
	s_mov_b32 s9, 0
	v_cvt_f32_u32_e32 v1, s0
	s_sub_i32 s2, 0, s0
	s_mov_b32 s5, exec_lo
	v_rcp_iflag_f32_e32 v1, v1
	v_mul_f32_e32 v1, 0x4f7ffffe, v1
	v_cvt_u32_f32_e32 v1, v1
	v_readfirstlane_b32 s1, v1
	v_mov_b32_e32 v1, v0
	s_mul_i32 s2, s2, s1
	s_mul_hi_u32 s2, s1, s2
	s_add_i32 s1, s1, s2
	s_mul_hi_u32 s1, s14, s1
	s_mul_i32 s1, s1, s0
	s_sub_i32 s1, s14, s1
	s_sub_i32 s2, s1, s0
	s_cmp_ge_u32 s1, s0
	s_cselect_b32 s1, s2, s1
	s_sub_i32 s2, s1, s0
	s_cmp_ge_u32 s1, s0
	s_cselect_b32 s0, s2, s1
	s_sub_i32 s8, s14, s0
	v_cmpx_gt_i32_e64 s8, v0
	s_cbranch_execz .LBB299_61
; %bb.58:
	v_mov_b32_e32 v2, 0
	v_mov_b32_e32 v1, v0
	s_lshl_b32 s10, s33, 1
	s_mul_i32 s11, s33, 3
	s_add_i32 s12, s33, s33
.LBB299_59:                             ; =>This Inner Loop Header: Depth=1
	v_lshlrev_b64 v[11:12], 2, v[1:2]
	v_add_nc_u32_e32 v3, s33, v1
	v_mov_b32_e32 v4, v2
	v_add_nc_u32_e32 v5, s10, v1
	v_mov_b32_e32 v6, v2
	;; [unrolled: 2-line block ×3, first 2 shown]
	v_add_co_u32 v19, vcc_lo, s24, v11
	v_lshlrev_b64 v[13:14], 2, v[3:4]
	v_add_co_ci_u32_e64 v20, null, s25, v12, vcc_lo
	v_lshlrev_b64 v[15:16], 2, v[5:6]
	v_lshlrev_b64 v[17:18], 2, v[9:10]
	global_load_dword v25, v[19:20], off
	v_add_co_u32 v19, vcc_lo, s24, v13
	v_add_co_ci_u32_e64 v20, null, s25, v14, vcc_lo
	v_add_co_u32 v21, vcc_lo, s24, v15
	v_add_co_ci_u32_e64 v22, null, s25, v16, vcc_lo
	;; [unrolled: 2-line block ×3, first 2 shown]
	s_clause 0x2
	global_load_dword v19, v[19:20], off
	global_load_dword v20, v[21:22], off
	;; [unrolled: 1-line block ×3, first 2 shown]
	v_add_co_u32 v11, vcc_lo, s16, v11
	v_add_co_ci_u32_e64 v12, null, s17, v12, vcc_lo
	v_add_co_u32 v13, vcc_lo, s16, v13
	v_add_co_ci_u32_e64 v14, null, s17, v14, vcc_lo
	;; [unrolled: 2-line block ×4, first 2 shown]
	s_clause 0x3
	global_load_dword v22, v[11:12], off
	global_load_dword v23, v[13:14], off
	;; [unrolled: 1-line block ×4, first 2 shown]
	v_lshlrev_b64 v[11:12], 1, v[1:2]
	v_lshlrev_b64 v[13:14], 1, v[3:4]
	;; [unrolled: 1-line block ×4, first 2 shown]
	v_add3_u32 v1, s12, s33, v3
	v_add_co_u32 v9, vcc_lo, s22, v11
	v_add_co_u32 v11, s0, s22, v13
	v_add_co_ci_u32_e64 v10, null, s23, v12, vcc_lo
	v_add_co_ci_u32_e64 v12, null, s23, v14, s0
	v_add_co_u32 v3, s0, s22, v4
	v_add_co_ci_u32_e64 v4, null, s23, v5, s0
	v_add_co_u32 v5, s0, s22, v6
	v_cmp_le_i32_e32 vcc_lo, s8, v1
	s_or_b32 s9, vcc_lo, s9
	s_waitcnt vmcnt(7)
	v_mul_f32_e32 v6, 0x3fb8aa3b, v25
	v_cmp_ngt_f32_e64 s1, 0xc2ce8ed0, v25
	v_cmp_nlt_f32_e64 s4, 0x42b17218, v25
	v_fma_f32 v13, 0x3fb8aa3b, v25, -v6
	v_rndne_f32_e32 v14, v6
	v_fmac_f32_e32 v13, 0x32a5705f, v25
	v_sub_f32_e32 v6, v6, v14
	s_waitcnt vmcnt(6)
	v_mul_f32_e32 v17, 0x3fb8aa3b, v19
	s_waitcnt vmcnt(5)
	v_mul_f32_e32 v18, 0x3fb8aa3b, v20
	;; [unrolled: 2-line block ×3, first 2 shown]
	v_cvt_i32_f32_e32 v14, v14
	v_add_f32_e32 v6, v6, v13
	v_fma_f32 v26, 0x3fb8aa3b, v19, -v17
	v_rndne_f32_e32 v27, v17
	v_fma_f32 v28, 0x3fb8aa3b, v20, -v18
	v_rndne_f32_e32 v29, v18
	;; [unrolled: 2-line block ×3, first 2 shown]
	v_fmac_f32_e32 v26, 0x32a5705f, v19
	v_sub_f32_e32 v13, v17, v27
	v_fmac_f32_e32 v28, 0x32a5705f, v20
	v_sub_f32_e32 v18, v18, v29
	;; [unrolled: 2-line block ×3, first 2 shown]
	v_exp_f32_e32 v6, v6
	v_add_f32_e32 v13, v13, v26
	v_add_f32_e32 v18, v18, v28
	v_cvt_i32_f32_e32 v17, v27
	v_add_f32_e32 v24, v24, v30
	v_cvt_i32_f32_e32 v27, v29
	v_exp_f32_e32 v13, v13
	v_exp_f32_e32 v18, v18
	v_cvt_i32_f32_e32 v29, v31
	v_exp_f32_e32 v24, v24
	v_ldexp_f32 v6, v6, v14
	v_cmp_ngt_f32_e64 s2, 0xc2ce8ed0, v20
	v_cmp_ngt_f32_e64 s3, 0xc2ce8ed0, v21
	v_cndmask_b32_e64 v6, 0, v6, s1
	v_ldexp_f32 v13, v13, v17
	v_cmp_ngt_f32_e64 s1, 0xc2ce8ed0, v19
	v_ldexp_f32 v14, v18, v27
	v_ldexp_f32 v17, v24, v29
	v_cndmask_b32_e64 v18, 0x7f800000, v6, s4
	v_cndmask_b32_e64 v6, 0, v13, s1
	;; [unrolled: 1-line block ×4, first 2 shown]
	v_cmp_nlt_f32_e64 s3, 0x42b17218, v19
	v_cmp_nlt_f32_e64 s1, 0x42b17218, v20
	;; [unrolled: 1-line block ×3, first 2 shown]
	v_cndmask_b32_e64 v17, 0x7f800000, v6, s3
	v_cndmask_b32_e64 v13, 0x7f800000, v13, s1
	;; [unrolled: 1-line block ×3, first 2 shown]
	v_add_co_ci_u32_e64 v6, null, s23, v7, s0
	s_waitcnt vmcnt(3) lgkmcnt(0)
	v_fma_mixlo_f16 v7, -v8, v18, v22
	s_waitcnt vmcnt(2)
	v_fma_mixlo_f16 v17, -v8, v17, v23
	s_waitcnt vmcnt(1)
	;; [unrolled: 2-line block ×3, first 2 shown]
	v_fma_mixlo_f16 v14, -v8, v14, v16
	global_store_short v[9:10], v7, off
	global_store_short v[11:12], v17, off
	;; [unrolled: 1-line block ×4, first 2 shown]
	s_andn2_b32 exec_lo, exec_lo, s9
	s_cbranch_execnz .LBB299_59
; %bb.60:
	s_or_b32 exec_lo, exec_lo, s9
.LBB299_61:
	s_or_b32 exec_lo, exec_lo, s5
	s_mov_b32 s1, exec_lo
	v_cmpx_gt_i32_e64 s14, v1
	s_cbranch_execz .LBB299_64
; %bb.62:
	s_mov_b32 s2, 0
.LBB299_63:                             ; =>This Inner Loop Header: Depth=1
	v_ashrrev_i32_e32 v2, 31, v1
	v_lshlrev_b64 v[3:4], 2, v[1:2]
	v_add_co_u32 v5, vcc_lo, s24, v3
	v_add_co_ci_u32_e64 v6, null, s25, v4, vcc_lo
	v_add_co_u32 v3, vcc_lo, s16, v3
	v_add_co_ci_u32_e64 v4, null, s17, v4, vcc_lo
	global_load_dword v5, v[5:6], off
	global_load_dword v4, v[3:4], off
	s_waitcnt vmcnt(1)
	v_mul_f32_e32 v3, 0x3fb8aa3b, v5
	v_cmp_ngt_f32_e32 vcc_lo, 0xc2ce8ed0, v5
	v_fma_f32 v6, 0x3fb8aa3b, v5, -v3
	v_rndne_f32_e32 v7, v3
	v_fmac_f32_e32 v6, 0x32a5705f, v5
	v_sub_f32_e32 v3, v3, v7
	v_add_f32_e32 v3, v3, v6
	v_cvt_i32_f32_e32 v6, v7
	v_exp_f32_e32 v3, v3
	v_ldexp_f32 v3, v3, v6
	v_cndmask_b32_e32 v6, 0, v3, vcc_lo
	v_cmp_nlt_f32_e32 vcc_lo, 0x42b17218, v5
	v_lshlrev_b64 v[2:3], 1, v[1:2]
	v_add_nc_u32_e32 v1, s33, v1
	v_cndmask_b32_e32 v5, 0x7f800000, v6, vcc_lo
	v_cmp_le_i32_e32 vcc_lo, s14, v1
	v_add_co_u32 v2, s0, s22, v2
	s_waitcnt vmcnt(0) lgkmcnt(0)
	v_fma_mixlo_f16 v4, -v8, v5, v4
	v_add_co_ci_u32_e64 v3, null, s23, v3, s0
	s_or_b32 s2, vcc_lo, s2
	global_store_short v[2:3], v4, off
	s_andn2_b32 exec_lo, exec_lo, s2
	s_cbranch_execnz .LBB299_63
.LBB299_64:
	s_or_b32 exec_lo, exec_lo, s1
	s_mov_b32 s0, 0
.LBB299_65:
	s_andn2_b32 vcc_lo, exec_lo, s0
	s_cbranch_vccnz .LBB299_92
.LBB299_66:
	s_cmp_lg_u64 s[26:27], 0
	s_mov_b32 s1, -1
	s_cselect_b32 s34, -1, 0
	s_and_b32 vcc_lo, exec_lo, s7
	v_cndmask_b32_e64 v1, 0, 1, s34
	v_cmp_ne_u32_e64 s0, 1, v1
	s_cbranch_vccz .LBB299_80
; %bb.67:
	v_mov_b32_e32 v1, 0
	s_and_b32 vcc_lo, exec_lo, s0
	s_mov_b64 s[4:5], s[22:23]
	s_mov_b64 s[8:9], s[24:25]
	;; [unrolled: 1-line block ×3, first 2 shown]
	s_cbranch_vccnz .LBB299_71
; %bb.68:
	s_lshl_b32 s0, s26, 1
	s_mov_b32 s4, exec_lo
	s_sub_u32 s0, s22, s0
	s_subb_u32 s1, s23, 0
	s_lshl_b32 s2, s26, 2
	s_sub_u32 s7, s24, s2
	s_subb_u32 s9, s25, 0
	s_sub_u32 s2, s16, s2
	s_subb_u32 s3, s17, 0
	v_cmpx_le_u64_e64 s[26:27], v[0:1]
	s_cbranch_execz .LBB299_70
; %bb.69:
	v_lshlrev_b64 v[2:3], 2, v[0:1]
	v_add_co_u32 v4, vcc_lo, s7, v2
	v_add_co_ci_u32_e64 v5, null, s9, v3, vcc_lo
	v_add_co_u32 v2, vcc_lo, s2, v2
	v_add_co_ci_u32_e64 v3, null, s3, v3, vcc_lo
	global_load_dword v4, v[4:5], off
	global_load_dword v5, v[2:3], off
	s_waitcnt vmcnt(1)
	v_mul_f32_e32 v2, 0x3fb8aa3b, v4
	v_cmp_ngt_f32_e32 vcc_lo, 0xc2ce8ed0, v4
	v_fma_f32 v3, 0x3fb8aa3b, v4, -v2
	v_rndne_f32_e32 v6, v2
	v_fmamk_f32 v3, v4, 0x32a5705f, v3
	v_sub_f32_e32 v2, v2, v6
	v_add_f32_e32 v2, v2, v3
	v_cvt_i32_f32_e32 v3, v6
	v_exp_f32_e32 v2, v2
	v_ldexp_f32 v2, v2, v3
	v_cndmask_b32_e32 v2, 0, v2, vcc_lo
	v_cmp_nlt_f32_e32 vcc_lo, 0x42b17218, v4
	v_cndmask_b32_e32 v4, 0x7f800000, v2, vcc_lo
	v_lshlrev_b64 v[2:3], 1, v[0:1]
	s_waitcnt vmcnt(0) lgkmcnt(0)
	v_fma_mixlo_f16 v4, -v8, v4, v5
	v_add_co_u32 v2, vcc_lo, s0, v2
	v_add_co_ci_u32_e64 v3, null, s1, v3, vcc_lo
	global_store_short v[2:3], v4, off
.LBB299_70:
	s_or_b32 exec_lo, exec_lo, s4
	s_add_u32 s4, s26, s14
	s_addc_u32 s5, 0, s15
	s_sub_u32 s18, s4, s33
	s_subb_u32 s19, s5, 0
	s_lshl_b32 s4, s33, 1
	s_add_u32 s4, s0, s4
	s_addc_u32 s5, s1, 0
	s_lshl_b32 s0, s33, 2
	s_add_u32 s8, s7, s0
	s_addc_u32 s9, s9, 0
	s_add_u32 s10, s2, s0
	s_addc_u32 s11, s3, 0
.LBB299_71:
	s_load_dword s0, s[20:21], 0x0
	v_mov_b32_e32 v2, 0
	s_waitcnt lgkmcnt(0)
	s_cmp_lt_u32 s6, s0
	s_cselect_b32 s0, 12, 18
	s_add_u32 s0, s20, s0
	s_addc_u32 s1, s21, 0
	global_load_ushort v2, v2, s[0:1]
	s_mov_b32 s0, 0
	s_waitcnt vmcnt(0)
	v_readfirstlane_b32 s1, v2
	s_and_b32 s7, s1, 0xffff
	s_mov_b32 s1, s19
	s_lshl_b32 s12, s7, 2
	s_cmp_lg_u64 s[0:1], 0
	s_cbranch_scc0 .LBB299_93
; %bb.72:
	v_cvt_f32_u32_e32 v2, s12
	s_sub_u32 s3, 0, s12
	s_subb_u32 s13, 0, 0
	v_fmamk_f32 v2, 0, 0x4f800000, v2
	v_rcp_f32_e32 v2, v2
	v_mul_f32_e32 v2, 0x5f7ffffc, v2
	v_mul_f32_e32 v3, 0x2f800000, v2
	v_trunc_f32_e32 v3, v3
	v_fmamk_f32 v2, v3, 0xcf800000, v2
	v_cvt_u32_f32_e32 v3, v3
	v_cvt_u32_f32_e32 v2, v2
	v_readfirstlane_b32 s1, v3
	v_readfirstlane_b32 s2, v2
	s_mul_i32 s15, s3, s1
	s_mul_hi_u32 s28, s3, s2
	s_mul_i32 s27, s13, s2
	s_add_i32 s15, s28, s15
	s_mul_i32 s29, s3, s2
	s_add_i32 s15, s15, s27
	s_mul_hi_u32 s28, s2, s29
	s_mul_i32 s31, s2, s15
	s_mul_hi_u32 s30, s1, s29
	s_mul_i32 s27, s1, s29
	s_mul_hi_u32 s29, s2, s15
	s_add_u32 s28, s28, s31
	s_addc_u32 s29, 0, s29
	s_mul_hi_u32 s35, s1, s15
	s_add_u32 s27, s28, s27
	s_mul_i32 s15, s1, s15
	s_addc_u32 s27, s29, s30
	s_addc_u32 s28, s35, 0
	s_add_u32 s15, s27, s15
	s_addc_u32 s27, 0, s28
	s_add_u32 s2, s2, s15
	s_cselect_b32 s15, -1, 0
	s_mul_hi_u32 s28, s3, s2
	s_cmp_lg_u32 s15, 0
	s_mul_i32 s15, s3, s2
	s_addc_u32 s1, s1, s27
	s_mul_i32 s13, s13, s2
	s_mul_i32 s3, s3, s1
	s_mul_hi_u32 s27, s2, s15
	s_add_i32 s3, s28, s3
	s_mul_hi_u32 s28, s1, s15
	s_add_i32 s3, s3, s13
	s_mul_i32 s13, s1, s15
	s_mul_i32 s30, s2, s3
	s_mul_hi_u32 s29, s2, s3
	s_add_u32 s27, s27, s30
	s_addc_u32 s29, 0, s29
	s_mul_hi_u32 s15, s1, s3
	s_add_u32 s13, s27, s13
	s_mul_i32 s3, s1, s3
	s_addc_u32 s13, s29, s28
	s_addc_u32 s15, s15, 0
	s_add_u32 s3, s13, s3
	s_addc_u32 s13, 0, s15
	s_add_u32 s2, s2, s3
	s_cselect_b32 s3, -1, 0
	s_mul_hi_u32 s15, s18, s2
	s_cmp_lg_u32 s3, 0
	s_mul_hi_u32 s3, s19, s2
	s_addc_u32 s1, s1, s13
	s_mul_i32 s2, s19, s2
	s_mul_i32 s27, s18, s1
	s_mul_hi_u32 s13, s18, s1
	s_add_u32 s15, s15, s27
	s_addc_u32 s13, 0, s13
	s_mul_hi_u32 s28, s19, s1
	s_add_u32 s2, s15, s2
	s_mul_i32 s1, s19, s1
	s_addc_u32 s2, s13, s3
	s_addc_u32 s3, s28, 0
	s_add_u32 s1, s2, s1
	s_addc_u32 s2, 0, s3
	s_mul_hi_u32 s3, s12, s1
	s_mul_i32 s2, s12, s2
	s_mul_i32 s1, s12, s1
	s_add_i32 s3, s3, s2
	s_sub_u32 s1, s18, s1
	s_cselect_b32 s2, -1, 0
	s_cmp_lg_u32 s2, 0
	s_subb_u32 s2, s19, s3
	s_sub_u32 s3, s1, s12
	s_cselect_b32 s13, -1, 0
	s_cmp_lg_u32 s13, 0
	s_subb_u32 s13, s2, 0
	;; [unrolled: 4-line block ×3, first 2 shown]
	s_cmp_ge_u32 s3, s12
	s_cselect_b32 s28, -1, 0
	s_cmp_eq_u32 s13, 0
	s_cselect_b32 s28, s28, -1
	s_cmp_lg_u32 s28, 0
	s_cselect_b32 s13, s27, s13
	s_cselect_b32 s15, s15, s3
	s_cmp_ge_u32 s1, s12
	s_cselect_b32 s3, -1, 0
	s_cmp_eq_u32 s2, 0
	s_cselect_b32 s3, s3, -1
	s_cmp_lg_u32 s3, 0
	s_cselect_b32 s3, s13, s2
	s_cselect_b32 s2, s15, s1
	s_andn2_b32 vcc_lo, exec_lo, s0
	s_cbranch_vccnz .LBB299_74
.LBB299_73:
	v_cvt_f32_u32_e32 v2, s12
	s_sub_i32 s1, 0, s12
	s_mov_b32 s3, 0
	v_rcp_iflag_f32_e32 v2, v2
	v_mul_f32_e32 v2, 0x4f7ffffe, v2
	v_cvt_u32_f32_e32 v2, v2
	v_readfirstlane_b32 s0, v2
	s_mul_i32 s1, s1, s0
	s_mul_hi_u32 s1, s0, s1
	s_add_i32 s0, s0, s1
	s_mul_hi_u32 s0, s18, s0
	s_mul_i32 s0, s0, s12
	s_sub_i32 s0, s18, s0
	s_sub_i32 s1, s0, s12
	s_cmp_ge_u32 s0, s12
	s_cselect_b32 s0, s1, s0
	s_sub_i32 s1, s0, s12
	s_cmp_ge_u32 s0, s12
	s_cselect_b32 s2, s1, s0
.LBB299_74:
	v_lshlrev_b64 v[2:3], 3, v[0:1]
	v_lshlrev_b64 v[4:5], 4, v[0:1]
	v_mov_b32_e32 v7, v1
	v_mov_b32_e32 v6, v0
	s_sub_u32 s12, s18, s2
	s_subb_u32 s13, s19, s3
	v_add_co_u32 v2, vcc_lo, s4, v2
	v_add_co_ci_u32_e64 v3, null, s5, v3, vcc_lo
	s_lshl_b32 s15, s7, 3
	v_add_co_u32 v2, vcc_lo, v2, 4
	v_add_co_ci_u32_e64 v3, null, 0, v3, vcc_lo
	s_mov_b32 s27, 0
	s_lshl_b32 s35, s7, 4
	s_mov_b64 s[28:29], s[10:11]
	s_mov_b64 s[30:31], s[8:9]
.LBB299_75:                             ; =>This Inner Loop Header: Depth=1
	v_add_co_u32 v9, vcc_lo, s30, v4
	v_add_co_ci_u32_e64 v10, null, s31, v5, vcc_lo
	v_add_co_u32 v13, vcc_lo, s28, v4
	v_add_co_ci_u32_e64 v14, null, s29, v5, vcc_lo
	global_load_dwordx4 v[9:12], v[9:10], off
	v_add_co_u32 v6, vcc_lo, v6, s7
	global_load_dwordx4 v[13:16], v[13:14], off
	v_add_co_ci_u32_e64 v7, null, 0, v7, vcc_lo
	s_add_u32 s30, s30, s35
	s_addc_u32 s31, s31, 0
	s_add_u32 s28, s28, s35
	v_lshlrev_b64 v[17:18], 2, v[6:7]
	s_addc_u32 s29, s29, 0
	v_cmp_le_i64_e32 vcc_lo, s[12:13], v[17:18]
	s_or_b32 s27, vcc_lo, s27
	s_waitcnt vmcnt(1)
	v_mul_f32_e32 v1, 0x3fb8aa3b, v9
	v_mul_f32_e32 v17, 0x3fb8aa3b, v10
	;; [unrolled: 1-line block ×4, first 2 shown]
	v_cmp_ngt_f32_e64 s0, 0xc2ce8ed0, v10
	v_fma_f32 v20, 0x3fb8aa3b, v9, -v1
	v_rndne_f32_e32 v21, v1
	v_fma_f32 v22, 0x3fb8aa3b, v10, -v17
	v_rndne_f32_e32 v23, v17
	;; [unrolled: 2-line block ×4, first 2 shown]
	v_fmac_f32_e32 v20, 0x32a5705f, v9
	v_sub_f32_e32 v1, v1, v21
	v_fmac_f32_e32 v22, 0x32a5705f, v10
	v_sub_f32_e32 v17, v17, v23
	v_fmac_f32_e32 v24, 0x32a5705f, v11
	v_sub_f32_e32 v18, v18, v25
	v_fmac_f32_e32 v26, 0x32a5705f, v12
	v_sub_f32_e32 v19, v19, v27
	v_add_f32_e32 v1, v1, v20
	v_add_f32_e32 v17, v17, v22
	;; [unrolled: 1-line block ×3, first 2 shown]
	v_cvt_i32_f32_e32 v21, v21
	v_add_f32_e32 v19, v19, v26
	v_exp_f32_e32 v1, v1
	v_exp_f32_e32 v17, v17
	;; [unrolled: 1-line block ×3, first 2 shown]
	v_cvt_i32_f32_e32 v23, v23
	v_exp_f32_e32 v19, v19
	v_cvt_i32_f32_e32 v25, v25
	v_cvt_i32_f32_e32 v27, v27
	v_cmp_ngt_f32_e64 s1, 0xc2ce8ed0, v11
	v_cmp_ngt_f32_e64 s2, 0xc2ce8ed0, v12
	;; [unrolled: 1-line block ×3, first 2 shown]
	v_ldexp_f32 v1, v1, v21
	v_ldexp_f32 v17, v17, v23
	;; [unrolled: 1-line block ×4, first 2 shown]
	v_cndmask_b32_e64 v1, 0, v1, s3
	v_cmp_nlt_f32_e64 s3, 0x42b17218, v9
	v_cndmask_b32_e64 v9, 0, v17, s0
	v_cndmask_b32_e64 v17, 0, v18, s1
	v_cmp_nlt_f32_e64 s0, 0x42b17218, v10
	v_cndmask_b32_e64 v10, 0, v19, s2
	v_cmp_nlt_f32_e64 s2, 0x42b17218, v11
	v_cmp_nlt_f32_e64 s1, 0x42b17218, v12
	v_cndmask_b32_e64 v1, 0x7f800000, v1, s3
	v_cndmask_b32_e64 v12, 0x7f800000, v9, s0
	;; [unrolled: 1-line block ×4, first 2 shown]
	s_waitcnt vmcnt(0)
	v_fma_mixlo_f16 v9, -v8, v1, v13
	v_fma_mixlo_f16 v10, -v8, v11, v15
	v_fma_mixhi_f16 v9, -v8, v12, v14
	v_fma_mixhi_f16 v10, -v8, v17, v16
	global_store_dwordx2 v[2:3], v[9:10], off offset:-4
	v_add_co_u32 v2, s0, v2, s15
	v_add_co_ci_u32_e64 v3, null, 0, v3, s0
	s_andn2_b32 exec_lo, exec_lo, s27
	s_cbranch_execnz .LBB299_75
; %bb.76:
	s_or_b32 exec_lo, exec_lo, s27
	v_add_co_u32 v1, s0, s12, v0
	v_add_co_ci_u32_e64 v2, null, s13, 0, s0
	s_mov_b32 s1, exec_lo
	v_cmpx_gt_u64_e64 s[18:19], v[1:2]
	s_cbranch_execz .LBB299_79
; %bb.77:
	s_mov_b32 s2, 0
.LBB299_78:                             ; =>This Inner Loop Header: Depth=1
	v_lshlrev_b64 v[3:4], 2, v[1:2]
	v_add_co_u32 v5, vcc_lo, s8, v3
	v_add_co_ci_u32_e64 v6, null, s9, v4, vcc_lo
	v_add_co_u32 v3, vcc_lo, s10, v3
	v_add_co_ci_u32_e64 v4, null, s11, v4, vcc_lo
	global_load_dword v5, v[5:6], off
	global_load_dword v6, v[3:4], off
	v_lshlrev_b64 v[3:4], 1, v[1:2]
	v_add_co_u32 v1, vcc_lo, v1, s7
	v_add_co_ci_u32_e64 v2, null, 0, v2, vcc_lo
	v_cmp_le_i64_e32 vcc_lo, s[18:19], v[1:2]
	s_or_b32 s2, vcc_lo, s2
	s_waitcnt vmcnt(1)
	v_mul_f32_e32 v7, 0x3fb8aa3b, v5
	v_cmp_ngt_f32_e64 s0, 0xc2ce8ed0, v5
	v_fma_f32 v9, 0x3fb8aa3b, v5, -v7
	v_rndne_f32_e32 v10, v7
	v_fmac_f32_e32 v9, 0x32a5705f, v5
	v_sub_f32_e32 v7, v7, v10
	v_add_f32_e32 v7, v7, v9
	v_cvt_i32_f32_e32 v9, v10
	v_exp_f32_e32 v7, v7
	v_ldexp_f32 v7, v7, v9
	v_cndmask_b32_e64 v7, 0, v7, s0
	v_cmp_nlt_f32_e64 s0, 0x42b17218, v5
	v_cndmask_b32_e64 v5, 0x7f800000, v7, s0
	v_add_co_u32 v3, s0, s4, v3
	v_add_co_ci_u32_e64 v4, null, s5, v4, s0
	s_waitcnt vmcnt(0)
	v_fma_mixlo_f16 v5, -v8, v5, v6
	global_store_short v[3:4], v5, off
	s_andn2_b32 exec_lo, exec_lo, s2
	s_cbranch_execnz .LBB299_78
.LBB299_79:
	s_or_b32 exec_lo, exec_lo, s1
	s_mov_b32 s1, 0
.LBB299_80:
	s_and_b32 vcc_lo, exec_lo, s1
	s_cbranch_vccz .LBB299_92
; %bb.81:
	s_andn2_b32 vcc_lo, exec_lo, s34
	s_cbranch_vccnz .LBB299_85
; %bb.82:
	s_lshl_b32 s0, s26, 1
	s_mov_b32 s7, exec_lo
	s_sub_u32 s3, s22, s0
	s_subb_u32 s4, s23, 0
	s_lshl_b32 s1, s26, 2
	s_sub_u32 s0, s24, s1
	s_subb_u32 s5, s25, 0
	s_sub_u32 s1, s16, s1
	s_subb_u32 s2, s17, 0
	v_cmpx_le_u32_e64 s26, v0
	s_cbranch_execz .LBB299_84
; %bb.83:
	v_mov_b32_e32 v1, 0
	v_lshlrev_b64 v[2:3], 2, v[0:1]
	v_add_co_u32 v4, vcc_lo, s0, v2
	v_add_co_ci_u32_e64 v5, null, s5, v3, vcc_lo
	v_add_co_u32 v2, vcc_lo, s1, v2
	v_add_co_ci_u32_e64 v3, null, s2, v3, vcc_lo
	global_load_dword v4, v[4:5], off
	global_load_dword v3, v[2:3], off
	s_waitcnt vmcnt(1)
	v_mul_f32_e32 v2, 0x3fb8aa3b, v4
	v_cmp_ngt_f32_e32 vcc_lo, 0xc2ce8ed0, v4
	v_fma_f32 v5, 0x3fb8aa3b, v4, -v2
	v_rndne_f32_e32 v6, v2
	v_fmamk_f32 v5, v4, 0x32a5705f, v5
	v_sub_f32_e32 v2, v2, v6
	v_add_f32_e32 v2, v2, v5
	v_cvt_i32_f32_e32 v5, v6
	v_exp_f32_e32 v2, v2
	v_ldexp_f32 v2, v2, v5
	v_cndmask_b32_e32 v2, 0, v2, vcc_lo
	v_cmp_nlt_f32_e32 vcc_lo, 0x42b17218, v4
	v_cndmask_b32_e32 v4, 0x7f800000, v2, vcc_lo
	v_lshlrev_b64 v[1:2], 1, v[0:1]
	s_waitcnt vmcnt(0) lgkmcnt(0)
	v_fma_mixlo_f16 v3, -v8, v4, v3
	v_add_co_u32 v1, vcc_lo, s3, v1
	v_add_co_ci_u32_e64 v2, null, s4, v2, vcc_lo
	global_store_short v[1:2], v3, off
.LBB299_84:
	s_or_b32 exec_lo, exec_lo, s7
	s_add_i32 s7, s26, s14
	s_lshl_b32 s8, s33, 1
	v_sub_nc_u32_e64 v1, s7, s33 clamp
	s_add_u32 s22, s3, s8
	s_addc_u32 s23, s4, 0
	s_lshl_b32 s3, s33, 2
	s_add_u32 s24, s0, s3
	v_readfirstlane_b32 s14, v1
	s_addc_u32 s25, s5, 0
	s_add_u32 s16, s1, s3
	s_addc_u32 s17, s2, 0
.LBB299_85:
	s_load_dword s0, s[20:21], 0x0
	v_mov_b32_e32 v1, 0
	s_waitcnt lgkmcnt(0)
	s_cmp_lt_u32 s6, s0
	s_cselect_b32 s0, 12, 18
	s_add_u32 s0, s20, s0
	s_addc_u32 s1, s21, 0
	global_load_ushort v3, v1, s[0:1]
	s_waitcnt vmcnt(0)
	v_readfirstlane_b32 s0, v3
	s_lshl_b32 s0, s0, 2
	v_cvt_f32_u32_e32 v1, s0
	s_sub_i32 s2, 0, s0
	v_rcp_iflag_f32_e32 v1, v1
	v_mul_f32_e32 v1, 0x4f7ffffe, v1
	v_cvt_u32_f32_e32 v1, v1
	v_readfirstlane_b32 s1, v1
	v_lshlrev_b32_e32 v1, 2, v0
	s_mul_i32 s2, s2, s1
	s_mul_hi_u32 s2, s1, s2
	s_add_i32 s1, s1, s2
	s_mul_hi_u32 s1, s14, s1
	s_mul_i32 s1, s1, s0
	s_sub_i32 s1, s14, s1
	s_sub_i32 s2, s1, s0
	s_cmp_ge_u32 s1, s0
	s_cselect_b32 s1, s2, s1
	s_sub_i32 s2, s1, s0
	s_cmp_ge_u32 s1, s0
	s_cselect_b32 s0, s2, s1
	s_mov_b32 s2, 0
	s_sub_i32 s0, s14, s0
	s_mov_b32 s1, exec_lo
	v_cmpx_gt_i32_e64 s0, v1
	s_cbranch_execz .LBB299_88
; %bb.86:
	v_mov_b32_e32 v1, v0
.LBB299_87:                             ; =>This Inner Loop Header: Depth=1
	v_ashrrev_i32_e32 v2, 31, v1
	v_lshlrev_b64 v[9:10], 4, v[1:2]
	v_add_co_u32 v4, vcc_lo, s24, v9
	v_add_co_ci_u32_e64 v5, null, s25, v10, vcc_lo
	v_add_co_u32 v9, vcc_lo, s16, v9
	v_add_co_ci_u32_e64 v10, null, s17, v10, vcc_lo
	global_load_dwordx4 v[4:7], v[4:5], off
	global_load_dwordx4 v[9:12], v[9:10], off
	s_waitcnt vmcnt(1)
	v_mul_f32_e32 v13, 0x3fb8aa3b, v4
	v_mul_f32_e32 v14, 0x3fb8aa3b, v5
	;; [unrolled: 1-line block ×4, first 2 shown]
	v_cmp_ngt_f32_e32 vcc_lo, 0xc2ce8ed0, v4
	v_fma_f32 v17, 0x3fb8aa3b, v4, -v13
	v_rndne_f32_e32 v18, v13
	v_fma_f32 v19, 0x3fb8aa3b, v5, -v14
	v_rndne_f32_e32 v20, v14
	v_fma_f32 v21, 0x3fb8aa3b, v6, -v15
	v_fmac_f32_e32 v17, 0x32a5705f, v4
	v_sub_f32_e32 v13, v13, v18
	v_rndne_f32_e32 v22, v15
	v_fmac_f32_e32 v19, 0x32a5705f, v5
	v_sub_f32_e32 v14, v14, v20
	v_fma_f32 v23, 0x3fb8aa3b, v7, -v16
	v_add_f32_e32 v17, v13, v17
	v_rndne_f32_e32 v24, v16
	v_fmac_f32_e32 v21, 0x32a5705f, v6
	v_sub_f32_e32 v15, v15, v22
	v_add_f32_e32 v19, v14, v19
	v_lshlrev_b64 v[13:14], 3, v[1:2]
	v_exp_f32_e32 v2, v17
	v_fmac_f32_e32 v23, 0x32a5705f, v7
	v_sub_f32_e32 v16, v16, v24
	v_add_f32_e32 v15, v15, v21
	v_exp_f32_e32 v17, v19
	v_cvt_i32_f32_e32 v18, v18
	v_cvt_i32_f32_e32 v19, v20
	v_add_f32_e32 v16, v16, v23
	v_exp_f32_e32 v15, v15
	v_cvt_i32_f32_e32 v20, v22
	v_ldexp_f32 v2, v2, v18
	v_cvt_i32_f32_e32 v21, v24
	v_exp_f32_e32 v16, v16
	v_add_nc_u32_e32 v1, v1, v3
	v_ldexp_f32 v17, v17, v19
	v_cndmask_b32_e32 v2, 0, v2, vcc_lo
	v_cmp_ngt_f32_e32 vcc_lo, 0xc2ce8ed0, v5
	v_ldexp_f32 v15, v15, v20
	v_lshlrev_b32_e32 v22, 2, v1
	v_cndmask_b32_e32 v17, 0, v17, vcc_lo
	v_cmp_ngt_f32_e32 vcc_lo, 0xc2ce8ed0, v6
	v_ldexp_f32 v16, v16, v21
	v_cndmask_b32_e32 v15, 0, v15, vcc_lo
	v_cmp_ngt_f32_e32 vcc_lo, 0xc2ce8ed0, v7
	v_cndmask_b32_e32 v16, 0, v16, vcc_lo
	v_cmp_nlt_f32_e32 vcc_lo, 0x42b17218, v4
	v_cndmask_b32_e32 v2, 0x7f800000, v2, vcc_lo
	v_cmp_nlt_f32_e32 vcc_lo, 0x42b17218, v6
	s_waitcnt vmcnt(0)
	v_fma_mixlo_f16 v4, -v8, v2, v9
	v_cndmask_b32_e32 v6, 0x7f800000, v15, vcc_lo
	v_cmp_nlt_f32_e32 vcc_lo, 0x42b17218, v5
	v_fma_mixlo_f16 v5, -v8, v6, v11
	v_cndmask_b32_e32 v15, 0x7f800000, v17, vcc_lo
	v_cmp_nlt_f32_e32 vcc_lo, 0x42b17218, v7
	v_fma_mixhi_f16 v4, -v8, v15, v10
	v_cndmask_b32_e32 v16, 0x7f800000, v16, vcc_lo
	v_add_co_u32 v6, vcc_lo, s22, v13
	v_add_co_ci_u32_e64 v7, null, s23, v14, vcc_lo
	v_cmp_le_i32_e32 vcc_lo, s0, v22
	v_fma_mixhi_f16 v5, -v8, v16, v12
	s_or_b32 s2, vcc_lo, s2
	global_store_dwordx2 v[6:7], v[4:5], off
	s_andn2_b32 exec_lo, exec_lo, s2
	s_cbranch_execnz .LBB299_87
.LBB299_88:
	s_or_b32 exec_lo, exec_lo, s1
	v_add_nc_u32_e32 v0, s0, v0
	s_mov_b32 s0, exec_lo
	v_cmpx_gt_i32_e64 s14, v0
	s_cbranch_execz .LBB299_92
; %bb.89:
	s_mov_b32 s1, 0
.LBB299_90:                             ; =>This Inner Loop Header: Depth=1
	v_ashrrev_i32_e32 v1, 31, v0
	v_lshlrev_b64 v[4:5], 2, v[0:1]
	v_add_co_u32 v6, vcc_lo, s24, v4
	v_add_co_ci_u32_e64 v7, null, s25, v5, vcc_lo
	v_add_co_u32 v4, vcc_lo, s16, v4
	v_add_co_ci_u32_e64 v5, null, s17, v5, vcc_lo
	global_load_dword v6, v[6:7], off
	global_load_dword v4, v[4:5], off
	s_waitcnt vmcnt(1)
	v_mul_f32_e32 v2, 0x3fb8aa3b, v6
	v_cmp_ngt_f32_e32 vcc_lo, 0xc2ce8ed0, v6
	v_fma_f32 v5, 0x3fb8aa3b, v6, -v2
	v_rndne_f32_e32 v7, v2
	v_fmac_f32_e32 v5, 0x32a5705f, v6
	v_sub_f32_e32 v2, v2, v7
	v_add_f32_e32 v2, v2, v5
	v_cvt_i32_f32_e32 v5, v7
	v_exp_f32_e32 v2, v2
	v_ldexp_f32 v2, v2, v5
	v_cndmask_b32_e32 v5, 0, v2, vcc_lo
	v_cmp_nlt_f32_e32 vcc_lo, 0x42b17218, v6
	v_lshlrev_b64 v[1:2], 1, v[0:1]
	v_add_nc_u32_e32 v0, v0, v3
	v_cndmask_b32_e32 v5, 0x7f800000, v5, vcc_lo
	v_cmp_le_i32_e32 vcc_lo, s14, v0
	v_add_co_u32 v1, s0, s22, v1
	s_waitcnt vmcnt(0)
	v_fma_mixlo_f16 v4, -v8, v5, v4
	v_add_co_ci_u32_e64 v2, null, s23, v2, s0
	s_or_b32 s1, vcc_lo, s1
	global_store_short v[1:2], v4, off
	s_andn2_b32 exec_lo, exec_lo, s1
	s_cbranch_execnz .LBB299_90
	s_branch .LBB299_92
.LBB299_91:
	s_cbranch_execz .LBB299_66
.LBB299_92:
	s_endpgm
.LBB299_93:
                                        ; implicit-def: $sgpr2_sgpr3
	s_branch .LBB299_73
	.section	.rodata,"a",@progbits
	.p2align	6, 0x0
	.amdhsa_kernel _ZN2at6native12_GLOBAL__N_120cunn_SoftMaxBackwardILi4EN3c104HalfEffNS1_26LogSoftMaxBackwardEpilogueEEEvPT0_PKT2_SA_l
		.amdhsa_group_segment_fixed_size 0
		.amdhsa_private_segment_fixed_size 0
		.amdhsa_kernarg_size 288
		.amdhsa_user_sgpr_count 6
		.amdhsa_user_sgpr_private_segment_buffer 1
		.amdhsa_user_sgpr_dispatch_ptr 0
		.amdhsa_user_sgpr_queue_ptr 0
		.amdhsa_user_sgpr_kernarg_segment_ptr 1
		.amdhsa_user_sgpr_dispatch_id 0
		.amdhsa_user_sgpr_flat_scratch_init 0
		.amdhsa_user_sgpr_private_segment_size 0
		.amdhsa_wavefront_size32 1
		.amdhsa_uses_dynamic_stack 0
		.amdhsa_system_sgpr_private_segment_wavefront_offset 0
		.amdhsa_system_sgpr_workgroup_id_x 1
		.amdhsa_system_sgpr_workgroup_id_y 0
		.amdhsa_system_sgpr_workgroup_id_z 0
		.amdhsa_system_sgpr_workgroup_info 0
		.amdhsa_system_vgpr_workitem_id 0
		.amdhsa_next_free_vgpr 34
		.amdhsa_next_free_sgpr 59
		.amdhsa_reserve_vcc 1
		.amdhsa_reserve_flat_scratch 0
		.amdhsa_float_round_mode_32 0
		.amdhsa_float_round_mode_16_64 0
		.amdhsa_float_denorm_mode_32 3
		.amdhsa_float_denorm_mode_16_64 3
		.amdhsa_dx10_clamp 1
		.amdhsa_ieee_mode 1
		.amdhsa_fp16_overflow 0
		.amdhsa_workgroup_processor_mode 1
		.amdhsa_memory_ordered 1
		.amdhsa_forward_progress 1
		.amdhsa_shared_vgpr_count 0
		.amdhsa_exception_fp_ieee_invalid_op 0
		.amdhsa_exception_fp_denorm_src 0
		.amdhsa_exception_fp_ieee_div_zero 0
		.amdhsa_exception_fp_ieee_overflow 0
		.amdhsa_exception_fp_ieee_underflow 0
		.amdhsa_exception_fp_ieee_inexact 0
		.amdhsa_exception_int_div_zero 0
	.end_amdhsa_kernel
	.section	.text._ZN2at6native12_GLOBAL__N_120cunn_SoftMaxBackwardILi4EN3c104HalfEffNS1_26LogSoftMaxBackwardEpilogueEEEvPT0_PKT2_SA_l,"axG",@progbits,_ZN2at6native12_GLOBAL__N_120cunn_SoftMaxBackwardILi4EN3c104HalfEffNS1_26LogSoftMaxBackwardEpilogueEEEvPT0_PKT2_SA_l,comdat
.Lfunc_end299:
	.size	_ZN2at6native12_GLOBAL__N_120cunn_SoftMaxBackwardILi4EN3c104HalfEffNS1_26LogSoftMaxBackwardEpilogueEEEvPT0_PKT2_SA_l, .Lfunc_end299-_ZN2at6native12_GLOBAL__N_120cunn_SoftMaxBackwardILi4EN3c104HalfEffNS1_26LogSoftMaxBackwardEpilogueEEEvPT0_PKT2_SA_l
                                        ; -- End function
	.set _ZN2at6native12_GLOBAL__N_120cunn_SoftMaxBackwardILi4EN3c104HalfEffNS1_26LogSoftMaxBackwardEpilogueEEEvPT0_PKT2_SA_l.num_vgpr, 34
	.set _ZN2at6native12_GLOBAL__N_120cunn_SoftMaxBackwardILi4EN3c104HalfEffNS1_26LogSoftMaxBackwardEpilogueEEEvPT0_PKT2_SA_l.num_agpr, 0
	.set _ZN2at6native12_GLOBAL__N_120cunn_SoftMaxBackwardILi4EN3c104HalfEffNS1_26LogSoftMaxBackwardEpilogueEEEvPT0_PKT2_SA_l.numbered_sgpr, 59
	.set _ZN2at6native12_GLOBAL__N_120cunn_SoftMaxBackwardILi4EN3c104HalfEffNS1_26LogSoftMaxBackwardEpilogueEEEvPT0_PKT2_SA_l.num_named_barrier, 0
	.set _ZN2at6native12_GLOBAL__N_120cunn_SoftMaxBackwardILi4EN3c104HalfEffNS1_26LogSoftMaxBackwardEpilogueEEEvPT0_PKT2_SA_l.private_seg_size, 0
	.set _ZN2at6native12_GLOBAL__N_120cunn_SoftMaxBackwardILi4EN3c104HalfEffNS1_26LogSoftMaxBackwardEpilogueEEEvPT0_PKT2_SA_l.uses_vcc, 1
	.set _ZN2at6native12_GLOBAL__N_120cunn_SoftMaxBackwardILi4EN3c104HalfEffNS1_26LogSoftMaxBackwardEpilogueEEEvPT0_PKT2_SA_l.uses_flat_scratch, 0
	.set _ZN2at6native12_GLOBAL__N_120cunn_SoftMaxBackwardILi4EN3c104HalfEffNS1_26LogSoftMaxBackwardEpilogueEEEvPT0_PKT2_SA_l.has_dyn_sized_stack, 0
	.set _ZN2at6native12_GLOBAL__N_120cunn_SoftMaxBackwardILi4EN3c104HalfEffNS1_26LogSoftMaxBackwardEpilogueEEEvPT0_PKT2_SA_l.has_recursion, 0
	.set _ZN2at6native12_GLOBAL__N_120cunn_SoftMaxBackwardILi4EN3c104HalfEffNS1_26LogSoftMaxBackwardEpilogueEEEvPT0_PKT2_SA_l.has_indirect_call, 0
	.section	.AMDGPU.csdata,"",@progbits
; Kernel info:
; codeLenInByte = 8448
; TotalNumSgprs: 61
; NumVgprs: 34
; ScratchSize: 0
; MemoryBound: 0
; FloatMode: 240
; IeeeMode: 1
; LDSByteSize: 0 bytes/workgroup (compile time only)
; SGPRBlocks: 0
; VGPRBlocks: 4
; NumSGPRsForWavesPerEU: 61
; NumVGPRsForWavesPerEU: 34
; Occupancy: 16
; WaveLimiterHint : 0
; COMPUTE_PGM_RSRC2:SCRATCH_EN: 0
; COMPUTE_PGM_RSRC2:USER_SGPR: 6
; COMPUTE_PGM_RSRC2:TRAP_HANDLER: 0
; COMPUTE_PGM_RSRC2:TGID_X_EN: 1
; COMPUTE_PGM_RSRC2:TGID_Y_EN: 0
; COMPUTE_PGM_RSRC2:TGID_Z_EN: 0
; COMPUTE_PGM_RSRC2:TIDIG_COMP_CNT: 0
	.section	.text._ZN12_GLOBAL__N_121softmax_warp_backwardIN3c108BFloat16ES2_fLi0ELb1ELb0ELi64EEEvPT0_PKT_S7_iiiPKb,"axG",@progbits,_ZN12_GLOBAL__N_121softmax_warp_backwardIN3c108BFloat16ES2_fLi0ELb1ELb0ELi64EEEvPT0_PKT_S7_iiiPKb,comdat
	.globl	_ZN12_GLOBAL__N_121softmax_warp_backwardIN3c108BFloat16ES2_fLi0ELb1ELb0ELi64EEEvPT0_PKT_S7_iiiPKb ; -- Begin function _ZN12_GLOBAL__N_121softmax_warp_backwardIN3c108BFloat16ES2_fLi0ELb1ELb0ELi64EEEvPT0_PKT_S7_iiiPKb
	.p2align	8
	.type	_ZN12_GLOBAL__N_121softmax_warp_backwardIN3c108BFloat16ES2_fLi0ELb1ELb0ELi64EEEvPT0_PKT_S7_iiiPKb,@function
_ZN12_GLOBAL__N_121softmax_warp_backwardIN3c108BFloat16ES2_fLi0ELb1ELb0ELi64EEEvPT0_PKT_S7_iiiPKb: ; @_ZN12_GLOBAL__N_121softmax_warp_backwardIN3c108BFloat16ES2_fLi0ELb1ELb0ELi64EEEvPT0_PKT_S7_iiiPKb
; %bb.0:
	s_clause 0x3
	s_load_dword s7, s[4:5], 0x3c
	s_load_dwordx4 s[0:3], s[4:5], 0x18
	s_load_dwordx4 s[8:11], s[4:5], 0x0
	s_load_dwordx2 s[4:5], s[4:5], 0x10
	v_mov_b32_e32 v7, 0
	v_mov_b32_e32 v8, 0
	s_waitcnt lgkmcnt(0)
	s_lshr_b32 s3, s7, 16
	s_and_b32 s3, s3, 0xffff
	s_cmp_gt_i32 s2, 0
	s_mul_i32 s6, s6, s3
	v_add_lshl_u32 v2, s6, v1, 1
	v_mul_lo_u32 v0, v2, s1
	v_sub_nc_u32_e32 v6, s0, v2
	s_cselect_b32 s1, -1, 0
	v_cmp_lt_i32_e32 vcc_lo, 0, v6
	v_ashrrev_i32_e32 v1, 31, v0
	s_and_b32 s3, s1, vcc_lo
	v_lshlrev_b64 v[0:1], 1, v[0:1]
	v_add_co_u32 v2, s0, s10, v0
	v_add_co_ci_u32_e64 v3, null, s11, v1, s0
	v_add_co_u32 v4, s0, s4, v0
	v_add_co_ci_u32_e64 v5, null, s5, v1, s0
	s_and_saveexec_b32 s0, s3
	s_cbranch_execz .LBB300_2
; %bb.1:
	global_load_ushort v7, v[2:3], off
	global_load_ushort v9, v[4:5], off
	s_waitcnt vmcnt(1)
	v_lshlrev_b32_e32 v8, 16, v7
	s_waitcnt vmcnt(0)
	v_lshlrev_b32_e32 v7, 16, v9
.LBB300_2:
	s_or_b32 exec_lo, exec_lo, s0
	v_cmp_gt_i32_e64 s0, 2, v6
	s_xor_b32 s3, s1, -1
	s_or_b32 s0, s3, s0
	s_and_saveexec_b32 s3, s0
	s_xor_b32 s0, exec_lo, s3
                                        ; implicit-def: $vgpr9
	s_cbranch_execnz .LBB300_6
; %bb.3:
	s_or_saveexec_b32 s4, s0
	v_mov_b32_e32 v10, 1.0
	s_xor_b32 exec_lo, exec_lo, s4
	s_cbranch_execnz .LBB300_7
.LBB300_4:
	s_or_b32 exec_lo, exec_lo, s4
	s_and_saveexec_b32 s0, vcc_lo
	s_cbranch_execnz .LBB300_8
.LBB300_5:
	s_endpgm
.LBB300_6:
	v_mov_b32_e32 v9, 0
                                        ; implicit-def: $vgpr4
                                        ; implicit-def: $vgpr2
	s_or_saveexec_b32 s4, s0
	v_mov_b32_e32 v10, 1.0
	s_xor_b32 exec_lo, exec_lo, s4
	s_cbranch_execz .LBB300_4
.LBB300_7:
	s_mov_b32 s3, 0
	s_lshl_b64 s[6:7], s[2:3], 1
	v_add_co_u32 v4, s0, v4, s6
	v_add_co_ci_u32_e64 v5, null, s7, v5, s0
	v_add_co_u32 v2, s0, v2, s6
	v_add_co_ci_u32_e64 v3, null, s7, v3, s0
	global_load_ushort v4, v[4:5], off
	global_load_ushort v2, v[2:3], off
	s_waitcnt vmcnt(1)
	v_lshlrev_b32_e32 v3, 16, v4
	v_mul_f32_e32 v4, 0x3fb8aa3b, v3
	v_cmp_ngt_f32_e64 s0, 0xc2ce8ed0, v3
	v_fma_f32 v5, 0x3fb8aa3b, v3, -v4
	v_rndne_f32_e32 v9, v4
	v_fmamk_f32 v5, v3, 0x32a5705f, v5
	v_sub_f32_e32 v4, v4, v9
	v_add_f32_e32 v4, v4, v5
	v_cvt_i32_f32_e32 v5, v9
	s_waitcnt vmcnt(0)
	v_lshlrev_b32_e32 v9, 16, v2
	v_exp_f32_e32 v4, v4
	v_ldexp_f32 v4, v4, v5
	v_cndmask_b32_e64 v4, 0, v4, s0
	v_cmp_nlt_f32_e64 s0, 0x42b17218, v3
	v_cndmask_b32_e64 v10, 0x7f800000, v4, s0
	s_or_b32 exec_lo, exec_lo, s4
	s_and_saveexec_b32 s0, vcc_lo
	s_cbranch_execz .LBB300_5
.LBB300_8:
	v_add_co_u32 v0, vcc_lo, s8, v0
	v_add_co_ci_u32_e64 v1, null, s9, v1, vcc_lo
	s_andn2_b32 vcc_lo, exec_lo, s1
	s_cbranch_vccnz .LBB300_10
; %bb.9:
	v_mul_f32_e32 v2, 0x3fb8aa3b, v7
	v_cmp_ngt_f32_e32 vcc_lo, 0xc2ce8ed0, v7
	v_rndne_f32_e32 v3, v2
	v_fma_f32 v4, 0x3fb8aa3b, v7, -v2
	v_sub_f32_e32 v2, v2, v3
	v_fmamk_f32 v4, v7, 0x32a5705f, v4
	v_cvt_i32_f32_e32 v3, v3
	v_add_f32_e32 v2, v2, v4
	v_exp_f32_e32 v2, v2
	v_ldexp_f32 v2, v2, v3
	v_add_f32_e32 v3, 0, v8
	v_cndmask_b32_e32 v2, 0, v2, vcc_lo
	v_cmp_nlt_f32_e32 vcc_lo, 0x42b17218, v7
	v_cndmask_b32_e32 v2, 0x7f800000, v2, vcc_lo
	v_fma_f32 v2, -v3, v2, v8
	v_bfe_u32 v3, v2, 16, 1
	v_cmp_o_f32_e32 vcc_lo, v2, v2
	v_add3_u32 v2, v2, v3, 0x7fff
	v_mov_b32_e32 v3, 0x7fc0
	v_cndmask_b32_sdwa v2, v3, v2, vcc_lo dst_sel:DWORD dst_unused:UNUSED_PAD src0_sel:DWORD src1_sel:WORD_1
	global_store_short v[0:1], v2, off
.LBB300_10:
	v_cmp_ne_u32_e32 vcc_lo, 1, v6
	s_and_b32 s0, vcc_lo, s1
	s_and_b32 exec_lo, exec_lo, s0
	s_cbranch_execz .LBB300_5
; %bb.11:
	v_add_f32_e32 v2, 0, v9
	s_mov_b32 s3, 0
	v_mov_b32_e32 v4, 0x7fc0
	s_lshl_b64 s[0:1], s[2:3], 1
	v_add_co_u32 v0, s0, v0, s0
	v_fma_f32 v2, -v2, v10, v9
	v_add_co_ci_u32_e64 v1, null, s1, v1, s0
	v_bfe_u32 v3, v2, 16, 1
	v_cmp_o_f32_e32 vcc_lo, v2, v2
	v_add3_u32 v2, v2, v3, 0x7fff
	v_cndmask_b32_sdwa v2, v4, v2, vcc_lo dst_sel:DWORD dst_unused:UNUSED_PAD src0_sel:DWORD src1_sel:WORD_1
	global_store_short v[0:1], v2, off
	s_endpgm
	.section	.rodata,"a",@progbits
	.p2align	6, 0x0
	.amdhsa_kernel _ZN12_GLOBAL__N_121softmax_warp_backwardIN3c108BFloat16ES2_fLi0ELb1ELb0ELi64EEEvPT0_PKT_S7_iiiPKb
		.amdhsa_group_segment_fixed_size 0
		.amdhsa_private_segment_fixed_size 0
		.amdhsa_kernarg_size 304
		.amdhsa_user_sgpr_count 6
		.amdhsa_user_sgpr_private_segment_buffer 1
		.amdhsa_user_sgpr_dispatch_ptr 0
		.amdhsa_user_sgpr_queue_ptr 0
		.amdhsa_user_sgpr_kernarg_segment_ptr 1
		.amdhsa_user_sgpr_dispatch_id 0
		.amdhsa_user_sgpr_flat_scratch_init 0
		.amdhsa_user_sgpr_private_segment_size 0
		.amdhsa_wavefront_size32 1
		.amdhsa_uses_dynamic_stack 0
		.amdhsa_system_sgpr_private_segment_wavefront_offset 0
		.amdhsa_system_sgpr_workgroup_id_x 1
		.amdhsa_system_sgpr_workgroup_id_y 0
		.amdhsa_system_sgpr_workgroup_id_z 0
		.amdhsa_system_sgpr_workgroup_info 0
		.amdhsa_system_vgpr_workitem_id 1
		.amdhsa_next_free_vgpr 11
		.amdhsa_next_free_sgpr 12
		.amdhsa_reserve_vcc 1
		.amdhsa_reserve_flat_scratch 0
		.amdhsa_float_round_mode_32 0
		.amdhsa_float_round_mode_16_64 0
		.amdhsa_float_denorm_mode_32 3
		.amdhsa_float_denorm_mode_16_64 3
		.amdhsa_dx10_clamp 1
		.amdhsa_ieee_mode 1
		.amdhsa_fp16_overflow 0
		.amdhsa_workgroup_processor_mode 1
		.amdhsa_memory_ordered 1
		.amdhsa_forward_progress 1
		.amdhsa_shared_vgpr_count 0
		.amdhsa_exception_fp_ieee_invalid_op 0
		.amdhsa_exception_fp_denorm_src 0
		.amdhsa_exception_fp_ieee_div_zero 0
		.amdhsa_exception_fp_ieee_overflow 0
		.amdhsa_exception_fp_ieee_underflow 0
		.amdhsa_exception_fp_ieee_inexact 0
		.amdhsa_exception_int_div_zero 0
	.end_amdhsa_kernel
	.section	.text._ZN12_GLOBAL__N_121softmax_warp_backwardIN3c108BFloat16ES2_fLi0ELb1ELb0ELi64EEEvPT0_PKT_S7_iiiPKb,"axG",@progbits,_ZN12_GLOBAL__N_121softmax_warp_backwardIN3c108BFloat16ES2_fLi0ELb1ELb0ELi64EEEvPT0_PKT_S7_iiiPKb,comdat
.Lfunc_end300:
	.size	_ZN12_GLOBAL__N_121softmax_warp_backwardIN3c108BFloat16ES2_fLi0ELb1ELb0ELi64EEEvPT0_PKT_S7_iiiPKb, .Lfunc_end300-_ZN12_GLOBAL__N_121softmax_warp_backwardIN3c108BFloat16ES2_fLi0ELb1ELb0ELi64EEEvPT0_PKT_S7_iiiPKb
                                        ; -- End function
	.set _ZN12_GLOBAL__N_121softmax_warp_backwardIN3c108BFloat16ES2_fLi0ELb1ELb0ELi64EEEvPT0_PKT_S7_iiiPKb.num_vgpr, 11
	.set _ZN12_GLOBAL__N_121softmax_warp_backwardIN3c108BFloat16ES2_fLi0ELb1ELb0ELi64EEEvPT0_PKT_S7_iiiPKb.num_agpr, 0
	.set _ZN12_GLOBAL__N_121softmax_warp_backwardIN3c108BFloat16ES2_fLi0ELb1ELb0ELi64EEEvPT0_PKT_S7_iiiPKb.numbered_sgpr, 12
	.set _ZN12_GLOBAL__N_121softmax_warp_backwardIN3c108BFloat16ES2_fLi0ELb1ELb0ELi64EEEvPT0_PKT_S7_iiiPKb.num_named_barrier, 0
	.set _ZN12_GLOBAL__N_121softmax_warp_backwardIN3c108BFloat16ES2_fLi0ELb1ELb0ELi64EEEvPT0_PKT_S7_iiiPKb.private_seg_size, 0
	.set _ZN12_GLOBAL__N_121softmax_warp_backwardIN3c108BFloat16ES2_fLi0ELb1ELb0ELi64EEEvPT0_PKT_S7_iiiPKb.uses_vcc, 1
	.set _ZN12_GLOBAL__N_121softmax_warp_backwardIN3c108BFloat16ES2_fLi0ELb1ELb0ELi64EEEvPT0_PKT_S7_iiiPKb.uses_flat_scratch, 0
	.set _ZN12_GLOBAL__N_121softmax_warp_backwardIN3c108BFloat16ES2_fLi0ELb1ELb0ELi64EEEvPT0_PKT_S7_iiiPKb.has_dyn_sized_stack, 0
	.set _ZN12_GLOBAL__N_121softmax_warp_backwardIN3c108BFloat16ES2_fLi0ELb1ELb0ELi64EEEvPT0_PKT_S7_iiiPKb.has_recursion, 0
	.set _ZN12_GLOBAL__N_121softmax_warp_backwardIN3c108BFloat16ES2_fLi0ELb1ELb0ELi64EEEvPT0_PKT_S7_iiiPKb.has_indirect_call, 0
	.section	.AMDGPU.csdata,"",@progbits
; Kernel info:
; codeLenInByte = 724
; TotalNumSgprs: 14
; NumVgprs: 11
; ScratchSize: 0
; MemoryBound: 0
; FloatMode: 240
; IeeeMode: 1
; LDSByteSize: 0 bytes/workgroup (compile time only)
; SGPRBlocks: 0
; VGPRBlocks: 1
; NumSGPRsForWavesPerEU: 14
; NumVGPRsForWavesPerEU: 11
; Occupancy: 16
; WaveLimiterHint : 0
; COMPUTE_PGM_RSRC2:SCRATCH_EN: 0
; COMPUTE_PGM_RSRC2:USER_SGPR: 6
; COMPUTE_PGM_RSRC2:TRAP_HANDLER: 0
; COMPUTE_PGM_RSRC2:TGID_X_EN: 1
; COMPUTE_PGM_RSRC2:TGID_Y_EN: 0
; COMPUTE_PGM_RSRC2:TGID_Z_EN: 0
; COMPUTE_PGM_RSRC2:TIDIG_COMP_CNT: 1
	.section	.text._ZN12_GLOBAL__N_121softmax_warp_backwardIN3c108BFloat16ES2_fLi0ELb1ELb0ELi32EEEvPT0_PKT_S7_iiiPKb,"axG",@progbits,_ZN12_GLOBAL__N_121softmax_warp_backwardIN3c108BFloat16ES2_fLi0ELb1ELb0ELi32EEEvPT0_PKT_S7_iiiPKb,comdat
	.globl	_ZN12_GLOBAL__N_121softmax_warp_backwardIN3c108BFloat16ES2_fLi0ELb1ELb0ELi32EEEvPT0_PKT_S7_iiiPKb ; -- Begin function _ZN12_GLOBAL__N_121softmax_warp_backwardIN3c108BFloat16ES2_fLi0ELb1ELb0ELi32EEEvPT0_PKT_S7_iiiPKb
	.p2align	8
	.type	_ZN12_GLOBAL__N_121softmax_warp_backwardIN3c108BFloat16ES2_fLi0ELb1ELb0ELi32EEEvPT0_PKT_S7_iiiPKb,@function
_ZN12_GLOBAL__N_121softmax_warp_backwardIN3c108BFloat16ES2_fLi0ELb1ELb0ELi32EEEvPT0_PKT_S7_iiiPKb: ; @_ZN12_GLOBAL__N_121softmax_warp_backwardIN3c108BFloat16ES2_fLi0ELb1ELb0ELi32EEEvPT0_PKT_S7_iiiPKb
; %bb.0:
	s_clause 0x3
	s_load_dword s7, s[4:5], 0x3c
	s_load_dwordx4 s[0:3], s[4:5], 0x18
	s_load_dwordx4 s[8:11], s[4:5], 0x0
	s_load_dwordx2 s[4:5], s[4:5], 0x10
	v_mov_b32_e32 v7, 0
	v_mov_b32_e32 v8, 0
	s_waitcnt lgkmcnt(0)
	s_lshr_b32 s3, s7, 16
	s_and_b32 s3, s3, 0xffff
	s_cmp_gt_i32 s2, 0
	s_mul_i32 s6, s6, s3
	v_add_lshl_u32 v2, s6, v1, 1
	v_mul_lo_u32 v0, v2, s1
	v_sub_nc_u32_e32 v6, s0, v2
	s_cselect_b32 s1, -1, 0
	v_cmp_lt_i32_e32 vcc_lo, 0, v6
	v_ashrrev_i32_e32 v1, 31, v0
	s_and_b32 s3, s1, vcc_lo
	v_lshlrev_b64 v[0:1], 1, v[0:1]
	v_add_co_u32 v2, s0, s10, v0
	v_add_co_ci_u32_e64 v3, null, s11, v1, s0
	v_add_co_u32 v4, s0, s4, v0
	v_add_co_ci_u32_e64 v5, null, s5, v1, s0
	s_and_saveexec_b32 s0, s3
	s_cbranch_execz .LBB301_2
; %bb.1:
	global_load_ushort v7, v[2:3], off
	global_load_ushort v9, v[4:5], off
	s_waitcnt vmcnt(1)
	v_lshlrev_b32_e32 v8, 16, v7
	s_waitcnt vmcnt(0)
	v_lshlrev_b32_e32 v7, 16, v9
.LBB301_2:
	s_or_b32 exec_lo, exec_lo, s0
	v_cmp_gt_i32_e64 s0, 2, v6
	s_xor_b32 s3, s1, -1
	s_or_b32 s0, s3, s0
	s_and_saveexec_b32 s3, s0
	s_xor_b32 s0, exec_lo, s3
                                        ; implicit-def: $vgpr9
	s_cbranch_execnz .LBB301_6
; %bb.3:
	s_or_saveexec_b32 s4, s0
	v_mov_b32_e32 v10, 1.0
	s_xor_b32 exec_lo, exec_lo, s4
	s_cbranch_execnz .LBB301_7
.LBB301_4:
	s_or_b32 exec_lo, exec_lo, s4
	s_and_saveexec_b32 s0, vcc_lo
	s_cbranch_execnz .LBB301_8
.LBB301_5:
	s_endpgm
.LBB301_6:
	v_mov_b32_e32 v9, 0
                                        ; implicit-def: $vgpr4
                                        ; implicit-def: $vgpr2
	s_or_saveexec_b32 s4, s0
	v_mov_b32_e32 v10, 1.0
	s_xor_b32 exec_lo, exec_lo, s4
	s_cbranch_execz .LBB301_4
.LBB301_7:
	s_mov_b32 s3, 0
	s_lshl_b64 s[6:7], s[2:3], 1
	v_add_co_u32 v4, s0, v4, s6
	v_add_co_ci_u32_e64 v5, null, s7, v5, s0
	v_add_co_u32 v2, s0, v2, s6
	v_add_co_ci_u32_e64 v3, null, s7, v3, s0
	global_load_ushort v4, v[4:5], off
	global_load_ushort v2, v[2:3], off
	s_waitcnt vmcnt(1)
	v_lshlrev_b32_e32 v3, 16, v4
	v_mul_f32_e32 v4, 0x3fb8aa3b, v3
	v_cmp_ngt_f32_e64 s0, 0xc2ce8ed0, v3
	v_fma_f32 v5, 0x3fb8aa3b, v3, -v4
	v_rndne_f32_e32 v9, v4
	v_fmamk_f32 v5, v3, 0x32a5705f, v5
	v_sub_f32_e32 v4, v4, v9
	v_add_f32_e32 v4, v4, v5
	v_cvt_i32_f32_e32 v5, v9
	s_waitcnt vmcnt(0)
	v_lshlrev_b32_e32 v9, 16, v2
	v_exp_f32_e32 v4, v4
	v_ldexp_f32 v4, v4, v5
	v_cndmask_b32_e64 v4, 0, v4, s0
	v_cmp_nlt_f32_e64 s0, 0x42b17218, v3
	v_cndmask_b32_e64 v10, 0x7f800000, v4, s0
	s_or_b32 exec_lo, exec_lo, s4
	s_and_saveexec_b32 s0, vcc_lo
	s_cbranch_execz .LBB301_5
.LBB301_8:
	v_add_co_u32 v0, vcc_lo, s8, v0
	v_add_co_ci_u32_e64 v1, null, s9, v1, vcc_lo
	s_andn2_b32 vcc_lo, exec_lo, s1
	s_cbranch_vccnz .LBB301_10
; %bb.9:
	v_mul_f32_e32 v2, 0x3fb8aa3b, v7
	v_cmp_ngt_f32_e32 vcc_lo, 0xc2ce8ed0, v7
	v_rndne_f32_e32 v3, v2
	v_fma_f32 v4, 0x3fb8aa3b, v7, -v2
	v_sub_f32_e32 v2, v2, v3
	v_fmamk_f32 v4, v7, 0x32a5705f, v4
	v_cvt_i32_f32_e32 v3, v3
	v_add_f32_e32 v2, v2, v4
	v_exp_f32_e32 v2, v2
	v_ldexp_f32 v2, v2, v3
	v_add_f32_e32 v3, 0, v8
	v_cndmask_b32_e32 v2, 0, v2, vcc_lo
	v_cmp_nlt_f32_e32 vcc_lo, 0x42b17218, v7
	v_cndmask_b32_e32 v2, 0x7f800000, v2, vcc_lo
	v_fma_f32 v2, -v3, v2, v8
	v_bfe_u32 v3, v2, 16, 1
	v_cmp_o_f32_e32 vcc_lo, v2, v2
	v_add3_u32 v2, v2, v3, 0x7fff
	v_mov_b32_e32 v3, 0x7fc0
	v_cndmask_b32_sdwa v2, v3, v2, vcc_lo dst_sel:DWORD dst_unused:UNUSED_PAD src0_sel:DWORD src1_sel:WORD_1
	global_store_short v[0:1], v2, off
.LBB301_10:
	v_cmp_ne_u32_e32 vcc_lo, 1, v6
	s_and_b32 s0, vcc_lo, s1
	s_and_b32 exec_lo, exec_lo, s0
	s_cbranch_execz .LBB301_5
; %bb.11:
	v_add_f32_e32 v2, 0, v9
	s_mov_b32 s3, 0
	v_mov_b32_e32 v4, 0x7fc0
	s_lshl_b64 s[0:1], s[2:3], 1
	v_add_co_u32 v0, s0, v0, s0
	v_fma_f32 v2, -v2, v10, v9
	v_add_co_ci_u32_e64 v1, null, s1, v1, s0
	v_bfe_u32 v3, v2, 16, 1
	v_cmp_o_f32_e32 vcc_lo, v2, v2
	v_add3_u32 v2, v2, v3, 0x7fff
	v_cndmask_b32_sdwa v2, v4, v2, vcc_lo dst_sel:DWORD dst_unused:UNUSED_PAD src0_sel:DWORD src1_sel:WORD_1
	global_store_short v[0:1], v2, off
	s_endpgm
	.section	.rodata,"a",@progbits
	.p2align	6, 0x0
	.amdhsa_kernel _ZN12_GLOBAL__N_121softmax_warp_backwardIN3c108BFloat16ES2_fLi0ELb1ELb0ELi32EEEvPT0_PKT_S7_iiiPKb
		.amdhsa_group_segment_fixed_size 0
		.amdhsa_private_segment_fixed_size 0
		.amdhsa_kernarg_size 304
		.amdhsa_user_sgpr_count 6
		.amdhsa_user_sgpr_private_segment_buffer 1
		.amdhsa_user_sgpr_dispatch_ptr 0
		.amdhsa_user_sgpr_queue_ptr 0
		.amdhsa_user_sgpr_kernarg_segment_ptr 1
		.amdhsa_user_sgpr_dispatch_id 0
		.amdhsa_user_sgpr_flat_scratch_init 0
		.amdhsa_user_sgpr_private_segment_size 0
		.amdhsa_wavefront_size32 1
		.amdhsa_uses_dynamic_stack 0
		.amdhsa_system_sgpr_private_segment_wavefront_offset 0
		.amdhsa_system_sgpr_workgroup_id_x 1
		.amdhsa_system_sgpr_workgroup_id_y 0
		.amdhsa_system_sgpr_workgroup_id_z 0
		.amdhsa_system_sgpr_workgroup_info 0
		.amdhsa_system_vgpr_workitem_id 1
		.amdhsa_next_free_vgpr 11
		.amdhsa_next_free_sgpr 12
		.amdhsa_reserve_vcc 1
		.amdhsa_reserve_flat_scratch 0
		.amdhsa_float_round_mode_32 0
		.amdhsa_float_round_mode_16_64 0
		.amdhsa_float_denorm_mode_32 3
		.amdhsa_float_denorm_mode_16_64 3
		.amdhsa_dx10_clamp 1
		.amdhsa_ieee_mode 1
		.amdhsa_fp16_overflow 0
		.amdhsa_workgroup_processor_mode 1
		.amdhsa_memory_ordered 1
		.amdhsa_forward_progress 1
		.amdhsa_shared_vgpr_count 0
		.amdhsa_exception_fp_ieee_invalid_op 0
		.amdhsa_exception_fp_denorm_src 0
		.amdhsa_exception_fp_ieee_div_zero 0
		.amdhsa_exception_fp_ieee_overflow 0
		.amdhsa_exception_fp_ieee_underflow 0
		.amdhsa_exception_fp_ieee_inexact 0
		.amdhsa_exception_int_div_zero 0
	.end_amdhsa_kernel
	.section	.text._ZN12_GLOBAL__N_121softmax_warp_backwardIN3c108BFloat16ES2_fLi0ELb1ELb0ELi32EEEvPT0_PKT_S7_iiiPKb,"axG",@progbits,_ZN12_GLOBAL__N_121softmax_warp_backwardIN3c108BFloat16ES2_fLi0ELb1ELb0ELi32EEEvPT0_PKT_S7_iiiPKb,comdat
.Lfunc_end301:
	.size	_ZN12_GLOBAL__N_121softmax_warp_backwardIN3c108BFloat16ES2_fLi0ELb1ELb0ELi32EEEvPT0_PKT_S7_iiiPKb, .Lfunc_end301-_ZN12_GLOBAL__N_121softmax_warp_backwardIN3c108BFloat16ES2_fLi0ELb1ELb0ELi32EEEvPT0_PKT_S7_iiiPKb
                                        ; -- End function
	.set _ZN12_GLOBAL__N_121softmax_warp_backwardIN3c108BFloat16ES2_fLi0ELb1ELb0ELi32EEEvPT0_PKT_S7_iiiPKb.num_vgpr, 11
	.set _ZN12_GLOBAL__N_121softmax_warp_backwardIN3c108BFloat16ES2_fLi0ELb1ELb0ELi32EEEvPT0_PKT_S7_iiiPKb.num_agpr, 0
	.set _ZN12_GLOBAL__N_121softmax_warp_backwardIN3c108BFloat16ES2_fLi0ELb1ELb0ELi32EEEvPT0_PKT_S7_iiiPKb.numbered_sgpr, 12
	.set _ZN12_GLOBAL__N_121softmax_warp_backwardIN3c108BFloat16ES2_fLi0ELb1ELb0ELi32EEEvPT0_PKT_S7_iiiPKb.num_named_barrier, 0
	.set _ZN12_GLOBAL__N_121softmax_warp_backwardIN3c108BFloat16ES2_fLi0ELb1ELb0ELi32EEEvPT0_PKT_S7_iiiPKb.private_seg_size, 0
	.set _ZN12_GLOBAL__N_121softmax_warp_backwardIN3c108BFloat16ES2_fLi0ELb1ELb0ELi32EEEvPT0_PKT_S7_iiiPKb.uses_vcc, 1
	.set _ZN12_GLOBAL__N_121softmax_warp_backwardIN3c108BFloat16ES2_fLi0ELb1ELb0ELi32EEEvPT0_PKT_S7_iiiPKb.uses_flat_scratch, 0
	.set _ZN12_GLOBAL__N_121softmax_warp_backwardIN3c108BFloat16ES2_fLi0ELb1ELb0ELi32EEEvPT0_PKT_S7_iiiPKb.has_dyn_sized_stack, 0
	.set _ZN12_GLOBAL__N_121softmax_warp_backwardIN3c108BFloat16ES2_fLi0ELb1ELb0ELi32EEEvPT0_PKT_S7_iiiPKb.has_recursion, 0
	.set _ZN12_GLOBAL__N_121softmax_warp_backwardIN3c108BFloat16ES2_fLi0ELb1ELb0ELi32EEEvPT0_PKT_S7_iiiPKb.has_indirect_call, 0
	.section	.AMDGPU.csdata,"",@progbits
; Kernel info:
; codeLenInByte = 724
; TotalNumSgprs: 14
; NumVgprs: 11
; ScratchSize: 0
; MemoryBound: 0
; FloatMode: 240
; IeeeMode: 1
; LDSByteSize: 0 bytes/workgroup (compile time only)
; SGPRBlocks: 0
; VGPRBlocks: 1
; NumSGPRsForWavesPerEU: 14
; NumVGPRsForWavesPerEU: 11
; Occupancy: 16
; WaveLimiterHint : 0
; COMPUTE_PGM_RSRC2:SCRATCH_EN: 0
; COMPUTE_PGM_RSRC2:USER_SGPR: 6
; COMPUTE_PGM_RSRC2:TRAP_HANDLER: 0
; COMPUTE_PGM_RSRC2:TGID_X_EN: 1
; COMPUTE_PGM_RSRC2:TGID_Y_EN: 0
; COMPUTE_PGM_RSRC2:TGID_Z_EN: 0
; COMPUTE_PGM_RSRC2:TIDIG_COMP_CNT: 1
	.section	.text._ZN12_GLOBAL__N_121softmax_warp_backwardIN3c108BFloat16ES2_fLi1ELb1ELb0ELi64EEEvPT0_PKT_S7_iiiPKb,"axG",@progbits,_ZN12_GLOBAL__N_121softmax_warp_backwardIN3c108BFloat16ES2_fLi1ELb1ELb0ELi64EEEvPT0_PKT_S7_iiiPKb,comdat
	.globl	_ZN12_GLOBAL__N_121softmax_warp_backwardIN3c108BFloat16ES2_fLi1ELb1ELb0ELi64EEEvPT0_PKT_S7_iiiPKb ; -- Begin function _ZN12_GLOBAL__N_121softmax_warp_backwardIN3c108BFloat16ES2_fLi1ELb1ELb0ELi64EEEvPT0_PKT_S7_iiiPKb
	.p2align	8
	.type	_ZN12_GLOBAL__N_121softmax_warp_backwardIN3c108BFloat16ES2_fLi1ELb1ELb0ELi64EEEvPT0_PKT_S7_iiiPKb,@function
_ZN12_GLOBAL__N_121softmax_warp_backwardIN3c108BFloat16ES2_fLi1ELb1ELb0ELi64EEEvPT0_PKT_S7_iiiPKb: ; @_ZN12_GLOBAL__N_121softmax_warp_backwardIN3c108BFloat16ES2_fLi1ELb1ELb0ELi64EEEvPT0_PKT_S7_iiiPKb
; %bb.0:
	s_clause 0x1
	s_load_dword s7, s[4:5], 0x3c
	s_load_dwordx4 s[0:3], s[4:5], 0x18
	v_and_b32_e32 v3, 1, v0
	s_clause 0x1
	s_load_dwordx4 s[8:11], s[4:5], 0x0
	s_load_dwordx2 s[4:5], s[4:5], 0x10
	v_mov_b32_e32 v7, 0
	v_mov_b32_e32 v8, 0
	s_waitcnt lgkmcnt(0)
	s_lshr_b32 s3, s7, 16
	s_and_b32 s3, s3, 0xffff
	s_mul_i32 s6, s6, s3
	v_add_lshl_u32 v2, s6, v1, 1
	v_mul_lo_u32 v1, v2, s1
	v_sub_nc_u32_e32 v6, s0, v2
	v_cmp_gt_i32_e64 s0, s2, v3
	v_cmp_lt_i32_e32 vcc_lo, 0, v6
	v_or_b32_e32 v0, v1, v3
	s_and_b32 s3, s0, vcc_lo
	v_ashrrev_i32_e32 v1, 31, v0
	v_lshlrev_b64 v[0:1], 1, v[0:1]
	v_add_co_u32 v2, s1, s10, v0
	v_add_co_ci_u32_e64 v3, null, s11, v1, s1
	v_add_co_u32 v4, s1, s4, v0
	v_add_co_ci_u32_e64 v5, null, s5, v1, s1
	s_and_saveexec_b32 s1, s3
	s_cbranch_execz .LBB302_2
; %bb.1:
	global_load_ushort v7, v[2:3], off
	global_load_ushort v9, v[4:5], off
	s_waitcnt vmcnt(1)
	v_lshlrev_b32_e32 v8, 16, v7
	s_waitcnt vmcnt(0)
	v_lshlrev_b32_e32 v7, 16, v9
.LBB302_2:
	s_or_b32 exec_lo, exec_lo, s1
	v_cmp_gt_i32_e64 s1, 2, v6
	s_xor_b32 s3, s0, -1
	s_or_b32 s1, s3, s1
	s_and_saveexec_b32 s3, s1
	s_xor_b32 s1, exec_lo, s3
                                        ; implicit-def: $vgpr9
; %bb.3:
	v_mov_b32_e32 v9, 0
                                        ; implicit-def: $vgpr4
                                        ; implicit-def: $vgpr2
; %bb.4:
	s_or_saveexec_b32 s4, s1
	v_mov_b32_e32 v10, 1.0
	s_xor_b32 exec_lo, exec_lo, s4
	s_cbranch_execz .LBB302_6
; %bb.5:
	s_mov_b32 s3, 0
	s_lshl_b64 s[6:7], s[2:3], 1
	v_add_co_u32 v4, s1, v4, s6
	v_add_co_ci_u32_e64 v5, null, s7, v5, s1
	v_add_co_u32 v2, s1, v2, s6
	v_add_co_ci_u32_e64 v3, null, s7, v3, s1
	global_load_ushort v4, v[4:5], off
	global_load_ushort v2, v[2:3], off
	s_waitcnt vmcnt(1)
	v_lshlrev_b32_e32 v3, 16, v4
	v_mul_f32_e32 v4, 0x3fb8aa3b, v3
	v_cmp_ngt_f32_e64 s1, 0xc2ce8ed0, v3
	v_fma_f32 v5, 0x3fb8aa3b, v3, -v4
	v_rndne_f32_e32 v9, v4
	v_fmamk_f32 v5, v3, 0x32a5705f, v5
	v_sub_f32_e32 v4, v4, v9
	v_add_f32_e32 v4, v4, v5
	v_cvt_i32_f32_e32 v5, v9
	s_waitcnt vmcnt(0)
	v_lshlrev_b32_e32 v9, 16, v2
	v_exp_f32_e32 v4, v4
	v_ldexp_f32 v4, v4, v5
	v_cndmask_b32_e64 v4, 0, v4, s1
	v_cmp_nlt_f32_e64 s1, 0x42b17218, v3
	v_cndmask_b32_e64 v10, 0x7f800000, v4, s1
.LBB302_6:
	s_or_b32 exec_lo, exec_lo, s4
	v_mbcnt_lo_u32_b32 v2, -1, 0
	v_and_b32_e32 v3, 30, v2
	v_xor_b32_e32 v4, 1, v2
	v_add_nc_u32_e32 v3, 2, v3
	v_cmp_lt_i32_e64 s1, v4, v3
	v_cndmask_b32_e64 v2, v2, v4, s1
	v_add_f32_e32 v4, 0, v8
	v_lshlrev_b32_e32 v3, 2, v2
	v_add_f32_e32 v2, 0, v9
	ds_bpermute_b32 v5, v3, v4
	ds_bpermute_b32 v3, v3, v2
	s_and_saveexec_b32 s1, vcc_lo
	s_cbranch_execz .LBB302_11
; %bb.7:
	v_add_co_u32 v0, vcc_lo, s8, v0
	v_add_co_ci_u32_e64 v1, null, s9, v1, vcc_lo
	s_and_saveexec_b32 s1, s0
	s_cbranch_execz .LBB302_9
; %bb.8:
	v_mul_f32_e32 v11, 0x3fb8aa3b, v7
	v_cmp_ngt_f32_e32 vcc_lo, 0xc2ce8ed0, v7
	s_waitcnt lgkmcnt(1)
	v_add_f32_e32 v4, v4, v5
	v_rndne_f32_e32 v12, v11
	v_fma_f32 v13, 0x3fb8aa3b, v7, -v11
	v_sub_f32_e32 v11, v11, v12
	v_fmamk_f32 v13, v7, 0x32a5705f, v13
	v_cvt_i32_f32_e32 v12, v12
	v_add_f32_e32 v11, v11, v13
	v_exp_f32_e32 v11, v11
	v_ldexp_f32 v11, v11, v12
	v_cndmask_b32_e32 v11, 0, v11, vcc_lo
	v_cmp_nlt_f32_e32 vcc_lo, 0x42b17218, v7
	v_cndmask_b32_e32 v5, 0x7f800000, v11, vcc_lo
	v_fma_f32 v4, -v4, v5, v8
	v_bfe_u32 v5, v4, 16, 1
	v_cmp_o_f32_e32 vcc_lo, v4, v4
	v_add3_u32 v4, v4, v5, 0x7fff
	v_mov_b32_e32 v5, 0x7fc0
	v_cndmask_b32_sdwa v4, v5, v4, vcc_lo dst_sel:DWORD dst_unused:UNUSED_PAD src0_sel:DWORD src1_sel:WORD_1
	global_store_short v[0:1], v4, off
.LBB302_9:
	s_or_b32 exec_lo, exec_lo, s1
	v_cmp_ne_u32_e32 vcc_lo, 1, v6
	s_and_b32 s0, vcc_lo, s0
	s_and_b32 exec_lo, exec_lo, s0
	s_cbranch_execz .LBB302_11
; %bb.10:
	s_waitcnt lgkmcnt(0)
	v_add_f32_e32 v2, v2, v3
	s_mov_b32 s3, 0
	v_mov_b32_e32 v4, 0x7fc0
	s_lshl_b64 s[0:1], s[2:3], 1
	v_add_co_u32 v0, s0, v0, s0
	v_fma_f32 v2, -v2, v10, v9
	v_add_co_ci_u32_e64 v1, null, s1, v1, s0
	v_bfe_u32 v3, v2, 16, 1
	v_cmp_o_f32_e32 vcc_lo, v2, v2
	v_add3_u32 v2, v2, v3, 0x7fff
	v_cndmask_b32_sdwa v2, v4, v2, vcc_lo dst_sel:DWORD dst_unused:UNUSED_PAD src0_sel:DWORD src1_sel:WORD_1
	global_store_short v[0:1], v2, off
.LBB302_11:
	s_endpgm
	.section	.rodata,"a",@progbits
	.p2align	6, 0x0
	.amdhsa_kernel _ZN12_GLOBAL__N_121softmax_warp_backwardIN3c108BFloat16ES2_fLi1ELb1ELb0ELi64EEEvPT0_PKT_S7_iiiPKb
		.amdhsa_group_segment_fixed_size 0
		.amdhsa_private_segment_fixed_size 0
		.amdhsa_kernarg_size 304
		.amdhsa_user_sgpr_count 6
		.amdhsa_user_sgpr_private_segment_buffer 1
		.amdhsa_user_sgpr_dispatch_ptr 0
		.amdhsa_user_sgpr_queue_ptr 0
		.amdhsa_user_sgpr_kernarg_segment_ptr 1
		.amdhsa_user_sgpr_dispatch_id 0
		.amdhsa_user_sgpr_flat_scratch_init 0
		.amdhsa_user_sgpr_private_segment_size 0
		.amdhsa_wavefront_size32 1
		.amdhsa_uses_dynamic_stack 0
		.amdhsa_system_sgpr_private_segment_wavefront_offset 0
		.amdhsa_system_sgpr_workgroup_id_x 1
		.amdhsa_system_sgpr_workgroup_id_y 0
		.amdhsa_system_sgpr_workgroup_id_z 0
		.amdhsa_system_sgpr_workgroup_info 0
		.amdhsa_system_vgpr_workitem_id 1
		.amdhsa_next_free_vgpr 14
		.amdhsa_next_free_sgpr 12
		.amdhsa_reserve_vcc 1
		.amdhsa_reserve_flat_scratch 0
		.amdhsa_float_round_mode_32 0
		.amdhsa_float_round_mode_16_64 0
		.amdhsa_float_denorm_mode_32 3
		.amdhsa_float_denorm_mode_16_64 3
		.amdhsa_dx10_clamp 1
		.amdhsa_ieee_mode 1
		.amdhsa_fp16_overflow 0
		.amdhsa_workgroup_processor_mode 1
		.amdhsa_memory_ordered 1
		.amdhsa_forward_progress 1
		.amdhsa_shared_vgpr_count 0
		.amdhsa_exception_fp_ieee_invalid_op 0
		.amdhsa_exception_fp_denorm_src 0
		.amdhsa_exception_fp_ieee_div_zero 0
		.amdhsa_exception_fp_ieee_overflow 0
		.amdhsa_exception_fp_ieee_underflow 0
		.amdhsa_exception_fp_ieee_inexact 0
		.amdhsa_exception_int_div_zero 0
	.end_amdhsa_kernel
	.section	.text._ZN12_GLOBAL__N_121softmax_warp_backwardIN3c108BFloat16ES2_fLi1ELb1ELb0ELi64EEEvPT0_PKT_S7_iiiPKb,"axG",@progbits,_ZN12_GLOBAL__N_121softmax_warp_backwardIN3c108BFloat16ES2_fLi1ELb1ELb0ELi64EEEvPT0_PKT_S7_iiiPKb,comdat
.Lfunc_end302:
	.size	_ZN12_GLOBAL__N_121softmax_warp_backwardIN3c108BFloat16ES2_fLi1ELb1ELb0ELi64EEEvPT0_PKT_S7_iiiPKb, .Lfunc_end302-_ZN12_GLOBAL__N_121softmax_warp_backwardIN3c108BFloat16ES2_fLi1ELb1ELb0ELi64EEEvPT0_PKT_S7_iiiPKb
                                        ; -- End function
	.set _ZN12_GLOBAL__N_121softmax_warp_backwardIN3c108BFloat16ES2_fLi1ELb1ELb0ELi64EEEvPT0_PKT_S7_iiiPKb.num_vgpr, 14
	.set _ZN12_GLOBAL__N_121softmax_warp_backwardIN3c108BFloat16ES2_fLi1ELb1ELb0ELi64EEEvPT0_PKT_S7_iiiPKb.num_agpr, 0
	.set _ZN12_GLOBAL__N_121softmax_warp_backwardIN3c108BFloat16ES2_fLi1ELb1ELb0ELi64EEEvPT0_PKT_S7_iiiPKb.numbered_sgpr, 12
	.set _ZN12_GLOBAL__N_121softmax_warp_backwardIN3c108BFloat16ES2_fLi1ELb1ELb0ELi64EEEvPT0_PKT_S7_iiiPKb.num_named_barrier, 0
	.set _ZN12_GLOBAL__N_121softmax_warp_backwardIN3c108BFloat16ES2_fLi1ELb1ELb0ELi64EEEvPT0_PKT_S7_iiiPKb.private_seg_size, 0
	.set _ZN12_GLOBAL__N_121softmax_warp_backwardIN3c108BFloat16ES2_fLi1ELb1ELb0ELi64EEEvPT0_PKT_S7_iiiPKb.uses_vcc, 1
	.set _ZN12_GLOBAL__N_121softmax_warp_backwardIN3c108BFloat16ES2_fLi1ELb1ELb0ELi64EEEvPT0_PKT_S7_iiiPKb.uses_flat_scratch, 0
	.set _ZN12_GLOBAL__N_121softmax_warp_backwardIN3c108BFloat16ES2_fLi1ELb1ELb0ELi64EEEvPT0_PKT_S7_iiiPKb.has_dyn_sized_stack, 0
	.set _ZN12_GLOBAL__N_121softmax_warp_backwardIN3c108BFloat16ES2_fLi1ELb1ELb0ELi64EEEvPT0_PKT_S7_iiiPKb.has_recursion, 0
	.set _ZN12_GLOBAL__N_121softmax_warp_backwardIN3c108BFloat16ES2_fLi1ELb1ELb0ELi64EEEvPT0_PKT_S7_iiiPKb.has_indirect_call, 0
	.section	.AMDGPU.csdata,"",@progbits
; Kernel info:
; codeLenInByte = 776
; TotalNumSgprs: 14
; NumVgprs: 14
; ScratchSize: 0
; MemoryBound: 0
; FloatMode: 240
; IeeeMode: 1
; LDSByteSize: 0 bytes/workgroup (compile time only)
; SGPRBlocks: 0
; VGPRBlocks: 1
; NumSGPRsForWavesPerEU: 14
; NumVGPRsForWavesPerEU: 14
; Occupancy: 16
; WaveLimiterHint : 0
; COMPUTE_PGM_RSRC2:SCRATCH_EN: 0
; COMPUTE_PGM_RSRC2:USER_SGPR: 6
; COMPUTE_PGM_RSRC2:TRAP_HANDLER: 0
; COMPUTE_PGM_RSRC2:TGID_X_EN: 1
; COMPUTE_PGM_RSRC2:TGID_Y_EN: 0
; COMPUTE_PGM_RSRC2:TGID_Z_EN: 0
; COMPUTE_PGM_RSRC2:TIDIG_COMP_CNT: 1
	.section	.text._ZN12_GLOBAL__N_121softmax_warp_backwardIN3c108BFloat16ES2_fLi1ELb1ELb0ELi32EEEvPT0_PKT_S7_iiiPKb,"axG",@progbits,_ZN12_GLOBAL__N_121softmax_warp_backwardIN3c108BFloat16ES2_fLi1ELb1ELb0ELi32EEEvPT0_PKT_S7_iiiPKb,comdat
	.globl	_ZN12_GLOBAL__N_121softmax_warp_backwardIN3c108BFloat16ES2_fLi1ELb1ELb0ELi32EEEvPT0_PKT_S7_iiiPKb ; -- Begin function _ZN12_GLOBAL__N_121softmax_warp_backwardIN3c108BFloat16ES2_fLi1ELb1ELb0ELi32EEEvPT0_PKT_S7_iiiPKb
	.p2align	8
	.type	_ZN12_GLOBAL__N_121softmax_warp_backwardIN3c108BFloat16ES2_fLi1ELb1ELb0ELi32EEEvPT0_PKT_S7_iiiPKb,@function
_ZN12_GLOBAL__N_121softmax_warp_backwardIN3c108BFloat16ES2_fLi1ELb1ELb0ELi32EEEvPT0_PKT_S7_iiiPKb: ; @_ZN12_GLOBAL__N_121softmax_warp_backwardIN3c108BFloat16ES2_fLi1ELb1ELb0ELi32EEEvPT0_PKT_S7_iiiPKb
; %bb.0:
	s_clause 0x1
	s_load_dword s7, s[4:5], 0x3c
	s_load_dwordx4 s[0:3], s[4:5], 0x18
	v_and_b32_e32 v3, 1, v0
	s_clause 0x1
	s_load_dwordx4 s[8:11], s[4:5], 0x0
	s_load_dwordx2 s[4:5], s[4:5], 0x10
	v_mov_b32_e32 v7, 0
	v_mov_b32_e32 v8, 0
	s_waitcnt lgkmcnt(0)
	s_lshr_b32 s3, s7, 16
	s_and_b32 s3, s3, 0xffff
	s_mul_i32 s6, s6, s3
	v_add_lshl_u32 v2, s6, v1, 1
	v_mul_lo_u32 v1, v2, s1
	v_sub_nc_u32_e32 v6, s0, v2
	v_cmp_gt_i32_e64 s0, s2, v3
	v_cmp_lt_i32_e32 vcc_lo, 0, v6
	v_or_b32_e32 v0, v1, v3
	s_and_b32 s3, s0, vcc_lo
	v_ashrrev_i32_e32 v1, 31, v0
	v_lshlrev_b64 v[0:1], 1, v[0:1]
	v_add_co_u32 v2, s1, s10, v0
	v_add_co_ci_u32_e64 v3, null, s11, v1, s1
	v_add_co_u32 v4, s1, s4, v0
	v_add_co_ci_u32_e64 v5, null, s5, v1, s1
	s_and_saveexec_b32 s1, s3
	s_cbranch_execz .LBB303_2
; %bb.1:
	global_load_ushort v7, v[2:3], off
	global_load_ushort v9, v[4:5], off
	s_waitcnt vmcnt(1)
	v_lshlrev_b32_e32 v8, 16, v7
	s_waitcnt vmcnt(0)
	v_lshlrev_b32_e32 v7, 16, v9
.LBB303_2:
	s_or_b32 exec_lo, exec_lo, s1
	v_cmp_gt_i32_e64 s1, 2, v6
	s_xor_b32 s3, s0, -1
	s_or_b32 s1, s3, s1
	s_and_saveexec_b32 s3, s1
	s_xor_b32 s1, exec_lo, s3
                                        ; implicit-def: $vgpr9
; %bb.3:
	v_mov_b32_e32 v9, 0
                                        ; implicit-def: $vgpr4
                                        ; implicit-def: $vgpr2
; %bb.4:
	s_or_saveexec_b32 s4, s1
	v_mov_b32_e32 v10, 1.0
	s_xor_b32 exec_lo, exec_lo, s4
	s_cbranch_execz .LBB303_6
; %bb.5:
	s_mov_b32 s3, 0
	s_lshl_b64 s[6:7], s[2:3], 1
	v_add_co_u32 v4, s1, v4, s6
	v_add_co_ci_u32_e64 v5, null, s7, v5, s1
	v_add_co_u32 v2, s1, v2, s6
	v_add_co_ci_u32_e64 v3, null, s7, v3, s1
	global_load_ushort v4, v[4:5], off
	global_load_ushort v2, v[2:3], off
	s_waitcnt vmcnt(1)
	v_lshlrev_b32_e32 v3, 16, v4
	v_mul_f32_e32 v4, 0x3fb8aa3b, v3
	v_cmp_ngt_f32_e64 s1, 0xc2ce8ed0, v3
	v_fma_f32 v5, 0x3fb8aa3b, v3, -v4
	v_rndne_f32_e32 v9, v4
	v_fmamk_f32 v5, v3, 0x32a5705f, v5
	v_sub_f32_e32 v4, v4, v9
	v_add_f32_e32 v4, v4, v5
	v_cvt_i32_f32_e32 v5, v9
	s_waitcnt vmcnt(0)
	v_lshlrev_b32_e32 v9, 16, v2
	v_exp_f32_e32 v4, v4
	v_ldexp_f32 v4, v4, v5
	v_cndmask_b32_e64 v4, 0, v4, s1
	v_cmp_nlt_f32_e64 s1, 0x42b17218, v3
	v_cndmask_b32_e64 v10, 0x7f800000, v4, s1
.LBB303_6:
	s_or_b32 exec_lo, exec_lo, s4
	v_mbcnt_lo_u32_b32 v2, -1, 0
	v_and_b32_e32 v3, 30, v2
	v_xor_b32_e32 v4, 1, v2
	v_add_nc_u32_e32 v3, 2, v3
	v_cmp_lt_i32_e64 s1, v4, v3
	v_cndmask_b32_e64 v2, v2, v4, s1
	v_add_f32_e32 v4, 0, v8
	v_lshlrev_b32_e32 v3, 2, v2
	v_add_f32_e32 v2, 0, v9
	ds_bpermute_b32 v5, v3, v4
	ds_bpermute_b32 v3, v3, v2
	s_and_saveexec_b32 s1, vcc_lo
	s_cbranch_execz .LBB303_11
; %bb.7:
	v_add_co_u32 v0, vcc_lo, s8, v0
	v_add_co_ci_u32_e64 v1, null, s9, v1, vcc_lo
	s_and_saveexec_b32 s1, s0
	s_cbranch_execz .LBB303_9
; %bb.8:
	v_mul_f32_e32 v11, 0x3fb8aa3b, v7
	v_cmp_ngt_f32_e32 vcc_lo, 0xc2ce8ed0, v7
	s_waitcnt lgkmcnt(1)
	v_add_f32_e32 v4, v4, v5
	v_rndne_f32_e32 v12, v11
	v_fma_f32 v13, 0x3fb8aa3b, v7, -v11
	v_sub_f32_e32 v11, v11, v12
	v_fmamk_f32 v13, v7, 0x32a5705f, v13
	v_cvt_i32_f32_e32 v12, v12
	v_add_f32_e32 v11, v11, v13
	v_exp_f32_e32 v11, v11
	v_ldexp_f32 v11, v11, v12
	v_cndmask_b32_e32 v11, 0, v11, vcc_lo
	v_cmp_nlt_f32_e32 vcc_lo, 0x42b17218, v7
	v_cndmask_b32_e32 v5, 0x7f800000, v11, vcc_lo
	v_fma_f32 v4, -v4, v5, v8
	v_bfe_u32 v5, v4, 16, 1
	v_cmp_o_f32_e32 vcc_lo, v4, v4
	v_add3_u32 v4, v4, v5, 0x7fff
	v_mov_b32_e32 v5, 0x7fc0
	v_cndmask_b32_sdwa v4, v5, v4, vcc_lo dst_sel:DWORD dst_unused:UNUSED_PAD src0_sel:DWORD src1_sel:WORD_1
	global_store_short v[0:1], v4, off
.LBB303_9:
	s_or_b32 exec_lo, exec_lo, s1
	v_cmp_ne_u32_e32 vcc_lo, 1, v6
	s_and_b32 s0, vcc_lo, s0
	s_and_b32 exec_lo, exec_lo, s0
	s_cbranch_execz .LBB303_11
; %bb.10:
	s_waitcnt lgkmcnt(0)
	v_add_f32_e32 v2, v2, v3
	s_mov_b32 s3, 0
	v_mov_b32_e32 v4, 0x7fc0
	s_lshl_b64 s[0:1], s[2:3], 1
	v_add_co_u32 v0, s0, v0, s0
	v_fma_f32 v2, -v2, v10, v9
	v_add_co_ci_u32_e64 v1, null, s1, v1, s0
	v_bfe_u32 v3, v2, 16, 1
	v_cmp_o_f32_e32 vcc_lo, v2, v2
	v_add3_u32 v2, v2, v3, 0x7fff
	v_cndmask_b32_sdwa v2, v4, v2, vcc_lo dst_sel:DWORD dst_unused:UNUSED_PAD src0_sel:DWORD src1_sel:WORD_1
	global_store_short v[0:1], v2, off
.LBB303_11:
	s_endpgm
	.section	.rodata,"a",@progbits
	.p2align	6, 0x0
	.amdhsa_kernel _ZN12_GLOBAL__N_121softmax_warp_backwardIN3c108BFloat16ES2_fLi1ELb1ELb0ELi32EEEvPT0_PKT_S7_iiiPKb
		.amdhsa_group_segment_fixed_size 0
		.amdhsa_private_segment_fixed_size 0
		.amdhsa_kernarg_size 304
		.amdhsa_user_sgpr_count 6
		.amdhsa_user_sgpr_private_segment_buffer 1
		.amdhsa_user_sgpr_dispatch_ptr 0
		.amdhsa_user_sgpr_queue_ptr 0
		.amdhsa_user_sgpr_kernarg_segment_ptr 1
		.amdhsa_user_sgpr_dispatch_id 0
		.amdhsa_user_sgpr_flat_scratch_init 0
		.amdhsa_user_sgpr_private_segment_size 0
		.amdhsa_wavefront_size32 1
		.amdhsa_uses_dynamic_stack 0
		.amdhsa_system_sgpr_private_segment_wavefront_offset 0
		.amdhsa_system_sgpr_workgroup_id_x 1
		.amdhsa_system_sgpr_workgroup_id_y 0
		.amdhsa_system_sgpr_workgroup_id_z 0
		.amdhsa_system_sgpr_workgroup_info 0
		.amdhsa_system_vgpr_workitem_id 1
		.amdhsa_next_free_vgpr 14
		.amdhsa_next_free_sgpr 12
		.amdhsa_reserve_vcc 1
		.amdhsa_reserve_flat_scratch 0
		.amdhsa_float_round_mode_32 0
		.amdhsa_float_round_mode_16_64 0
		.amdhsa_float_denorm_mode_32 3
		.amdhsa_float_denorm_mode_16_64 3
		.amdhsa_dx10_clamp 1
		.amdhsa_ieee_mode 1
		.amdhsa_fp16_overflow 0
		.amdhsa_workgroup_processor_mode 1
		.amdhsa_memory_ordered 1
		.amdhsa_forward_progress 1
		.amdhsa_shared_vgpr_count 0
		.amdhsa_exception_fp_ieee_invalid_op 0
		.amdhsa_exception_fp_denorm_src 0
		.amdhsa_exception_fp_ieee_div_zero 0
		.amdhsa_exception_fp_ieee_overflow 0
		.amdhsa_exception_fp_ieee_underflow 0
		.amdhsa_exception_fp_ieee_inexact 0
		.amdhsa_exception_int_div_zero 0
	.end_amdhsa_kernel
	.section	.text._ZN12_GLOBAL__N_121softmax_warp_backwardIN3c108BFloat16ES2_fLi1ELb1ELb0ELi32EEEvPT0_PKT_S7_iiiPKb,"axG",@progbits,_ZN12_GLOBAL__N_121softmax_warp_backwardIN3c108BFloat16ES2_fLi1ELb1ELb0ELi32EEEvPT0_PKT_S7_iiiPKb,comdat
.Lfunc_end303:
	.size	_ZN12_GLOBAL__N_121softmax_warp_backwardIN3c108BFloat16ES2_fLi1ELb1ELb0ELi32EEEvPT0_PKT_S7_iiiPKb, .Lfunc_end303-_ZN12_GLOBAL__N_121softmax_warp_backwardIN3c108BFloat16ES2_fLi1ELb1ELb0ELi32EEEvPT0_PKT_S7_iiiPKb
                                        ; -- End function
	.set _ZN12_GLOBAL__N_121softmax_warp_backwardIN3c108BFloat16ES2_fLi1ELb1ELb0ELi32EEEvPT0_PKT_S7_iiiPKb.num_vgpr, 14
	.set _ZN12_GLOBAL__N_121softmax_warp_backwardIN3c108BFloat16ES2_fLi1ELb1ELb0ELi32EEEvPT0_PKT_S7_iiiPKb.num_agpr, 0
	.set _ZN12_GLOBAL__N_121softmax_warp_backwardIN3c108BFloat16ES2_fLi1ELb1ELb0ELi32EEEvPT0_PKT_S7_iiiPKb.numbered_sgpr, 12
	.set _ZN12_GLOBAL__N_121softmax_warp_backwardIN3c108BFloat16ES2_fLi1ELb1ELb0ELi32EEEvPT0_PKT_S7_iiiPKb.num_named_barrier, 0
	.set _ZN12_GLOBAL__N_121softmax_warp_backwardIN3c108BFloat16ES2_fLi1ELb1ELb0ELi32EEEvPT0_PKT_S7_iiiPKb.private_seg_size, 0
	.set _ZN12_GLOBAL__N_121softmax_warp_backwardIN3c108BFloat16ES2_fLi1ELb1ELb0ELi32EEEvPT0_PKT_S7_iiiPKb.uses_vcc, 1
	.set _ZN12_GLOBAL__N_121softmax_warp_backwardIN3c108BFloat16ES2_fLi1ELb1ELb0ELi32EEEvPT0_PKT_S7_iiiPKb.uses_flat_scratch, 0
	.set _ZN12_GLOBAL__N_121softmax_warp_backwardIN3c108BFloat16ES2_fLi1ELb1ELb0ELi32EEEvPT0_PKT_S7_iiiPKb.has_dyn_sized_stack, 0
	.set _ZN12_GLOBAL__N_121softmax_warp_backwardIN3c108BFloat16ES2_fLi1ELb1ELb0ELi32EEEvPT0_PKT_S7_iiiPKb.has_recursion, 0
	.set _ZN12_GLOBAL__N_121softmax_warp_backwardIN3c108BFloat16ES2_fLi1ELb1ELb0ELi32EEEvPT0_PKT_S7_iiiPKb.has_indirect_call, 0
	.section	.AMDGPU.csdata,"",@progbits
; Kernel info:
; codeLenInByte = 776
; TotalNumSgprs: 14
; NumVgprs: 14
; ScratchSize: 0
; MemoryBound: 0
; FloatMode: 240
; IeeeMode: 1
; LDSByteSize: 0 bytes/workgroup (compile time only)
; SGPRBlocks: 0
; VGPRBlocks: 1
; NumSGPRsForWavesPerEU: 14
; NumVGPRsForWavesPerEU: 14
; Occupancy: 16
; WaveLimiterHint : 0
; COMPUTE_PGM_RSRC2:SCRATCH_EN: 0
; COMPUTE_PGM_RSRC2:USER_SGPR: 6
; COMPUTE_PGM_RSRC2:TRAP_HANDLER: 0
; COMPUTE_PGM_RSRC2:TGID_X_EN: 1
; COMPUTE_PGM_RSRC2:TGID_Y_EN: 0
; COMPUTE_PGM_RSRC2:TGID_Z_EN: 0
; COMPUTE_PGM_RSRC2:TIDIG_COMP_CNT: 1
	.section	.text._ZN12_GLOBAL__N_121softmax_warp_backwardIN3c108BFloat16ES2_fLi2ELb1ELb0ELi64EEEvPT0_PKT_S7_iiiPKb,"axG",@progbits,_ZN12_GLOBAL__N_121softmax_warp_backwardIN3c108BFloat16ES2_fLi2ELb1ELb0ELi64EEEvPT0_PKT_S7_iiiPKb,comdat
	.globl	_ZN12_GLOBAL__N_121softmax_warp_backwardIN3c108BFloat16ES2_fLi2ELb1ELb0ELi64EEEvPT0_PKT_S7_iiiPKb ; -- Begin function _ZN12_GLOBAL__N_121softmax_warp_backwardIN3c108BFloat16ES2_fLi2ELb1ELb0ELi64EEEvPT0_PKT_S7_iiiPKb
	.p2align	8
	.type	_ZN12_GLOBAL__N_121softmax_warp_backwardIN3c108BFloat16ES2_fLi2ELb1ELb0ELi64EEEvPT0_PKT_S7_iiiPKb,@function
_ZN12_GLOBAL__N_121softmax_warp_backwardIN3c108BFloat16ES2_fLi2ELb1ELb0ELi64EEEvPT0_PKT_S7_iiiPKb: ; @_ZN12_GLOBAL__N_121softmax_warp_backwardIN3c108BFloat16ES2_fLi2ELb1ELb0ELi64EEEvPT0_PKT_S7_iiiPKb
; %bb.0:
	s_clause 0x1
	s_load_dword s7, s[4:5], 0x3c
	s_load_dwordx4 s[0:3], s[4:5], 0x18
	v_and_b32_e32 v2, 3, v0
	s_clause 0x1
	s_load_dwordx4 s[8:11], s[4:5], 0x0
	s_load_dwordx2 s[4:5], s[4:5], 0x10
	v_mov_b32_e32 v7, 0
	v_mov_b32_e32 v8, 0
	s_waitcnt lgkmcnt(0)
	s_lshr_b32 s3, s7, 16
	s_and_b32 s3, s3, 0xffff
	s_mul_i32 s6, s6, s3
	v_add_lshl_u32 v3, s6, v1, 1
	v_mad_u64_u32 v[0:1], null, v3, s1, v[2:3]
	v_sub_nc_u32_e32 v6, s0, v3
	v_cmp_gt_i32_e64 s0, s2, v2
	v_cmp_lt_i32_e32 vcc_lo, 0, v6
	v_ashrrev_i32_e32 v1, 31, v0
	s_and_b32 s3, s0, vcc_lo
	v_lshlrev_b64 v[0:1], 1, v[0:1]
	v_add_co_u32 v2, s1, s10, v0
	v_add_co_ci_u32_e64 v3, null, s11, v1, s1
	v_add_co_u32 v4, s1, s4, v0
	v_add_co_ci_u32_e64 v5, null, s5, v1, s1
	s_and_saveexec_b32 s1, s3
	s_cbranch_execz .LBB304_2
; %bb.1:
	global_load_ushort v7, v[2:3], off
	global_load_ushort v9, v[4:5], off
	s_waitcnt vmcnt(1)
	v_lshlrev_b32_e32 v8, 16, v7
	s_waitcnt vmcnt(0)
	v_lshlrev_b32_e32 v7, 16, v9
.LBB304_2:
	s_or_b32 exec_lo, exec_lo, s1
	v_cmp_gt_i32_e64 s1, 2, v6
	s_xor_b32 s3, s0, -1
	s_or_b32 s1, s3, s1
	s_and_saveexec_b32 s3, s1
	s_xor_b32 s1, exec_lo, s3
                                        ; implicit-def: $vgpr9
; %bb.3:
	v_mov_b32_e32 v9, 0
                                        ; implicit-def: $vgpr4
                                        ; implicit-def: $vgpr2
; %bb.4:
	s_or_saveexec_b32 s4, s1
	v_mov_b32_e32 v10, 1.0
	s_xor_b32 exec_lo, exec_lo, s4
	s_cbranch_execz .LBB304_6
; %bb.5:
	s_mov_b32 s3, 0
	s_lshl_b64 s[6:7], s[2:3], 1
	v_add_co_u32 v4, s1, v4, s6
	v_add_co_ci_u32_e64 v5, null, s7, v5, s1
	v_add_co_u32 v2, s1, v2, s6
	v_add_co_ci_u32_e64 v3, null, s7, v3, s1
	global_load_ushort v4, v[4:5], off
	global_load_ushort v2, v[2:3], off
	s_waitcnt vmcnt(1)
	v_lshlrev_b32_e32 v3, 16, v4
	v_mul_f32_e32 v4, 0x3fb8aa3b, v3
	v_cmp_ngt_f32_e64 s1, 0xc2ce8ed0, v3
	v_fma_f32 v5, 0x3fb8aa3b, v3, -v4
	v_rndne_f32_e32 v9, v4
	v_fmamk_f32 v5, v3, 0x32a5705f, v5
	v_sub_f32_e32 v4, v4, v9
	v_add_f32_e32 v4, v4, v5
	v_cvt_i32_f32_e32 v5, v9
	s_waitcnt vmcnt(0)
	v_lshlrev_b32_e32 v9, 16, v2
	v_exp_f32_e32 v4, v4
	v_ldexp_f32 v4, v4, v5
	v_cndmask_b32_e64 v4, 0, v4, s1
	v_cmp_nlt_f32_e64 s1, 0x42b17218, v3
	v_cndmask_b32_e64 v10, 0x7f800000, v4, s1
.LBB304_6:
	s_or_b32 exec_lo, exec_lo, s4
	v_mbcnt_lo_u32_b32 v2, -1, 0
	v_add_f32_e32 v5, 0, v8
	v_add_f32_e32 v11, 0, v9
	v_and_b32_e32 v3, 28, v2
	v_xor_b32_e32 v4, 2, v2
	v_add_nc_u32_e32 v3, 4, v3
	v_cmp_lt_i32_e64 s1, v4, v3
	v_cndmask_b32_e64 v4, v2, v4, s1
	v_lshlrev_b32_e32 v4, 2, v4
	ds_bpermute_b32 v12, v4, v5
	ds_bpermute_b32 v13, v4, v11
	v_xor_b32_e32 v4, 1, v2
	v_cmp_lt_i32_e64 s1, v4, v3
	v_cndmask_b32_e64 v2, v2, v4, s1
	v_lshlrev_b32_e32 v3, 2, v2
	s_waitcnt lgkmcnt(1)
	v_add_f32_e32 v4, v5, v12
	s_waitcnt lgkmcnt(0)
	v_add_f32_e32 v2, v11, v13
	ds_bpermute_b32 v5, v3, v4
	ds_bpermute_b32 v3, v3, v2
	s_and_saveexec_b32 s1, vcc_lo
	s_cbranch_execz .LBB304_11
; %bb.7:
	v_add_co_u32 v0, vcc_lo, s8, v0
	v_add_co_ci_u32_e64 v1, null, s9, v1, vcc_lo
	s_and_saveexec_b32 s1, s0
	s_cbranch_execz .LBB304_9
; %bb.8:
	v_mul_f32_e32 v11, 0x3fb8aa3b, v7
	v_cmp_ngt_f32_e32 vcc_lo, 0xc2ce8ed0, v7
	s_waitcnt lgkmcnt(1)
	v_add_f32_e32 v4, v4, v5
	v_rndne_f32_e32 v12, v11
	v_fma_f32 v13, 0x3fb8aa3b, v7, -v11
	v_sub_f32_e32 v11, v11, v12
	v_fmamk_f32 v13, v7, 0x32a5705f, v13
	v_cvt_i32_f32_e32 v12, v12
	v_add_f32_e32 v11, v11, v13
	v_exp_f32_e32 v11, v11
	v_ldexp_f32 v11, v11, v12
	v_cndmask_b32_e32 v11, 0, v11, vcc_lo
	v_cmp_nlt_f32_e32 vcc_lo, 0x42b17218, v7
	v_cndmask_b32_e32 v5, 0x7f800000, v11, vcc_lo
	v_fma_f32 v4, -v4, v5, v8
	v_bfe_u32 v5, v4, 16, 1
	v_cmp_o_f32_e32 vcc_lo, v4, v4
	v_add3_u32 v4, v4, v5, 0x7fff
	v_mov_b32_e32 v5, 0x7fc0
	v_cndmask_b32_sdwa v4, v5, v4, vcc_lo dst_sel:DWORD dst_unused:UNUSED_PAD src0_sel:DWORD src1_sel:WORD_1
	global_store_short v[0:1], v4, off
.LBB304_9:
	s_or_b32 exec_lo, exec_lo, s1
	v_cmp_ne_u32_e32 vcc_lo, 1, v6
	s_and_b32 s0, vcc_lo, s0
	s_and_b32 exec_lo, exec_lo, s0
	s_cbranch_execz .LBB304_11
; %bb.10:
	s_waitcnt lgkmcnt(0)
	v_add_f32_e32 v2, v2, v3
	s_mov_b32 s3, 0
	v_mov_b32_e32 v4, 0x7fc0
	s_lshl_b64 s[0:1], s[2:3], 1
	v_add_co_u32 v0, s0, v0, s0
	v_fma_f32 v2, -v2, v10, v9
	v_add_co_ci_u32_e64 v1, null, s1, v1, s0
	v_bfe_u32 v3, v2, 16, 1
	v_cmp_o_f32_e32 vcc_lo, v2, v2
	v_add3_u32 v2, v2, v3, 0x7fff
	v_cndmask_b32_sdwa v2, v4, v2, vcc_lo dst_sel:DWORD dst_unused:UNUSED_PAD src0_sel:DWORD src1_sel:WORD_1
	global_store_short v[0:1], v2, off
.LBB304_11:
	s_endpgm
	.section	.rodata,"a",@progbits
	.p2align	6, 0x0
	.amdhsa_kernel _ZN12_GLOBAL__N_121softmax_warp_backwardIN3c108BFloat16ES2_fLi2ELb1ELb0ELi64EEEvPT0_PKT_S7_iiiPKb
		.amdhsa_group_segment_fixed_size 0
		.amdhsa_private_segment_fixed_size 0
		.amdhsa_kernarg_size 304
		.amdhsa_user_sgpr_count 6
		.amdhsa_user_sgpr_private_segment_buffer 1
		.amdhsa_user_sgpr_dispatch_ptr 0
		.amdhsa_user_sgpr_queue_ptr 0
		.amdhsa_user_sgpr_kernarg_segment_ptr 1
		.amdhsa_user_sgpr_dispatch_id 0
		.amdhsa_user_sgpr_flat_scratch_init 0
		.amdhsa_user_sgpr_private_segment_size 0
		.amdhsa_wavefront_size32 1
		.amdhsa_uses_dynamic_stack 0
		.amdhsa_system_sgpr_private_segment_wavefront_offset 0
		.amdhsa_system_sgpr_workgroup_id_x 1
		.amdhsa_system_sgpr_workgroup_id_y 0
		.amdhsa_system_sgpr_workgroup_id_z 0
		.amdhsa_system_sgpr_workgroup_info 0
		.amdhsa_system_vgpr_workitem_id 1
		.amdhsa_next_free_vgpr 14
		.amdhsa_next_free_sgpr 12
		.amdhsa_reserve_vcc 1
		.amdhsa_reserve_flat_scratch 0
		.amdhsa_float_round_mode_32 0
		.amdhsa_float_round_mode_16_64 0
		.amdhsa_float_denorm_mode_32 3
		.amdhsa_float_denorm_mode_16_64 3
		.amdhsa_dx10_clamp 1
		.amdhsa_ieee_mode 1
		.amdhsa_fp16_overflow 0
		.amdhsa_workgroup_processor_mode 1
		.amdhsa_memory_ordered 1
		.amdhsa_forward_progress 1
		.amdhsa_shared_vgpr_count 0
		.amdhsa_exception_fp_ieee_invalid_op 0
		.amdhsa_exception_fp_denorm_src 0
		.amdhsa_exception_fp_ieee_div_zero 0
		.amdhsa_exception_fp_ieee_overflow 0
		.amdhsa_exception_fp_ieee_underflow 0
		.amdhsa_exception_fp_ieee_inexact 0
		.amdhsa_exception_int_div_zero 0
	.end_amdhsa_kernel
	.section	.text._ZN12_GLOBAL__N_121softmax_warp_backwardIN3c108BFloat16ES2_fLi2ELb1ELb0ELi64EEEvPT0_PKT_S7_iiiPKb,"axG",@progbits,_ZN12_GLOBAL__N_121softmax_warp_backwardIN3c108BFloat16ES2_fLi2ELb1ELb0ELi64EEEvPT0_PKT_S7_iiiPKb,comdat
.Lfunc_end304:
	.size	_ZN12_GLOBAL__N_121softmax_warp_backwardIN3c108BFloat16ES2_fLi2ELb1ELb0ELi64EEEvPT0_PKT_S7_iiiPKb, .Lfunc_end304-_ZN12_GLOBAL__N_121softmax_warp_backwardIN3c108BFloat16ES2_fLi2ELb1ELb0ELi64EEEvPT0_PKT_S7_iiiPKb
                                        ; -- End function
	.set _ZN12_GLOBAL__N_121softmax_warp_backwardIN3c108BFloat16ES2_fLi2ELb1ELb0ELi64EEEvPT0_PKT_S7_iiiPKb.num_vgpr, 14
	.set _ZN12_GLOBAL__N_121softmax_warp_backwardIN3c108BFloat16ES2_fLi2ELb1ELb0ELi64EEEvPT0_PKT_S7_iiiPKb.num_agpr, 0
	.set _ZN12_GLOBAL__N_121softmax_warp_backwardIN3c108BFloat16ES2_fLi2ELb1ELb0ELi64EEEvPT0_PKT_S7_iiiPKb.numbered_sgpr, 12
	.set _ZN12_GLOBAL__N_121softmax_warp_backwardIN3c108BFloat16ES2_fLi2ELb1ELb0ELi64EEEvPT0_PKT_S7_iiiPKb.num_named_barrier, 0
	.set _ZN12_GLOBAL__N_121softmax_warp_backwardIN3c108BFloat16ES2_fLi2ELb1ELb0ELi64EEEvPT0_PKT_S7_iiiPKb.private_seg_size, 0
	.set _ZN12_GLOBAL__N_121softmax_warp_backwardIN3c108BFloat16ES2_fLi2ELb1ELb0ELi64EEEvPT0_PKT_S7_iiiPKb.uses_vcc, 1
	.set _ZN12_GLOBAL__N_121softmax_warp_backwardIN3c108BFloat16ES2_fLi2ELb1ELb0ELi64EEEvPT0_PKT_S7_iiiPKb.uses_flat_scratch, 0
	.set _ZN12_GLOBAL__N_121softmax_warp_backwardIN3c108BFloat16ES2_fLi2ELb1ELb0ELi64EEEvPT0_PKT_S7_iiiPKb.has_dyn_sized_stack, 0
	.set _ZN12_GLOBAL__N_121softmax_warp_backwardIN3c108BFloat16ES2_fLi2ELb1ELb0ELi64EEEvPT0_PKT_S7_iiiPKb.has_recursion, 0
	.set _ZN12_GLOBAL__N_121softmax_warp_backwardIN3c108BFloat16ES2_fLi2ELb1ELb0ELi64EEEvPT0_PKT_S7_iiiPKb.has_indirect_call, 0
	.section	.AMDGPU.csdata,"",@progbits
; Kernel info:
; codeLenInByte = 828
; TotalNumSgprs: 14
; NumVgprs: 14
; ScratchSize: 0
; MemoryBound: 0
; FloatMode: 240
; IeeeMode: 1
; LDSByteSize: 0 bytes/workgroup (compile time only)
; SGPRBlocks: 0
; VGPRBlocks: 1
; NumSGPRsForWavesPerEU: 14
; NumVGPRsForWavesPerEU: 14
; Occupancy: 16
; WaveLimiterHint : 0
; COMPUTE_PGM_RSRC2:SCRATCH_EN: 0
; COMPUTE_PGM_RSRC2:USER_SGPR: 6
; COMPUTE_PGM_RSRC2:TRAP_HANDLER: 0
; COMPUTE_PGM_RSRC2:TGID_X_EN: 1
; COMPUTE_PGM_RSRC2:TGID_Y_EN: 0
; COMPUTE_PGM_RSRC2:TGID_Z_EN: 0
; COMPUTE_PGM_RSRC2:TIDIG_COMP_CNT: 1
	.section	.text._ZN12_GLOBAL__N_121softmax_warp_backwardIN3c108BFloat16ES2_fLi2ELb1ELb0ELi32EEEvPT0_PKT_S7_iiiPKb,"axG",@progbits,_ZN12_GLOBAL__N_121softmax_warp_backwardIN3c108BFloat16ES2_fLi2ELb1ELb0ELi32EEEvPT0_PKT_S7_iiiPKb,comdat
	.globl	_ZN12_GLOBAL__N_121softmax_warp_backwardIN3c108BFloat16ES2_fLi2ELb1ELb0ELi32EEEvPT0_PKT_S7_iiiPKb ; -- Begin function _ZN12_GLOBAL__N_121softmax_warp_backwardIN3c108BFloat16ES2_fLi2ELb1ELb0ELi32EEEvPT0_PKT_S7_iiiPKb
	.p2align	8
	.type	_ZN12_GLOBAL__N_121softmax_warp_backwardIN3c108BFloat16ES2_fLi2ELb1ELb0ELi32EEEvPT0_PKT_S7_iiiPKb,@function
_ZN12_GLOBAL__N_121softmax_warp_backwardIN3c108BFloat16ES2_fLi2ELb1ELb0ELi32EEEvPT0_PKT_S7_iiiPKb: ; @_ZN12_GLOBAL__N_121softmax_warp_backwardIN3c108BFloat16ES2_fLi2ELb1ELb0ELi32EEEvPT0_PKT_S7_iiiPKb
; %bb.0:
	s_clause 0x1
	s_load_dword s7, s[4:5], 0x3c
	s_load_dwordx4 s[0:3], s[4:5], 0x18
	v_and_b32_e32 v2, 3, v0
	s_clause 0x1
	s_load_dwordx4 s[8:11], s[4:5], 0x0
	s_load_dwordx2 s[4:5], s[4:5], 0x10
	v_mov_b32_e32 v7, 0
	v_mov_b32_e32 v8, 0
	s_waitcnt lgkmcnt(0)
	s_lshr_b32 s3, s7, 16
	s_and_b32 s3, s3, 0xffff
	s_mul_i32 s6, s6, s3
	v_add_lshl_u32 v3, s6, v1, 1
	v_mad_u64_u32 v[0:1], null, v3, s1, v[2:3]
	v_sub_nc_u32_e32 v6, s0, v3
	v_cmp_gt_i32_e64 s0, s2, v2
	v_cmp_lt_i32_e32 vcc_lo, 0, v6
	v_ashrrev_i32_e32 v1, 31, v0
	s_and_b32 s3, s0, vcc_lo
	v_lshlrev_b64 v[0:1], 1, v[0:1]
	v_add_co_u32 v2, s1, s10, v0
	v_add_co_ci_u32_e64 v3, null, s11, v1, s1
	v_add_co_u32 v4, s1, s4, v0
	v_add_co_ci_u32_e64 v5, null, s5, v1, s1
	s_and_saveexec_b32 s1, s3
	s_cbranch_execz .LBB305_2
; %bb.1:
	global_load_ushort v7, v[2:3], off
	global_load_ushort v9, v[4:5], off
	s_waitcnt vmcnt(1)
	v_lshlrev_b32_e32 v8, 16, v7
	s_waitcnt vmcnt(0)
	v_lshlrev_b32_e32 v7, 16, v9
.LBB305_2:
	s_or_b32 exec_lo, exec_lo, s1
	v_cmp_gt_i32_e64 s1, 2, v6
	s_xor_b32 s3, s0, -1
	s_or_b32 s1, s3, s1
	s_and_saveexec_b32 s3, s1
	s_xor_b32 s1, exec_lo, s3
                                        ; implicit-def: $vgpr9
; %bb.3:
	v_mov_b32_e32 v9, 0
                                        ; implicit-def: $vgpr4
                                        ; implicit-def: $vgpr2
; %bb.4:
	s_or_saveexec_b32 s4, s1
	v_mov_b32_e32 v10, 1.0
	s_xor_b32 exec_lo, exec_lo, s4
	s_cbranch_execz .LBB305_6
; %bb.5:
	s_mov_b32 s3, 0
	s_lshl_b64 s[6:7], s[2:3], 1
	v_add_co_u32 v4, s1, v4, s6
	v_add_co_ci_u32_e64 v5, null, s7, v5, s1
	v_add_co_u32 v2, s1, v2, s6
	v_add_co_ci_u32_e64 v3, null, s7, v3, s1
	global_load_ushort v4, v[4:5], off
	global_load_ushort v2, v[2:3], off
	s_waitcnt vmcnt(1)
	v_lshlrev_b32_e32 v3, 16, v4
	v_mul_f32_e32 v4, 0x3fb8aa3b, v3
	v_cmp_ngt_f32_e64 s1, 0xc2ce8ed0, v3
	v_fma_f32 v5, 0x3fb8aa3b, v3, -v4
	v_rndne_f32_e32 v9, v4
	v_fmamk_f32 v5, v3, 0x32a5705f, v5
	v_sub_f32_e32 v4, v4, v9
	v_add_f32_e32 v4, v4, v5
	v_cvt_i32_f32_e32 v5, v9
	s_waitcnt vmcnt(0)
	v_lshlrev_b32_e32 v9, 16, v2
	v_exp_f32_e32 v4, v4
	v_ldexp_f32 v4, v4, v5
	v_cndmask_b32_e64 v4, 0, v4, s1
	v_cmp_nlt_f32_e64 s1, 0x42b17218, v3
	v_cndmask_b32_e64 v10, 0x7f800000, v4, s1
.LBB305_6:
	s_or_b32 exec_lo, exec_lo, s4
	v_mbcnt_lo_u32_b32 v2, -1, 0
	v_add_f32_e32 v5, 0, v8
	v_add_f32_e32 v11, 0, v9
	v_and_b32_e32 v3, 28, v2
	v_xor_b32_e32 v4, 2, v2
	v_add_nc_u32_e32 v3, 4, v3
	v_cmp_lt_i32_e64 s1, v4, v3
	v_cndmask_b32_e64 v4, v2, v4, s1
	v_lshlrev_b32_e32 v4, 2, v4
	ds_bpermute_b32 v12, v4, v5
	ds_bpermute_b32 v13, v4, v11
	v_xor_b32_e32 v4, 1, v2
	v_cmp_lt_i32_e64 s1, v4, v3
	v_cndmask_b32_e64 v2, v2, v4, s1
	v_lshlrev_b32_e32 v3, 2, v2
	s_waitcnt lgkmcnt(1)
	v_add_f32_e32 v4, v5, v12
	s_waitcnt lgkmcnt(0)
	v_add_f32_e32 v2, v11, v13
	ds_bpermute_b32 v5, v3, v4
	ds_bpermute_b32 v3, v3, v2
	s_and_saveexec_b32 s1, vcc_lo
	s_cbranch_execz .LBB305_11
; %bb.7:
	v_add_co_u32 v0, vcc_lo, s8, v0
	v_add_co_ci_u32_e64 v1, null, s9, v1, vcc_lo
	s_and_saveexec_b32 s1, s0
	s_cbranch_execz .LBB305_9
; %bb.8:
	v_mul_f32_e32 v11, 0x3fb8aa3b, v7
	v_cmp_ngt_f32_e32 vcc_lo, 0xc2ce8ed0, v7
	s_waitcnt lgkmcnt(1)
	v_add_f32_e32 v4, v4, v5
	v_rndne_f32_e32 v12, v11
	v_fma_f32 v13, 0x3fb8aa3b, v7, -v11
	v_sub_f32_e32 v11, v11, v12
	v_fmamk_f32 v13, v7, 0x32a5705f, v13
	v_cvt_i32_f32_e32 v12, v12
	v_add_f32_e32 v11, v11, v13
	v_exp_f32_e32 v11, v11
	v_ldexp_f32 v11, v11, v12
	v_cndmask_b32_e32 v11, 0, v11, vcc_lo
	v_cmp_nlt_f32_e32 vcc_lo, 0x42b17218, v7
	v_cndmask_b32_e32 v5, 0x7f800000, v11, vcc_lo
	v_fma_f32 v4, -v4, v5, v8
	v_bfe_u32 v5, v4, 16, 1
	v_cmp_o_f32_e32 vcc_lo, v4, v4
	v_add3_u32 v4, v4, v5, 0x7fff
	v_mov_b32_e32 v5, 0x7fc0
	v_cndmask_b32_sdwa v4, v5, v4, vcc_lo dst_sel:DWORD dst_unused:UNUSED_PAD src0_sel:DWORD src1_sel:WORD_1
	global_store_short v[0:1], v4, off
.LBB305_9:
	s_or_b32 exec_lo, exec_lo, s1
	v_cmp_ne_u32_e32 vcc_lo, 1, v6
	s_and_b32 s0, vcc_lo, s0
	s_and_b32 exec_lo, exec_lo, s0
	s_cbranch_execz .LBB305_11
; %bb.10:
	s_waitcnt lgkmcnt(0)
	v_add_f32_e32 v2, v2, v3
	s_mov_b32 s3, 0
	v_mov_b32_e32 v4, 0x7fc0
	s_lshl_b64 s[0:1], s[2:3], 1
	v_add_co_u32 v0, s0, v0, s0
	v_fma_f32 v2, -v2, v10, v9
	v_add_co_ci_u32_e64 v1, null, s1, v1, s0
	v_bfe_u32 v3, v2, 16, 1
	v_cmp_o_f32_e32 vcc_lo, v2, v2
	v_add3_u32 v2, v2, v3, 0x7fff
	v_cndmask_b32_sdwa v2, v4, v2, vcc_lo dst_sel:DWORD dst_unused:UNUSED_PAD src0_sel:DWORD src1_sel:WORD_1
	global_store_short v[0:1], v2, off
.LBB305_11:
	s_endpgm
	.section	.rodata,"a",@progbits
	.p2align	6, 0x0
	.amdhsa_kernel _ZN12_GLOBAL__N_121softmax_warp_backwardIN3c108BFloat16ES2_fLi2ELb1ELb0ELi32EEEvPT0_PKT_S7_iiiPKb
		.amdhsa_group_segment_fixed_size 0
		.amdhsa_private_segment_fixed_size 0
		.amdhsa_kernarg_size 304
		.amdhsa_user_sgpr_count 6
		.amdhsa_user_sgpr_private_segment_buffer 1
		.amdhsa_user_sgpr_dispatch_ptr 0
		.amdhsa_user_sgpr_queue_ptr 0
		.amdhsa_user_sgpr_kernarg_segment_ptr 1
		.amdhsa_user_sgpr_dispatch_id 0
		.amdhsa_user_sgpr_flat_scratch_init 0
		.amdhsa_user_sgpr_private_segment_size 0
		.amdhsa_wavefront_size32 1
		.amdhsa_uses_dynamic_stack 0
		.amdhsa_system_sgpr_private_segment_wavefront_offset 0
		.amdhsa_system_sgpr_workgroup_id_x 1
		.amdhsa_system_sgpr_workgroup_id_y 0
		.amdhsa_system_sgpr_workgroup_id_z 0
		.amdhsa_system_sgpr_workgroup_info 0
		.amdhsa_system_vgpr_workitem_id 1
		.amdhsa_next_free_vgpr 14
		.amdhsa_next_free_sgpr 12
		.amdhsa_reserve_vcc 1
		.amdhsa_reserve_flat_scratch 0
		.amdhsa_float_round_mode_32 0
		.amdhsa_float_round_mode_16_64 0
		.amdhsa_float_denorm_mode_32 3
		.amdhsa_float_denorm_mode_16_64 3
		.amdhsa_dx10_clamp 1
		.amdhsa_ieee_mode 1
		.amdhsa_fp16_overflow 0
		.amdhsa_workgroup_processor_mode 1
		.amdhsa_memory_ordered 1
		.amdhsa_forward_progress 1
		.amdhsa_shared_vgpr_count 0
		.amdhsa_exception_fp_ieee_invalid_op 0
		.amdhsa_exception_fp_denorm_src 0
		.amdhsa_exception_fp_ieee_div_zero 0
		.amdhsa_exception_fp_ieee_overflow 0
		.amdhsa_exception_fp_ieee_underflow 0
		.amdhsa_exception_fp_ieee_inexact 0
		.amdhsa_exception_int_div_zero 0
	.end_amdhsa_kernel
	.section	.text._ZN12_GLOBAL__N_121softmax_warp_backwardIN3c108BFloat16ES2_fLi2ELb1ELb0ELi32EEEvPT0_PKT_S7_iiiPKb,"axG",@progbits,_ZN12_GLOBAL__N_121softmax_warp_backwardIN3c108BFloat16ES2_fLi2ELb1ELb0ELi32EEEvPT0_PKT_S7_iiiPKb,comdat
.Lfunc_end305:
	.size	_ZN12_GLOBAL__N_121softmax_warp_backwardIN3c108BFloat16ES2_fLi2ELb1ELb0ELi32EEEvPT0_PKT_S7_iiiPKb, .Lfunc_end305-_ZN12_GLOBAL__N_121softmax_warp_backwardIN3c108BFloat16ES2_fLi2ELb1ELb0ELi32EEEvPT0_PKT_S7_iiiPKb
                                        ; -- End function
	.set _ZN12_GLOBAL__N_121softmax_warp_backwardIN3c108BFloat16ES2_fLi2ELb1ELb0ELi32EEEvPT0_PKT_S7_iiiPKb.num_vgpr, 14
	.set _ZN12_GLOBAL__N_121softmax_warp_backwardIN3c108BFloat16ES2_fLi2ELb1ELb0ELi32EEEvPT0_PKT_S7_iiiPKb.num_agpr, 0
	.set _ZN12_GLOBAL__N_121softmax_warp_backwardIN3c108BFloat16ES2_fLi2ELb1ELb0ELi32EEEvPT0_PKT_S7_iiiPKb.numbered_sgpr, 12
	.set _ZN12_GLOBAL__N_121softmax_warp_backwardIN3c108BFloat16ES2_fLi2ELb1ELb0ELi32EEEvPT0_PKT_S7_iiiPKb.num_named_barrier, 0
	.set _ZN12_GLOBAL__N_121softmax_warp_backwardIN3c108BFloat16ES2_fLi2ELb1ELb0ELi32EEEvPT0_PKT_S7_iiiPKb.private_seg_size, 0
	.set _ZN12_GLOBAL__N_121softmax_warp_backwardIN3c108BFloat16ES2_fLi2ELb1ELb0ELi32EEEvPT0_PKT_S7_iiiPKb.uses_vcc, 1
	.set _ZN12_GLOBAL__N_121softmax_warp_backwardIN3c108BFloat16ES2_fLi2ELb1ELb0ELi32EEEvPT0_PKT_S7_iiiPKb.uses_flat_scratch, 0
	.set _ZN12_GLOBAL__N_121softmax_warp_backwardIN3c108BFloat16ES2_fLi2ELb1ELb0ELi32EEEvPT0_PKT_S7_iiiPKb.has_dyn_sized_stack, 0
	.set _ZN12_GLOBAL__N_121softmax_warp_backwardIN3c108BFloat16ES2_fLi2ELb1ELb0ELi32EEEvPT0_PKT_S7_iiiPKb.has_recursion, 0
	.set _ZN12_GLOBAL__N_121softmax_warp_backwardIN3c108BFloat16ES2_fLi2ELb1ELb0ELi32EEEvPT0_PKT_S7_iiiPKb.has_indirect_call, 0
	.section	.AMDGPU.csdata,"",@progbits
; Kernel info:
; codeLenInByte = 828
; TotalNumSgprs: 14
; NumVgprs: 14
; ScratchSize: 0
; MemoryBound: 0
; FloatMode: 240
; IeeeMode: 1
; LDSByteSize: 0 bytes/workgroup (compile time only)
; SGPRBlocks: 0
; VGPRBlocks: 1
; NumSGPRsForWavesPerEU: 14
; NumVGPRsForWavesPerEU: 14
; Occupancy: 16
; WaveLimiterHint : 0
; COMPUTE_PGM_RSRC2:SCRATCH_EN: 0
; COMPUTE_PGM_RSRC2:USER_SGPR: 6
; COMPUTE_PGM_RSRC2:TRAP_HANDLER: 0
; COMPUTE_PGM_RSRC2:TGID_X_EN: 1
; COMPUTE_PGM_RSRC2:TGID_Y_EN: 0
; COMPUTE_PGM_RSRC2:TGID_Z_EN: 0
; COMPUTE_PGM_RSRC2:TIDIG_COMP_CNT: 1
	.section	.text._ZN12_GLOBAL__N_121softmax_warp_backwardIN3c108BFloat16ES2_fLi3ELb1ELb0ELi64EEEvPT0_PKT_S7_iiiPKb,"axG",@progbits,_ZN12_GLOBAL__N_121softmax_warp_backwardIN3c108BFloat16ES2_fLi3ELb1ELb0ELi64EEEvPT0_PKT_S7_iiiPKb,comdat
	.globl	_ZN12_GLOBAL__N_121softmax_warp_backwardIN3c108BFloat16ES2_fLi3ELb1ELb0ELi64EEEvPT0_PKT_S7_iiiPKb ; -- Begin function _ZN12_GLOBAL__N_121softmax_warp_backwardIN3c108BFloat16ES2_fLi3ELb1ELb0ELi64EEEvPT0_PKT_S7_iiiPKb
	.p2align	8
	.type	_ZN12_GLOBAL__N_121softmax_warp_backwardIN3c108BFloat16ES2_fLi3ELb1ELb0ELi64EEEvPT0_PKT_S7_iiiPKb,@function
_ZN12_GLOBAL__N_121softmax_warp_backwardIN3c108BFloat16ES2_fLi3ELb1ELb0ELi64EEEvPT0_PKT_S7_iiiPKb: ; @_ZN12_GLOBAL__N_121softmax_warp_backwardIN3c108BFloat16ES2_fLi3ELb1ELb0ELi64EEEvPT0_PKT_S7_iiiPKb
; %bb.0:
	s_clause 0x1
	s_load_dword s7, s[4:5], 0x3c
	s_load_dwordx4 s[0:3], s[4:5], 0x18
	v_and_b32_e32 v2, 7, v0
	s_clause 0x1
	s_load_dwordx4 s[8:11], s[4:5], 0x0
	s_load_dwordx2 s[4:5], s[4:5], 0x10
	v_mov_b32_e32 v7, 0
	v_mov_b32_e32 v8, 0
	s_waitcnt lgkmcnt(0)
	s_lshr_b32 s3, s7, 16
	s_and_b32 s3, s3, 0xffff
	s_mul_i32 s6, s6, s3
	v_add_lshl_u32 v3, s6, v1, 1
	v_mad_u64_u32 v[0:1], null, v3, s1, v[2:3]
	v_sub_nc_u32_e32 v6, s0, v3
	v_cmp_gt_i32_e64 s0, s2, v2
	v_cmp_lt_i32_e32 vcc_lo, 0, v6
	v_ashrrev_i32_e32 v1, 31, v0
	s_and_b32 s3, s0, vcc_lo
	v_lshlrev_b64 v[0:1], 1, v[0:1]
	v_add_co_u32 v2, s1, s10, v0
	v_add_co_ci_u32_e64 v3, null, s11, v1, s1
	v_add_co_u32 v4, s1, s4, v0
	v_add_co_ci_u32_e64 v5, null, s5, v1, s1
	s_and_saveexec_b32 s1, s3
	s_cbranch_execz .LBB306_2
; %bb.1:
	global_load_ushort v7, v[2:3], off
	global_load_ushort v9, v[4:5], off
	s_waitcnt vmcnt(1)
	v_lshlrev_b32_e32 v8, 16, v7
	s_waitcnt vmcnt(0)
	v_lshlrev_b32_e32 v7, 16, v9
.LBB306_2:
	s_or_b32 exec_lo, exec_lo, s1
	v_cmp_gt_i32_e64 s1, 2, v6
	s_xor_b32 s3, s0, -1
	s_or_b32 s1, s3, s1
	s_and_saveexec_b32 s3, s1
	s_xor_b32 s1, exec_lo, s3
                                        ; implicit-def: $vgpr9
; %bb.3:
	v_mov_b32_e32 v9, 0
                                        ; implicit-def: $vgpr4
                                        ; implicit-def: $vgpr2
; %bb.4:
	s_or_saveexec_b32 s4, s1
	v_mov_b32_e32 v10, 1.0
	s_xor_b32 exec_lo, exec_lo, s4
	s_cbranch_execz .LBB306_6
; %bb.5:
	s_mov_b32 s3, 0
	s_lshl_b64 s[6:7], s[2:3], 1
	v_add_co_u32 v4, s1, v4, s6
	v_add_co_ci_u32_e64 v5, null, s7, v5, s1
	v_add_co_u32 v2, s1, v2, s6
	v_add_co_ci_u32_e64 v3, null, s7, v3, s1
	global_load_ushort v4, v[4:5], off
	global_load_ushort v2, v[2:3], off
	s_waitcnt vmcnt(1)
	v_lshlrev_b32_e32 v3, 16, v4
	v_mul_f32_e32 v4, 0x3fb8aa3b, v3
	v_cmp_ngt_f32_e64 s1, 0xc2ce8ed0, v3
	v_fma_f32 v5, 0x3fb8aa3b, v3, -v4
	v_rndne_f32_e32 v9, v4
	v_fmamk_f32 v5, v3, 0x32a5705f, v5
	v_sub_f32_e32 v4, v4, v9
	v_add_f32_e32 v4, v4, v5
	v_cvt_i32_f32_e32 v5, v9
	s_waitcnt vmcnt(0)
	v_lshlrev_b32_e32 v9, 16, v2
	v_exp_f32_e32 v4, v4
	v_ldexp_f32 v4, v4, v5
	v_cndmask_b32_e64 v4, 0, v4, s1
	v_cmp_nlt_f32_e64 s1, 0x42b17218, v3
	v_cndmask_b32_e64 v10, 0x7f800000, v4, s1
.LBB306_6:
	s_or_b32 exec_lo, exec_lo, s4
	v_mbcnt_lo_u32_b32 v2, -1, 0
	v_add_f32_e32 v5, 0, v8
	v_add_f32_e32 v11, 0, v9
	v_and_b32_e32 v3, 24, v2
	v_xor_b32_e32 v4, 4, v2
	v_xor_b32_e32 v13, 2, v2
	v_add_nc_u32_e32 v3, 8, v3
	v_cmp_lt_i32_e64 s1, v4, v3
	v_cndmask_b32_e64 v4, v2, v4, s1
	v_cmp_lt_i32_e64 s1, v13, v3
	v_lshlrev_b32_e32 v4, 2, v4
	v_cndmask_b32_e64 v13, v2, v13, s1
	ds_bpermute_b32 v12, v4, v5
	ds_bpermute_b32 v4, v4, v11
	v_lshlrev_b32_e32 v13, 2, v13
	s_waitcnt lgkmcnt(1)
	v_add_f32_e32 v5, v5, v12
	s_waitcnt lgkmcnt(0)
	v_add_f32_e32 v11, v11, v4
	ds_bpermute_b32 v4, v13, v5
	ds_bpermute_b32 v12, v13, v11
	v_xor_b32_e32 v13, 1, v2
	v_cmp_lt_i32_e64 s1, v13, v3
	v_cndmask_b32_e64 v2, v2, v13, s1
	v_lshlrev_b32_e32 v3, 2, v2
	s_waitcnt lgkmcnt(1)
	v_add_f32_e32 v4, v5, v4
	s_waitcnt lgkmcnt(0)
	v_add_f32_e32 v2, v11, v12
	ds_bpermute_b32 v5, v3, v4
	ds_bpermute_b32 v3, v3, v2
	s_and_saveexec_b32 s1, vcc_lo
	s_cbranch_execz .LBB306_11
; %bb.7:
	v_add_co_u32 v0, vcc_lo, s8, v0
	v_add_co_ci_u32_e64 v1, null, s9, v1, vcc_lo
	s_and_saveexec_b32 s1, s0
	s_cbranch_execz .LBB306_9
; %bb.8:
	v_mul_f32_e32 v11, 0x3fb8aa3b, v7
	v_cmp_ngt_f32_e32 vcc_lo, 0xc2ce8ed0, v7
	s_waitcnt lgkmcnt(1)
	v_add_f32_e32 v4, v4, v5
	v_rndne_f32_e32 v12, v11
	v_fma_f32 v13, 0x3fb8aa3b, v7, -v11
	v_sub_f32_e32 v11, v11, v12
	v_fmamk_f32 v13, v7, 0x32a5705f, v13
	v_cvt_i32_f32_e32 v12, v12
	v_add_f32_e32 v11, v11, v13
	v_exp_f32_e32 v11, v11
	v_ldexp_f32 v11, v11, v12
	v_cndmask_b32_e32 v11, 0, v11, vcc_lo
	v_cmp_nlt_f32_e32 vcc_lo, 0x42b17218, v7
	v_cndmask_b32_e32 v5, 0x7f800000, v11, vcc_lo
	v_fma_f32 v4, -v4, v5, v8
	v_bfe_u32 v5, v4, 16, 1
	v_cmp_o_f32_e32 vcc_lo, v4, v4
	v_add3_u32 v4, v4, v5, 0x7fff
	v_mov_b32_e32 v5, 0x7fc0
	v_cndmask_b32_sdwa v4, v5, v4, vcc_lo dst_sel:DWORD dst_unused:UNUSED_PAD src0_sel:DWORD src1_sel:WORD_1
	global_store_short v[0:1], v4, off
.LBB306_9:
	s_or_b32 exec_lo, exec_lo, s1
	v_cmp_ne_u32_e32 vcc_lo, 1, v6
	s_and_b32 s0, vcc_lo, s0
	s_and_b32 exec_lo, exec_lo, s0
	s_cbranch_execz .LBB306_11
; %bb.10:
	s_waitcnt lgkmcnt(0)
	v_add_f32_e32 v2, v2, v3
	s_mov_b32 s3, 0
	v_mov_b32_e32 v4, 0x7fc0
	s_lshl_b64 s[0:1], s[2:3], 1
	v_add_co_u32 v0, s0, v0, s0
	v_fma_f32 v2, -v2, v10, v9
	v_add_co_ci_u32_e64 v1, null, s1, v1, s0
	v_bfe_u32 v3, v2, 16, 1
	v_cmp_o_f32_e32 vcc_lo, v2, v2
	v_add3_u32 v2, v2, v3, 0x7fff
	v_cndmask_b32_sdwa v2, v4, v2, vcc_lo dst_sel:DWORD dst_unused:UNUSED_PAD src0_sel:DWORD src1_sel:WORD_1
	global_store_short v[0:1], v2, off
.LBB306_11:
	s_endpgm
	.section	.rodata,"a",@progbits
	.p2align	6, 0x0
	.amdhsa_kernel _ZN12_GLOBAL__N_121softmax_warp_backwardIN3c108BFloat16ES2_fLi3ELb1ELb0ELi64EEEvPT0_PKT_S7_iiiPKb
		.amdhsa_group_segment_fixed_size 0
		.amdhsa_private_segment_fixed_size 0
		.amdhsa_kernarg_size 304
		.amdhsa_user_sgpr_count 6
		.amdhsa_user_sgpr_private_segment_buffer 1
		.amdhsa_user_sgpr_dispatch_ptr 0
		.amdhsa_user_sgpr_queue_ptr 0
		.amdhsa_user_sgpr_kernarg_segment_ptr 1
		.amdhsa_user_sgpr_dispatch_id 0
		.amdhsa_user_sgpr_flat_scratch_init 0
		.amdhsa_user_sgpr_private_segment_size 0
		.amdhsa_wavefront_size32 1
		.amdhsa_uses_dynamic_stack 0
		.amdhsa_system_sgpr_private_segment_wavefront_offset 0
		.amdhsa_system_sgpr_workgroup_id_x 1
		.amdhsa_system_sgpr_workgroup_id_y 0
		.amdhsa_system_sgpr_workgroup_id_z 0
		.amdhsa_system_sgpr_workgroup_info 0
		.amdhsa_system_vgpr_workitem_id 1
		.amdhsa_next_free_vgpr 14
		.amdhsa_next_free_sgpr 12
		.amdhsa_reserve_vcc 1
		.amdhsa_reserve_flat_scratch 0
		.amdhsa_float_round_mode_32 0
		.amdhsa_float_round_mode_16_64 0
		.amdhsa_float_denorm_mode_32 3
		.amdhsa_float_denorm_mode_16_64 3
		.amdhsa_dx10_clamp 1
		.amdhsa_ieee_mode 1
		.amdhsa_fp16_overflow 0
		.amdhsa_workgroup_processor_mode 1
		.amdhsa_memory_ordered 1
		.amdhsa_forward_progress 1
		.amdhsa_shared_vgpr_count 0
		.amdhsa_exception_fp_ieee_invalid_op 0
		.amdhsa_exception_fp_denorm_src 0
		.amdhsa_exception_fp_ieee_div_zero 0
		.amdhsa_exception_fp_ieee_overflow 0
		.amdhsa_exception_fp_ieee_underflow 0
		.amdhsa_exception_fp_ieee_inexact 0
		.amdhsa_exception_int_div_zero 0
	.end_amdhsa_kernel
	.section	.text._ZN12_GLOBAL__N_121softmax_warp_backwardIN3c108BFloat16ES2_fLi3ELb1ELb0ELi64EEEvPT0_PKT_S7_iiiPKb,"axG",@progbits,_ZN12_GLOBAL__N_121softmax_warp_backwardIN3c108BFloat16ES2_fLi3ELb1ELb0ELi64EEEvPT0_PKT_S7_iiiPKb,comdat
.Lfunc_end306:
	.size	_ZN12_GLOBAL__N_121softmax_warp_backwardIN3c108BFloat16ES2_fLi3ELb1ELb0ELi64EEEvPT0_PKT_S7_iiiPKb, .Lfunc_end306-_ZN12_GLOBAL__N_121softmax_warp_backwardIN3c108BFloat16ES2_fLi3ELb1ELb0ELi64EEEvPT0_PKT_S7_iiiPKb
                                        ; -- End function
	.set _ZN12_GLOBAL__N_121softmax_warp_backwardIN3c108BFloat16ES2_fLi3ELb1ELb0ELi64EEEvPT0_PKT_S7_iiiPKb.num_vgpr, 14
	.set _ZN12_GLOBAL__N_121softmax_warp_backwardIN3c108BFloat16ES2_fLi3ELb1ELb0ELi64EEEvPT0_PKT_S7_iiiPKb.num_agpr, 0
	.set _ZN12_GLOBAL__N_121softmax_warp_backwardIN3c108BFloat16ES2_fLi3ELb1ELb0ELi64EEEvPT0_PKT_S7_iiiPKb.numbered_sgpr, 12
	.set _ZN12_GLOBAL__N_121softmax_warp_backwardIN3c108BFloat16ES2_fLi3ELb1ELb0ELi64EEEvPT0_PKT_S7_iiiPKb.num_named_barrier, 0
	.set _ZN12_GLOBAL__N_121softmax_warp_backwardIN3c108BFloat16ES2_fLi3ELb1ELb0ELi64EEEvPT0_PKT_S7_iiiPKb.private_seg_size, 0
	.set _ZN12_GLOBAL__N_121softmax_warp_backwardIN3c108BFloat16ES2_fLi3ELb1ELb0ELi64EEEvPT0_PKT_S7_iiiPKb.uses_vcc, 1
	.set _ZN12_GLOBAL__N_121softmax_warp_backwardIN3c108BFloat16ES2_fLi3ELb1ELb0ELi64EEEvPT0_PKT_S7_iiiPKb.uses_flat_scratch, 0
	.set _ZN12_GLOBAL__N_121softmax_warp_backwardIN3c108BFloat16ES2_fLi3ELb1ELb0ELi64EEEvPT0_PKT_S7_iiiPKb.has_dyn_sized_stack, 0
	.set _ZN12_GLOBAL__N_121softmax_warp_backwardIN3c108BFloat16ES2_fLi3ELb1ELb0ELi64EEEvPT0_PKT_S7_iiiPKb.has_recursion, 0
	.set _ZN12_GLOBAL__N_121softmax_warp_backwardIN3c108BFloat16ES2_fLi3ELb1ELb0ELi64EEEvPT0_PKT_S7_iiiPKb.has_indirect_call, 0
	.section	.AMDGPU.csdata,"",@progbits
; Kernel info:
; codeLenInByte = 884
; TotalNumSgprs: 14
; NumVgprs: 14
; ScratchSize: 0
; MemoryBound: 0
; FloatMode: 240
; IeeeMode: 1
; LDSByteSize: 0 bytes/workgroup (compile time only)
; SGPRBlocks: 0
; VGPRBlocks: 1
; NumSGPRsForWavesPerEU: 14
; NumVGPRsForWavesPerEU: 14
; Occupancy: 16
; WaveLimiterHint : 0
; COMPUTE_PGM_RSRC2:SCRATCH_EN: 0
; COMPUTE_PGM_RSRC2:USER_SGPR: 6
; COMPUTE_PGM_RSRC2:TRAP_HANDLER: 0
; COMPUTE_PGM_RSRC2:TGID_X_EN: 1
; COMPUTE_PGM_RSRC2:TGID_Y_EN: 0
; COMPUTE_PGM_RSRC2:TGID_Z_EN: 0
; COMPUTE_PGM_RSRC2:TIDIG_COMP_CNT: 1
	.section	.text._ZN12_GLOBAL__N_121softmax_warp_backwardIN3c108BFloat16ES2_fLi3ELb1ELb0ELi32EEEvPT0_PKT_S7_iiiPKb,"axG",@progbits,_ZN12_GLOBAL__N_121softmax_warp_backwardIN3c108BFloat16ES2_fLi3ELb1ELb0ELi32EEEvPT0_PKT_S7_iiiPKb,comdat
	.globl	_ZN12_GLOBAL__N_121softmax_warp_backwardIN3c108BFloat16ES2_fLi3ELb1ELb0ELi32EEEvPT0_PKT_S7_iiiPKb ; -- Begin function _ZN12_GLOBAL__N_121softmax_warp_backwardIN3c108BFloat16ES2_fLi3ELb1ELb0ELi32EEEvPT0_PKT_S7_iiiPKb
	.p2align	8
	.type	_ZN12_GLOBAL__N_121softmax_warp_backwardIN3c108BFloat16ES2_fLi3ELb1ELb0ELi32EEEvPT0_PKT_S7_iiiPKb,@function
_ZN12_GLOBAL__N_121softmax_warp_backwardIN3c108BFloat16ES2_fLi3ELb1ELb0ELi32EEEvPT0_PKT_S7_iiiPKb: ; @_ZN12_GLOBAL__N_121softmax_warp_backwardIN3c108BFloat16ES2_fLi3ELb1ELb0ELi32EEEvPT0_PKT_S7_iiiPKb
; %bb.0:
	s_clause 0x1
	s_load_dword s7, s[4:5], 0x3c
	s_load_dwordx4 s[0:3], s[4:5], 0x18
	v_and_b32_e32 v2, 7, v0
	s_clause 0x1
	s_load_dwordx4 s[8:11], s[4:5], 0x0
	s_load_dwordx2 s[4:5], s[4:5], 0x10
	v_mov_b32_e32 v7, 0
	v_mov_b32_e32 v8, 0
	s_waitcnt lgkmcnt(0)
	s_lshr_b32 s3, s7, 16
	s_and_b32 s3, s3, 0xffff
	s_mul_i32 s6, s6, s3
	v_add_lshl_u32 v3, s6, v1, 1
	v_mad_u64_u32 v[0:1], null, v3, s1, v[2:3]
	v_sub_nc_u32_e32 v6, s0, v3
	v_cmp_gt_i32_e64 s0, s2, v2
	v_cmp_lt_i32_e32 vcc_lo, 0, v6
	v_ashrrev_i32_e32 v1, 31, v0
	s_and_b32 s3, s0, vcc_lo
	v_lshlrev_b64 v[0:1], 1, v[0:1]
	v_add_co_u32 v2, s1, s10, v0
	v_add_co_ci_u32_e64 v3, null, s11, v1, s1
	v_add_co_u32 v4, s1, s4, v0
	v_add_co_ci_u32_e64 v5, null, s5, v1, s1
	s_and_saveexec_b32 s1, s3
	s_cbranch_execz .LBB307_2
; %bb.1:
	global_load_ushort v7, v[2:3], off
	global_load_ushort v9, v[4:5], off
	s_waitcnt vmcnt(1)
	v_lshlrev_b32_e32 v8, 16, v7
	s_waitcnt vmcnt(0)
	v_lshlrev_b32_e32 v7, 16, v9
.LBB307_2:
	s_or_b32 exec_lo, exec_lo, s1
	v_cmp_gt_i32_e64 s1, 2, v6
	s_xor_b32 s3, s0, -1
	s_or_b32 s1, s3, s1
	s_and_saveexec_b32 s3, s1
	s_xor_b32 s1, exec_lo, s3
                                        ; implicit-def: $vgpr9
; %bb.3:
	v_mov_b32_e32 v9, 0
                                        ; implicit-def: $vgpr4
                                        ; implicit-def: $vgpr2
; %bb.4:
	s_or_saveexec_b32 s4, s1
	v_mov_b32_e32 v10, 1.0
	s_xor_b32 exec_lo, exec_lo, s4
	s_cbranch_execz .LBB307_6
; %bb.5:
	s_mov_b32 s3, 0
	s_lshl_b64 s[6:7], s[2:3], 1
	v_add_co_u32 v4, s1, v4, s6
	v_add_co_ci_u32_e64 v5, null, s7, v5, s1
	v_add_co_u32 v2, s1, v2, s6
	v_add_co_ci_u32_e64 v3, null, s7, v3, s1
	global_load_ushort v4, v[4:5], off
	global_load_ushort v2, v[2:3], off
	s_waitcnt vmcnt(1)
	v_lshlrev_b32_e32 v3, 16, v4
	v_mul_f32_e32 v4, 0x3fb8aa3b, v3
	v_cmp_ngt_f32_e64 s1, 0xc2ce8ed0, v3
	v_fma_f32 v5, 0x3fb8aa3b, v3, -v4
	v_rndne_f32_e32 v9, v4
	v_fmamk_f32 v5, v3, 0x32a5705f, v5
	v_sub_f32_e32 v4, v4, v9
	v_add_f32_e32 v4, v4, v5
	v_cvt_i32_f32_e32 v5, v9
	s_waitcnt vmcnt(0)
	v_lshlrev_b32_e32 v9, 16, v2
	v_exp_f32_e32 v4, v4
	v_ldexp_f32 v4, v4, v5
	v_cndmask_b32_e64 v4, 0, v4, s1
	v_cmp_nlt_f32_e64 s1, 0x42b17218, v3
	v_cndmask_b32_e64 v10, 0x7f800000, v4, s1
.LBB307_6:
	s_or_b32 exec_lo, exec_lo, s4
	v_mbcnt_lo_u32_b32 v2, -1, 0
	v_add_f32_e32 v5, 0, v8
	v_add_f32_e32 v11, 0, v9
	v_and_b32_e32 v3, 24, v2
	v_xor_b32_e32 v4, 4, v2
	v_xor_b32_e32 v13, 2, v2
	v_add_nc_u32_e32 v3, 8, v3
	v_cmp_lt_i32_e64 s1, v4, v3
	v_cndmask_b32_e64 v4, v2, v4, s1
	v_cmp_lt_i32_e64 s1, v13, v3
	v_lshlrev_b32_e32 v4, 2, v4
	v_cndmask_b32_e64 v13, v2, v13, s1
	ds_bpermute_b32 v12, v4, v5
	ds_bpermute_b32 v4, v4, v11
	v_lshlrev_b32_e32 v13, 2, v13
	s_waitcnt lgkmcnt(1)
	v_add_f32_e32 v5, v5, v12
	s_waitcnt lgkmcnt(0)
	v_add_f32_e32 v11, v11, v4
	ds_bpermute_b32 v4, v13, v5
	ds_bpermute_b32 v12, v13, v11
	v_xor_b32_e32 v13, 1, v2
	v_cmp_lt_i32_e64 s1, v13, v3
	v_cndmask_b32_e64 v2, v2, v13, s1
	v_lshlrev_b32_e32 v3, 2, v2
	s_waitcnt lgkmcnt(1)
	v_add_f32_e32 v4, v5, v4
	s_waitcnt lgkmcnt(0)
	v_add_f32_e32 v2, v11, v12
	ds_bpermute_b32 v5, v3, v4
	ds_bpermute_b32 v3, v3, v2
	s_and_saveexec_b32 s1, vcc_lo
	s_cbranch_execz .LBB307_11
; %bb.7:
	v_add_co_u32 v0, vcc_lo, s8, v0
	v_add_co_ci_u32_e64 v1, null, s9, v1, vcc_lo
	s_and_saveexec_b32 s1, s0
	s_cbranch_execz .LBB307_9
; %bb.8:
	v_mul_f32_e32 v11, 0x3fb8aa3b, v7
	v_cmp_ngt_f32_e32 vcc_lo, 0xc2ce8ed0, v7
	s_waitcnt lgkmcnt(1)
	v_add_f32_e32 v4, v4, v5
	v_rndne_f32_e32 v12, v11
	v_fma_f32 v13, 0x3fb8aa3b, v7, -v11
	v_sub_f32_e32 v11, v11, v12
	v_fmamk_f32 v13, v7, 0x32a5705f, v13
	v_cvt_i32_f32_e32 v12, v12
	v_add_f32_e32 v11, v11, v13
	v_exp_f32_e32 v11, v11
	v_ldexp_f32 v11, v11, v12
	v_cndmask_b32_e32 v11, 0, v11, vcc_lo
	v_cmp_nlt_f32_e32 vcc_lo, 0x42b17218, v7
	v_cndmask_b32_e32 v5, 0x7f800000, v11, vcc_lo
	v_fma_f32 v4, -v4, v5, v8
	v_bfe_u32 v5, v4, 16, 1
	v_cmp_o_f32_e32 vcc_lo, v4, v4
	v_add3_u32 v4, v4, v5, 0x7fff
	v_mov_b32_e32 v5, 0x7fc0
	v_cndmask_b32_sdwa v4, v5, v4, vcc_lo dst_sel:DWORD dst_unused:UNUSED_PAD src0_sel:DWORD src1_sel:WORD_1
	global_store_short v[0:1], v4, off
.LBB307_9:
	s_or_b32 exec_lo, exec_lo, s1
	v_cmp_ne_u32_e32 vcc_lo, 1, v6
	s_and_b32 s0, vcc_lo, s0
	s_and_b32 exec_lo, exec_lo, s0
	s_cbranch_execz .LBB307_11
; %bb.10:
	s_waitcnt lgkmcnt(0)
	v_add_f32_e32 v2, v2, v3
	s_mov_b32 s3, 0
	v_mov_b32_e32 v4, 0x7fc0
	s_lshl_b64 s[0:1], s[2:3], 1
	v_add_co_u32 v0, s0, v0, s0
	v_fma_f32 v2, -v2, v10, v9
	v_add_co_ci_u32_e64 v1, null, s1, v1, s0
	v_bfe_u32 v3, v2, 16, 1
	v_cmp_o_f32_e32 vcc_lo, v2, v2
	v_add3_u32 v2, v2, v3, 0x7fff
	v_cndmask_b32_sdwa v2, v4, v2, vcc_lo dst_sel:DWORD dst_unused:UNUSED_PAD src0_sel:DWORD src1_sel:WORD_1
	global_store_short v[0:1], v2, off
.LBB307_11:
	s_endpgm
	.section	.rodata,"a",@progbits
	.p2align	6, 0x0
	.amdhsa_kernel _ZN12_GLOBAL__N_121softmax_warp_backwardIN3c108BFloat16ES2_fLi3ELb1ELb0ELi32EEEvPT0_PKT_S7_iiiPKb
		.amdhsa_group_segment_fixed_size 0
		.amdhsa_private_segment_fixed_size 0
		.amdhsa_kernarg_size 304
		.amdhsa_user_sgpr_count 6
		.amdhsa_user_sgpr_private_segment_buffer 1
		.amdhsa_user_sgpr_dispatch_ptr 0
		.amdhsa_user_sgpr_queue_ptr 0
		.amdhsa_user_sgpr_kernarg_segment_ptr 1
		.amdhsa_user_sgpr_dispatch_id 0
		.amdhsa_user_sgpr_flat_scratch_init 0
		.amdhsa_user_sgpr_private_segment_size 0
		.amdhsa_wavefront_size32 1
		.amdhsa_uses_dynamic_stack 0
		.amdhsa_system_sgpr_private_segment_wavefront_offset 0
		.amdhsa_system_sgpr_workgroup_id_x 1
		.amdhsa_system_sgpr_workgroup_id_y 0
		.amdhsa_system_sgpr_workgroup_id_z 0
		.amdhsa_system_sgpr_workgroup_info 0
		.amdhsa_system_vgpr_workitem_id 1
		.amdhsa_next_free_vgpr 14
		.amdhsa_next_free_sgpr 12
		.amdhsa_reserve_vcc 1
		.amdhsa_reserve_flat_scratch 0
		.amdhsa_float_round_mode_32 0
		.amdhsa_float_round_mode_16_64 0
		.amdhsa_float_denorm_mode_32 3
		.amdhsa_float_denorm_mode_16_64 3
		.amdhsa_dx10_clamp 1
		.amdhsa_ieee_mode 1
		.amdhsa_fp16_overflow 0
		.amdhsa_workgroup_processor_mode 1
		.amdhsa_memory_ordered 1
		.amdhsa_forward_progress 1
		.amdhsa_shared_vgpr_count 0
		.amdhsa_exception_fp_ieee_invalid_op 0
		.amdhsa_exception_fp_denorm_src 0
		.amdhsa_exception_fp_ieee_div_zero 0
		.amdhsa_exception_fp_ieee_overflow 0
		.amdhsa_exception_fp_ieee_underflow 0
		.amdhsa_exception_fp_ieee_inexact 0
		.amdhsa_exception_int_div_zero 0
	.end_amdhsa_kernel
	.section	.text._ZN12_GLOBAL__N_121softmax_warp_backwardIN3c108BFloat16ES2_fLi3ELb1ELb0ELi32EEEvPT0_PKT_S7_iiiPKb,"axG",@progbits,_ZN12_GLOBAL__N_121softmax_warp_backwardIN3c108BFloat16ES2_fLi3ELb1ELb0ELi32EEEvPT0_PKT_S7_iiiPKb,comdat
.Lfunc_end307:
	.size	_ZN12_GLOBAL__N_121softmax_warp_backwardIN3c108BFloat16ES2_fLi3ELb1ELb0ELi32EEEvPT0_PKT_S7_iiiPKb, .Lfunc_end307-_ZN12_GLOBAL__N_121softmax_warp_backwardIN3c108BFloat16ES2_fLi3ELb1ELb0ELi32EEEvPT0_PKT_S7_iiiPKb
                                        ; -- End function
	.set _ZN12_GLOBAL__N_121softmax_warp_backwardIN3c108BFloat16ES2_fLi3ELb1ELb0ELi32EEEvPT0_PKT_S7_iiiPKb.num_vgpr, 14
	.set _ZN12_GLOBAL__N_121softmax_warp_backwardIN3c108BFloat16ES2_fLi3ELb1ELb0ELi32EEEvPT0_PKT_S7_iiiPKb.num_agpr, 0
	.set _ZN12_GLOBAL__N_121softmax_warp_backwardIN3c108BFloat16ES2_fLi3ELb1ELb0ELi32EEEvPT0_PKT_S7_iiiPKb.numbered_sgpr, 12
	.set _ZN12_GLOBAL__N_121softmax_warp_backwardIN3c108BFloat16ES2_fLi3ELb1ELb0ELi32EEEvPT0_PKT_S7_iiiPKb.num_named_barrier, 0
	.set _ZN12_GLOBAL__N_121softmax_warp_backwardIN3c108BFloat16ES2_fLi3ELb1ELb0ELi32EEEvPT0_PKT_S7_iiiPKb.private_seg_size, 0
	.set _ZN12_GLOBAL__N_121softmax_warp_backwardIN3c108BFloat16ES2_fLi3ELb1ELb0ELi32EEEvPT0_PKT_S7_iiiPKb.uses_vcc, 1
	.set _ZN12_GLOBAL__N_121softmax_warp_backwardIN3c108BFloat16ES2_fLi3ELb1ELb0ELi32EEEvPT0_PKT_S7_iiiPKb.uses_flat_scratch, 0
	.set _ZN12_GLOBAL__N_121softmax_warp_backwardIN3c108BFloat16ES2_fLi3ELb1ELb0ELi32EEEvPT0_PKT_S7_iiiPKb.has_dyn_sized_stack, 0
	.set _ZN12_GLOBAL__N_121softmax_warp_backwardIN3c108BFloat16ES2_fLi3ELb1ELb0ELi32EEEvPT0_PKT_S7_iiiPKb.has_recursion, 0
	.set _ZN12_GLOBAL__N_121softmax_warp_backwardIN3c108BFloat16ES2_fLi3ELb1ELb0ELi32EEEvPT0_PKT_S7_iiiPKb.has_indirect_call, 0
	.section	.AMDGPU.csdata,"",@progbits
; Kernel info:
; codeLenInByte = 884
; TotalNumSgprs: 14
; NumVgprs: 14
; ScratchSize: 0
; MemoryBound: 0
; FloatMode: 240
; IeeeMode: 1
; LDSByteSize: 0 bytes/workgroup (compile time only)
; SGPRBlocks: 0
; VGPRBlocks: 1
; NumSGPRsForWavesPerEU: 14
; NumVGPRsForWavesPerEU: 14
; Occupancy: 16
; WaveLimiterHint : 0
; COMPUTE_PGM_RSRC2:SCRATCH_EN: 0
; COMPUTE_PGM_RSRC2:USER_SGPR: 6
; COMPUTE_PGM_RSRC2:TRAP_HANDLER: 0
; COMPUTE_PGM_RSRC2:TGID_X_EN: 1
; COMPUTE_PGM_RSRC2:TGID_Y_EN: 0
; COMPUTE_PGM_RSRC2:TGID_Z_EN: 0
; COMPUTE_PGM_RSRC2:TIDIG_COMP_CNT: 1
	.section	.text._ZN12_GLOBAL__N_121softmax_warp_backwardIN3c108BFloat16ES2_fLi4ELb1ELb0ELi64EEEvPT0_PKT_S7_iiiPKb,"axG",@progbits,_ZN12_GLOBAL__N_121softmax_warp_backwardIN3c108BFloat16ES2_fLi4ELb1ELb0ELi64EEEvPT0_PKT_S7_iiiPKb,comdat
	.globl	_ZN12_GLOBAL__N_121softmax_warp_backwardIN3c108BFloat16ES2_fLi4ELb1ELb0ELi64EEEvPT0_PKT_S7_iiiPKb ; -- Begin function _ZN12_GLOBAL__N_121softmax_warp_backwardIN3c108BFloat16ES2_fLi4ELb1ELb0ELi64EEEvPT0_PKT_S7_iiiPKb
	.p2align	8
	.type	_ZN12_GLOBAL__N_121softmax_warp_backwardIN3c108BFloat16ES2_fLi4ELb1ELb0ELi64EEEvPT0_PKT_S7_iiiPKb,@function
_ZN12_GLOBAL__N_121softmax_warp_backwardIN3c108BFloat16ES2_fLi4ELb1ELb0ELi64EEEvPT0_PKT_S7_iiiPKb: ; @_ZN12_GLOBAL__N_121softmax_warp_backwardIN3c108BFloat16ES2_fLi4ELb1ELb0ELi64EEEvPT0_PKT_S7_iiiPKb
; %bb.0:
	s_clause 0x1
	s_load_dword s7, s[4:5], 0x3c
	s_load_dwordx4 s[0:3], s[4:5], 0x18
	v_and_b32_e32 v2, 15, v0
	s_clause 0x1
	s_load_dwordx4 s[8:11], s[4:5], 0x0
	s_load_dwordx2 s[4:5], s[4:5], 0x10
	v_mov_b32_e32 v7, 0
	v_mov_b32_e32 v8, 0
	s_waitcnt lgkmcnt(0)
	s_lshr_b32 s3, s7, 16
	s_and_b32 s3, s3, 0xffff
	s_mul_i32 s6, s6, s3
	v_add_lshl_u32 v3, s6, v1, 1
	v_mad_u64_u32 v[0:1], null, v3, s1, v[2:3]
	v_sub_nc_u32_e32 v6, s0, v3
	v_cmp_gt_i32_e64 s0, s2, v2
	v_cmp_lt_i32_e32 vcc_lo, 0, v6
	v_ashrrev_i32_e32 v1, 31, v0
	s_and_b32 s3, s0, vcc_lo
	v_lshlrev_b64 v[0:1], 1, v[0:1]
	v_add_co_u32 v2, s1, s10, v0
	v_add_co_ci_u32_e64 v3, null, s11, v1, s1
	v_add_co_u32 v4, s1, s4, v0
	v_add_co_ci_u32_e64 v5, null, s5, v1, s1
	s_and_saveexec_b32 s1, s3
	s_cbranch_execz .LBB308_2
; %bb.1:
	global_load_ushort v7, v[2:3], off
	global_load_ushort v9, v[4:5], off
	s_waitcnt vmcnt(1)
	v_lshlrev_b32_e32 v8, 16, v7
	s_waitcnt vmcnt(0)
	v_lshlrev_b32_e32 v7, 16, v9
.LBB308_2:
	s_or_b32 exec_lo, exec_lo, s1
	v_cmp_gt_i32_e64 s1, 2, v6
	s_xor_b32 s3, s0, -1
	s_or_b32 s1, s3, s1
	s_and_saveexec_b32 s3, s1
	s_xor_b32 s1, exec_lo, s3
                                        ; implicit-def: $vgpr9
; %bb.3:
	v_mov_b32_e32 v9, 0
                                        ; implicit-def: $vgpr4
                                        ; implicit-def: $vgpr2
; %bb.4:
	s_or_saveexec_b32 s4, s1
	v_mov_b32_e32 v10, 1.0
	s_xor_b32 exec_lo, exec_lo, s4
	s_cbranch_execz .LBB308_6
; %bb.5:
	s_mov_b32 s3, 0
	s_lshl_b64 s[6:7], s[2:3], 1
	v_add_co_u32 v4, s1, v4, s6
	v_add_co_ci_u32_e64 v5, null, s7, v5, s1
	v_add_co_u32 v2, s1, v2, s6
	v_add_co_ci_u32_e64 v3, null, s7, v3, s1
	global_load_ushort v4, v[4:5], off
	global_load_ushort v2, v[2:3], off
	s_waitcnt vmcnt(1)
	v_lshlrev_b32_e32 v3, 16, v4
	v_mul_f32_e32 v4, 0x3fb8aa3b, v3
	v_cmp_ngt_f32_e64 s1, 0xc2ce8ed0, v3
	v_fma_f32 v5, 0x3fb8aa3b, v3, -v4
	v_rndne_f32_e32 v9, v4
	v_fmamk_f32 v5, v3, 0x32a5705f, v5
	v_sub_f32_e32 v4, v4, v9
	v_add_f32_e32 v4, v4, v5
	v_cvt_i32_f32_e32 v5, v9
	s_waitcnt vmcnt(0)
	v_lshlrev_b32_e32 v9, 16, v2
	v_exp_f32_e32 v4, v4
	v_ldexp_f32 v4, v4, v5
	v_cndmask_b32_e64 v4, 0, v4, s1
	v_cmp_nlt_f32_e64 s1, 0x42b17218, v3
	v_cndmask_b32_e64 v10, 0x7f800000, v4, s1
.LBB308_6:
	s_or_b32 exec_lo, exec_lo, s4
	v_mbcnt_lo_u32_b32 v2, -1, 0
	v_add_f32_e32 v5, 0, v8
	v_add_f32_e32 v11, 0, v9
	v_and_b32_e32 v3, 16, v2
	v_xor_b32_e32 v4, 8, v2
	v_xor_b32_e32 v13, 4, v2
	v_add_nc_u32_e32 v3, 16, v3
	v_cmp_lt_i32_e64 s1, v4, v3
	v_cndmask_b32_e64 v4, v2, v4, s1
	v_cmp_lt_i32_e64 s1, v13, v3
	v_lshlrev_b32_e32 v4, 2, v4
	v_cndmask_b32_e64 v13, v2, v13, s1
	ds_bpermute_b32 v12, v4, v5
	ds_bpermute_b32 v4, v4, v11
	v_lshlrev_b32_e32 v13, 2, v13
	s_waitcnt lgkmcnt(1)
	v_add_f32_e32 v5, v5, v12
	s_waitcnt lgkmcnt(0)
	v_add_f32_e32 v4, v11, v4
	ds_bpermute_b32 v11, v13, v5
	ds_bpermute_b32 v12, v13, v4
	v_xor_b32_e32 v13, 2, v2
	v_cmp_lt_i32_e64 s1, v13, v3
	v_cndmask_b32_e64 v13, v2, v13, s1
	v_lshlrev_b32_e32 v13, 2, v13
	s_waitcnt lgkmcnt(1)
	v_add_f32_e32 v5, v5, v11
	s_waitcnt lgkmcnt(0)
	v_add_f32_e32 v11, v4, v12
	ds_bpermute_b32 v4, v13, v5
	ds_bpermute_b32 v12, v13, v11
	v_xor_b32_e32 v13, 1, v2
	v_cmp_lt_i32_e64 s1, v13, v3
	v_cndmask_b32_e64 v2, v2, v13, s1
	v_lshlrev_b32_e32 v3, 2, v2
	s_waitcnt lgkmcnt(1)
	v_add_f32_e32 v4, v5, v4
	s_waitcnt lgkmcnt(0)
	v_add_f32_e32 v2, v11, v12
	ds_bpermute_b32 v5, v3, v4
	ds_bpermute_b32 v3, v3, v2
	s_and_saveexec_b32 s1, vcc_lo
	s_cbranch_execz .LBB308_11
; %bb.7:
	v_add_co_u32 v0, vcc_lo, s8, v0
	v_add_co_ci_u32_e64 v1, null, s9, v1, vcc_lo
	s_and_saveexec_b32 s1, s0
	s_cbranch_execz .LBB308_9
; %bb.8:
	v_mul_f32_e32 v11, 0x3fb8aa3b, v7
	v_cmp_ngt_f32_e32 vcc_lo, 0xc2ce8ed0, v7
	s_waitcnt lgkmcnt(1)
	v_add_f32_e32 v4, v4, v5
	v_rndne_f32_e32 v12, v11
	v_fma_f32 v13, 0x3fb8aa3b, v7, -v11
	v_sub_f32_e32 v11, v11, v12
	v_fmamk_f32 v13, v7, 0x32a5705f, v13
	v_cvt_i32_f32_e32 v12, v12
	v_add_f32_e32 v11, v11, v13
	v_exp_f32_e32 v11, v11
	v_ldexp_f32 v11, v11, v12
	v_cndmask_b32_e32 v11, 0, v11, vcc_lo
	v_cmp_nlt_f32_e32 vcc_lo, 0x42b17218, v7
	v_cndmask_b32_e32 v5, 0x7f800000, v11, vcc_lo
	v_fma_f32 v4, -v4, v5, v8
	v_bfe_u32 v5, v4, 16, 1
	v_cmp_o_f32_e32 vcc_lo, v4, v4
	v_add3_u32 v4, v4, v5, 0x7fff
	v_mov_b32_e32 v5, 0x7fc0
	v_cndmask_b32_sdwa v4, v5, v4, vcc_lo dst_sel:DWORD dst_unused:UNUSED_PAD src0_sel:DWORD src1_sel:WORD_1
	global_store_short v[0:1], v4, off
.LBB308_9:
	s_or_b32 exec_lo, exec_lo, s1
	v_cmp_ne_u32_e32 vcc_lo, 1, v6
	s_and_b32 s0, vcc_lo, s0
	s_and_b32 exec_lo, exec_lo, s0
	s_cbranch_execz .LBB308_11
; %bb.10:
	s_waitcnt lgkmcnt(0)
	v_add_f32_e32 v2, v2, v3
	s_mov_b32 s3, 0
	v_mov_b32_e32 v4, 0x7fc0
	s_lshl_b64 s[0:1], s[2:3], 1
	v_add_co_u32 v0, s0, v0, s0
	v_fma_f32 v2, -v2, v10, v9
	v_add_co_ci_u32_e64 v1, null, s1, v1, s0
	v_bfe_u32 v3, v2, 16, 1
	v_cmp_o_f32_e32 vcc_lo, v2, v2
	v_add3_u32 v2, v2, v3, 0x7fff
	v_cndmask_b32_sdwa v2, v4, v2, vcc_lo dst_sel:DWORD dst_unused:UNUSED_PAD src0_sel:DWORD src1_sel:WORD_1
	global_store_short v[0:1], v2, off
.LBB308_11:
	s_endpgm
	.section	.rodata,"a",@progbits
	.p2align	6, 0x0
	.amdhsa_kernel _ZN12_GLOBAL__N_121softmax_warp_backwardIN3c108BFloat16ES2_fLi4ELb1ELb0ELi64EEEvPT0_PKT_S7_iiiPKb
		.amdhsa_group_segment_fixed_size 0
		.amdhsa_private_segment_fixed_size 0
		.amdhsa_kernarg_size 304
		.amdhsa_user_sgpr_count 6
		.amdhsa_user_sgpr_private_segment_buffer 1
		.amdhsa_user_sgpr_dispatch_ptr 0
		.amdhsa_user_sgpr_queue_ptr 0
		.amdhsa_user_sgpr_kernarg_segment_ptr 1
		.amdhsa_user_sgpr_dispatch_id 0
		.amdhsa_user_sgpr_flat_scratch_init 0
		.amdhsa_user_sgpr_private_segment_size 0
		.amdhsa_wavefront_size32 1
		.amdhsa_uses_dynamic_stack 0
		.amdhsa_system_sgpr_private_segment_wavefront_offset 0
		.amdhsa_system_sgpr_workgroup_id_x 1
		.amdhsa_system_sgpr_workgroup_id_y 0
		.amdhsa_system_sgpr_workgroup_id_z 0
		.amdhsa_system_sgpr_workgroup_info 0
		.amdhsa_system_vgpr_workitem_id 1
		.amdhsa_next_free_vgpr 14
		.amdhsa_next_free_sgpr 12
		.amdhsa_reserve_vcc 1
		.amdhsa_reserve_flat_scratch 0
		.amdhsa_float_round_mode_32 0
		.amdhsa_float_round_mode_16_64 0
		.amdhsa_float_denorm_mode_32 3
		.amdhsa_float_denorm_mode_16_64 3
		.amdhsa_dx10_clamp 1
		.amdhsa_ieee_mode 1
		.amdhsa_fp16_overflow 0
		.amdhsa_workgroup_processor_mode 1
		.amdhsa_memory_ordered 1
		.amdhsa_forward_progress 1
		.amdhsa_shared_vgpr_count 0
		.amdhsa_exception_fp_ieee_invalid_op 0
		.amdhsa_exception_fp_denorm_src 0
		.amdhsa_exception_fp_ieee_div_zero 0
		.amdhsa_exception_fp_ieee_overflow 0
		.amdhsa_exception_fp_ieee_underflow 0
		.amdhsa_exception_fp_ieee_inexact 0
		.amdhsa_exception_int_div_zero 0
	.end_amdhsa_kernel
	.section	.text._ZN12_GLOBAL__N_121softmax_warp_backwardIN3c108BFloat16ES2_fLi4ELb1ELb0ELi64EEEvPT0_PKT_S7_iiiPKb,"axG",@progbits,_ZN12_GLOBAL__N_121softmax_warp_backwardIN3c108BFloat16ES2_fLi4ELb1ELb0ELi64EEEvPT0_PKT_S7_iiiPKb,comdat
.Lfunc_end308:
	.size	_ZN12_GLOBAL__N_121softmax_warp_backwardIN3c108BFloat16ES2_fLi4ELb1ELb0ELi64EEEvPT0_PKT_S7_iiiPKb, .Lfunc_end308-_ZN12_GLOBAL__N_121softmax_warp_backwardIN3c108BFloat16ES2_fLi4ELb1ELb0ELi64EEEvPT0_PKT_S7_iiiPKb
                                        ; -- End function
	.set _ZN12_GLOBAL__N_121softmax_warp_backwardIN3c108BFloat16ES2_fLi4ELb1ELb0ELi64EEEvPT0_PKT_S7_iiiPKb.num_vgpr, 14
	.set _ZN12_GLOBAL__N_121softmax_warp_backwardIN3c108BFloat16ES2_fLi4ELb1ELb0ELi64EEEvPT0_PKT_S7_iiiPKb.num_agpr, 0
	.set _ZN12_GLOBAL__N_121softmax_warp_backwardIN3c108BFloat16ES2_fLi4ELb1ELb0ELi64EEEvPT0_PKT_S7_iiiPKb.numbered_sgpr, 12
	.set _ZN12_GLOBAL__N_121softmax_warp_backwardIN3c108BFloat16ES2_fLi4ELb1ELb0ELi64EEEvPT0_PKT_S7_iiiPKb.num_named_barrier, 0
	.set _ZN12_GLOBAL__N_121softmax_warp_backwardIN3c108BFloat16ES2_fLi4ELb1ELb0ELi64EEEvPT0_PKT_S7_iiiPKb.private_seg_size, 0
	.set _ZN12_GLOBAL__N_121softmax_warp_backwardIN3c108BFloat16ES2_fLi4ELb1ELb0ELi64EEEvPT0_PKT_S7_iiiPKb.uses_vcc, 1
	.set _ZN12_GLOBAL__N_121softmax_warp_backwardIN3c108BFloat16ES2_fLi4ELb1ELb0ELi64EEEvPT0_PKT_S7_iiiPKb.uses_flat_scratch, 0
	.set _ZN12_GLOBAL__N_121softmax_warp_backwardIN3c108BFloat16ES2_fLi4ELb1ELb0ELi64EEEvPT0_PKT_S7_iiiPKb.has_dyn_sized_stack, 0
	.set _ZN12_GLOBAL__N_121softmax_warp_backwardIN3c108BFloat16ES2_fLi4ELb1ELb0ELi64EEEvPT0_PKT_S7_iiiPKb.has_recursion, 0
	.set _ZN12_GLOBAL__N_121softmax_warp_backwardIN3c108BFloat16ES2_fLi4ELb1ELb0ELi64EEEvPT0_PKT_S7_iiiPKb.has_indirect_call, 0
	.section	.AMDGPU.csdata,"",@progbits
; Kernel info:
; codeLenInByte = 940
; TotalNumSgprs: 14
; NumVgprs: 14
; ScratchSize: 0
; MemoryBound: 0
; FloatMode: 240
; IeeeMode: 1
; LDSByteSize: 0 bytes/workgroup (compile time only)
; SGPRBlocks: 0
; VGPRBlocks: 1
; NumSGPRsForWavesPerEU: 14
; NumVGPRsForWavesPerEU: 14
; Occupancy: 16
; WaveLimiterHint : 0
; COMPUTE_PGM_RSRC2:SCRATCH_EN: 0
; COMPUTE_PGM_RSRC2:USER_SGPR: 6
; COMPUTE_PGM_RSRC2:TRAP_HANDLER: 0
; COMPUTE_PGM_RSRC2:TGID_X_EN: 1
; COMPUTE_PGM_RSRC2:TGID_Y_EN: 0
; COMPUTE_PGM_RSRC2:TGID_Z_EN: 0
; COMPUTE_PGM_RSRC2:TIDIG_COMP_CNT: 1
	.section	.text._ZN12_GLOBAL__N_121softmax_warp_backwardIN3c108BFloat16ES2_fLi4ELb1ELb0ELi32EEEvPT0_PKT_S7_iiiPKb,"axG",@progbits,_ZN12_GLOBAL__N_121softmax_warp_backwardIN3c108BFloat16ES2_fLi4ELb1ELb0ELi32EEEvPT0_PKT_S7_iiiPKb,comdat
	.globl	_ZN12_GLOBAL__N_121softmax_warp_backwardIN3c108BFloat16ES2_fLi4ELb1ELb0ELi32EEEvPT0_PKT_S7_iiiPKb ; -- Begin function _ZN12_GLOBAL__N_121softmax_warp_backwardIN3c108BFloat16ES2_fLi4ELb1ELb0ELi32EEEvPT0_PKT_S7_iiiPKb
	.p2align	8
	.type	_ZN12_GLOBAL__N_121softmax_warp_backwardIN3c108BFloat16ES2_fLi4ELb1ELb0ELi32EEEvPT0_PKT_S7_iiiPKb,@function
_ZN12_GLOBAL__N_121softmax_warp_backwardIN3c108BFloat16ES2_fLi4ELb1ELb0ELi32EEEvPT0_PKT_S7_iiiPKb: ; @_ZN12_GLOBAL__N_121softmax_warp_backwardIN3c108BFloat16ES2_fLi4ELb1ELb0ELi32EEEvPT0_PKT_S7_iiiPKb
; %bb.0:
	s_clause 0x1
	s_load_dword s7, s[4:5], 0x3c
	s_load_dwordx4 s[0:3], s[4:5], 0x18
	v_and_b32_e32 v2, 15, v0
	s_clause 0x1
	s_load_dwordx4 s[8:11], s[4:5], 0x0
	s_load_dwordx2 s[4:5], s[4:5], 0x10
	v_mov_b32_e32 v7, 0
	v_mov_b32_e32 v8, 0
	s_waitcnt lgkmcnt(0)
	s_lshr_b32 s3, s7, 16
	s_and_b32 s3, s3, 0xffff
	s_mul_i32 s6, s6, s3
	v_add_lshl_u32 v3, s6, v1, 1
	v_mad_u64_u32 v[0:1], null, v3, s1, v[2:3]
	v_sub_nc_u32_e32 v6, s0, v3
	v_cmp_gt_i32_e64 s0, s2, v2
	v_cmp_lt_i32_e32 vcc_lo, 0, v6
	v_ashrrev_i32_e32 v1, 31, v0
	s_and_b32 s3, s0, vcc_lo
	v_lshlrev_b64 v[0:1], 1, v[0:1]
	v_add_co_u32 v2, s1, s10, v0
	v_add_co_ci_u32_e64 v3, null, s11, v1, s1
	v_add_co_u32 v4, s1, s4, v0
	v_add_co_ci_u32_e64 v5, null, s5, v1, s1
	s_and_saveexec_b32 s1, s3
	s_cbranch_execz .LBB309_2
; %bb.1:
	global_load_ushort v7, v[2:3], off
	global_load_ushort v9, v[4:5], off
	s_waitcnt vmcnt(1)
	v_lshlrev_b32_e32 v8, 16, v7
	s_waitcnt vmcnt(0)
	v_lshlrev_b32_e32 v7, 16, v9
.LBB309_2:
	s_or_b32 exec_lo, exec_lo, s1
	v_cmp_gt_i32_e64 s1, 2, v6
	s_xor_b32 s3, s0, -1
	s_or_b32 s1, s3, s1
	s_and_saveexec_b32 s3, s1
	s_xor_b32 s1, exec_lo, s3
                                        ; implicit-def: $vgpr9
; %bb.3:
	v_mov_b32_e32 v9, 0
                                        ; implicit-def: $vgpr4
                                        ; implicit-def: $vgpr2
; %bb.4:
	s_or_saveexec_b32 s4, s1
	v_mov_b32_e32 v10, 1.0
	s_xor_b32 exec_lo, exec_lo, s4
	s_cbranch_execz .LBB309_6
; %bb.5:
	s_mov_b32 s3, 0
	s_lshl_b64 s[6:7], s[2:3], 1
	v_add_co_u32 v4, s1, v4, s6
	v_add_co_ci_u32_e64 v5, null, s7, v5, s1
	v_add_co_u32 v2, s1, v2, s6
	v_add_co_ci_u32_e64 v3, null, s7, v3, s1
	global_load_ushort v4, v[4:5], off
	global_load_ushort v2, v[2:3], off
	s_waitcnt vmcnt(1)
	v_lshlrev_b32_e32 v3, 16, v4
	v_mul_f32_e32 v4, 0x3fb8aa3b, v3
	v_cmp_ngt_f32_e64 s1, 0xc2ce8ed0, v3
	v_fma_f32 v5, 0x3fb8aa3b, v3, -v4
	v_rndne_f32_e32 v9, v4
	v_fmamk_f32 v5, v3, 0x32a5705f, v5
	v_sub_f32_e32 v4, v4, v9
	v_add_f32_e32 v4, v4, v5
	v_cvt_i32_f32_e32 v5, v9
	s_waitcnt vmcnt(0)
	v_lshlrev_b32_e32 v9, 16, v2
	v_exp_f32_e32 v4, v4
	v_ldexp_f32 v4, v4, v5
	v_cndmask_b32_e64 v4, 0, v4, s1
	v_cmp_nlt_f32_e64 s1, 0x42b17218, v3
	v_cndmask_b32_e64 v10, 0x7f800000, v4, s1
.LBB309_6:
	s_or_b32 exec_lo, exec_lo, s4
	v_mbcnt_lo_u32_b32 v2, -1, 0
	v_add_f32_e32 v5, 0, v8
	v_add_f32_e32 v11, 0, v9
	v_and_b32_e32 v3, 16, v2
	v_xor_b32_e32 v4, 8, v2
	v_xor_b32_e32 v13, 4, v2
	v_add_nc_u32_e32 v3, 16, v3
	v_cmp_lt_i32_e64 s1, v4, v3
	v_cndmask_b32_e64 v4, v2, v4, s1
	v_cmp_lt_i32_e64 s1, v13, v3
	v_lshlrev_b32_e32 v4, 2, v4
	v_cndmask_b32_e64 v13, v2, v13, s1
	ds_bpermute_b32 v12, v4, v5
	ds_bpermute_b32 v4, v4, v11
	v_lshlrev_b32_e32 v13, 2, v13
	s_waitcnt lgkmcnt(1)
	v_add_f32_e32 v5, v5, v12
	s_waitcnt lgkmcnt(0)
	v_add_f32_e32 v4, v11, v4
	ds_bpermute_b32 v11, v13, v5
	ds_bpermute_b32 v12, v13, v4
	v_xor_b32_e32 v13, 2, v2
	v_cmp_lt_i32_e64 s1, v13, v3
	v_cndmask_b32_e64 v13, v2, v13, s1
	v_lshlrev_b32_e32 v13, 2, v13
	s_waitcnt lgkmcnt(1)
	v_add_f32_e32 v5, v5, v11
	s_waitcnt lgkmcnt(0)
	v_add_f32_e32 v11, v4, v12
	ds_bpermute_b32 v4, v13, v5
	ds_bpermute_b32 v12, v13, v11
	v_xor_b32_e32 v13, 1, v2
	v_cmp_lt_i32_e64 s1, v13, v3
	v_cndmask_b32_e64 v2, v2, v13, s1
	v_lshlrev_b32_e32 v3, 2, v2
	s_waitcnt lgkmcnt(1)
	v_add_f32_e32 v4, v5, v4
	s_waitcnt lgkmcnt(0)
	v_add_f32_e32 v2, v11, v12
	ds_bpermute_b32 v5, v3, v4
	ds_bpermute_b32 v3, v3, v2
	s_and_saveexec_b32 s1, vcc_lo
	s_cbranch_execz .LBB309_11
; %bb.7:
	v_add_co_u32 v0, vcc_lo, s8, v0
	v_add_co_ci_u32_e64 v1, null, s9, v1, vcc_lo
	s_and_saveexec_b32 s1, s0
	s_cbranch_execz .LBB309_9
; %bb.8:
	v_mul_f32_e32 v11, 0x3fb8aa3b, v7
	v_cmp_ngt_f32_e32 vcc_lo, 0xc2ce8ed0, v7
	s_waitcnt lgkmcnt(1)
	v_add_f32_e32 v4, v4, v5
	v_rndne_f32_e32 v12, v11
	v_fma_f32 v13, 0x3fb8aa3b, v7, -v11
	v_sub_f32_e32 v11, v11, v12
	v_fmamk_f32 v13, v7, 0x32a5705f, v13
	v_cvt_i32_f32_e32 v12, v12
	v_add_f32_e32 v11, v11, v13
	v_exp_f32_e32 v11, v11
	v_ldexp_f32 v11, v11, v12
	v_cndmask_b32_e32 v11, 0, v11, vcc_lo
	v_cmp_nlt_f32_e32 vcc_lo, 0x42b17218, v7
	v_cndmask_b32_e32 v5, 0x7f800000, v11, vcc_lo
	v_fma_f32 v4, -v4, v5, v8
	v_bfe_u32 v5, v4, 16, 1
	v_cmp_o_f32_e32 vcc_lo, v4, v4
	v_add3_u32 v4, v4, v5, 0x7fff
	v_mov_b32_e32 v5, 0x7fc0
	v_cndmask_b32_sdwa v4, v5, v4, vcc_lo dst_sel:DWORD dst_unused:UNUSED_PAD src0_sel:DWORD src1_sel:WORD_1
	global_store_short v[0:1], v4, off
.LBB309_9:
	s_or_b32 exec_lo, exec_lo, s1
	v_cmp_ne_u32_e32 vcc_lo, 1, v6
	s_and_b32 s0, vcc_lo, s0
	s_and_b32 exec_lo, exec_lo, s0
	s_cbranch_execz .LBB309_11
; %bb.10:
	s_waitcnt lgkmcnt(0)
	v_add_f32_e32 v2, v2, v3
	s_mov_b32 s3, 0
	v_mov_b32_e32 v4, 0x7fc0
	s_lshl_b64 s[0:1], s[2:3], 1
	v_add_co_u32 v0, s0, v0, s0
	v_fma_f32 v2, -v2, v10, v9
	v_add_co_ci_u32_e64 v1, null, s1, v1, s0
	v_bfe_u32 v3, v2, 16, 1
	v_cmp_o_f32_e32 vcc_lo, v2, v2
	v_add3_u32 v2, v2, v3, 0x7fff
	v_cndmask_b32_sdwa v2, v4, v2, vcc_lo dst_sel:DWORD dst_unused:UNUSED_PAD src0_sel:DWORD src1_sel:WORD_1
	global_store_short v[0:1], v2, off
.LBB309_11:
	s_endpgm
	.section	.rodata,"a",@progbits
	.p2align	6, 0x0
	.amdhsa_kernel _ZN12_GLOBAL__N_121softmax_warp_backwardIN3c108BFloat16ES2_fLi4ELb1ELb0ELi32EEEvPT0_PKT_S7_iiiPKb
		.amdhsa_group_segment_fixed_size 0
		.amdhsa_private_segment_fixed_size 0
		.amdhsa_kernarg_size 304
		.amdhsa_user_sgpr_count 6
		.amdhsa_user_sgpr_private_segment_buffer 1
		.amdhsa_user_sgpr_dispatch_ptr 0
		.amdhsa_user_sgpr_queue_ptr 0
		.amdhsa_user_sgpr_kernarg_segment_ptr 1
		.amdhsa_user_sgpr_dispatch_id 0
		.amdhsa_user_sgpr_flat_scratch_init 0
		.amdhsa_user_sgpr_private_segment_size 0
		.amdhsa_wavefront_size32 1
		.amdhsa_uses_dynamic_stack 0
		.amdhsa_system_sgpr_private_segment_wavefront_offset 0
		.amdhsa_system_sgpr_workgroup_id_x 1
		.amdhsa_system_sgpr_workgroup_id_y 0
		.amdhsa_system_sgpr_workgroup_id_z 0
		.amdhsa_system_sgpr_workgroup_info 0
		.amdhsa_system_vgpr_workitem_id 1
		.amdhsa_next_free_vgpr 14
		.amdhsa_next_free_sgpr 12
		.amdhsa_reserve_vcc 1
		.amdhsa_reserve_flat_scratch 0
		.amdhsa_float_round_mode_32 0
		.amdhsa_float_round_mode_16_64 0
		.amdhsa_float_denorm_mode_32 3
		.amdhsa_float_denorm_mode_16_64 3
		.amdhsa_dx10_clamp 1
		.amdhsa_ieee_mode 1
		.amdhsa_fp16_overflow 0
		.amdhsa_workgroup_processor_mode 1
		.amdhsa_memory_ordered 1
		.amdhsa_forward_progress 1
		.amdhsa_shared_vgpr_count 0
		.amdhsa_exception_fp_ieee_invalid_op 0
		.amdhsa_exception_fp_denorm_src 0
		.amdhsa_exception_fp_ieee_div_zero 0
		.amdhsa_exception_fp_ieee_overflow 0
		.amdhsa_exception_fp_ieee_underflow 0
		.amdhsa_exception_fp_ieee_inexact 0
		.amdhsa_exception_int_div_zero 0
	.end_amdhsa_kernel
	.section	.text._ZN12_GLOBAL__N_121softmax_warp_backwardIN3c108BFloat16ES2_fLi4ELb1ELb0ELi32EEEvPT0_PKT_S7_iiiPKb,"axG",@progbits,_ZN12_GLOBAL__N_121softmax_warp_backwardIN3c108BFloat16ES2_fLi4ELb1ELb0ELi32EEEvPT0_PKT_S7_iiiPKb,comdat
.Lfunc_end309:
	.size	_ZN12_GLOBAL__N_121softmax_warp_backwardIN3c108BFloat16ES2_fLi4ELb1ELb0ELi32EEEvPT0_PKT_S7_iiiPKb, .Lfunc_end309-_ZN12_GLOBAL__N_121softmax_warp_backwardIN3c108BFloat16ES2_fLi4ELb1ELb0ELi32EEEvPT0_PKT_S7_iiiPKb
                                        ; -- End function
	.set _ZN12_GLOBAL__N_121softmax_warp_backwardIN3c108BFloat16ES2_fLi4ELb1ELb0ELi32EEEvPT0_PKT_S7_iiiPKb.num_vgpr, 14
	.set _ZN12_GLOBAL__N_121softmax_warp_backwardIN3c108BFloat16ES2_fLi4ELb1ELb0ELi32EEEvPT0_PKT_S7_iiiPKb.num_agpr, 0
	.set _ZN12_GLOBAL__N_121softmax_warp_backwardIN3c108BFloat16ES2_fLi4ELb1ELb0ELi32EEEvPT0_PKT_S7_iiiPKb.numbered_sgpr, 12
	.set _ZN12_GLOBAL__N_121softmax_warp_backwardIN3c108BFloat16ES2_fLi4ELb1ELb0ELi32EEEvPT0_PKT_S7_iiiPKb.num_named_barrier, 0
	.set _ZN12_GLOBAL__N_121softmax_warp_backwardIN3c108BFloat16ES2_fLi4ELb1ELb0ELi32EEEvPT0_PKT_S7_iiiPKb.private_seg_size, 0
	.set _ZN12_GLOBAL__N_121softmax_warp_backwardIN3c108BFloat16ES2_fLi4ELb1ELb0ELi32EEEvPT0_PKT_S7_iiiPKb.uses_vcc, 1
	.set _ZN12_GLOBAL__N_121softmax_warp_backwardIN3c108BFloat16ES2_fLi4ELb1ELb0ELi32EEEvPT0_PKT_S7_iiiPKb.uses_flat_scratch, 0
	.set _ZN12_GLOBAL__N_121softmax_warp_backwardIN3c108BFloat16ES2_fLi4ELb1ELb0ELi32EEEvPT0_PKT_S7_iiiPKb.has_dyn_sized_stack, 0
	.set _ZN12_GLOBAL__N_121softmax_warp_backwardIN3c108BFloat16ES2_fLi4ELb1ELb0ELi32EEEvPT0_PKT_S7_iiiPKb.has_recursion, 0
	.set _ZN12_GLOBAL__N_121softmax_warp_backwardIN3c108BFloat16ES2_fLi4ELb1ELb0ELi32EEEvPT0_PKT_S7_iiiPKb.has_indirect_call, 0
	.section	.AMDGPU.csdata,"",@progbits
; Kernel info:
; codeLenInByte = 940
; TotalNumSgprs: 14
; NumVgprs: 14
; ScratchSize: 0
; MemoryBound: 0
; FloatMode: 240
; IeeeMode: 1
; LDSByteSize: 0 bytes/workgroup (compile time only)
; SGPRBlocks: 0
; VGPRBlocks: 1
; NumSGPRsForWavesPerEU: 14
; NumVGPRsForWavesPerEU: 14
; Occupancy: 16
; WaveLimiterHint : 0
; COMPUTE_PGM_RSRC2:SCRATCH_EN: 0
; COMPUTE_PGM_RSRC2:USER_SGPR: 6
; COMPUTE_PGM_RSRC2:TRAP_HANDLER: 0
; COMPUTE_PGM_RSRC2:TGID_X_EN: 1
; COMPUTE_PGM_RSRC2:TGID_Y_EN: 0
; COMPUTE_PGM_RSRC2:TGID_Z_EN: 0
; COMPUTE_PGM_RSRC2:TIDIG_COMP_CNT: 1
	.section	.text._ZN12_GLOBAL__N_121softmax_warp_backwardIN3c108BFloat16ES2_fLi5ELb1ELb0ELi64EEEvPT0_PKT_S7_iiiPKb,"axG",@progbits,_ZN12_GLOBAL__N_121softmax_warp_backwardIN3c108BFloat16ES2_fLi5ELb1ELb0ELi64EEEvPT0_PKT_S7_iiiPKb,comdat
	.globl	_ZN12_GLOBAL__N_121softmax_warp_backwardIN3c108BFloat16ES2_fLi5ELb1ELb0ELi64EEEvPT0_PKT_S7_iiiPKb ; -- Begin function _ZN12_GLOBAL__N_121softmax_warp_backwardIN3c108BFloat16ES2_fLi5ELb1ELb0ELi64EEEvPT0_PKT_S7_iiiPKb
	.p2align	8
	.type	_ZN12_GLOBAL__N_121softmax_warp_backwardIN3c108BFloat16ES2_fLi5ELb1ELb0ELi64EEEvPT0_PKT_S7_iiiPKb,@function
_ZN12_GLOBAL__N_121softmax_warp_backwardIN3c108BFloat16ES2_fLi5ELb1ELb0ELi64EEEvPT0_PKT_S7_iiiPKb: ; @_ZN12_GLOBAL__N_121softmax_warp_backwardIN3c108BFloat16ES2_fLi5ELb1ELb0ELi64EEEvPT0_PKT_S7_iiiPKb
; %bb.0:
	s_clause 0x1
	s_load_dword s7, s[4:5], 0x3c
	s_load_dwordx4 s[0:3], s[4:5], 0x18
	v_and_b32_e32 v2, 31, v0
	s_clause 0x1
	s_load_dwordx4 s[8:11], s[4:5], 0x0
	s_load_dwordx2 s[4:5], s[4:5], 0x10
	v_mov_b32_e32 v7, 0
	v_mov_b32_e32 v8, 0
	s_waitcnt lgkmcnt(0)
	s_lshr_b32 s3, s7, 16
	s_and_b32 s3, s3, 0xffff
	s_mul_i32 s6, s6, s3
	v_add_lshl_u32 v3, s6, v1, 1
	v_mad_u64_u32 v[0:1], null, v3, s1, v[2:3]
	v_sub_nc_u32_e32 v6, s0, v3
	v_cmp_gt_i32_e64 s0, s2, v2
	v_cmp_lt_i32_e32 vcc_lo, 0, v6
	v_ashrrev_i32_e32 v1, 31, v0
	s_and_b32 s3, s0, vcc_lo
	v_lshlrev_b64 v[0:1], 1, v[0:1]
	v_add_co_u32 v2, s1, s10, v0
	v_add_co_ci_u32_e64 v3, null, s11, v1, s1
	v_add_co_u32 v4, s1, s4, v0
	v_add_co_ci_u32_e64 v5, null, s5, v1, s1
	s_and_saveexec_b32 s1, s3
	s_cbranch_execz .LBB310_2
; %bb.1:
	global_load_ushort v7, v[2:3], off
	global_load_ushort v9, v[4:5], off
	s_waitcnt vmcnt(1)
	v_lshlrev_b32_e32 v8, 16, v7
	s_waitcnt vmcnt(0)
	v_lshlrev_b32_e32 v7, 16, v9
.LBB310_2:
	s_or_b32 exec_lo, exec_lo, s1
	v_cmp_gt_i32_e64 s1, 2, v6
	s_xor_b32 s3, s0, -1
	s_or_b32 s1, s3, s1
	s_and_saveexec_b32 s3, s1
	s_xor_b32 s1, exec_lo, s3
                                        ; implicit-def: $vgpr9
; %bb.3:
	v_mov_b32_e32 v9, 0
                                        ; implicit-def: $vgpr4
                                        ; implicit-def: $vgpr2
; %bb.4:
	s_or_saveexec_b32 s4, s1
	v_mov_b32_e32 v10, 1.0
	s_xor_b32 exec_lo, exec_lo, s4
	s_cbranch_execz .LBB310_6
; %bb.5:
	s_mov_b32 s3, 0
	s_lshl_b64 s[6:7], s[2:3], 1
	v_add_co_u32 v4, s1, v4, s6
	v_add_co_ci_u32_e64 v5, null, s7, v5, s1
	v_add_co_u32 v2, s1, v2, s6
	v_add_co_ci_u32_e64 v3, null, s7, v3, s1
	global_load_ushort v4, v[4:5], off
	global_load_ushort v2, v[2:3], off
	s_waitcnt vmcnt(1)
	v_lshlrev_b32_e32 v3, 16, v4
	v_mul_f32_e32 v4, 0x3fb8aa3b, v3
	v_cmp_ngt_f32_e64 s1, 0xc2ce8ed0, v3
	v_fma_f32 v5, 0x3fb8aa3b, v3, -v4
	v_rndne_f32_e32 v9, v4
	v_fmamk_f32 v5, v3, 0x32a5705f, v5
	v_sub_f32_e32 v4, v4, v9
	v_add_f32_e32 v4, v4, v5
	v_cvt_i32_f32_e32 v5, v9
	s_waitcnt vmcnt(0)
	v_lshlrev_b32_e32 v9, 16, v2
	v_exp_f32_e32 v4, v4
	v_ldexp_f32 v4, v4, v5
	v_cndmask_b32_e64 v4, 0, v4, s1
	v_cmp_nlt_f32_e64 s1, 0x42b17218, v3
	v_cndmask_b32_e64 v10, 0x7f800000, v4, s1
.LBB310_6:
	s_or_b32 exec_lo, exec_lo, s4
	v_mbcnt_lo_u32_b32 v2, -1, 0
	v_add_f32_e32 v4, 0, v8
	v_add_f32_e32 v5, 0, v9
	v_xor_b32_e32 v3, 16, v2
	v_xor_b32_e32 v12, 8, v2
	v_cmp_gt_i32_e64 s1, 32, v3
	v_cndmask_b32_e64 v3, v2, v3, s1
	v_cmp_gt_i32_e64 s1, 32, v12
	v_lshlrev_b32_e32 v3, 2, v3
	v_cndmask_b32_e64 v12, v2, v12, s1
	ds_bpermute_b32 v11, v3, v4
	ds_bpermute_b32 v3, v3, v5
	v_lshlrev_b32_e32 v12, 2, v12
	s_waitcnt lgkmcnt(1)
	v_add_f32_e32 v4, v4, v11
	s_waitcnt lgkmcnt(0)
	v_add_f32_e32 v3, v5, v3
	ds_bpermute_b32 v5, v12, v4
	ds_bpermute_b32 v11, v12, v3
	v_xor_b32_e32 v12, 4, v2
	v_cmp_gt_i32_e64 s1, 32, v12
	v_cndmask_b32_e64 v12, v2, v12, s1
	v_lshlrev_b32_e32 v12, 2, v12
	s_waitcnt lgkmcnt(1)
	v_add_f32_e32 v4, v4, v5
	s_waitcnt lgkmcnt(0)
	v_add_f32_e32 v3, v3, v11
	ds_bpermute_b32 v5, v12, v4
	ds_bpermute_b32 v11, v12, v3
	v_xor_b32_e32 v12, 2, v2
	v_cmp_gt_i32_e64 s1, 32, v12
	v_cndmask_b32_e64 v12, v2, v12, s1
	;; [unrolled: 10-line block ×3, first 2 shown]
	v_lshlrev_b32_e32 v12, 2, v2
	s_waitcnt lgkmcnt(1)
	v_add_f32_e32 v4, v4, v5
	s_waitcnt lgkmcnt(0)
	v_add_f32_e32 v2, v3, v11
	ds_bpermute_b32 v5, v12, v4
	ds_bpermute_b32 v3, v12, v2
	s_and_saveexec_b32 s1, vcc_lo
	s_cbranch_execz .LBB310_11
; %bb.7:
	v_add_co_u32 v0, vcc_lo, s8, v0
	v_add_co_ci_u32_e64 v1, null, s9, v1, vcc_lo
	s_and_saveexec_b32 s1, s0
	s_cbranch_execz .LBB310_9
; %bb.8:
	v_mul_f32_e32 v11, 0x3fb8aa3b, v7
	v_cmp_ngt_f32_e32 vcc_lo, 0xc2ce8ed0, v7
	s_waitcnt lgkmcnt(1)
	v_add_f32_e32 v4, v4, v5
	v_rndne_f32_e32 v12, v11
	v_fma_f32 v13, 0x3fb8aa3b, v7, -v11
	v_sub_f32_e32 v11, v11, v12
	v_fmamk_f32 v13, v7, 0x32a5705f, v13
	v_cvt_i32_f32_e32 v12, v12
	v_add_f32_e32 v11, v11, v13
	v_exp_f32_e32 v11, v11
	v_ldexp_f32 v11, v11, v12
	v_cndmask_b32_e32 v11, 0, v11, vcc_lo
	v_cmp_nlt_f32_e32 vcc_lo, 0x42b17218, v7
	v_cndmask_b32_e32 v5, 0x7f800000, v11, vcc_lo
	v_fma_f32 v4, -v4, v5, v8
	v_bfe_u32 v5, v4, 16, 1
	v_cmp_o_f32_e32 vcc_lo, v4, v4
	v_add3_u32 v4, v4, v5, 0x7fff
	v_mov_b32_e32 v5, 0x7fc0
	v_cndmask_b32_sdwa v4, v5, v4, vcc_lo dst_sel:DWORD dst_unused:UNUSED_PAD src0_sel:DWORD src1_sel:WORD_1
	global_store_short v[0:1], v4, off
.LBB310_9:
	s_or_b32 exec_lo, exec_lo, s1
	v_cmp_ne_u32_e32 vcc_lo, 1, v6
	s_and_b32 s0, vcc_lo, s0
	s_and_b32 exec_lo, exec_lo, s0
	s_cbranch_execz .LBB310_11
; %bb.10:
	s_waitcnt lgkmcnt(0)
	v_add_f32_e32 v2, v2, v3
	s_mov_b32 s3, 0
	v_mov_b32_e32 v4, 0x7fc0
	s_lshl_b64 s[0:1], s[2:3], 1
	v_add_co_u32 v0, s0, v0, s0
	v_fma_f32 v2, -v2, v10, v9
	v_add_co_ci_u32_e64 v1, null, s1, v1, s0
	v_bfe_u32 v3, v2, 16, 1
	v_cmp_o_f32_e32 vcc_lo, v2, v2
	v_add3_u32 v2, v2, v3, 0x7fff
	v_cndmask_b32_sdwa v2, v4, v2, vcc_lo dst_sel:DWORD dst_unused:UNUSED_PAD src0_sel:DWORD src1_sel:WORD_1
	global_store_short v[0:1], v2, off
.LBB310_11:
	s_endpgm
	.section	.rodata,"a",@progbits
	.p2align	6, 0x0
	.amdhsa_kernel _ZN12_GLOBAL__N_121softmax_warp_backwardIN3c108BFloat16ES2_fLi5ELb1ELb0ELi64EEEvPT0_PKT_S7_iiiPKb
		.amdhsa_group_segment_fixed_size 0
		.amdhsa_private_segment_fixed_size 0
		.amdhsa_kernarg_size 304
		.amdhsa_user_sgpr_count 6
		.amdhsa_user_sgpr_private_segment_buffer 1
		.amdhsa_user_sgpr_dispatch_ptr 0
		.amdhsa_user_sgpr_queue_ptr 0
		.amdhsa_user_sgpr_kernarg_segment_ptr 1
		.amdhsa_user_sgpr_dispatch_id 0
		.amdhsa_user_sgpr_flat_scratch_init 0
		.amdhsa_user_sgpr_private_segment_size 0
		.amdhsa_wavefront_size32 1
		.amdhsa_uses_dynamic_stack 0
		.amdhsa_system_sgpr_private_segment_wavefront_offset 0
		.amdhsa_system_sgpr_workgroup_id_x 1
		.amdhsa_system_sgpr_workgroup_id_y 0
		.amdhsa_system_sgpr_workgroup_id_z 0
		.amdhsa_system_sgpr_workgroup_info 0
		.amdhsa_system_vgpr_workitem_id 1
		.amdhsa_next_free_vgpr 14
		.amdhsa_next_free_sgpr 12
		.amdhsa_reserve_vcc 1
		.amdhsa_reserve_flat_scratch 0
		.amdhsa_float_round_mode_32 0
		.amdhsa_float_round_mode_16_64 0
		.amdhsa_float_denorm_mode_32 3
		.amdhsa_float_denorm_mode_16_64 3
		.amdhsa_dx10_clamp 1
		.amdhsa_ieee_mode 1
		.amdhsa_fp16_overflow 0
		.amdhsa_workgroup_processor_mode 1
		.amdhsa_memory_ordered 1
		.amdhsa_forward_progress 1
		.amdhsa_shared_vgpr_count 0
		.amdhsa_exception_fp_ieee_invalid_op 0
		.amdhsa_exception_fp_denorm_src 0
		.amdhsa_exception_fp_ieee_div_zero 0
		.amdhsa_exception_fp_ieee_overflow 0
		.amdhsa_exception_fp_ieee_underflow 0
		.amdhsa_exception_fp_ieee_inexact 0
		.amdhsa_exception_int_div_zero 0
	.end_amdhsa_kernel
	.section	.text._ZN12_GLOBAL__N_121softmax_warp_backwardIN3c108BFloat16ES2_fLi5ELb1ELb0ELi64EEEvPT0_PKT_S7_iiiPKb,"axG",@progbits,_ZN12_GLOBAL__N_121softmax_warp_backwardIN3c108BFloat16ES2_fLi5ELb1ELb0ELi64EEEvPT0_PKT_S7_iiiPKb,comdat
.Lfunc_end310:
	.size	_ZN12_GLOBAL__N_121softmax_warp_backwardIN3c108BFloat16ES2_fLi5ELb1ELb0ELi64EEEvPT0_PKT_S7_iiiPKb, .Lfunc_end310-_ZN12_GLOBAL__N_121softmax_warp_backwardIN3c108BFloat16ES2_fLi5ELb1ELb0ELi64EEEvPT0_PKT_S7_iiiPKb
                                        ; -- End function
	.set _ZN12_GLOBAL__N_121softmax_warp_backwardIN3c108BFloat16ES2_fLi5ELb1ELb0ELi64EEEvPT0_PKT_S7_iiiPKb.num_vgpr, 14
	.set _ZN12_GLOBAL__N_121softmax_warp_backwardIN3c108BFloat16ES2_fLi5ELb1ELb0ELi64EEEvPT0_PKT_S7_iiiPKb.num_agpr, 0
	.set _ZN12_GLOBAL__N_121softmax_warp_backwardIN3c108BFloat16ES2_fLi5ELb1ELb0ELi64EEEvPT0_PKT_S7_iiiPKb.numbered_sgpr, 12
	.set _ZN12_GLOBAL__N_121softmax_warp_backwardIN3c108BFloat16ES2_fLi5ELb1ELb0ELi64EEEvPT0_PKT_S7_iiiPKb.num_named_barrier, 0
	.set _ZN12_GLOBAL__N_121softmax_warp_backwardIN3c108BFloat16ES2_fLi5ELb1ELb0ELi64EEEvPT0_PKT_S7_iiiPKb.private_seg_size, 0
	.set _ZN12_GLOBAL__N_121softmax_warp_backwardIN3c108BFloat16ES2_fLi5ELb1ELb0ELi64EEEvPT0_PKT_S7_iiiPKb.uses_vcc, 1
	.set _ZN12_GLOBAL__N_121softmax_warp_backwardIN3c108BFloat16ES2_fLi5ELb1ELb0ELi64EEEvPT0_PKT_S7_iiiPKb.uses_flat_scratch, 0
	.set _ZN12_GLOBAL__N_121softmax_warp_backwardIN3c108BFloat16ES2_fLi5ELb1ELb0ELi64EEEvPT0_PKT_S7_iiiPKb.has_dyn_sized_stack, 0
	.set _ZN12_GLOBAL__N_121softmax_warp_backwardIN3c108BFloat16ES2_fLi5ELb1ELb0ELi64EEEvPT0_PKT_S7_iiiPKb.has_recursion, 0
	.set _ZN12_GLOBAL__N_121softmax_warp_backwardIN3c108BFloat16ES2_fLi5ELb1ELb0ELi64EEEvPT0_PKT_S7_iiiPKb.has_indirect_call, 0
	.section	.AMDGPU.csdata,"",@progbits
; Kernel info:
; codeLenInByte = 988
; TotalNumSgprs: 14
; NumVgprs: 14
; ScratchSize: 0
; MemoryBound: 0
; FloatMode: 240
; IeeeMode: 1
; LDSByteSize: 0 bytes/workgroup (compile time only)
; SGPRBlocks: 0
; VGPRBlocks: 1
; NumSGPRsForWavesPerEU: 14
; NumVGPRsForWavesPerEU: 14
; Occupancy: 16
; WaveLimiterHint : 0
; COMPUTE_PGM_RSRC2:SCRATCH_EN: 0
; COMPUTE_PGM_RSRC2:USER_SGPR: 6
; COMPUTE_PGM_RSRC2:TRAP_HANDLER: 0
; COMPUTE_PGM_RSRC2:TGID_X_EN: 1
; COMPUTE_PGM_RSRC2:TGID_Y_EN: 0
; COMPUTE_PGM_RSRC2:TGID_Z_EN: 0
; COMPUTE_PGM_RSRC2:TIDIG_COMP_CNT: 1
	.section	.text._ZN12_GLOBAL__N_121softmax_warp_backwardIN3c108BFloat16ES2_fLi5ELb1ELb0ELi32EEEvPT0_PKT_S7_iiiPKb,"axG",@progbits,_ZN12_GLOBAL__N_121softmax_warp_backwardIN3c108BFloat16ES2_fLi5ELb1ELb0ELi32EEEvPT0_PKT_S7_iiiPKb,comdat
	.globl	_ZN12_GLOBAL__N_121softmax_warp_backwardIN3c108BFloat16ES2_fLi5ELb1ELb0ELi32EEEvPT0_PKT_S7_iiiPKb ; -- Begin function _ZN12_GLOBAL__N_121softmax_warp_backwardIN3c108BFloat16ES2_fLi5ELb1ELb0ELi32EEEvPT0_PKT_S7_iiiPKb
	.p2align	8
	.type	_ZN12_GLOBAL__N_121softmax_warp_backwardIN3c108BFloat16ES2_fLi5ELb1ELb0ELi32EEEvPT0_PKT_S7_iiiPKb,@function
_ZN12_GLOBAL__N_121softmax_warp_backwardIN3c108BFloat16ES2_fLi5ELb1ELb0ELi32EEEvPT0_PKT_S7_iiiPKb: ; @_ZN12_GLOBAL__N_121softmax_warp_backwardIN3c108BFloat16ES2_fLi5ELb1ELb0ELi32EEEvPT0_PKT_S7_iiiPKb
; %bb.0:
	s_clause 0x1
	s_load_dword s7, s[4:5], 0x3c
	s_load_dwordx4 s[0:3], s[4:5], 0x18
	v_and_b32_e32 v2, 31, v0
	s_clause 0x1
	s_load_dwordx4 s[8:11], s[4:5], 0x0
	s_load_dwordx2 s[4:5], s[4:5], 0x10
	v_mov_b32_e32 v7, 0
	v_mov_b32_e32 v8, 0
	s_waitcnt lgkmcnt(0)
	s_lshr_b32 s3, s7, 16
	s_and_b32 s3, s3, 0xffff
	s_mul_i32 s6, s6, s3
	v_add_lshl_u32 v3, s6, v1, 1
	v_mad_u64_u32 v[0:1], null, v3, s1, v[2:3]
	v_sub_nc_u32_e32 v6, s0, v3
	v_cmp_gt_i32_e64 s0, s2, v2
	v_cmp_lt_i32_e32 vcc_lo, 0, v6
	v_ashrrev_i32_e32 v1, 31, v0
	s_and_b32 s3, s0, vcc_lo
	v_lshlrev_b64 v[0:1], 1, v[0:1]
	v_add_co_u32 v2, s1, s10, v0
	v_add_co_ci_u32_e64 v3, null, s11, v1, s1
	v_add_co_u32 v4, s1, s4, v0
	v_add_co_ci_u32_e64 v5, null, s5, v1, s1
	s_and_saveexec_b32 s1, s3
	s_cbranch_execz .LBB311_2
; %bb.1:
	global_load_ushort v7, v[2:3], off
	global_load_ushort v9, v[4:5], off
	s_waitcnt vmcnt(1)
	v_lshlrev_b32_e32 v8, 16, v7
	s_waitcnt vmcnt(0)
	v_lshlrev_b32_e32 v7, 16, v9
.LBB311_2:
	s_or_b32 exec_lo, exec_lo, s1
	v_cmp_gt_i32_e64 s1, 2, v6
	s_xor_b32 s3, s0, -1
	s_or_b32 s1, s3, s1
	s_and_saveexec_b32 s3, s1
	s_xor_b32 s1, exec_lo, s3
                                        ; implicit-def: $vgpr9
; %bb.3:
	v_mov_b32_e32 v9, 0
                                        ; implicit-def: $vgpr4
                                        ; implicit-def: $vgpr2
; %bb.4:
	s_or_saveexec_b32 s4, s1
	v_mov_b32_e32 v10, 1.0
	s_xor_b32 exec_lo, exec_lo, s4
	s_cbranch_execz .LBB311_6
; %bb.5:
	s_mov_b32 s3, 0
	s_lshl_b64 s[6:7], s[2:3], 1
	v_add_co_u32 v4, s1, v4, s6
	v_add_co_ci_u32_e64 v5, null, s7, v5, s1
	v_add_co_u32 v2, s1, v2, s6
	v_add_co_ci_u32_e64 v3, null, s7, v3, s1
	global_load_ushort v4, v[4:5], off
	global_load_ushort v2, v[2:3], off
	s_waitcnt vmcnt(1)
	v_lshlrev_b32_e32 v3, 16, v4
	v_mul_f32_e32 v4, 0x3fb8aa3b, v3
	v_cmp_ngt_f32_e64 s1, 0xc2ce8ed0, v3
	v_fma_f32 v5, 0x3fb8aa3b, v3, -v4
	v_rndne_f32_e32 v9, v4
	v_fmamk_f32 v5, v3, 0x32a5705f, v5
	v_sub_f32_e32 v4, v4, v9
	v_add_f32_e32 v4, v4, v5
	v_cvt_i32_f32_e32 v5, v9
	s_waitcnt vmcnt(0)
	v_lshlrev_b32_e32 v9, 16, v2
	v_exp_f32_e32 v4, v4
	v_ldexp_f32 v4, v4, v5
	v_cndmask_b32_e64 v4, 0, v4, s1
	v_cmp_nlt_f32_e64 s1, 0x42b17218, v3
	v_cndmask_b32_e64 v10, 0x7f800000, v4, s1
.LBB311_6:
	s_or_b32 exec_lo, exec_lo, s4
	v_mbcnt_lo_u32_b32 v2, -1, 0
	v_add_f32_e32 v4, 0, v8
	v_add_f32_e32 v5, 0, v9
	v_xor_b32_e32 v3, 16, v2
	v_xor_b32_e32 v12, 8, v2
	v_cmp_gt_i32_e64 s1, 32, v3
	v_cndmask_b32_e64 v3, v2, v3, s1
	v_cmp_gt_i32_e64 s1, 32, v12
	v_lshlrev_b32_e32 v3, 2, v3
	v_cndmask_b32_e64 v12, v2, v12, s1
	ds_bpermute_b32 v11, v3, v4
	ds_bpermute_b32 v3, v3, v5
	v_lshlrev_b32_e32 v12, 2, v12
	s_waitcnt lgkmcnt(1)
	v_add_f32_e32 v4, v4, v11
	s_waitcnt lgkmcnt(0)
	v_add_f32_e32 v3, v5, v3
	ds_bpermute_b32 v5, v12, v4
	ds_bpermute_b32 v11, v12, v3
	v_xor_b32_e32 v12, 4, v2
	v_cmp_gt_i32_e64 s1, 32, v12
	v_cndmask_b32_e64 v12, v2, v12, s1
	v_lshlrev_b32_e32 v12, 2, v12
	s_waitcnt lgkmcnt(1)
	v_add_f32_e32 v4, v4, v5
	s_waitcnt lgkmcnt(0)
	v_add_f32_e32 v3, v3, v11
	ds_bpermute_b32 v5, v12, v4
	ds_bpermute_b32 v11, v12, v3
	v_xor_b32_e32 v12, 2, v2
	v_cmp_gt_i32_e64 s1, 32, v12
	v_cndmask_b32_e64 v12, v2, v12, s1
	;; [unrolled: 10-line block ×3, first 2 shown]
	v_lshlrev_b32_e32 v12, 2, v2
	s_waitcnt lgkmcnt(1)
	v_add_f32_e32 v4, v4, v5
	s_waitcnt lgkmcnt(0)
	v_add_f32_e32 v2, v3, v11
	ds_bpermute_b32 v5, v12, v4
	ds_bpermute_b32 v3, v12, v2
	s_and_saveexec_b32 s1, vcc_lo
	s_cbranch_execz .LBB311_11
; %bb.7:
	v_add_co_u32 v0, vcc_lo, s8, v0
	v_add_co_ci_u32_e64 v1, null, s9, v1, vcc_lo
	s_and_saveexec_b32 s1, s0
	s_cbranch_execz .LBB311_9
; %bb.8:
	v_mul_f32_e32 v11, 0x3fb8aa3b, v7
	v_cmp_ngt_f32_e32 vcc_lo, 0xc2ce8ed0, v7
	s_waitcnt lgkmcnt(1)
	v_add_f32_e32 v4, v4, v5
	v_rndne_f32_e32 v12, v11
	v_fma_f32 v13, 0x3fb8aa3b, v7, -v11
	v_sub_f32_e32 v11, v11, v12
	v_fmamk_f32 v13, v7, 0x32a5705f, v13
	v_cvt_i32_f32_e32 v12, v12
	v_add_f32_e32 v11, v11, v13
	v_exp_f32_e32 v11, v11
	v_ldexp_f32 v11, v11, v12
	v_cndmask_b32_e32 v11, 0, v11, vcc_lo
	v_cmp_nlt_f32_e32 vcc_lo, 0x42b17218, v7
	v_cndmask_b32_e32 v5, 0x7f800000, v11, vcc_lo
	v_fma_f32 v4, -v4, v5, v8
	v_bfe_u32 v5, v4, 16, 1
	v_cmp_o_f32_e32 vcc_lo, v4, v4
	v_add3_u32 v4, v4, v5, 0x7fff
	v_mov_b32_e32 v5, 0x7fc0
	v_cndmask_b32_sdwa v4, v5, v4, vcc_lo dst_sel:DWORD dst_unused:UNUSED_PAD src0_sel:DWORD src1_sel:WORD_1
	global_store_short v[0:1], v4, off
.LBB311_9:
	s_or_b32 exec_lo, exec_lo, s1
	v_cmp_ne_u32_e32 vcc_lo, 1, v6
	s_and_b32 s0, vcc_lo, s0
	s_and_b32 exec_lo, exec_lo, s0
	s_cbranch_execz .LBB311_11
; %bb.10:
	s_waitcnt lgkmcnt(0)
	v_add_f32_e32 v2, v2, v3
	s_mov_b32 s3, 0
	v_mov_b32_e32 v4, 0x7fc0
	s_lshl_b64 s[0:1], s[2:3], 1
	v_add_co_u32 v0, s0, v0, s0
	v_fma_f32 v2, -v2, v10, v9
	v_add_co_ci_u32_e64 v1, null, s1, v1, s0
	v_bfe_u32 v3, v2, 16, 1
	v_cmp_o_f32_e32 vcc_lo, v2, v2
	v_add3_u32 v2, v2, v3, 0x7fff
	v_cndmask_b32_sdwa v2, v4, v2, vcc_lo dst_sel:DWORD dst_unused:UNUSED_PAD src0_sel:DWORD src1_sel:WORD_1
	global_store_short v[0:1], v2, off
.LBB311_11:
	s_endpgm
	.section	.rodata,"a",@progbits
	.p2align	6, 0x0
	.amdhsa_kernel _ZN12_GLOBAL__N_121softmax_warp_backwardIN3c108BFloat16ES2_fLi5ELb1ELb0ELi32EEEvPT0_PKT_S7_iiiPKb
		.amdhsa_group_segment_fixed_size 0
		.amdhsa_private_segment_fixed_size 0
		.amdhsa_kernarg_size 304
		.amdhsa_user_sgpr_count 6
		.amdhsa_user_sgpr_private_segment_buffer 1
		.amdhsa_user_sgpr_dispatch_ptr 0
		.amdhsa_user_sgpr_queue_ptr 0
		.amdhsa_user_sgpr_kernarg_segment_ptr 1
		.amdhsa_user_sgpr_dispatch_id 0
		.amdhsa_user_sgpr_flat_scratch_init 0
		.amdhsa_user_sgpr_private_segment_size 0
		.amdhsa_wavefront_size32 1
		.amdhsa_uses_dynamic_stack 0
		.amdhsa_system_sgpr_private_segment_wavefront_offset 0
		.amdhsa_system_sgpr_workgroup_id_x 1
		.amdhsa_system_sgpr_workgroup_id_y 0
		.amdhsa_system_sgpr_workgroup_id_z 0
		.amdhsa_system_sgpr_workgroup_info 0
		.amdhsa_system_vgpr_workitem_id 1
		.amdhsa_next_free_vgpr 14
		.amdhsa_next_free_sgpr 12
		.amdhsa_reserve_vcc 1
		.amdhsa_reserve_flat_scratch 0
		.amdhsa_float_round_mode_32 0
		.amdhsa_float_round_mode_16_64 0
		.amdhsa_float_denorm_mode_32 3
		.amdhsa_float_denorm_mode_16_64 3
		.amdhsa_dx10_clamp 1
		.amdhsa_ieee_mode 1
		.amdhsa_fp16_overflow 0
		.amdhsa_workgroup_processor_mode 1
		.amdhsa_memory_ordered 1
		.amdhsa_forward_progress 1
		.amdhsa_shared_vgpr_count 0
		.amdhsa_exception_fp_ieee_invalid_op 0
		.amdhsa_exception_fp_denorm_src 0
		.amdhsa_exception_fp_ieee_div_zero 0
		.amdhsa_exception_fp_ieee_overflow 0
		.amdhsa_exception_fp_ieee_underflow 0
		.amdhsa_exception_fp_ieee_inexact 0
		.amdhsa_exception_int_div_zero 0
	.end_amdhsa_kernel
	.section	.text._ZN12_GLOBAL__N_121softmax_warp_backwardIN3c108BFloat16ES2_fLi5ELb1ELb0ELi32EEEvPT0_PKT_S7_iiiPKb,"axG",@progbits,_ZN12_GLOBAL__N_121softmax_warp_backwardIN3c108BFloat16ES2_fLi5ELb1ELb0ELi32EEEvPT0_PKT_S7_iiiPKb,comdat
.Lfunc_end311:
	.size	_ZN12_GLOBAL__N_121softmax_warp_backwardIN3c108BFloat16ES2_fLi5ELb1ELb0ELi32EEEvPT0_PKT_S7_iiiPKb, .Lfunc_end311-_ZN12_GLOBAL__N_121softmax_warp_backwardIN3c108BFloat16ES2_fLi5ELb1ELb0ELi32EEEvPT0_PKT_S7_iiiPKb
                                        ; -- End function
	.set _ZN12_GLOBAL__N_121softmax_warp_backwardIN3c108BFloat16ES2_fLi5ELb1ELb0ELi32EEEvPT0_PKT_S7_iiiPKb.num_vgpr, 14
	.set _ZN12_GLOBAL__N_121softmax_warp_backwardIN3c108BFloat16ES2_fLi5ELb1ELb0ELi32EEEvPT0_PKT_S7_iiiPKb.num_agpr, 0
	.set _ZN12_GLOBAL__N_121softmax_warp_backwardIN3c108BFloat16ES2_fLi5ELb1ELb0ELi32EEEvPT0_PKT_S7_iiiPKb.numbered_sgpr, 12
	.set _ZN12_GLOBAL__N_121softmax_warp_backwardIN3c108BFloat16ES2_fLi5ELb1ELb0ELi32EEEvPT0_PKT_S7_iiiPKb.num_named_barrier, 0
	.set _ZN12_GLOBAL__N_121softmax_warp_backwardIN3c108BFloat16ES2_fLi5ELb1ELb0ELi32EEEvPT0_PKT_S7_iiiPKb.private_seg_size, 0
	.set _ZN12_GLOBAL__N_121softmax_warp_backwardIN3c108BFloat16ES2_fLi5ELb1ELb0ELi32EEEvPT0_PKT_S7_iiiPKb.uses_vcc, 1
	.set _ZN12_GLOBAL__N_121softmax_warp_backwardIN3c108BFloat16ES2_fLi5ELb1ELb0ELi32EEEvPT0_PKT_S7_iiiPKb.uses_flat_scratch, 0
	.set _ZN12_GLOBAL__N_121softmax_warp_backwardIN3c108BFloat16ES2_fLi5ELb1ELb0ELi32EEEvPT0_PKT_S7_iiiPKb.has_dyn_sized_stack, 0
	.set _ZN12_GLOBAL__N_121softmax_warp_backwardIN3c108BFloat16ES2_fLi5ELb1ELb0ELi32EEEvPT0_PKT_S7_iiiPKb.has_recursion, 0
	.set _ZN12_GLOBAL__N_121softmax_warp_backwardIN3c108BFloat16ES2_fLi5ELb1ELb0ELi32EEEvPT0_PKT_S7_iiiPKb.has_indirect_call, 0
	.section	.AMDGPU.csdata,"",@progbits
; Kernel info:
; codeLenInByte = 988
; TotalNumSgprs: 14
; NumVgprs: 14
; ScratchSize: 0
; MemoryBound: 0
; FloatMode: 240
; IeeeMode: 1
; LDSByteSize: 0 bytes/workgroup (compile time only)
; SGPRBlocks: 0
; VGPRBlocks: 1
; NumSGPRsForWavesPerEU: 14
; NumVGPRsForWavesPerEU: 14
; Occupancy: 16
; WaveLimiterHint : 0
; COMPUTE_PGM_RSRC2:SCRATCH_EN: 0
; COMPUTE_PGM_RSRC2:USER_SGPR: 6
; COMPUTE_PGM_RSRC2:TRAP_HANDLER: 0
; COMPUTE_PGM_RSRC2:TGID_X_EN: 1
; COMPUTE_PGM_RSRC2:TGID_Y_EN: 0
; COMPUTE_PGM_RSRC2:TGID_Z_EN: 0
; COMPUTE_PGM_RSRC2:TIDIG_COMP_CNT: 1
	.section	.text._ZN12_GLOBAL__N_121softmax_warp_backwardIN3c108BFloat16ES2_fLi6ELb1ELb0ELi64EEEvPT0_PKT_S7_iiiPKb,"axG",@progbits,_ZN12_GLOBAL__N_121softmax_warp_backwardIN3c108BFloat16ES2_fLi6ELb1ELb0ELi64EEEvPT0_PKT_S7_iiiPKb,comdat
	.globl	_ZN12_GLOBAL__N_121softmax_warp_backwardIN3c108BFloat16ES2_fLi6ELb1ELb0ELi64EEEvPT0_PKT_S7_iiiPKb ; -- Begin function _ZN12_GLOBAL__N_121softmax_warp_backwardIN3c108BFloat16ES2_fLi6ELb1ELb0ELi64EEEvPT0_PKT_S7_iiiPKb
	.p2align	8
	.type	_ZN12_GLOBAL__N_121softmax_warp_backwardIN3c108BFloat16ES2_fLi6ELb1ELb0ELi64EEEvPT0_PKT_S7_iiiPKb,@function
_ZN12_GLOBAL__N_121softmax_warp_backwardIN3c108BFloat16ES2_fLi6ELb1ELb0ELi64EEEvPT0_PKT_S7_iiiPKb: ; @_ZN12_GLOBAL__N_121softmax_warp_backwardIN3c108BFloat16ES2_fLi6ELb1ELb0ELi64EEEvPT0_PKT_S7_iiiPKb
; %bb.0:
	s_clause 0x1
	s_load_dword s7, s[4:5], 0x3c
	s_load_dwordx4 s[0:3], s[4:5], 0x18
	v_and_b32_e32 v2, 63, v0
	s_clause 0x1
	s_load_dwordx4 s[8:11], s[4:5], 0x0
	s_load_dwordx2 s[4:5], s[4:5], 0x10
	v_mov_b32_e32 v7, 0
	v_mov_b32_e32 v8, 0
	s_waitcnt lgkmcnt(0)
	s_lshr_b32 s3, s7, 16
	s_and_b32 s3, s3, 0xffff
	s_mul_i32 s6, s6, s3
	v_add_lshl_u32 v3, s6, v1, 1
	v_mad_u64_u32 v[0:1], null, v3, s1, v[2:3]
	v_sub_nc_u32_e32 v6, s0, v3
	v_cmp_gt_i32_e64 s0, s2, v2
	v_cmp_lt_i32_e32 vcc_lo, 0, v6
	v_ashrrev_i32_e32 v1, 31, v0
	s_and_b32 s3, s0, vcc_lo
	v_lshlrev_b64 v[0:1], 1, v[0:1]
	v_add_co_u32 v2, s1, s10, v0
	v_add_co_ci_u32_e64 v3, null, s11, v1, s1
	v_add_co_u32 v4, s1, s4, v0
	v_add_co_ci_u32_e64 v5, null, s5, v1, s1
	s_and_saveexec_b32 s1, s3
	s_cbranch_execz .LBB312_2
; %bb.1:
	global_load_ushort v7, v[2:3], off
	global_load_ushort v9, v[4:5], off
	s_waitcnt vmcnt(1)
	v_lshlrev_b32_e32 v8, 16, v7
	s_waitcnt vmcnt(0)
	v_lshlrev_b32_e32 v7, 16, v9
.LBB312_2:
	s_or_b32 exec_lo, exec_lo, s1
	v_cmp_gt_i32_e64 s1, 2, v6
	s_xor_b32 s3, s0, -1
	s_or_b32 s1, s3, s1
	s_and_saveexec_b32 s3, s1
	s_xor_b32 s1, exec_lo, s3
                                        ; implicit-def: $vgpr9
; %bb.3:
	v_mov_b32_e32 v9, 0
                                        ; implicit-def: $vgpr4
                                        ; implicit-def: $vgpr2
; %bb.4:
	s_or_saveexec_b32 s4, s1
	v_mov_b32_e32 v10, 1.0
	s_xor_b32 exec_lo, exec_lo, s4
	s_cbranch_execz .LBB312_6
; %bb.5:
	s_mov_b32 s3, 0
	s_lshl_b64 s[6:7], s[2:3], 1
	v_add_co_u32 v4, s1, v4, s6
	v_add_co_ci_u32_e64 v5, null, s7, v5, s1
	v_add_co_u32 v2, s1, v2, s6
	v_add_co_ci_u32_e64 v3, null, s7, v3, s1
	global_load_ushort v4, v[4:5], off
	global_load_ushort v2, v[2:3], off
	s_waitcnt vmcnt(1)
	v_lshlrev_b32_e32 v3, 16, v4
	v_mul_f32_e32 v4, 0x3fb8aa3b, v3
	v_cmp_ngt_f32_e64 s1, 0xc2ce8ed0, v3
	v_fma_f32 v5, 0x3fb8aa3b, v3, -v4
	v_rndne_f32_e32 v9, v4
	v_fmamk_f32 v5, v3, 0x32a5705f, v5
	v_sub_f32_e32 v4, v4, v9
	v_add_f32_e32 v4, v4, v5
	v_cvt_i32_f32_e32 v5, v9
	s_waitcnt vmcnt(0)
	v_lshlrev_b32_e32 v9, 16, v2
	v_exp_f32_e32 v4, v4
	v_ldexp_f32 v4, v4, v5
	v_cndmask_b32_e64 v4, 0, v4, s1
	v_cmp_nlt_f32_e64 s1, 0x42b17218, v3
	v_cndmask_b32_e64 v10, 0x7f800000, v4, s1
.LBB312_6:
	s_or_b32 exec_lo, exec_lo, s4
	v_mbcnt_lo_u32_b32 v2, -1, 0
	v_add_f32_e32 v4, 0, v8
	v_add_f32_e32 v5, 0, v9
	v_or_b32_e32 v3, 32, v2
	v_xor_b32_e32 v12, 16, v2
	v_cmp_gt_i32_e64 s1, 64, v3
	v_cndmask_b32_e64 v3, v2, v3, s1
	v_cmp_gt_i32_e64 s1, 64, v12
	v_lshlrev_b32_e32 v3, 2, v3
	v_cndmask_b32_e64 v12, v2, v12, s1
	ds_bpermute_b32 v11, v3, v4
	ds_bpermute_b32 v3, v3, v5
	v_lshlrev_b32_e32 v12, 2, v12
	s_waitcnt lgkmcnt(1)
	v_add_f32_e32 v4, v4, v11
	s_waitcnt lgkmcnt(0)
	v_add_f32_e32 v3, v5, v3
	ds_bpermute_b32 v5, v12, v4
	ds_bpermute_b32 v11, v12, v3
	v_xor_b32_e32 v12, 8, v2
	v_cmp_gt_i32_e64 s1, 64, v12
	v_cndmask_b32_e64 v12, v2, v12, s1
	v_lshlrev_b32_e32 v12, 2, v12
	s_waitcnt lgkmcnt(1)
	v_add_f32_e32 v4, v4, v5
	s_waitcnt lgkmcnt(0)
	v_add_f32_e32 v3, v3, v11
	ds_bpermute_b32 v5, v12, v4
	ds_bpermute_b32 v11, v12, v3
	v_xor_b32_e32 v12, 4, v2
	v_cmp_gt_i32_e64 s1, 64, v12
	v_cndmask_b32_e64 v12, v2, v12, s1
	;; [unrolled: 10-line block ×4, first 2 shown]
	v_lshlrev_b32_e32 v12, 2, v2
	s_waitcnt lgkmcnt(1)
	v_add_f32_e32 v4, v4, v5
	s_waitcnt lgkmcnt(0)
	v_add_f32_e32 v2, v3, v11
	ds_bpermute_b32 v5, v12, v4
	ds_bpermute_b32 v3, v12, v2
	s_and_saveexec_b32 s1, vcc_lo
	s_cbranch_execz .LBB312_11
; %bb.7:
	v_add_co_u32 v0, vcc_lo, s8, v0
	v_add_co_ci_u32_e64 v1, null, s9, v1, vcc_lo
	s_and_saveexec_b32 s1, s0
	s_cbranch_execz .LBB312_9
; %bb.8:
	v_mul_f32_e32 v11, 0x3fb8aa3b, v7
	v_cmp_ngt_f32_e32 vcc_lo, 0xc2ce8ed0, v7
	s_waitcnt lgkmcnt(1)
	v_add_f32_e32 v4, v4, v5
	v_rndne_f32_e32 v12, v11
	v_fma_f32 v13, 0x3fb8aa3b, v7, -v11
	v_sub_f32_e32 v11, v11, v12
	v_fmamk_f32 v13, v7, 0x32a5705f, v13
	v_cvt_i32_f32_e32 v12, v12
	v_add_f32_e32 v11, v11, v13
	v_exp_f32_e32 v11, v11
	v_ldexp_f32 v11, v11, v12
	v_cndmask_b32_e32 v11, 0, v11, vcc_lo
	v_cmp_nlt_f32_e32 vcc_lo, 0x42b17218, v7
	v_cndmask_b32_e32 v5, 0x7f800000, v11, vcc_lo
	v_fma_f32 v4, -v4, v5, v8
	v_bfe_u32 v5, v4, 16, 1
	v_cmp_o_f32_e32 vcc_lo, v4, v4
	v_add3_u32 v4, v4, v5, 0x7fff
	v_mov_b32_e32 v5, 0x7fc0
	v_cndmask_b32_sdwa v4, v5, v4, vcc_lo dst_sel:DWORD dst_unused:UNUSED_PAD src0_sel:DWORD src1_sel:WORD_1
	global_store_short v[0:1], v4, off
.LBB312_9:
	s_or_b32 exec_lo, exec_lo, s1
	v_cmp_ne_u32_e32 vcc_lo, 1, v6
	s_and_b32 s0, vcc_lo, s0
	s_and_b32 exec_lo, exec_lo, s0
	s_cbranch_execz .LBB312_11
; %bb.10:
	s_waitcnt lgkmcnt(0)
	v_add_f32_e32 v2, v2, v3
	s_mov_b32 s3, 0
	v_mov_b32_e32 v4, 0x7fc0
	s_lshl_b64 s[0:1], s[2:3], 1
	v_add_co_u32 v0, s0, v0, s0
	v_fma_f32 v2, -v2, v10, v9
	v_add_co_ci_u32_e64 v1, null, s1, v1, s0
	v_bfe_u32 v3, v2, 16, 1
	v_cmp_o_f32_e32 vcc_lo, v2, v2
	v_add3_u32 v2, v2, v3, 0x7fff
	v_cndmask_b32_sdwa v2, v4, v2, vcc_lo dst_sel:DWORD dst_unused:UNUSED_PAD src0_sel:DWORD src1_sel:WORD_1
	global_store_short v[0:1], v2, off
.LBB312_11:
	s_endpgm
	.section	.rodata,"a",@progbits
	.p2align	6, 0x0
	.amdhsa_kernel _ZN12_GLOBAL__N_121softmax_warp_backwardIN3c108BFloat16ES2_fLi6ELb1ELb0ELi64EEEvPT0_PKT_S7_iiiPKb
		.amdhsa_group_segment_fixed_size 0
		.amdhsa_private_segment_fixed_size 0
		.amdhsa_kernarg_size 304
		.amdhsa_user_sgpr_count 6
		.amdhsa_user_sgpr_private_segment_buffer 1
		.amdhsa_user_sgpr_dispatch_ptr 0
		.amdhsa_user_sgpr_queue_ptr 0
		.amdhsa_user_sgpr_kernarg_segment_ptr 1
		.amdhsa_user_sgpr_dispatch_id 0
		.amdhsa_user_sgpr_flat_scratch_init 0
		.amdhsa_user_sgpr_private_segment_size 0
		.amdhsa_wavefront_size32 1
		.amdhsa_uses_dynamic_stack 0
		.amdhsa_system_sgpr_private_segment_wavefront_offset 0
		.amdhsa_system_sgpr_workgroup_id_x 1
		.amdhsa_system_sgpr_workgroup_id_y 0
		.amdhsa_system_sgpr_workgroup_id_z 0
		.amdhsa_system_sgpr_workgroup_info 0
		.amdhsa_system_vgpr_workitem_id 1
		.amdhsa_next_free_vgpr 14
		.amdhsa_next_free_sgpr 12
		.amdhsa_reserve_vcc 1
		.amdhsa_reserve_flat_scratch 0
		.amdhsa_float_round_mode_32 0
		.amdhsa_float_round_mode_16_64 0
		.amdhsa_float_denorm_mode_32 3
		.amdhsa_float_denorm_mode_16_64 3
		.amdhsa_dx10_clamp 1
		.amdhsa_ieee_mode 1
		.amdhsa_fp16_overflow 0
		.amdhsa_workgroup_processor_mode 1
		.amdhsa_memory_ordered 1
		.amdhsa_forward_progress 1
		.amdhsa_shared_vgpr_count 0
		.amdhsa_exception_fp_ieee_invalid_op 0
		.amdhsa_exception_fp_denorm_src 0
		.amdhsa_exception_fp_ieee_div_zero 0
		.amdhsa_exception_fp_ieee_overflow 0
		.amdhsa_exception_fp_ieee_underflow 0
		.amdhsa_exception_fp_ieee_inexact 0
		.amdhsa_exception_int_div_zero 0
	.end_amdhsa_kernel
	.section	.text._ZN12_GLOBAL__N_121softmax_warp_backwardIN3c108BFloat16ES2_fLi6ELb1ELb0ELi64EEEvPT0_PKT_S7_iiiPKb,"axG",@progbits,_ZN12_GLOBAL__N_121softmax_warp_backwardIN3c108BFloat16ES2_fLi6ELb1ELb0ELi64EEEvPT0_PKT_S7_iiiPKb,comdat
.Lfunc_end312:
	.size	_ZN12_GLOBAL__N_121softmax_warp_backwardIN3c108BFloat16ES2_fLi6ELb1ELb0ELi64EEEvPT0_PKT_S7_iiiPKb, .Lfunc_end312-_ZN12_GLOBAL__N_121softmax_warp_backwardIN3c108BFloat16ES2_fLi6ELb1ELb0ELi64EEEvPT0_PKT_S7_iiiPKb
                                        ; -- End function
	.set _ZN12_GLOBAL__N_121softmax_warp_backwardIN3c108BFloat16ES2_fLi6ELb1ELb0ELi64EEEvPT0_PKT_S7_iiiPKb.num_vgpr, 14
	.set _ZN12_GLOBAL__N_121softmax_warp_backwardIN3c108BFloat16ES2_fLi6ELb1ELb0ELi64EEEvPT0_PKT_S7_iiiPKb.num_agpr, 0
	.set _ZN12_GLOBAL__N_121softmax_warp_backwardIN3c108BFloat16ES2_fLi6ELb1ELb0ELi64EEEvPT0_PKT_S7_iiiPKb.numbered_sgpr, 12
	.set _ZN12_GLOBAL__N_121softmax_warp_backwardIN3c108BFloat16ES2_fLi6ELb1ELb0ELi64EEEvPT0_PKT_S7_iiiPKb.num_named_barrier, 0
	.set _ZN12_GLOBAL__N_121softmax_warp_backwardIN3c108BFloat16ES2_fLi6ELb1ELb0ELi64EEEvPT0_PKT_S7_iiiPKb.private_seg_size, 0
	.set _ZN12_GLOBAL__N_121softmax_warp_backwardIN3c108BFloat16ES2_fLi6ELb1ELb0ELi64EEEvPT0_PKT_S7_iiiPKb.uses_vcc, 1
	.set _ZN12_GLOBAL__N_121softmax_warp_backwardIN3c108BFloat16ES2_fLi6ELb1ELb0ELi64EEEvPT0_PKT_S7_iiiPKb.uses_flat_scratch, 0
	.set _ZN12_GLOBAL__N_121softmax_warp_backwardIN3c108BFloat16ES2_fLi6ELb1ELb0ELi64EEEvPT0_PKT_S7_iiiPKb.has_dyn_sized_stack, 0
	.set _ZN12_GLOBAL__N_121softmax_warp_backwardIN3c108BFloat16ES2_fLi6ELb1ELb0ELi64EEEvPT0_PKT_S7_iiiPKb.has_recursion, 0
	.set _ZN12_GLOBAL__N_121softmax_warp_backwardIN3c108BFloat16ES2_fLi6ELb1ELb0ELi64EEEvPT0_PKT_S7_iiiPKb.has_indirect_call, 0
	.section	.AMDGPU.csdata,"",@progbits
; Kernel info:
; codeLenInByte = 1044
; TotalNumSgprs: 14
; NumVgprs: 14
; ScratchSize: 0
; MemoryBound: 0
; FloatMode: 240
; IeeeMode: 1
; LDSByteSize: 0 bytes/workgroup (compile time only)
; SGPRBlocks: 0
; VGPRBlocks: 1
; NumSGPRsForWavesPerEU: 14
; NumVGPRsForWavesPerEU: 14
; Occupancy: 16
; WaveLimiterHint : 0
; COMPUTE_PGM_RSRC2:SCRATCH_EN: 0
; COMPUTE_PGM_RSRC2:USER_SGPR: 6
; COMPUTE_PGM_RSRC2:TRAP_HANDLER: 0
; COMPUTE_PGM_RSRC2:TGID_X_EN: 1
; COMPUTE_PGM_RSRC2:TGID_Y_EN: 0
; COMPUTE_PGM_RSRC2:TGID_Z_EN: 0
; COMPUTE_PGM_RSRC2:TIDIG_COMP_CNT: 1
	.section	.text._ZN12_GLOBAL__N_121softmax_warp_backwardIN3c108BFloat16ES2_fLi6ELb1ELb0ELi32EEEvPT0_PKT_S7_iiiPKb,"axG",@progbits,_ZN12_GLOBAL__N_121softmax_warp_backwardIN3c108BFloat16ES2_fLi6ELb1ELb0ELi32EEEvPT0_PKT_S7_iiiPKb,comdat
	.globl	_ZN12_GLOBAL__N_121softmax_warp_backwardIN3c108BFloat16ES2_fLi6ELb1ELb0ELi32EEEvPT0_PKT_S7_iiiPKb ; -- Begin function _ZN12_GLOBAL__N_121softmax_warp_backwardIN3c108BFloat16ES2_fLi6ELb1ELb0ELi32EEEvPT0_PKT_S7_iiiPKb
	.p2align	8
	.type	_ZN12_GLOBAL__N_121softmax_warp_backwardIN3c108BFloat16ES2_fLi6ELb1ELb0ELi32EEEvPT0_PKT_S7_iiiPKb,@function
_ZN12_GLOBAL__N_121softmax_warp_backwardIN3c108BFloat16ES2_fLi6ELb1ELb0ELi32EEEvPT0_PKT_S7_iiiPKb: ; @_ZN12_GLOBAL__N_121softmax_warp_backwardIN3c108BFloat16ES2_fLi6ELb1ELb0ELi32EEEvPT0_PKT_S7_iiiPKb
; %bb.0:
	s_clause 0x1
	s_load_dword s0, s[4:5], 0x3c
	s_load_dwordx4 s[8:11], s[4:5], 0x18
	v_and_b32_e32 v6, 31, v0
	s_clause 0x1
	s_load_dwordx4 s[12:15], s[4:5], 0x0
	s_load_dwordx2 s[2:3], s[4:5], 0x10
	v_mov_b32_e32 v8, 1.0
	v_mov_b32_e32 v9, 0
	v_mov_b32_e32 v10, 0
	v_mov_b32_e32 v11, 1.0
	s_waitcnt lgkmcnt(0)
	s_lshr_b32 s0, s0, 16
	s_and_b32 s0, s0, 0xffff
	s_mul_i32 s6, s6, s0
	v_cmp_gt_i32_e64 s0, s10, v6
	v_add_lshl_u32 v2, s6, v1, 1
	v_mad_u64_u32 v[0:1], null, v2, s9, v[6:7]
	v_sub_nc_u32_e32 v7, s8, v2
	v_cmp_lt_i32_e32 vcc_lo, 0, v7
	v_ashrrev_i32_e32 v1, 31, v0
	v_lshlrev_b64 v[0:1], 1, v[0:1]
	v_add_co_u32 v2, s1, s14, v0
	v_add_co_ci_u32_e64 v3, null, s15, v1, s1
	v_add_co_u32 v4, s1, s2, v0
	v_add_co_ci_u32_e64 v5, null, s3, v1, s1
	s_and_b32 s1, vcc_lo, s0
	s_and_saveexec_b32 s2, s1
	s_cbranch_execz .LBB313_2
; %bb.1:
	global_load_ushort v10, v[4:5], off
	global_load_ushort v11, v[2:3], off
	s_waitcnt vmcnt(1)
	v_lshlrev_b32_e32 v12, 16, v10
	v_mul_f32_e32 v10, 0x3fb8aa3b, v12
	v_cmp_ngt_f32_e64 s1, 0xc2ce8ed0, v12
	v_fma_f32 v13, 0x3fb8aa3b, v12, -v10
	v_rndne_f32_e32 v14, v10
	v_fmamk_f32 v13, v12, 0x32a5705f, v13
	v_sub_f32_e32 v10, v10, v14
	v_add_f32_e32 v10, v10, v13
	v_cvt_i32_f32_e32 v13, v14
	v_exp_f32_e32 v10, v10
	v_ldexp_f32 v10, v10, v13
	v_cndmask_b32_e64 v13, 0, v10, s1
	v_cmp_nlt_f32_e64 s1, 0x42b17218, v12
	s_waitcnt vmcnt(0)
	v_lshlrev_b32_e32 v10, 16, v11
	v_cndmask_b32_e64 v11, 0x7f800000, v13, s1
.LBB313_2:
	s_or_b32 exec_lo, exec_lo, s2
	v_or_b32_e32 v6, 32, v6
	v_cmp_gt_i32_e64 s1, s10, v6
	s_and_b32 s2, vcc_lo, s1
	s_and_saveexec_b32 s3, s2
	s_cbranch_execz .LBB313_4
; %bb.3:
	global_load_ushort v6, v[4:5], off offset:64
	global_load_ushort v8, v[2:3], off offset:64
	s_waitcnt vmcnt(1)
	v_lshlrev_b32_e32 v6, 16, v6
	v_mul_f32_e32 v9, 0x3fb8aa3b, v6
	v_cmp_ngt_f32_e64 s2, 0xc2ce8ed0, v6
	v_fma_f32 v12, 0x3fb8aa3b, v6, -v9
	v_rndne_f32_e32 v13, v9
	v_fmamk_f32 v12, v6, 0x32a5705f, v12
	v_sub_f32_e32 v9, v9, v13
	v_add_f32_e32 v9, v9, v12
	v_cvt_i32_f32_e32 v12, v13
	v_exp_f32_e32 v9, v9
	v_ldexp_f32 v9, v9, v12
	v_cndmask_b32_e64 v12, 0, v9, s2
	v_cmp_nlt_f32_e64 s2, 0x42b17218, v6
	s_waitcnt vmcnt(0)
	v_lshlrev_b32_e32 v9, 16, v8
	v_cndmask_b32_e64 v8, 0x7f800000, v12, s2
.LBB313_4:
	s_or_b32 exec_lo, exec_lo, s3
	v_cmp_lt_i32_e64 s2, 1, v7
	v_mov_b32_e32 v12, 1.0
	v_mov_b32_e32 v6, 0
	v_mov_b32_e32 v13, 0
	v_mov_b32_e32 v14, 1.0
	s_and_b32 s3, s2, s0
	s_and_saveexec_b32 s4, s3
	s_cbranch_execz .LBB313_6
; %bb.5:
	s_mov_b32 s11, 0
	s_lshl_b64 s[6:7], s[10:11], 1
	v_add_co_u32 v13, s3, v4, s6
	v_add_co_ci_u32_e64 v14, null, s7, v5, s3
	global_load_ushort v15, v[13:14], off
	v_add_co_u32 v13, s3, v2, s6
	v_add_co_ci_u32_e64 v14, null, s7, v3, s3
	global_load_ushort v13, v[13:14], off
	s_waitcnt vmcnt(1)
	v_lshlrev_b32_e32 v14, 16, v15
	v_mul_f32_e32 v15, 0x3fb8aa3b, v14
	v_cmp_ngt_f32_e64 s3, 0xc2ce8ed0, v14
	s_waitcnt vmcnt(0)
	v_lshlrev_b32_e32 v13, 16, v13
	v_fma_f32 v16, 0x3fb8aa3b, v14, -v15
	v_rndne_f32_e32 v17, v15
	v_fmamk_f32 v16, v14, 0x32a5705f, v16
	v_sub_f32_e32 v15, v15, v17
	v_add_f32_e32 v15, v15, v16
	v_cvt_i32_f32_e32 v16, v17
	v_exp_f32_e32 v15, v15
	v_ldexp_f32 v15, v15, v16
	v_cndmask_b32_e64 v15, 0, v15, s3
	v_cmp_nlt_f32_e64 s3, 0x42b17218, v14
	v_cndmask_b32_e64 v14, 0x7f800000, v15, s3
.LBB313_6:
	s_or_b32 exec_lo, exec_lo, s4
	s_and_b32 s2, s2, s1
	s_and_saveexec_b32 s3, s2
	s_cbranch_execz .LBB313_8
; %bb.7:
	s_mov_b32 s11, 0
	s_lshl_b64 s[4:5], s[10:11], 1
	v_add_co_u32 v4, s2, v4, s4
	v_add_co_ci_u32_e64 v5, null, s5, v5, s2
	v_add_co_u32 v2, s2, v2, s4
	v_add_co_ci_u32_e64 v3, null, s5, v3, s2
	global_load_ushort v4, v[4:5], off offset:64
	global_load_ushort v2, v[2:3], off offset:64
	s_waitcnt vmcnt(1)
	v_lshlrev_b32_e32 v3, 16, v4
	v_mul_f32_e32 v4, 0x3fb8aa3b, v3
	v_cmp_ngt_f32_e64 s2, 0xc2ce8ed0, v3
	v_fma_f32 v5, 0x3fb8aa3b, v3, -v4
	v_rndne_f32_e32 v6, v4
	v_fmamk_f32 v5, v3, 0x32a5705f, v5
	v_sub_f32_e32 v4, v4, v6
	v_add_f32_e32 v4, v4, v5
	v_cvt_i32_f32_e32 v5, v6
	s_waitcnt vmcnt(0)
	v_lshlrev_b32_e32 v6, 16, v2
	v_exp_f32_e32 v4, v4
	v_ldexp_f32 v4, v4, v5
	v_cndmask_b32_e64 v4, 0, v4, s2
	v_cmp_nlt_f32_e64 s2, 0x42b17218, v3
	v_cndmask_b32_e64 v12, 0x7f800000, v4, s2
.LBB313_8:
	s_or_b32 exec_lo, exec_lo, s3
	v_mbcnt_lo_u32_b32 v2, -1, 0
	v_add_f32_e32 v4, 0, v10
	v_add_f32_e32 v5, 0, v13
	v_xor_b32_e32 v3, 16, v2
	v_add_f32_e32 v4, v4, v9
	v_add_f32_e32 v5, v5, v6
	v_xor_b32_e32 v16, 8, v2
	v_cmp_gt_i32_e64 s2, 32, v3
	v_cndmask_b32_e64 v3, v2, v3, s2
	v_cmp_gt_i32_e64 s2, 32, v16
	v_lshlrev_b32_e32 v3, 2, v3
	v_cndmask_b32_e64 v16, v2, v16, s2
	ds_bpermute_b32 v15, v3, v4
	ds_bpermute_b32 v3, v3, v5
	v_lshlrev_b32_e32 v16, 2, v16
	s_waitcnt lgkmcnt(1)
	v_add_f32_e32 v4, v4, v15
	s_waitcnt lgkmcnt(0)
	v_add_f32_e32 v3, v5, v3
	ds_bpermute_b32 v5, v16, v4
	ds_bpermute_b32 v15, v16, v3
	v_xor_b32_e32 v16, 4, v2
	v_cmp_gt_i32_e64 s2, 32, v16
	v_cndmask_b32_e64 v16, v2, v16, s2
	v_lshlrev_b32_e32 v16, 2, v16
	s_waitcnt lgkmcnt(1)
	v_add_f32_e32 v4, v4, v5
	s_waitcnt lgkmcnt(0)
	v_add_f32_e32 v3, v3, v15
	ds_bpermute_b32 v5, v16, v4
	ds_bpermute_b32 v15, v16, v3
	v_xor_b32_e32 v16, 2, v2
	v_cmp_gt_i32_e64 s2, 32, v16
	v_cndmask_b32_e64 v16, v2, v16, s2
	v_lshlrev_b32_e32 v16, 2, v16
	s_waitcnt lgkmcnt(1)
	v_add_f32_e32 v4, v4, v5
	s_waitcnt lgkmcnt(0)
	v_add_f32_e32 v3, v3, v15
	ds_bpermute_b32 v5, v16, v4
	ds_bpermute_b32 v15, v16, v3
	v_xor_b32_e32 v16, 1, v2
	v_cmp_gt_i32_e64 s2, 32, v16
	v_cndmask_b32_e64 v2, v2, v16, s2
	v_lshlrev_b32_e32 v16, 2, v2
	s_waitcnt lgkmcnt(1)
	v_add_f32_e32 v4, v4, v5
	s_waitcnt lgkmcnt(0)
	v_add_f32_e32 v2, v3, v15
	ds_bpermute_b32 v5, v16, v4
	ds_bpermute_b32 v3, v16, v2
	s_and_saveexec_b32 s2, vcc_lo
	s_cbranch_execz .LBB313_12
; %bb.9:
	v_add_co_u32 v0, vcc_lo, s12, v0
	v_add_co_ci_u32_e64 v1, null, s13, v1, vcc_lo
	s_waitcnt lgkmcnt(1)
	v_add_f32_e32 v4, v4, v5
	s_and_saveexec_b32 s2, s0
	s_cbranch_execnz .LBB313_13
; %bb.10:
	s_or_b32 exec_lo, exec_lo, s2
	s_and_saveexec_b32 s2, s1
	s_cbranch_execnz .LBB313_14
.LBB313_11:
	s_or_b32 exec_lo, exec_lo, s2
	v_cmp_ne_u32_e32 vcc_lo, 1, v7
	s_and_b32 exec_lo, exec_lo, vcc_lo
	s_cbranch_execnz .LBB313_15
.LBB313_12:
	s_endpgm
.LBB313_13:
	v_fma_f32 v5, -v4, v11, v10
	v_bfe_u32 v10, v5, 16, 1
	v_cmp_o_f32_e32 vcc_lo, v5, v5
	v_add3_u32 v5, v5, v10, 0x7fff
	v_mov_b32_e32 v10, 0x7fc0
	v_cndmask_b32_sdwa v5, v10, v5, vcc_lo dst_sel:DWORD dst_unused:UNUSED_PAD src0_sel:DWORD src1_sel:WORD_1
	global_store_short v[0:1], v5, off
	s_or_b32 exec_lo, exec_lo, s2
	s_and_saveexec_b32 s2, s1
	s_cbranch_execz .LBB313_11
.LBB313_14:
	v_fma_f32 v4, -v4, v8, v9
	v_bfe_u32 v5, v4, 16, 1
	v_cmp_o_f32_e32 vcc_lo, v4, v4
	v_add3_u32 v4, v4, v5, 0x7fff
	v_mov_b32_e32 v5, 0x7fc0
	v_cndmask_b32_sdwa v4, v5, v4, vcc_lo dst_sel:DWORD dst_unused:UNUSED_PAD src0_sel:DWORD src1_sel:WORD_1
	global_store_short v[0:1], v4, off offset:64
	s_or_b32 exec_lo, exec_lo, s2
	v_cmp_ne_u32_e32 vcc_lo, 1, v7
	s_and_b32 exec_lo, exec_lo, vcc_lo
	s_cbranch_execz .LBB313_12
.LBB313_15:
	s_waitcnt lgkmcnt(0)
	v_add_f32_e32 v2, v2, v3
	s_and_saveexec_b32 s2, s0
	s_cbranch_execz .LBB313_17
; %bb.16:
	v_fma_f32 v3, -v2, v14, v13
	v_mov_b32_e32 v5, 0x7fc0
	s_mov_b32 s11, 0
	s_lshl_b64 s[4:5], s[10:11], 1
	v_bfe_u32 v4, v3, 16, 1
	v_cmp_o_f32_e32 vcc_lo, v3, v3
	v_add3_u32 v3, v3, v4, 0x7fff
	v_cndmask_b32_sdwa v5, v5, v3, vcc_lo dst_sel:DWORD dst_unused:UNUSED_PAD src0_sel:DWORD src1_sel:WORD_1
	v_add_co_u32 v3, vcc_lo, v0, s4
	v_add_co_ci_u32_e64 v4, null, s5, v1, vcc_lo
	global_store_short v[3:4], v5, off
.LBB313_17:
	s_or_b32 exec_lo, exec_lo, s2
	s_and_b32 exec_lo, exec_lo, s1
	s_cbranch_execz .LBB313_12
; %bb.18:
	v_fma_f32 v2, -v2, v12, v6
	v_mov_b32_e32 v4, 0x7fc0
	s_mov_b32 s11, 0
	s_lshl_b64 s[0:1], s[10:11], 1
	v_bfe_u32 v3, v2, 16, 1
	v_cmp_o_f32_e32 vcc_lo, v2, v2
	v_add3_u32 v2, v2, v3, 0x7fff
	v_cndmask_b32_sdwa v2, v4, v2, vcc_lo dst_sel:DWORD dst_unused:UNUSED_PAD src0_sel:DWORD src1_sel:WORD_1
	v_add_co_u32 v0, vcc_lo, v0, s0
	v_add_co_ci_u32_e64 v1, null, s1, v1, vcc_lo
	global_store_short v[0:1], v2, off offset:64
	s_endpgm
	.section	.rodata,"a",@progbits
	.p2align	6, 0x0
	.amdhsa_kernel _ZN12_GLOBAL__N_121softmax_warp_backwardIN3c108BFloat16ES2_fLi6ELb1ELb0ELi32EEEvPT0_PKT_S7_iiiPKb
		.amdhsa_group_segment_fixed_size 0
		.amdhsa_private_segment_fixed_size 0
		.amdhsa_kernarg_size 304
		.amdhsa_user_sgpr_count 6
		.amdhsa_user_sgpr_private_segment_buffer 1
		.amdhsa_user_sgpr_dispatch_ptr 0
		.amdhsa_user_sgpr_queue_ptr 0
		.amdhsa_user_sgpr_kernarg_segment_ptr 1
		.amdhsa_user_sgpr_dispatch_id 0
		.amdhsa_user_sgpr_flat_scratch_init 0
		.amdhsa_user_sgpr_private_segment_size 0
		.amdhsa_wavefront_size32 1
		.amdhsa_uses_dynamic_stack 0
		.amdhsa_system_sgpr_private_segment_wavefront_offset 0
		.amdhsa_system_sgpr_workgroup_id_x 1
		.amdhsa_system_sgpr_workgroup_id_y 0
		.amdhsa_system_sgpr_workgroup_id_z 0
		.amdhsa_system_sgpr_workgroup_info 0
		.amdhsa_system_vgpr_workitem_id 1
		.amdhsa_next_free_vgpr 18
		.amdhsa_next_free_sgpr 16
		.amdhsa_reserve_vcc 1
		.amdhsa_reserve_flat_scratch 0
		.amdhsa_float_round_mode_32 0
		.amdhsa_float_round_mode_16_64 0
		.amdhsa_float_denorm_mode_32 3
		.amdhsa_float_denorm_mode_16_64 3
		.amdhsa_dx10_clamp 1
		.amdhsa_ieee_mode 1
		.amdhsa_fp16_overflow 0
		.amdhsa_workgroup_processor_mode 1
		.amdhsa_memory_ordered 1
		.amdhsa_forward_progress 1
		.amdhsa_shared_vgpr_count 0
		.amdhsa_exception_fp_ieee_invalid_op 0
		.amdhsa_exception_fp_denorm_src 0
		.amdhsa_exception_fp_ieee_div_zero 0
		.amdhsa_exception_fp_ieee_overflow 0
		.amdhsa_exception_fp_ieee_underflow 0
		.amdhsa_exception_fp_ieee_inexact 0
		.amdhsa_exception_int_div_zero 0
	.end_amdhsa_kernel
	.section	.text._ZN12_GLOBAL__N_121softmax_warp_backwardIN3c108BFloat16ES2_fLi6ELb1ELb0ELi32EEEvPT0_PKT_S7_iiiPKb,"axG",@progbits,_ZN12_GLOBAL__N_121softmax_warp_backwardIN3c108BFloat16ES2_fLi6ELb1ELb0ELi32EEEvPT0_PKT_S7_iiiPKb,comdat
.Lfunc_end313:
	.size	_ZN12_GLOBAL__N_121softmax_warp_backwardIN3c108BFloat16ES2_fLi6ELb1ELb0ELi32EEEvPT0_PKT_S7_iiiPKb, .Lfunc_end313-_ZN12_GLOBAL__N_121softmax_warp_backwardIN3c108BFloat16ES2_fLi6ELb1ELb0ELi32EEEvPT0_PKT_S7_iiiPKb
                                        ; -- End function
	.set _ZN12_GLOBAL__N_121softmax_warp_backwardIN3c108BFloat16ES2_fLi6ELb1ELb0ELi32EEEvPT0_PKT_S7_iiiPKb.num_vgpr, 18
	.set _ZN12_GLOBAL__N_121softmax_warp_backwardIN3c108BFloat16ES2_fLi6ELb1ELb0ELi32EEEvPT0_PKT_S7_iiiPKb.num_agpr, 0
	.set _ZN12_GLOBAL__N_121softmax_warp_backwardIN3c108BFloat16ES2_fLi6ELb1ELb0ELi32EEEvPT0_PKT_S7_iiiPKb.numbered_sgpr, 16
	.set _ZN12_GLOBAL__N_121softmax_warp_backwardIN3c108BFloat16ES2_fLi6ELb1ELb0ELi32EEEvPT0_PKT_S7_iiiPKb.num_named_barrier, 0
	.set _ZN12_GLOBAL__N_121softmax_warp_backwardIN3c108BFloat16ES2_fLi6ELb1ELb0ELi32EEEvPT0_PKT_S7_iiiPKb.private_seg_size, 0
	.set _ZN12_GLOBAL__N_121softmax_warp_backwardIN3c108BFloat16ES2_fLi6ELb1ELb0ELi32EEEvPT0_PKT_S7_iiiPKb.uses_vcc, 1
	.set _ZN12_GLOBAL__N_121softmax_warp_backwardIN3c108BFloat16ES2_fLi6ELb1ELb0ELi32EEEvPT0_PKT_S7_iiiPKb.uses_flat_scratch, 0
	.set _ZN12_GLOBAL__N_121softmax_warp_backwardIN3c108BFloat16ES2_fLi6ELb1ELb0ELi32EEEvPT0_PKT_S7_iiiPKb.has_dyn_sized_stack, 0
	.set _ZN12_GLOBAL__N_121softmax_warp_backwardIN3c108BFloat16ES2_fLi6ELb1ELb0ELi32EEEvPT0_PKT_S7_iiiPKb.has_recursion, 0
	.set _ZN12_GLOBAL__N_121softmax_warp_backwardIN3c108BFloat16ES2_fLi6ELb1ELb0ELi32EEEvPT0_PKT_S7_iiiPKb.has_indirect_call, 0
	.section	.AMDGPU.csdata,"",@progbits
; Kernel info:
; codeLenInByte = 1556
; TotalNumSgprs: 18
; NumVgprs: 18
; ScratchSize: 0
; MemoryBound: 0
; FloatMode: 240
; IeeeMode: 1
; LDSByteSize: 0 bytes/workgroup (compile time only)
; SGPRBlocks: 0
; VGPRBlocks: 2
; NumSGPRsForWavesPerEU: 18
; NumVGPRsForWavesPerEU: 18
; Occupancy: 16
; WaveLimiterHint : 0
; COMPUTE_PGM_RSRC2:SCRATCH_EN: 0
; COMPUTE_PGM_RSRC2:USER_SGPR: 6
; COMPUTE_PGM_RSRC2:TRAP_HANDLER: 0
; COMPUTE_PGM_RSRC2:TGID_X_EN: 1
; COMPUTE_PGM_RSRC2:TGID_Y_EN: 0
; COMPUTE_PGM_RSRC2:TGID_Z_EN: 0
; COMPUTE_PGM_RSRC2:TIDIG_COMP_CNT: 1
	.section	.text._ZN12_GLOBAL__N_121softmax_warp_backwardIN3c108BFloat16ES2_fLi7ELb1ELb0ELi64EEEvPT0_PKT_S7_iiiPKb,"axG",@progbits,_ZN12_GLOBAL__N_121softmax_warp_backwardIN3c108BFloat16ES2_fLi7ELb1ELb0ELi64EEEvPT0_PKT_S7_iiiPKb,comdat
	.globl	_ZN12_GLOBAL__N_121softmax_warp_backwardIN3c108BFloat16ES2_fLi7ELb1ELb0ELi64EEEvPT0_PKT_S7_iiiPKb ; -- Begin function _ZN12_GLOBAL__N_121softmax_warp_backwardIN3c108BFloat16ES2_fLi7ELb1ELb0ELi64EEEvPT0_PKT_S7_iiiPKb
	.p2align	8
	.type	_ZN12_GLOBAL__N_121softmax_warp_backwardIN3c108BFloat16ES2_fLi7ELb1ELb0ELi64EEEvPT0_PKT_S7_iiiPKb,@function
_ZN12_GLOBAL__N_121softmax_warp_backwardIN3c108BFloat16ES2_fLi7ELb1ELb0ELi64EEEvPT0_PKT_S7_iiiPKb: ; @_ZN12_GLOBAL__N_121softmax_warp_backwardIN3c108BFloat16ES2_fLi7ELb1ELb0ELi64EEEvPT0_PKT_S7_iiiPKb
; %bb.0:
	s_clause 0x1
	s_load_dword s0, s[4:5], 0x3c
	s_load_dwordx4 s[8:11], s[4:5], 0x18
	v_and_b32_e32 v6, 63, v0
	s_clause 0x1
	s_load_dwordx4 s[12:15], s[4:5], 0x0
	s_load_dwordx2 s[2:3], s[4:5], 0x10
	v_mov_b32_e32 v8, 1.0
	v_mov_b32_e32 v9, 0
	v_mov_b32_e32 v10, 0
	v_mov_b32_e32 v11, 1.0
	s_waitcnt lgkmcnt(0)
	s_lshr_b32 s0, s0, 16
	s_and_b32 s0, s0, 0xffff
	s_mul_i32 s6, s6, s0
	v_cmp_gt_i32_e64 s0, s10, v6
	v_add_lshl_u32 v2, s6, v1, 1
	v_mad_u64_u32 v[0:1], null, v2, s9, v[6:7]
	v_sub_nc_u32_e32 v7, s8, v2
	v_cmp_lt_i32_e32 vcc_lo, 0, v7
	v_ashrrev_i32_e32 v1, 31, v0
	v_lshlrev_b64 v[0:1], 1, v[0:1]
	v_add_co_u32 v2, s1, s14, v0
	v_add_co_ci_u32_e64 v3, null, s15, v1, s1
	v_add_co_u32 v4, s1, s2, v0
	v_add_co_ci_u32_e64 v5, null, s3, v1, s1
	s_and_b32 s1, vcc_lo, s0
	s_and_saveexec_b32 s2, s1
	s_cbranch_execz .LBB314_2
; %bb.1:
	global_load_ushort v10, v[4:5], off
	global_load_ushort v11, v[2:3], off
	s_waitcnt vmcnt(1)
	v_lshlrev_b32_e32 v12, 16, v10
	v_mul_f32_e32 v10, 0x3fb8aa3b, v12
	v_cmp_ngt_f32_e64 s1, 0xc2ce8ed0, v12
	v_fma_f32 v13, 0x3fb8aa3b, v12, -v10
	v_rndne_f32_e32 v14, v10
	v_fmamk_f32 v13, v12, 0x32a5705f, v13
	v_sub_f32_e32 v10, v10, v14
	v_add_f32_e32 v10, v10, v13
	v_cvt_i32_f32_e32 v13, v14
	v_exp_f32_e32 v10, v10
	v_ldexp_f32 v10, v10, v13
	v_cndmask_b32_e64 v13, 0, v10, s1
	v_cmp_nlt_f32_e64 s1, 0x42b17218, v12
	s_waitcnt vmcnt(0)
	v_lshlrev_b32_e32 v10, 16, v11
	v_cndmask_b32_e64 v11, 0x7f800000, v13, s1
.LBB314_2:
	s_or_b32 exec_lo, exec_lo, s2
	v_or_b32_e32 v6, 64, v6
	v_cmp_gt_i32_e64 s1, s10, v6
	s_and_b32 s2, vcc_lo, s1
	s_and_saveexec_b32 s3, s2
	s_cbranch_execz .LBB314_4
; %bb.3:
	global_load_ushort v6, v[4:5], off offset:128
	global_load_ushort v8, v[2:3], off offset:128
	s_waitcnt vmcnt(1)
	v_lshlrev_b32_e32 v6, 16, v6
	v_mul_f32_e32 v9, 0x3fb8aa3b, v6
	v_cmp_ngt_f32_e64 s2, 0xc2ce8ed0, v6
	v_fma_f32 v12, 0x3fb8aa3b, v6, -v9
	v_rndne_f32_e32 v13, v9
	v_fmamk_f32 v12, v6, 0x32a5705f, v12
	v_sub_f32_e32 v9, v9, v13
	v_add_f32_e32 v9, v9, v12
	v_cvt_i32_f32_e32 v12, v13
	v_exp_f32_e32 v9, v9
	v_ldexp_f32 v9, v9, v12
	v_cndmask_b32_e64 v12, 0, v9, s2
	v_cmp_nlt_f32_e64 s2, 0x42b17218, v6
	s_waitcnt vmcnt(0)
	v_lshlrev_b32_e32 v9, 16, v8
	v_cndmask_b32_e64 v8, 0x7f800000, v12, s2
.LBB314_4:
	s_or_b32 exec_lo, exec_lo, s3
	v_cmp_lt_i32_e64 s2, 1, v7
	v_mov_b32_e32 v12, 1.0
	v_mov_b32_e32 v6, 0
	v_mov_b32_e32 v13, 0
	v_mov_b32_e32 v14, 1.0
	s_and_b32 s3, s2, s0
	s_and_saveexec_b32 s4, s3
	s_cbranch_execz .LBB314_6
; %bb.5:
	s_mov_b32 s11, 0
	s_lshl_b64 s[6:7], s[10:11], 1
	v_add_co_u32 v13, s3, v4, s6
	v_add_co_ci_u32_e64 v14, null, s7, v5, s3
	global_load_ushort v15, v[13:14], off
	v_add_co_u32 v13, s3, v2, s6
	v_add_co_ci_u32_e64 v14, null, s7, v3, s3
	global_load_ushort v13, v[13:14], off
	s_waitcnt vmcnt(1)
	v_lshlrev_b32_e32 v14, 16, v15
	v_mul_f32_e32 v15, 0x3fb8aa3b, v14
	v_cmp_ngt_f32_e64 s3, 0xc2ce8ed0, v14
	s_waitcnt vmcnt(0)
	v_lshlrev_b32_e32 v13, 16, v13
	v_fma_f32 v16, 0x3fb8aa3b, v14, -v15
	v_rndne_f32_e32 v17, v15
	v_fmamk_f32 v16, v14, 0x32a5705f, v16
	v_sub_f32_e32 v15, v15, v17
	v_add_f32_e32 v15, v15, v16
	v_cvt_i32_f32_e32 v16, v17
	v_exp_f32_e32 v15, v15
	v_ldexp_f32 v15, v15, v16
	v_cndmask_b32_e64 v15, 0, v15, s3
	v_cmp_nlt_f32_e64 s3, 0x42b17218, v14
	v_cndmask_b32_e64 v14, 0x7f800000, v15, s3
.LBB314_6:
	s_or_b32 exec_lo, exec_lo, s4
	s_and_b32 s2, s2, s1
	s_and_saveexec_b32 s3, s2
	s_cbranch_execz .LBB314_8
; %bb.7:
	s_mov_b32 s11, 0
	s_lshl_b64 s[4:5], s[10:11], 1
	v_add_co_u32 v4, s2, v4, s4
	v_add_co_ci_u32_e64 v5, null, s5, v5, s2
	v_add_co_u32 v2, s2, v2, s4
	v_add_co_ci_u32_e64 v3, null, s5, v3, s2
	global_load_ushort v4, v[4:5], off offset:128
	global_load_ushort v2, v[2:3], off offset:128
	s_waitcnt vmcnt(1)
	v_lshlrev_b32_e32 v3, 16, v4
	v_mul_f32_e32 v4, 0x3fb8aa3b, v3
	v_cmp_ngt_f32_e64 s2, 0xc2ce8ed0, v3
	v_fma_f32 v5, 0x3fb8aa3b, v3, -v4
	v_rndne_f32_e32 v6, v4
	v_fmamk_f32 v5, v3, 0x32a5705f, v5
	v_sub_f32_e32 v4, v4, v6
	v_add_f32_e32 v4, v4, v5
	v_cvt_i32_f32_e32 v5, v6
	s_waitcnt vmcnt(0)
	v_lshlrev_b32_e32 v6, 16, v2
	v_exp_f32_e32 v4, v4
	v_ldexp_f32 v4, v4, v5
	v_cndmask_b32_e64 v4, 0, v4, s2
	v_cmp_nlt_f32_e64 s2, 0x42b17218, v3
	v_cndmask_b32_e64 v12, 0x7f800000, v4, s2
.LBB314_8:
	s_or_b32 exec_lo, exec_lo, s3
	v_mbcnt_lo_u32_b32 v2, -1, 0
	v_add_f32_e32 v4, 0, v10
	v_add_f32_e32 v5, 0, v13
	v_or_b32_e32 v3, 32, v2
	v_add_f32_e32 v4, v4, v9
	v_add_f32_e32 v5, v5, v6
	v_xor_b32_e32 v16, 16, v2
	v_cmp_gt_i32_e64 s2, 64, v3
	v_cndmask_b32_e64 v3, v2, v3, s2
	v_cmp_gt_i32_e64 s2, 64, v16
	v_lshlrev_b32_e32 v3, 2, v3
	v_cndmask_b32_e64 v16, v2, v16, s2
	ds_bpermute_b32 v15, v3, v4
	ds_bpermute_b32 v3, v3, v5
	v_lshlrev_b32_e32 v16, 2, v16
	s_waitcnt lgkmcnt(1)
	v_add_f32_e32 v4, v4, v15
	s_waitcnt lgkmcnt(0)
	v_add_f32_e32 v3, v5, v3
	ds_bpermute_b32 v5, v16, v4
	ds_bpermute_b32 v15, v16, v3
	v_xor_b32_e32 v16, 8, v2
	v_cmp_gt_i32_e64 s2, 64, v16
	v_cndmask_b32_e64 v16, v2, v16, s2
	v_lshlrev_b32_e32 v16, 2, v16
	s_waitcnt lgkmcnt(1)
	v_add_f32_e32 v4, v4, v5
	s_waitcnt lgkmcnt(0)
	v_add_f32_e32 v3, v3, v15
	ds_bpermute_b32 v5, v16, v4
	ds_bpermute_b32 v15, v16, v3
	v_xor_b32_e32 v16, 4, v2
	v_cmp_gt_i32_e64 s2, 64, v16
	v_cndmask_b32_e64 v16, v2, v16, s2
	;; [unrolled: 10-line block ×4, first 2 shown]
	v_lshlrev_b32_e32 v16, 2, v2
	s_waitcnt lgkmcnt(1)
	v_add_f32_e32 v4, v4, v5
	s_waitcnt lgkmcnt(0)
	v_add_f32_e32 v2, v3, v15
	ds_bpermute_b32 v5, v16, v4
	ds_bpermute_b32 v3, v16, v2
	s_and_saveexec_b32 s2, vcc_lo
	s_cbranch_execz .LBB314_12
; %bb.9:
	v_add_co_u32 v0, vcc_lo, s12, v0
	v_add_co_ci_u32_e64 v1, null, s13, v1, vcc_lo
	s_waitcnt lgkmcnt(1)
	v_add_f32_e32 v4, v4, v5
	s_and_saveexec_b32 s2, s0
	s_cbranch_execnz .LBB314_13
; %bb.10:
	s_or_b32 exec_lo, exec_lo, s2
	s_and_saveexec_b32 s2, s1
	s_cbranch_execnz .LBB314_14
.LBB314_11:
	s_or_b32 exec_lo, exec_lo, s2
	v_cmp_ne_u32_e32 vcc_lo, 1, v7
	s_and_b32 exec_lo, exec_lo, vcc_lo
	s_cbranch_execnz .LBB314_15
.LBB314_12:
	s_endpgm
.LBB314_13:
	v_fma_f32 v5, -v4, v11, v10
	v_bfe_u32 v10, v5, 16, 1
	v_cmp_o_f32_e32 vcc_lo, v5, v5
	v_add3_u32 v5, v5, v10, 0x7fff
	v_mov_b32_e32 v10, 0x7fc0
	v_cndmask_b32_sdwa v5, v10, v5, vcc_lo dst_sel:DWORD dst_unused:UNUSED_PAD src0_sel:DWORD src1_sel:WORD_1
	global_store_short v[0:1], v5, off
	s_or_b32 exec_lo, exec_lo, s2
	s_and_saveexec_b32 s2, s1
	s_cbranch_execz .LBB314_11
.LBB314_14:
	v_fma_f32 v4, -v4, v8, v9
	v_bfe_u32 v5, v4, 16, 1
	v_cmp_o_f32_e32 vcc_lo, v4, v4
	v_add3_u32 v4, v4, v5, 0x7fff
	v_mov_b32_e32 v5, 0x7fc0
	v_cndmask_b32_sdwa v4, v5, v4, vcc_lo dst_sel:DWORD dst_unused:UNUSED_PAD src0_sel:DWORD src1_sel:WORD_1
	global_store_short v[0:1], v4, off offset:128
	s_or_b32 exec_lo, exec_lo, s2
	v_cmp_ne_u32_e32 vcc_lo, 1, v7
	s_and_b32 exec_lo, exec_lo, vcc_lo
	s_cbranch_execz .LBB314_12
.LBB314_15:
	s_waitcnt lgkmcnt(0)
	v_add_f32_e32 v2, v2, v3
	s_and_saveexec_b32 s2, s0
	s_cbranch_execz .LBB314_17
; %bb.16:
	v_fma_f32 v3, -v2, v14, v13
	v_mov_b32_e32 v5, 0x7fc0
	s_mov_b32 s11, 0
	s_lshl_b64 s[4:5], s[10:11], 1
	v_bfe_u32 v4, v3, 16, 1
	v_cmp_o_f32_e32 vcc_lo, v3, v3
	v_add3_u32 v3, v3, v4, 0x7fff
	v_cndmask_b32_sdwa v5, v5, v3, vcc_lo dst_sel:DWORD dst_unused:UNUSED_PAD src0_sel:DWORD src1_sel:WORD_1
	v_add_co_u32 v3, vcc_lo, v0, s4
	v_add_co_ci_u32_e64 v4, null, s5, v1, vcc_lo
	global_store_short v[3:4], v5, off
.LBB314_17:
	s_or_b32 exec_lo, exec_lo, s2
	s_and_b32 exec_lo, exec_lo, s1
	s_cbranch_execz .LBB314_12
; %bb.18:
	v_fma_f32 v2, -v2, v12, v6
	v_mov_b32_e32 v4, 0x7fc0
	s_mov_b32 s11, 0
	s_lshl_b64 s[0:1], s[10:11], 1
	v_bfe_u32 v3, v2, 16, 1
	v_cmp_o_f32_e32 vcc_lo, v2, v2
	v_add3_u32 v2, v2, v3, 0x7fff
	v_cndmask_b32_sdwa v2, v4, v2, vcc_lo dst_sel:DWORD dst_unused:UNUSED_PAD src0_sel:DWORD src1_sel:WORD_1
	v_add_co_u32 v0, vcc_lo, v0, s0
	v_add_co_ci_u32_e64 v1, null, s1, v1, vcc_lo
	global_store_short v[0:1], v2, off offset:128
	s_endpgm
	.section	.rodata,"a",@progbits
	.p2align	6, 0x0
	.amdhsa_kernel _ZN12_GLOBAL__N_121softmax_warp_backwardIN3c108BFloat16ES2_fLi7ELb1ELb0ELi64EEEvPT0_PKT_S7_iiiPKb
		.amdhsa_group_segment_fixed_size 0
		.amdhsa_private_segment_fixed_size 0
		.amdhsa_kernarg_size 304
		.amdhsa_user_sgpr_count 6
		.amdhsa_user_sgpr_private_segment_buffer 1
		.amdhsa_user_sgpr_dispatch_ptr 0
		.amdhsa_user_sgpr_queue_ptr 0
		.amdhsa_user_sgpr_kernarg_segment_ptr 1
		.amdhsa_user_sgpr_dispatch_id 0
		.amdhsa_user_sgpr_flat_scratch_init 0
		.amdhsa_user_sgpr_private_segment_size 0
		.amdhsa_wavefront_size32 1
		.amdhsa_uses_dynamic_stack 0
		.amdhsa_system_sgpr_private_segment_wavefront_offset 0
		.amdhsa_system_sgpr_workgroup_id_x 1
		.amdhsa_system_sgpr_workgroup_id_y 0
		.amdhsa_system_sgpr_workgroup_id_z 0
		.amdhsa_system_sgpr_workgroup_info 0
		.amdhsa_system_vgpr_workitem_id 1
		.amdhsa_next_free_vgpr 18
		.amdhsa_next_free_sgpr 16
		.amdhsa_reserve_vcc 1
		.amdhsa_reserve_flat_scratch 0
		.amdhsa_float_round_mode_32 0
		.amdhsa_float_round_mode_16_64 0
		.amdhsa_float_denorm_mode_32 3
		.amdhsa_float_denorm_mode_16_64 3
		.amdhsa_dx10_clamp 1
		.amdhsa_ieee_mode 1
		.amdhsa_fp16_overflow 0
		.amdhsa_workgroup_processor_mode 1
		.amdhsa_memory_ordered 1
		.amdhsa_forward_progress 1
		.amdhsa_shared_vgpr_count 0
		.amdhsa_exception_fp_ieee_invalid_op 0
		.amdhsa_exception_fp_denorm_src 0
		.amdhsa_exception_fp_ieee_div_zero 0
		.amdhsa_exception_fp_ieee_overflow 0
		.amdhsa_exception_fp_ieee_underflow 0
		.amdhsa_exception_fp_ieee_inexact 0
		.amdhsa_exception_int_div_zero 0
	.end_amdhsa_kernel
	.section	.text._ZN12_GLOBAL__N_121softmax_warp_backwardIN3c108BFloat16ES2_fLi7ELb1ELb0ELi64EEEvPT0_PKT_S7_iiiPKb,"axG",@progbits,_ZN12_GLOBAL__N_121softmax_warp_backwardIN3c108BFloat16ES2_fLi7ELb1ELb0ELi64EEEvPT0_PKT_S7_iiiPKb,comdat
.Lfunc_end314:
	.size	_ZN12_GLOBAL__N_121softmax_warp_backwardIN3c108BFloat16ES2_fLi7ELb1ELb0ELi64EEEvPT0_PKT_S7_iiiPKb, .Lfunc_end314-_ZN12_GLOBAL__N_121softmax_warp_backwardIN3c108BFloat16ES2_fLi7ELb1ELb0ELi64EEEvPT0_PKT_S7_iiiPKb
                                        ; -- End function
	.set _ZN12_GLOBAL__N_121softmax_warp_backwardIN3c108BFloat16ES2_fLi7ELb1ELb0ELi64EEEvPT0_PKT_S7_iiiPKb.num_vgpr, 18
	.set _ZN12_GLOBAL__N_121softmax_warp_backwardIN3c108BFloat16ES2_fLi7ELb1ELb0ELi64EEEvPT0_PKT_S7_iiiPKb.num_agpr, 0
	.set _ZN12_GLOBAL__N_121softmax_warp_backwardIN3c108BFloat16ES2_fLi7ELb1ELb0ELi64EEEvPT0_PKT_S7_iiiPKb.numbered_sgpr, 16
	.set _ZN12_GLOBAL__N_121softmax_warp_backwardIN3c108BFloat16ES2_fLi7ELb1ELb0ELi64EEEvPT0_PKT_S7_iiiPKb.num_named_barrier, 0
	.set _ZN12_GLOBAL__N_121softmax_warp_backwardIN3c108BFloat16ES2_fLi7ELb1ELb0ELi64EEEvPT0_PKT_S7_iiiPKb.private_seg_size, 0
	.set _ZN12_GLOBAL__N_121softmax_warp_backwardIN3c108BFloat16ES2_fLi7ELb1ELb0ELi64EEEvPT0_PKT_S7_iiiPKb.uses_vcc, 1
	.set _ZN12_GLOBAL__N_121softmax_warp_backwardIN3c108BFloat16ES2_fLi7ELb1ELb0ELi64EEEvPT0_PKT_S7_iiiPKb.uses_flat_scratch, 0
	.set _ZN12_GLOBAL__N_121softmax_warp_backwardIN3c108BFloat16ES2_fLi7ELb1ELb0ELi64EEEvPT0_PKT_S7_iiiPKb.has_dyn_sized_stack, 0
	.set _ZN12_GLOBAL__N_121softmax_warp_backwardIN3c108BFloat16ES2_fLi7ELb1ELb0ELi64EEEvPT0_PKT_S7_iiiPKb.has_recursion, 0
	.set _ZN12_GLOBAL__N_121softmax_warp_backwardIN3c108BFloat16ES2_fLi7ELb1ELb0ELi64EEEvPT0_PKT_S7_iiiPKb.has_indirect_call, 0
	.section	.AMDGPU.csdata,"",@progbits
; Kernel info:
; codeLenInByte = 1612
; TotalNumSgprs: 18
; NumVgprs: 18
; ScratchSize: 0
; MemoryBound: 0
; FloatMode: 240
; IeeeMode: 1
; LDSByteSize: 0 bytes/workgroup (compile time only)
; SGPRBlocks: 0
; VGPRBlocks: 2
; NumSGPRsForWavesPerEU: 18
; NumVGPRsForWavesPerEU: 18
; Occupancy: 16
; WaveLimiterHint : 0
; COMPUTE_PGM_RSRC2:SCRATCH_EN: 0
; COMPUTE_PGM_RSRC2:USER_SGPR: 6
; COMPUTE_PGM_RSRC2:TRAP_HANDLER: 0
; COMPUTE_PGM_RSRC2:TGID_X_EN: 1
; COMPUTE_PGM_RSRC2:TGID_Y_EN: 0
; COMPUTE_PGM_RSRC2:TGID_Z_EN: 0
; COMPUTE_PGM_RSRC2:TIDIG_COMP_CNT: 1
	.section	.text._ZN12_GLOBAL__N_121softmax_warp_backwardIN3c108BFloat16ES2_fLi7ELb1ELb0ELi32EEEvPT0_PKT_S7_iiiPKb,"axG",@progbits,_ZN12_GLOBAL__N_121softmax_warp_backwardIN3c108BFloat16ES2_fLi7ELb1ELb0ELi32EEEvPT0_PKT_S7_iiiPKb,comdat
	.globl	_ZN12_GLOBAL__N_121softmax_warp_backwardIN3c108BFloat16ES2_fLi7ELb1ELb0ELi32EEEvPT0_PKT_S7_iiiPKb ; -- Begin function _ZN12_GLOBAL__N_121softmax_warp_backwardIN3c108BFloat16ES2_fLi7ELb1ELb0ELi32EEEvPT0_PKT_S7_iiiPKb
	.p2align	8
	.type	_ZN12_GLOBAL__N_121softmax_warp_backwardIN3c108BFloat16ES2_fLi7ELb1ELb0ELi32EEEvPT0_PKT_S7_iiiPKb,@function
_ZN12_GLOBAL__N_121softmax_warp_backwardIN3c108BFloat16ES2_fLi7ELb1ELb0ELi32EEEvPT0_PKT_S7_iiiPKb: ; @_ZN12_GLOBAL__N_121softmax_warp_backwardIN3c108BFloat16ES2_fLi7ELb1ELb0ELi32EEEvPT0_PKT_S7_iiiPKb
; %bb.0:
	s_clause 0x1
	s_load_dword s0, s[4:5], 0x3c
	s_load_dwordx4 s[8:11], s[4:5], 0x18
	v_and_b32_e32 v6, 31, v0
	s_clause 0x1
	s_load_dwordx4 s[12:15], s[4:5], 0x0
	s_load_dwordx2 s[2:3], s[4:5], 0x10
	v_mov_b32_e32 v8, 1.0
	v_mov_b32_e32 v9, 0
	v_mov_b32_e32 v10, 0
	v_mov_b32_e32 v11, 1.0
	s_waitcnt lgkmcnt(0)
	s_lshr_b32 s0, s0, 16
	s_and_b32 s0, s0, 0xffff
	s_mul_i32 s6, s6, s0
	v_cmp_gt_i32_e64 s0, s10, v6
	v_add_lshl_u32 v2, s6, v1, 1
	v_mad_u64_u32 v[0:1], null, v2, s9, v[6:7]
	v_sub_nc_u32_e32 v7, s8, v2
	v_cmp_lt_i32_e32 vcc_lo, 0, v7
	v_ashrrev_i32_e32 v1, 31, v0
	v_lshlrev_b64 v[0:1], 1, v[0:1]
	v_add_co_u32 v2, s1, s14, v0
	v_add_co_ci_u32_e64 v3, null, s15, v1, s1
	v_add_co_u32 v4, s1, s2, v0
	v_add_co_ci_u32_e64 v5, null, s3, v1, s1
	s_and_b32 s1, vcc_lo, s0
	s_and_saveexec_b32 s2, s1
	s_cbranch_execz .LBB315_2
; %bb.1:
	global_load_ushort v10, v[4:5], off
	global_load_ushort v11, v[2:3], off
	s_waitcnt vmcnt(1)
	v_lshlrev_b32_e32 v12, 16, v10
	v_mul_f32_e32 v10, 0x3fb8aa3b, v12
	v_cmp_ngt_f32_e64 s1, 0xc2ce8ed0, v12
	v_fma_f32 v13, 0x3fb8aa3b, v12, -v10
	v_rndne_f32_e32 v14, v10
	v_fmamk_f32 v13, v12, 0x32a5705f, v13
	v_sub_f32_e32 v10, v10, v14
	v_add_f32_e32 v10, v10, v13
	v_cvt_i32_f32_e32 v13, v14
	v_exp_f32_e32 v10, v10
	v_ldexp_f32 v10, v10, v13
	v_cndmask_b32_e64 v13, 0, v10, s1
	v_cmp_nlt_f32_e64 s1, 0x42b17218, v12
	s_waitcnt vmcnt(0)
	v_lshlrev_b32_e32 v10, 16, v11
	v_cndmask_b32_e64 v11, 0x7f800000, v13, s1
.LBB315_2:
	s_or_b32 exec_lo, exec_lo, s2
	v_or_b32_e32 v12, 32, v6
	v_cmp_gt_i32_e64 s1, s10, v12
	s_and_b32 s2, vcc_lo, s1
	s_and_saveexec_b32 s3, s2
	s_cbranch_execz .LBB315_4
; %bb.3:
	global_load_ushort v8, v[4:5], off offset:64
	global_load_ushort v9, v[2:3], off offset:64
	s_waitcnt vmcnt(1)
	v_lshlrev_b32_e32 v8, 16, v8
	s_waitcnt vmcnt(0)
	v_lshlrev_b32_e32 v9, 16, v9
	v_mul_f32_e32 v12, 0x3fb8aa3b, v8
	v_cmp_ngt_f32_e64 s2, 0xc2ce8ed0, v8
	v_fma_f32 v13, 0x3fb8aa3b, v8, -v12
	v_rndne_f32_e32 v14, v12
	v_fmamk_f32 v13, v8, 0x32a5705f, v13
	v_sub_f32_e32 v12, v12, v14
	v_add_f32_e32 v12, v12, v13
	v_cvt_i32_f32_e32 v13, v14
	v_exp_f32_e32 v12, v12
	v_ldexp_f32 v12, v12, v13
	v_cndmask_b32_e64 v12, 0, v12, s2
	v_cmp_nlt_f32_e64 s2, 0x42b17218, v8
	v_cndmask_b32_e64 v8, 0x7f800000, v12, s2
.LBB315_4:
	s_or_b32 exec_lo, exec_lo, s3
	v_or_b32_e32 v12, 64, v6
	v_mov_b32_e32 v13, 1.0
	v_mov_b32_e32 v14, 0
	v_mov_b32_e32 v15, 1.0
	v_cmp_gt_i32_e64 s2, s10, v12
	v_mov_b32_e32 v12, 0
	s_and_b32 s3, vcc_lo, s2
	s_and_saveexec_b32 s4, s3
	s_cbranch_execz .LBB315_6
; %bb.5:
	global_load_ushort v14, v[4:5], off offset:128
	global_load_ushort v15, v[2:3], off offset:128
	s_waitcnt vmcnt(1)
	v_lshlrev_b32_e32 v16, 16, v14
	v_mul_f32_e32 v14, 0x3fb8aa3b, v16
	v_cmp_ngt_f32_e64 s3, 0xc2ce8ed0, v16
	v_fma_f32 v17, 0x3fb8aa3b, v16, -v14
	v_rndne_f32_e32 v18, v14
	v_fmamk_f32 v17, v16, 0x32a5705f, v17
	v_sub_f32_e32 v14, v14, v18
	v_add_f32_e32 v14, v14, v17
	v_cvt_i32_f32_e32 v17, v18
	v_exp_f32_e32 v14, v14
	v_ldexp_f32 v14, v14, v17
	v_cndmask_b32_e64 v17, 0, v14, s3
	v_cmp_nlt_f32_e64 s3, 0x42b17218, v16
	s_waitcnt vmcnt(0)
	v_lshlrev_b32_e32 v14, 16, v15
	v_cndmask_b32_e64 v15, 0x7f800000, v17, s3
.LBB315_6:
	s_or_b32 exec_lo, exec_lo, s4
	v_or_b32_e32 v6, 0x60, v6
	v_cmp_gt_i32_e64 s3, s10, v6
	s_and_b32 s4, vcc_lo, s3
	s_and_saveexec_b32 s5, s4
	s_cbranch_execz .LBB315_8
; %bb.7:
	global_load_ushort v6, v[4:5], off offset:192
	global_load_ushort v12, v[2:3], off offset:192
	s_waitcnt vmcnt(1)
	v_lshlrev_b32_e32 v6, 16, v6
	s_waitcnt vmcnt(0)
	v_lshlrev_b32_e32 v12, 16, v12
	v_mul_f32_e32 v13, 0x3fb8aa3b, v6
	v_cmp_ngt_f32_e64 s4, 0xc2ce8ed0, v6
	v_fma_f32 v16, 0x3fb8aa3b, v6, -v13
	v_rndne_f32_e32 v17, v13
	v_fmamk_f32 v16, v6, 0x32a5705f, v16
	v_sub_f32_e32 v13, v13, v17
	v_add_f32_e32 v13, v13, v16
	v_cvt_i32_f32_e32 v16, v17
	v_exp_f32_e32 v13, v13
	v_ldexp_f32 v13, v13, v16
	v_cndmask_b32_e64 v13, 0, v13, s4
	v_cmp_nlt_f32_e64 s4, 0x42b17218, v6
	v_cndmask_b32_e64 v13, 0x7f800000, v13, s4
.LBB315_8:
	s_or_b32 exec_lo, exec_lo, s5
	v_cmp_lt_i32_e64 s4, 1, v7
	v_mov_b32_e32 v16, 1.0
	v_mov_b32_e32 v6, 0
	v_mov_b32_e32 v17, 0
	v_mov_b32_e32 v18, 1.0
	s_and_b32 s5, s4, s0
	s_and_saveexec_b32 s6, s5
	s_cbranch_execz .LBB315_10
; %bb.9:
	s_mov_b32 s11, 0
	s_lshl_b64 s[8:9], s[10:11], 1
	v_add_co_u32 v17, s5, v4, s8
	v_add_co_ci_u32_e64 v18, null, s9, v5, s5
	global_load_ushort v19, v[17:18], off
	v_add_co_u32 v17, s5, v2, s8
	v_add_co_ci_u32_e64 v18, null, s9, v3, s5
	global_load_ushort v17, v[17:18], off
	s_waitcnt vmcnt(1)
	v_lshlrev_b32_e32 v18, 16, v19
	v_mul_f32_e32 v19, 0x3fb8aa3b, v18
	v_cmp_ngt_f32_e64 s5, 0xc2ce8ed0, v18
	s_waitcnt vmcnt(0)
	v_lshlrev_b32_e32 v17, 16, v17
	v_fma_f32 v20, 0x3fb8aa3b, v18, -v19
	v_rndne_f32_e32 v21, v19
	v_fmamk_f32 v20, v18, 0x32a5705f, v20
	v_sub_f32_e32 v19, v19, v21
	v_add_f32_e32 v19, v19, v20
	v_cvt_i32_f32_e32 v20, v21
	v_exp_f32_e32 v19, v19
	v_ldexp_f32 v19, v19, v20
	v_cndmask_b32_e64 v19, 0, v19, s5
	v_cmp_nlt_f32_e64 s5, 0x42b17218, v18
	v_cndmask_b32_e64 v18, 0x7f800000, v19, s5
.LBB315_10:
	s_or_b32 exec_lo, exec_lo, s6
	s_and_b32 s5, s4, s1
	s_and_saveexec_b32 s6, s5
	s_cbranch_execz .LBB315_12
; %bb.11:
	s_mov_b32 s11, 0
	s_lshl_b64 s[8:9], s[10:11], 1
	v_add_co_u32 v19, s5, v4, s8
	v_add_co_ci_u32_e64 v20, null, s9, v5, s5
	global_load_ushort v6, v[19:20], off offset:64
	v_add_co_u32 v19, s5, v2, s8
	v_add_co_ci_u32_e64 v20, null, s9, v3, s5
	global_load_ushort v16, v[19:20], off offset:64
	s_waitcnt vmcnt(1)
	v_lshlrev_b32_e32 v19, 16, v6
	v_mul_f32_e32 v6, 0x3fb8aa3b, v19
	v_cmp_ngt_f32_e64 s5, 0xc2ce8ed0, v19
	v_fma_f32 v20, 0x3fb8aa3b, v19, -v6
	v_rndne_f32_e32 v21, v6
	v_fmamk_f32 v20, v19, 0x32a5705f, v20
	v_sub_f32_e32 v6, v6, v21
	v_add_f32_e32 v6, v6, v20
	v_cvt_i32_f32_e32 v20, v21
	v_exp_f32_e32 v6, v6
	v_ldexp_f32 v6, v6, v20
	v_cndmask_b32_e64 v20, 0, v6, s5
	v_cmp_nlt_f32_e64 s5, 0x42b17218, v19
	s_waitcnt vmcnt(0)
	v_lshlrev_b32_e32 v6, 16, v16
	v_cndmask_b32_e64 v16, 0x7f800000, v20, s5
.LBB315_12:
	s_or_b32 exec_lo, exec_lo, s6
	v_mov_b32_e32 v20, 1.0
	v_mov_b32_e32 v19, 0
	v_mov_b32_e32 v21, 0
	v_mov_b32_e32 v22, 1.0
	s_and_b32 s5, s4, s2
	s_and_saveexec_b32 s6, s5
	s_cbranch_execz .LBB315_14
; %bb.13:
	s_mov_b32 s11, 0
	s_lshl_b64 s[8:9], s[10:11], 1
	v_add_co_u32 v21, s5, v4, s8
	v_add_co_ci_u32_e64 v22, null, s9, v5, s5
	global_load_ushort v23, v[21:22], off offset:128
	v_add_co_u32 v21, s5, v2, s8
	v_add_co_ci_u32_e64 v22, null, s9, v3, s5
	global_load_ushort v21, v[21:22], off offset:128
	s_waitcnt vmcnt(1)
	v_lshlrev_b32_e32 v22, 16, v23
	v_mul_f32_e32 v23, 0x3fb8aa3b, v22
	v_cmp_ngt_f32_e64 s5, 0xc2ce8ed0, v22
	s_waitcnt vmcnt(0)
	v_lshlrev_b32_e32 v21, 16, v21
	v_fma_f32 v24, 0x3fb8aa3b, v22, -v23
	v_rndne_f32_e32 v25, v23
	v_fmamk_f32 v24, v22, 0x32a5705f, v24
	v_sub_f32_e32 v23, v23, v25
	v_add_f32_e32 v23, v23, v24
	v_cvt_i32_f32_e32 v24, v25
	v_exp_f32_e32 v23, v23
	v_ldexp_f32 v23, v23, v24
	v_cndmask_b32_e64 v23, 0, v23, s5
	v_cmp_nlt_f32_e64 s5, 0x42b17218, v22
	v_cndmask_b32_e64 v22, 0x7f800000, v23, s5
.LBB315_14:
	s_or_b32 exec_lo, exec_lo, s6
	s_and_b32 s4, s4, s3
	s_and_saveexec_b32 s5, s4
	s_cbranch_execz .LBB315_16
; %bb.15:
	s_mov_b32 s11, 0
	s_lshl_b64 s[6:7], s[10:11], 1
	v_add_co_u32 v4, s4, v4, s6
	v_add_co_ci_u32_e64 v5, null, s7, v5, s4
	v_add_co_u32 v2, s4, v2, s6
	v_add_co_ci_u32_e64 v3, null, s7, v3, s4
	global_load_ushort v4, v[4:5], off offset:192
	global_load_ushort v2, v[2:3], off offset:192
	s_waitcnt vmcnt(1)
	v_lshlrev_b32_e32 v3, 16, v4
	v_mul_f32_e32 v4, 0x3fb8aa3b, v3
	v_cmp_ngt_f32_e64 s4, 0xc2ce8ed0, v3
	v_fma_f32 v5, 0x3fb8aa3b, v3, -v4
	v_rndne_f32_e32 v19, v4
	v_fmamk_f32 v5, v3, 0x32a5705f, v5
	v_sub_f32_e32 v4, v4, v19
	v_add_f32_e32 v4, v4, v5
	v_cvt_i32_f32_e32 v5, v19
	s_waitcnt vmcnt(0)
	v_lshlrev_b32_e32 v19, 16, v2
	v_exp_f32_e32 v4, v4
	v_ldexp_f32 v4, v4, v5
	v_cndmask_b32_e64 v4, 0, v4, s4
	v_cmp_nlt_f32_e64 s4, 0x42b17218, v3
	v_cndmask_b32_e64 v20, 0x7f800000, v4, s4
.LBB315_16:
	s_or_b32 exec_lo, exec_lo, s5
	v_mbcnt_lo_u32_b32 v3, -1, 0
	v_add_f32_e32 v2, 0, v10
	v_add_f32_e32 v4, 0, v17
	v_xor_b32_e32 v5, 16, v3
	v_add_f32_e32 v2, v2, v9
	v_add_f32_e32 v4, v4, v6
	v_xor_b32_e32 v24, 8, v3
	v_cmp_gt_i32_e64 s4, 32, v5
	v_add_f32_e32 v2, v2, v14
	v_add_f32_e32 v4, v4, v21
	v_cndmask_b32_e64 v5, v3, v5, s4
	v_add_f32_e32 v2, v2, v12
	v_add_f32_e32 v4, v4, v19
	v_cmp_gt_i32_e64 s4, 32, v24
	v_lshlrev_b32_e32 v5, 2, v5
	v_cndmask_b32_e64 v24, v3, v24, s4
	ds_bpermute_b32 v23, v5, v2
	ds_bpermute_b32 v5, v5, v4
	v_lshlrev_b32_e32 v24, 2, v24
	s_waitcnt lgkmcnt(1)
	v_add_f32_e32 v2, v2, v23
	s_waitcnt lgkmcnt(0)
	v_add_f32_e32 v4, v4, v5
	ds_bpermute_b32 v5, v24, v2
	ds_bpermute_b32 v23, v24, v4
	v_xor_b32_e32 v24, 4, v3
	v_cmp_gt_i32_e64 s4, 32, v24
	v_cndmask_b32_e64 v24, v3, v24, s4
	v_lshlrev_b32_e32 v24, 2, v24
	s_waitcnt lgkmcnt(1)
	v_add_f32_e32 v2, v2, v5
	s_waitcnt lgkmcnt(0)
	v_add_f32_e32 v4, v4, v23
	ds_bpermute_b32 v5, v24, v2
	ds_bpermute_b32 v23, v24, v4
	v_xor_b32_e32 v24, 2, v3
	v_cmp_gt_i32_e64 s4, 32, v24
	v_cndmask_b32_e64 v24, v3, v24, s4
	;; [unrolled: 10-line block ×3, first 2 shown]
	v_lshlrev_b32_e32 v3, 2, v3
	s_waitcnt lgkmcnt(1)
	v_add_f32_e32 v4, v2, v4
	s_waitcnt lgkmcnt(0)
	v_add_f32_e32 v2, v5, v23
	ds_bpermute_b32 v5, v3, v4
	ds_bpermute_b32 v3, v3, v2
	s_and_saveexec_b32 s4, vcc_lo
	s_cbranch_execz .LBB315_22
; %bb.17:
	v_add_co_u32 v0, vcc_lo, s12, v0
	v_add_co_ci_u32_e64 v1, null, s13, v1, vcc_lo
	s_waitcnt lgkmcnt(1)
	v_add_f32_e32 v4, v4, v5
	s_and_saveexec_b32 s4, s0
	s_cbranch_execnz .LBB315_23
; %bb.18:
	s_or_b32 exec_lo, exec_lo, s4
	s_and_saveexec_b32 s4, s1
	s_cbranch_execnz .LBB315_24
.LBB315_19:
	s_or_b32 exec_lo, exec_lo, s4
	s_and_saveexec_b32 s4, s2
	s_cbranch_execnz .LBB315_25
.LBB315_20:
	s_or_b32 exec_lo, exec_lo, s4
	s_and_saveexec_b32 s4, s3
	s_cbranch_execnz .LBB315_26
.LBB315_21:
	s_or_b32 exec_lo, exec_lo, s4
	v_cmp_ne_u32_e32 vcc_lo, 1, v7
	s_and_b32 exec_lo, exec_lo, vcc_lo
	s_cbranch_execnz .LBB315_27
.LBB315_22:
	s_endpgm
.LBB315_23:
	v_fma_f32 v5, -v4, v11, v10
	v_bfe_u32 v10, v5, 16, 1
	v_cmp_o_f32_e32 vcc_lo, v5, v5
	v_add3_u32 v5, v5, v10, 0x7fff
	v_mov_b32_e32 v10, 0x7fc0
	v_cndmask_b32_sdwa v5, v10, v5, vcc_lo dst_sel:DWORD dst_unused:UNUSED_PAD src0_sel:DWORD src1_sel:WORD_1
	global_store_short v[0:1], v5, off
	s_or_b32 exec_lo, exec_lo, s4
	s_and_saveexec_b32 s4, s1
	s_cbranch_execz .LBB315_19
.LBB315_24:
	v_fma_f32 v5, -v4, v8, v9
	v_bfe_u32 v8, v5, 16, 1
	v_cmp_o_f32_e32 vcc_lo, v5, v5
	v_add3_u32 v5, v5, v8, 0x7fff
	v_mov_b32_e32 v8, 0x7fc0
	v_cndmask_b32_sdwa v5, v8, v5, vcc_lo dst_sel:DWORD dst_unused:UNUSED_PAD src0_sel:DWORD src1_sel:WORD_1
	global_store_short v[0:1], v5, off offset:64
	s_or_b32 exec_lo, exec_lo, s4
	s_and_saveexec_b32 s4, s2
	s_cbranch_execz .LBB315_20
.LBB315_25:
	v_fma_f32 v5, -v4, v15, v14
	v_bfe_u32 v8, v5, 16, 1
	v_cmp_o_f32_e32 vcc_lo, v5, v5
	v_add3_u32 v5, v5, v8, 0x7fff
	v_mov_b32_e32 v8, 0x7fc0
	v_cndmask_b32_sdwa v5, v8, v5, vcc_lo dst_sel:DWORD dst_unused:UNUSED_PAD src0_sel:DWORD src1_sel:WORD_1
	global_store_short v[0:1], v5, off offset:128
	s_or_b32 exec_lo, exec_lo, s4
	s_and_saveexec_b32 s4, s3
	s_cbranch_execz .LBB315_21
.LBB315_26:
	v_fma_f32 v4, -v4, v13, v12
	v_bfe_u32 v5, v4, 16, 1
	v_cmp_o_f32_e32 vcc_lo, v4, v4
	v_add3_u32 v4, v4, v5, 0x7fff
	v_mov_b32_e32 v5, 0x7fc0
	v_cndmask_b32_sdwa v4, v5, v4, vcc_lo dst_sel:DWORD dst_unused:UNUSED_PAD src0_sel:DWORD src1_sel:WORD_1
	global_store_short v[0:1], v4, off offset:192
	s_or_b32 exec_lo, exec_lo, s4
	v_cmp_ne_u32_e32 vcc_lo, 1, v7
	s_and_b32 exec_lo, exec_lo, vcc_lo
	s_cbranch_execz .LBB315_22
.LBB315_27:
	s_waitcnt lgkmcnt(0)
	v_add_f32_e32 v2, v2, v3
	s_and_saveexec_b32 s4, s0
	s_cbranch_execnz .LBB315_31
; %bb.28:
	s_or_b32 exec_lo, exec_lo, s4
	s_and_saveexec_b32 s0, s1
	s_cbranch_execnz .LBB315_32
.LBB315_29:
	s_or_b32 exec_lo, exec_lo, s0
	s_and_saveexec_b32 s0, s2
	s_cbranch_execnz .LBB315_33
.LBB315_30:
	s_or_b32 exec_lo, exec_lo, s0
	s_and_b32 exec_lo, exec_lo, s3
	s_cbranch_execz .LBB315_22
	s_branch .LBB315_34
.LBB315_31:
	v_fma_f32 v3, -v2, v18, v17
	v_mov_b32_e32 v5, 0x7fc0
	s_mov_b32 s11, 0
	s_lshl_b64 s[6:7], s[10:11], 1
	v_bfe_u32 v4, v3, 16, 1
	v_cmp_o_f32_e32 vcc_lo, v3, v3
	v_add3_u32 v3, v3, v4, 0x7fff
	v_cndmask_b32_sdwa v5, v5, v3, vcc_lo dst_sel:DWORD dst_unused:UNUSED_PAD src0_sel:DWORD src1_sel:WORD_1
	v_add_co_u32 v3, vcc_lo, v0, s6
	v_add_co_ci_u32_e64 v4, null, s7, v1, vcc_lo
	global_store_short v[3:4], v5, off
	s_or_b32 exec_lo, exec_lo, s4
	s_and_saveexec_b32 s0, s1
	s_cbranch_execz .LBB315_29
.LBB315_32:
	v_fma_f32 v3, -v2, v16, v6
	v_mov_b32_e32 v5, 0x7fc0
	s_mov_b32 s11, 0
	s_lshl_b64 s[4:5], s[10:11], 1
	v_bfe_u32 v4, v3, 16, 1
	v_cmp_o_f32_e32 vcc_lo, v3, v3
	v_add3_u32 v3, v3, v4, 0x7fff
	v_cndmask_b32_sdwa v5, v5, v3, vcc_lo dst_sel:DWORD dst_unused:UNUSED_PAD src0_sel:DWORD src1_sel:WORD_1
	v_add_co_u32 v3, vcc_lo, v0, s4
	v_add_co_ci_u32_e64 v4, null, s5, v1, vcc_lo
	global_store_short v[3:4], v5, off offset:64
	s_or_b32 exec_lo, exec_lo, s0
	s_and_saveexec_b32 s0, s2
	s_cbranch_execz .LBB315_30
.LBB315_33:
	v_fma_f32 v3, -v2, v22, v21
	v_mov_b32_e32 v5, 0x7fc0
	s_mov_b32 s11, 0
	s_lshl_b64 s[4:5], s[10:11], 1
	v_bfe_u32 v4, v3, 16, 1
	v_cmp_o_f32_e32 vcc_lo, v3, v3
	v_add3_u32 v3, v3, v4, 0x7fff
	v_cndmask_b32_sdwa v5, v5, v3, vcc_lo dst_sel:DWORD dst_unused:UNUSED_PAD src0_sel:DWORD src1_sel:WORD_1
	v_add_co_u32 v3, vcc_lo, v0, s4
	v_add_co_ci_u32_e64 v4, null, s5, v1, vcc_lo
	global_store_short v[3:4], v5, off offset:128
	s_or_b32 exec_lo, exec_lo, s0
	s_and_b32 exec_lo, exec_lo, s3
	s_cbranch_execz .LBB315_22
.LBB315_34:
	v_fma_f32 v2, -v2, v20, v19
	v_mov_b32_e32 v4, 0x7fc0
	s_mov_b32 s11, 0
	s_lshl_b64 s[0:1], s[10:11], 1
	v_bfe_u32 v3, v2, 16, 1
	v_cmp_o_f32_e32 vcc_lo, v2, v2
	v_add3_u32 v2, v2, v3, 0x7fff
	v_cndmask_b32_sdwa v2, v4, v2, vcc_lo dst_sel:DWORD dst_unused:UNUSED_PAD src0_sel:DWORD src1_sel:WORD_1
	v_add_co_u32 v0, vcc_lo, v0, s0
	v_add_co_ci_u32_e64 v1, null, s1, v1, vcc_lo
	global_store_short v[0:1], v2, off offset:192
	s_endpgm
	.section	.rodata,"a",@progbits
	.p2align	6, 0x0
	.amdhsa_kernel _ZN12_GLOBAL__N_121softmax_warp_backwardIN3c108BFloat16ES2_fLi7ELb1ELb0ELi32EEEvPT0_PKT_S7_iiiPKb
		.amdhsa_group_segment_fixed_size 0
		.amdhsa_private_segment_fixed_size 0
		.amdhsa_kernarg_size 304
		.amdhsa_user_sgpr_count 6
		.amdhsa_user_sgpr_private_segment_buffer 1
		.amdhsa_user_sgpr_dispatch_ptr 0
		.amdhsa_user_sgpr_queue_ptr 0
		.amdhsa_user_sgpr_kernarg_segment_ptr 1
		.amdhsa_user_sgpr_dispatch_id 0
		.amdhsa_user_sgpr_flat_scratch_init 0
		.amdhsa_user_sgpr_private_segment_size 0
		.amdhsa_wavefront_size32 1
		.amdhsa_uses_dynamic_stack 0
		.amdhsa_system_sgpr_private_segment_wavefront_offset 0
		.amdhsa_system_sgpr_workgroup_id_x 1
		.amdhsa_system_sgpr_workgroup_id_y 0
		.amdhsa_system_sgpr_workgroup_id_z 0
		.amdhsa_system_sgpr_workgroup_info 0
		.amdhsa_system_vgpr_workitem_id 1
		.amdhsa_next_free_vgpr 26
		.amdhsa_next_free_sgpr 16
		.amdhsa_reserve_vcc 1
		.amdhsa_reserve_flat_scratch 0
		.amdhsa_float_round_mode_32 0
		.amdhsa_float_round_mode_16_64 0
		.amdhsa_float_denorm_mode_32 3
		.amdhsa_float_denorm_mode_16_64 3
		.amdhsa_dx10_clamp 1
		.amdhsa_ieee_mode 1
		.amdhsa_fp16_overflow 0
		.amdhsa_workgroup_processor_mode 1
		.amdhsa_memory_ordered 1
		.amdhsa_forward_progress 1
		.amdhsa_shared_vgpr_count 0
		.amdhsa_exception_fp_ieee_invalid_op 0
		.amdhsa_exception_fp_denorm_src 0
		.amdhsa_exception_fp_ieee_div_zero 0
		.amdhsa_exception_fp_ieee_overflow 0
		.amdhsa_exception_fp_ieee_underflow 0
		.amdhsa_exception_fp_ieee_inexact 0
		.amdhsa_exception_int_div_zero 0
	.end_amdhsa_kernel
	.section	.text._ZN12_GLOBAL__N_121softmax_warp_backwardIN3c108BFloat16ES2_fLi7ELb1ELb0ELi32EEEvPT0_PKT_S7_iiiPKb,"axG",@progbits,_ZN12_GLOBAL__N_121softmax_warp_backwardIN3c108BFloat16ES2_fLi7ELb1ELb0ELi32EEEvPT0_PKT_S7_iiiPKb,comdat
.Lfunc_end315:
	.size	_ZN12_GLOBAL__N_121softmax_warp_backwardIN3c108BFloat16ES2_fLi7ELb1ELb0ELi32EEEvPT0_PKT_S7_iiiPKb, .Lfunc_end315-_ZN12_GLOBAL__N_121softmax_warp_backwardIN3c108BFloat16ES2_fLi7ELb1ELb0ELi32EEEvPT0_PKT_S7_iiiPKb
                                        ; -- End function
	.set _ZN12_GLOBAL__N_121softmax_warp_backwardIN3c108BFloat16ES2_fLi7ELb1ELb0ELi32EEEvPT0_PKT_S7_iiiPKb.num_vgpr, 26
	.set _ZN12_GLOBAL__N_121softmax_warp_backwardIN3c108BFloat16ES2_fLi7ELb1ELb0ELi32EEEvPT0_PKT_S7_iiiPKb.num_agpr, 0
	.set _ZN12_GLOBAL__N_121softmax_warp_backwardIN3c108BFloat16ES2_fLi7ELb1ELb0ELi32EEEvPT0_PKT_S7_iiiPKb.numbered_sgpr, 16
	.set _ZN12_GLOBAL__N_121softmax_warp_backwardIN3c108BFloat16ES2_fLi7ELb1ELb0ELi32EEEvPT0_PKT_S7_iiiPKb.num_named_barrier, 0
	.set _ZN12_GLOBAL__N_121softmax_warp_backwardIN3c108BFloat16ES2_fLi7ELb1ELb0ELi32EEEvPT0_PKT_S7_iiiPKb.private_seg_size, 0
	.set _ZN12_GLOBAL__N_121softmax_warp_backwardIN3c108BFloat16ES2_fLi7ELb1ELb0ELi32EEEvPT0_PKT_S7_iiiPKb.uses_vcc, 1
	.set _ZN12_GLOBAL__N_121softmax_warp_backwardIN3c108BFloat16ES2_fLi7ELb1ELb0ELi32EEEvPT0_PKT_S7_iiiPKb.uses_flat_scratch, 0
	.set _ZN12_GLOBAL__N_121softmax_warp_backwardIN3c108BFloat16ES2_fLi7ELb1ELb0ELi32EEEvPT0_PKT_S7_iiiPKb.has_dyn_sized_stack, 0
	.set _ZN12_GLOBAL__N_121softmax_warp_backwardIN3c108BFloat16ES2_fLi7ELb1ELb0ELi32EEEvPT0_PKT_S7_iiiPKb.has_recursion, 0
	.set _ZN12_GLOBAL__N_121softmax_warp_backwardIN3c108BFloat16ES2_fLi7ELb1ELb0ELi32EEEvPT0_PKT_S7_iiiPKb.has_indirect_call, 0
	.section	.AMDGPU.csdata,"",@progbits
; Kernel info:
; codeLenInByte = 2688
; TotalNumSgprs: 18
; NumVgprs: 26
; ScratchSize: 0
; MemoryBound: 0
; FloatMode: 240
; IeeeMode: 1
; LDSByteSize: 0 bytes/workgroup (compile time only)
; SGPRBlocks: 0
; VGPRBlocks: 3
; NumSGPRsForWavesPerEU: 18
; NumVGPRsForWavesPerEU: 26
; Occupancy: 16
; WaveLimiterHint : 0
; COMPUTE_PGM_RSRC2:SCRATCH_EN: 0
; COMPUTE_PGM_RSRC2:USER_SGPR: 6
; COMPUTE_PGM_RSRC2:TRAP_HANDLER: 0
; COMPUTE_PGM_RSRC2:TGID_X_EN: 1
; COMPUTE_PGM_RSRC2:TGID_Y_EN: 0
; COMPUTE_PGM_RSRC2:TGID_Z_EN: 0
; COMPUTE_PGM_RSRC2:TIDIG_COMP_CNT: 1
	.section	.text._ZN12_GLOBAL__N_121softmax_warp_backwardIN3c108BFloat16ES2_fLi8ELb1ELb0ELi64EEEvPT0_PKT_S7_iiiPKb,"axG",@progbits,_ZN12_GLOBAL__N_121softmax_warp_backwardIN3c108BFloat16ES2_fLi8ELb1ELb0ELi64EEEvPT0_PKT_S7_iiiPKb,comdat
	.globl	_ZN12_GLOBAL__N_121softmax_warp_backwardIN3c108BFloat16ES2_fLi8ELb1ELb0ELi64EEEvPT0_PKT_S7_iiiPKb ; -- Begin function _ZN12_GLOBAL__N_121softmax_warp_backwardIN3c108BFloat16ES2_fLi8ELb1ELb0ELi64EEEvPT0_PKT_S7_iiiPKb
	.p2align	8
	.type	_ZN12_GLOBAL__N_121softmax_warp_backwardIN3c108BFloat16ES2_fLi8ELb1ELb0ELi64EEEvPT0_PKT_S7_iiiPKb,@function
_ZN12_GLOBAL__N_121softmax_warp_backwardIN3c108BFloat16ES2_fLi8ELb1ELb0ELi64EEEvPT0_PKT_S7_iiiPKb: ; @_ZN12_GLOBAL__N_121softmax_warp_backwardIN3c108BFloat16ES2_fLi8ELb1ELb0ELi64EEEvPT0_PKT_S7_iiiPKb
; %bb.0:
	s_clause 0x1
	s_load_dword s0, s[4:5], 0x3c
	s_load_dwordx4 s[12:15], s[4:5], 0x18
	v_and_b32_e32 v6, 63, v0
	s_clause 0x1
	s_load_dwordx4 s[8:11], s[4:5], 0x0
	s_load_dwordx2 s[4:5], s[4:5], 0x10
	v_mov_b32_e32 v8, 0
	s_waitcnt lgkmcnt(0)
	s_lshr_b32 s0, s0, 16
	v_cmp_gt_i32_e32 vcc_lo, s14, v6
	v_mad_u64_u32 v[1:2], null, s6, s0, v[1:2]
	v_mad_u64_u32 v[2:3], null, v1, s13, v[6:7]
	v_sub_nc_u32_e32 v10, s12, v1
	v_mov_b32_e32 v7, 0
	v_cmp_lt_i32_e64 s3, 0, v10
	v_ashrrev_i32_e32 v3, 31, v2
	s_and_b32 s1, s3, vcc_lo
	v_lshlrev_b64 v[0:1], 1, v[2:3]
	v_add_co_u32 v2, s0, s10, v0
	v_add_co_ci_u32_e64 v3, null, s11, v1, s0
	v_add_co_u32 v4, s0, s4, v0
	v_add_co_ci_u32_e64 v5, null, s5, v1, s0
	s_and_saveexec_b32 s0, s1
	s_cbranch_execz .LBB316_2
; %bb.1:
	global_load_ushort v7, v[2:3], off
	global_load_ushort v9, v[4:5], off
	s_waitcnt vmcnt(1)
	v_lshlrev_b32_e32 v8, 16, v7
	s_waitcnt vmcnt(0)
	v_lshlrev_b32_e32 v7, 16, v9
.LBB316_2:
	s_or_b32 exec_lo, exec_lo, s0
	v_or_b32_e32 v9, 64, v6
	v_cmp_gt_i32_e64 s0, s14, v9
	s_and_b32 s1, s3, s0
	s_xor_b32 s1, s1, -1
	s_and_saveexec_b32 s2, s1
	s_xor_b32 s1, exec_lo, s2
                                        ; implicit-def: $vgpr11
                                        ; implicit-def: $vgpr12
                                        ; implicit-def: $vgpr9
; %bb.3:
	s_mov_b32 s2, 0
                                        ; implicit-def: $vgpr11
                                        ; implicit-def: $vgpr9
	v_mov_b32_e32 v12, s2
; %bb.4:
	s_or_saveexec_b32 s2, s1
	v_mov_b32_e32 v13, 1.0
	s_xor_b32 exec_lo, exec_lo, s2
	s_cbranch_execz .LBB316_6
; %bb.5:
	global_load_ushort v12, v[4:5], off offset:128
	global_load_ushort v13, v[2:3], off offset:128
	s_waitcnt vmcnt(1)
	v_lshlrev_b32_e32 v14, 16, v12
	v_mul_f32_e32 v12, 0x3fb8aa3b, v14
	v_cmp_ngt_f32_e64 s1, 0xc2ce8ed0, v14
	v_fma_f32 v15, 0x3fb8aa3b, v14, -v12
	v_rndne_f32_e32 v16, v12
	v_fmamk_f32 v15, v14, 0x32a5705f, v15
	v_sub_f32_e32 v12, v12, v16
	v_add_f32_e32 v12, v12, v15
	v_cvt_i32_f32_e32 v15, v16
	v_exp_f32_e32 v12, v12
	v_ldexp_f32 v12, v12, v15
	v_cndmask_b32_e64 v15, 0, v12, s1
	v_cmp_nlt_f32_e64 s1, 0x42b17218, v14
	s_waitcnt vmcnt(0)
	v_lshlrev_b32_e32 v12, 16, v13
	v_cndmask_b32_e64 v13, 0x7f800000, v15, s1
.LBB316_6:
	s_or_b32 exec_lo, exec_lo, s2
	v_or_b32_e32 v14, 0x80, v6
	v_cmp_gt_i32_e64 s1, s14, v14
	s_and_b32 s2, s3, s1
	s_xor_b32 s2, s2, -1
	s_and_saveexec_b32 s4, s2
	s_xor_b32 s2, exec_lo, s4
; %bb.7:
	s_mov_b32 s4, 0
	v_mov_b32_e32 v11, s4
; %bb.8:
	s_or_saveexec_b32 s4, s2
	v_mov_b32_e32 v14, 1.0
	s_xor_b32 exec_lo, exec_lo, s4
	s_cbranch_execz .LBB316_10
; %bb.9:
	global_load_ushort v11, v[4:5], off offset:256
	global_load_ushort v14, v[2:3], off offset:256
	s_waitcnt vmcnt(1)
	v_lshlrev_b32_e32 v15, 16, v11
	v_mul_f32_e32 v11, 0x3fb8aa3b, v15
	v_cmp_ngt_f32_e64 s2, 0xc2ce8ed0, v15
	v_fma_f32 v16, 0x3fb8aa3b, v15, -v11
	v_rndne_f32_e32 v17, v11
	v_fmamk_f32 v16, v15, 0x32a5705f, v16
	v_sub_f32_e32 v11, v11, v17
	v_add_f32_e32 v11, v11, v16
	v_cvt_i32_f32_e32 v16, v17
	v_exp_f32_e32 v11, v11
	v_ldexp_f32 v11, v11, v16
	v_cndmask_b32_e64 v16, 0, v11, s2
	v_cmp_nlt_f32_e64 s2, 0x42b17218, v15
	s_waitcnt vmcnt(0)
	v_lshlrev_b32_e32 v11, 16, v14
	v_cndmask_b32_e64 v14, 0x7f800000, v16, s2
.LBB316_10:
	s_or_b32 exec_lo, exec_lo, s4
	v_or_b32_e32 v6, 0xc0, v6
	v_cmp_gt_i32_e64 s2, s14, v6
	s_and_b32 s3, s3, s2
	s_xor_b32 s3, s3, -1
	s_and_saveexec_b32 s4, s3
	s_xor_b32 s3, exec_lo, s4
; %bb.11:
	s_mov_b32 s4, 0
                                        ; implicit-def: $vgpr2_vgpr3
                                        ; implicit-def: $vgpr4_vgpr5
	v_mov_b32_e32 v9, s4
; %bb.12:
	s_or_saveexec_b32 s4, s3
	v_mov_b32_e32 v6, 1.0
	s_xor_b32 exec_lo, exec_lo, s4
	s_cbranch_execz .LBB316_14
; %bb.13:
	global_load_ushort v4, v[4:5], off offset:384
	global_load_ushort v2, v[2:3], off offset:384
	s_waitcnt vmcnt(1)
	v_lshlrev_b32_e32 v3, 16, v4
	s_waitcnt vmcnt(0)
	v_lshlrev_b32_e32 v9, 16, v2
	v_mul_f32_e32 v4, 0x3fb8aa3b, v3
	v_cmp_ngt_f32_e64 s3, 0xc2ce8ed0, v3
	v_fma_f32 v5, 0x3fb8aa3b, v3, -v4
	v_rndne_f32_e32 v6, v4
	v_fmamk_f32 v5, v3, 0x32a5705f, v5
	v_sub_f32_e32 v4, v4, v6
	v_add_f32_e32 v4, v4, v5
	v_cvt_i32_f32_e32 v5, v6
	v_exp_f32_e32 v4, v4
	v_ldexp_f32 v4, v4, v5
	v_cndmask_b32_e64 v4, 0, v4, s3
	v_cmp_nlt_f32_e64 s3, 0x42b17218, v3
	v_cndmask_b32_e64 v6, 0x7f800000, v4, s3
.LBB316_14:
	s_or_b32 exec_lo, exec_lo, s4
	v_mbcnt_lo_u32_b32 v3, -1, 0
	v_add_f32_e32 v2, 0, v8
	s_mov_b32 s4, exec_lo
	v_or_b32_e32 v4, 32, v3
	v_add_f32_e32 v2, v2, v12
	v_xor_b32_e32 v5, 16, v3
	v_cmp_gt_i32_e64 s3, 64, v4
	v_add_f32_e32 v2, v2, v11
	v_cndmask_b32_e64 v4, v3, v4, s3
	v_add_f32_e32 v2, v2, v9
	v_cmp_gt_i32_e64 s3, 64, v5
	v_lshlrev_b32_e32 v4, 2, v4
	v_cndmask_b32_e64 v5, v3, v5, s3
	ds_bpermute_b32 v4, v4, v2
	v_lshlrev_b32_e32 v5, 2, v5
	s_waitcnt lgkmcnt(0)
	v_add_f32_e32 v2, v2, v4
	ds_bpermute_b32 v4, v5, v2
	v_xor_b32_e32 v5, 8, v3
	v_cmp_gt_i32_e64 s3, 64, v5
	v_cndmask_b32_e64 v5, v3, v5, s3
	v_lshlrev_b32_e32 v5, 2, v5
	s_waitcnt lgkmcnt(0)
	v_add_f32_e32 v2, v2, v4
	ds_bpermute_b32 v4, v5, v2
	v_xor_b32_e32 v5, 4, v3
	v_cmp_gt_i32_e64 s3, 64, v5
	v_cndmask_b32_e64 v5, v3, v5, s3
	;; [unrolled: 7-line block ×4, first 2 shown]
	v_lshlrev_b32_e32 v3, 2, v3
	s_waitcnt lgkmcnt(0)
	v_add_f32_e32 v2, v2, v4
	ds_bpermute_b32 v3, v3, v2
	v_cmpx_lt_i32_e32 0, v10
	s_cbranch_execz .LBB316_20
; %bb.15:
	v_add_co_u32 v0, s3, s8, v0
	v_add_co_ci_u32_e64 v1, null, s9, v1, s3
	s_waitcnt lgkmcnt(0)
	v_add_f32_e32 v2, v2, v3
	s_and_saveexec_b32 s3, vcc_lo
	s_cbranch_execnz .LBB316_21
; %bb.16:
	s_or_b32 exec_lo, exec_lo, s3
	s_and_saveexec_b32 s3, s0
	s_cbranch_execnz .LBB316_22
.LBB316_17:
	s_or_b32 exec_lo, exec_lo, s3
	s_and_saveexec_b32 s0, s1
	s_cbranch_execnz .LBB316_23
.LBB316_18:
	s_or_b32 exec_lo, exec_lo, s0
	s_and_b32 exec_lo, exec_lo, s2
	s_cbranch_execz .LBB316_20
.LBB316_19:
	v_fma_f32 v2, -v2, v6, v9
	v_bfe_u32 v3, v2, 16, 1
	v_cmp_o_f32_e32 vcc_lo, v2, v2
	v_add3_u32 v2, v2, v3, 0x7fff
	v_mov_b32_e32 v3, 0x7fc0
	v_cndmask_b32_sdwa v2, v3, v2, vcc_lo dst_sel:DWORD dst_unused:UNUSED_PAD src0_sel:DWORD src1_sel:WORD_1
	global_store_short v[0:1], v2, off offset:384
.LBB316_20:
	s_endpgm
.LBB316_21:
	v_mul_f32_e32 v3, 0x3fb8aa3b, v7
	v_cmp_ngt_f32_e32 vcc_lo, 0xc2ce8ed0, v7
	v_rndne_f32_e32 v4, v3
	v_fma_f32 v5, 0x3fb8aa3b, v7, -v3
	v_sub_f32_e32 v3, v3, v4
	v_fmamk_f32 v5, v7, 0x32a5705f, v5
	v_cvt_i32_f32_e32 v4, v4
	v_add_f32_e32 v3, v3, v5
	v_exp_f32_e32 v3, v3
	v_ldexp_f32 v3, v3, v4
	v_cndmask_b32_e32 v3, 0, v3, vcc_lo
	v_cmp_nlt_f32_e32 vcc_lo, 0x42b17218, v7
	v_cndmask_b32_e32 v3, 0x7f800000, v3, vcc_lo
	v_fma_f32 v3, -v2, v3, v8
	v_bfe_u32 v4, v3, 16, 1
	v_cmp_o_f32_e32 vcc_lo, v3, v3
	v_add3_u32 v3, v3, v4, 0x7fff
	v_mov_b32_e32 v4, 0x7fc0
	v_cndmask_b32_sdwa v3, v4, v3, vcc_lo dst_sel:DWORD dst_unused:UNUSED_PAD src0_sel:DWORD src1_sel:WORD_1
	global_store_short v[0:1], v3, off
	s_or_b32 exec_lo, exec_lo, s3
	s_and_saveexec_b32 s3, s0
	s_cbranch_execz .LBB316_17
.LBB316_22:
	v_fma_f32 v3, -v2, v13, v12
	v_bfe_u32 v4, v3, 16, 1
	v_cmp_o_f32_e32 vcc_lo, v3, v3
	v_add3_u32 v3, v3, v4, 0x7fff
	v_mov_b32_e32 v4, 0x7fc0
	v_cndmask_b32_sdwa v3, v4, v3, vcc_lo dst_sel:DWORD dst_unused:UNUSED_PAD src0_sel:DWORD src1_sel:WORD_1
	global_store_short v[0:1], v3, off offset:128
	s_or_b32 exec_lo, exec_lo, s3
	s_and_saveexec_b32 s0, s1
	s_cbranch_execz .LBB316_18
.LBB316_23:
	v_fma_f32 v3, -v2, v14, v11
	v_bfe_u32 v4, v3, 16, 1
	v_cmp_o_f32_e32 vcc_lo, v3, v3
	v_add3_u32 v3, v3, v4, 0x7fff
	v_mov_b32_e32 v4, 0x7fc0
	v_cndmask_b32_sdwa v3, v4, v3, vcc_lo dst_sel:DWORD dst_unused:UNUSED_PAD src0_sel:DWORD src1_sel:WORD_1
	global_store_short v[0:1], v3, off offset:256
	s_or_b32 exec_lo, exec_lo, s0
	s_and_b32 exec_lo, exec_lo, s2
	s_cbranch_execnz .LBB316_19
	s_branch .LBB316_20
	.section	.rodata,"a",@progbits
	.p2align	6, 0x0
	.amdhsa_kernel _ZN12_GLOBAL__N_121softmax_warp_backwardIN3c108BFloat16ES2_fLi8ELb1ELb0ELi64EEEvPT0_PKT_S7_iiiPKb
		.amdhsa_group_segment_fixed_size 0
		.amdhsa_private_segment_fixed_size 0
		.amdhsa_kernarg_size 304
		.amdhsa_user_sgpr_count 6
		.amdhsa_user_sgpr_private_segment_buffer 1
		.amdhsa_user_sgpr_dispatch_ptr 0
		.amdhsa_user_sgpr_queue_ptr 0
		.amdhsa_user_sgpr_kernarg_segment_ptr 1
		.amdhsa_user_sgpr_dispatch_id 0
		.amdhsa_user_sgpr_flat_scratch_init 0
		.amdhsa_user_sgpr_private_segment_size 0
		.amdhsa_wavefront_size32 1
		.amdhsa_uses_dynamic_stack 0
		.amdhsa_system_sgpr_private_segment_wavefront_offset 0
		.amdhsa_system_sgpr_workgroup_id_x 1
		.amdhsa_system_sgpr_workgroup_id_y 0
		.amdhsa_system_sgpr_workgroup_id_z 0
		.amdhsa_system_sgpr_workgroup_info 0
		.amdhsa_system_vgpr_workitem_id 1
		.amdhsa_next_free_vgpr 18
		.amdhsa_next_free_sgpr 16
		.amdhsa_reserve_vcc 1
		.amdhsa_reserve_flat_scratch 0
		.amdhsa_float_round_mode_32 0
		.amdhsa_float_round_mode_16_64 0
		.amdhsa_float_denorm_mode_32 3
		.amdhsa_float_denorm_mode_16_64 3
		.amdhsa_dx10_clamp 1
		.amdhsa_ieee_mode 1
		.amdhsa_fp16_overflow 0
		.amdhsa_workgroup_processor_mode 1
		.amdhsa_memory_ordered 1
		.amdhsa_forward_progress 1
		.amdhsa_shared_vgpr_count 0
		.amdhsa_exception_fp_ieee_invalid_op 0
		.amdhsa_exception_fp_denorm_src 0
		.amdhsa_exception_fp_ieee_div_zero 0
		.amdhsa_exception_fp_ieee_overflow 0
		.amdhsa_exception_fp_ieee_underflow 0
		.amdhsa_exception_fp_ieee_inexact 0
		.amdhsa_exception_int_div_zero 0
	.end_amdhsa_kernel
	.section	.text._ZN12_GLOBAL__N_121softmax_warp_backwardIN3c108BFloat16ES2_fLi8ELb1ELb0ELi64EEEvPT0_PKT_S7_iiiPKb,"axG",@progbits,_ZN12_GLOBAL__N_121softmax_warp_backwardIN3c108BFloat16ES2_fLi8ELb1ELb0ELi64EEEvPT0_PKT_S7_iiiPKb,comdat
.Lfunc_end316:
	.size	_ZN12_GLOBAL__N_121softmax_warp_backwardIN3c108BFloat16ES2_fLi8ELb1ELb0ELi64EEEvPT0_PKT_S7_iiiPKb, .Lfunc_end316-_ZN12_GLOBAL__N_121softmax_warp_backwardIN3c108BFloat16ES2_fLi8ELb1ELb0ELi64EEEvPT0_PKT_S7_iiiPKb
                                        ; -- End function
	.set _ZN12_GLOBAL__N_121softmax_warp_backwardIN3c108BFloat16ES2_fLi8ELb1ELb0ELi64EEEvPT0_PKT_S7_iiiPKb.num_vgpr, 18
	.set _ZN12_GLOBAL__N_121softmax_warp_backwardIN3c108BFloat16ES2_fLi8ELb1ELb0ELi64EEEvPT0_PKT_S7_iiiPKb.num_agpr, 0
	.set _ZN12_GLOBAL__N_121softmax_warp_backwardIN3c108BFloat16ES2_fLi8ELb1ELb0ELi64EEEvPT0_PKT_S7_iiiPKb.numbered_sgpr, 16
	.set _ZN12_GLOBAL__N_121softmax_warp_backwardIN3c108BFloat16ES2_fLi8ELb1ELb0ELi64EEEvPT0_PKT_S7_iiiPKb.num_named_barrier, 0
	.set _ZN12_GLOBAL__N_121softmax_warp_backwardIN3c108BFloat16ES2_fLi8ELb1ELb0ELi64EEEvPT0_PKT_S7_iiiPKb.private_seg_size, 0
	.set _ZN12_GLOBAL__N_121softmax_warp_backwardIN3c108BFloat16ES2_fLi8ELb1ELb0ELi64EEEvPT0_PKT_S7_iiiPKb.uses_vcc, 1
	.set _ZN12_GLOBAL__N_121softmax_warp_backwardIN3c108BFloat16ES2_fLi8ELb1ELb0ELi64EEEvPT0_PKT_S7_iiiPKb.uses_flat_scratch, 0
	.set _ZN12_GLOBAL__N_121softmax_warp_backwardIN3c108BFloat16ES2_fLi8ELb1ELb0ELi64EEEvPT0_PKT_S7_iiiPKb.has_dyn_sized_stack, 0
	.set _ZN12_GLOBAL__N_121softmax_warp_backwardIN3c108BFloat16ES2_fLi8ELb1ELb0ELi64EEEvPT0_PKT_S7_iiiPKb.has_recursion, 0
	.set _ZN12_GLOBAL__N_121softmax_warp_backwardIN3c108BFloat16ES2_fLi8ELb1ELb0ELi64EEEvPT0_PKT_S7_iiiPKb.has_indirect_call, 0
	.section	.AMDGPU.csdata,"",@progbits
; Kernel info:
; codeLenInByte = 1444
; TotalNumSgprs: 18
; NumVgprs: 18
; ScratchSize: 0
; MemoryBound: 0
; FloatMode: 240
; IeeeMode: 1
; LDSByteSize: 0 bytes/workgroup (compile time only)
; SGPRBlocks: 0
; VGPRBlocks: 2
; NumSGPRsForWavesPerEU: 18
; NumVGPRsForWavesPerEU: 18
; Occupancy: 16
; WaveLimiterHint : 0
; COMPUTE_PGM_RSRC2:SCRATCH_EN: 0
; COMPUTE_PGM_RSRC2:USER_SGPR: 6
; COMPUTE_PGM_RSRC2:TRAP_HANDLER: 0
; COMPUTE_PGM_RSRC2:TGID_X_EN: 1
; COMPUTE_PGM_RSRC2:TGID_Y_EN: 0
; COMPUTE_PGM_RSRC2:TGID_Z_EN: 0
; COMPUTE_PGM_RSRC2:TIDIG_COMP_CNT: 1
	.section	.text._ZN12_GLOBAL__N_121softmax_warp_backwardIN3c108BFloat16ES2_fLi8ELb1ELb0ELi32EEEvPT0_PKT_S7_iiiPKb,"axG",@progbits,_ZN12_GLOBAL__N_121softmax_warp_backwardIN3c108BFloat16ES2_fLi8ELb1ELb0ELi32EEEvPT0_PKT_S7_iiiPKb,comdat
	.globl	_ZN12_GLOBAL__N_121softmax_warp_backwardIN3c108BFloat16ES2_fLi8ELb1ELb0ELi32EEEvPT0_PKT_S7_iiiPKb ; -- Begin function _ZN12_GLOBAL__N_121softmax_warp_backwardIN3c108BFloat16ES2_fLi8ELb1ELb0ELi32EEEvPT0_PKT_S7_iiiPKb
	.p2align	8
	.type	_ZN12_GLOBAL__N_121softmax_warp_backwardIN3c108BFloat16ES2_fLi8ELb1ELb0ELi32EEEvPT0_PKT_S7_iiiPKb,@function
_ZN12_GLOBAL__N_121softmax_warp_backwardIN3c108BFloat16ES2_fLi8ELb1ELb0ELi32EEEvPT0_PKT_S7_iiiPKb: ; @_ZN12_GLOBAL__N_121softmax_warp_backwardIN3c108BFloat16ES2_fLi8ELb1ELb0ELi32EEEvPT0_PKT_S7_iiiPKb
; %bb.0:
	s_clause 0x1
	s_load_dword s0, s[4:5], 0x3c
	s_load_dwordx4 s[12:15], s[4:5], 0x18
	v_and_b32_e32 v6, 31, v0
	s_clause 0x1
	s_load_dwordx4 s[8:11], s[4:5], 0x0
	s_load_dwordx2 s[4:5], s[4:5], 0x10
	v_mov_b32_e32 v11, 0
	v_mov_b32_e32 v12, 0
	s_waitcnt lgkmcnt(0)
	s_lshr_b32 s0, s0, 16
	v_cmp_gt_i32_e32 vcc_lo, s14, v6
	v_mad_u64_u32 v[1:2], null, s6, s0, v[1:2]
	v_mad_u64_u32 v[2:3], null, v1, s13, v[6:7]
	v_sub_nc_u32_e32 v14, s12, v1
	v_cmp_lt_i32_e64 s3, 0, v14
	v_ashrrev_i32_e32 v3, 31, v2
	s_and_b32 s1, s3, vcc_lo
	v_lshlrev_b64 v[0:1], 1, v[2:3]
	v_add_co_u32 v2, s0, s10, v0
	v_add_co_ci_u32_e64 v3, null, s11, v1, s0
	v_add_co_u32 v4, s0, s4, v0
	v_add_co_ci_u32_e64 v5, null, s5, v1, s0
	s_and_saveexec_b32 s0, s1
	s_cbranch_execz .LBB317_2
; %bb.1:
	global_load_ushort v7, v[2:3], off
	global_load_ushort v8, v[4:5], off
	s_waitcnt vmcnt(1)
	v_lshlrev_b32_e32 v12, 16, v7
	s_waitcnt vmcnt(0)
	v_lshlrev_b32_e32 v11, 16, v8
.LBB317_2:
	s_or_b32 exec_lo, exec_lo, s0
	v_or_b32_e32 v7, 32, v6
	v_cmp_gt_i32_e64 s0, s14, v7
	s_and_b32 s1, s3, s0
	s_xor_b32 s1, s1, -1
	s_and_saveexec_b32 s2, s1
	s_xor_b32 s1, exec_lo, s2
                                        ; implicit-def: $vgpr8
                                        ; implicit-def: $vgpr9
                                        ; implicit-def: $vgpr10
                                        ; implicit-def: $vgpr13
                                        ; implicit-def: $vgpr15
                                        ; implicit-def: $vgpr16
                                        ; implicit-def: $vgpr7
; %bb.3:
	s_mov_b32 s2, 0
                                        ; implicit-def: $vgpr8
                                        ; implicit-def: $vgpr9
                                        ; implicit-def: $vgpr10
                                        ; implicit-def: $vgpr13
                                        ; implicit-def: $vgpr15
                                        ; implicit-def: $vgpr7
	v_mov_b32_e32 v16, s2
; %bb.4:
	s_or_saveexec_b32 s2, s1
	v_mov_b32_e32 v17, 1.0
	s_xor_b32 exec_lo, exec_lo, s2
	s_cbranch_execz .LBB317_6
; %bb.5:
	global_load_ushort v16, v[4:5], off offset:64
	global_load_ushort v17, v[2:3], off offset:64
	s_waitcnt vmcnt(1)
	v_lshlrev_b32_e32 v18, 16, v16
	v_mul_f32_e32 v16, 0x3fb8aa3b, v18
	v_cmp_ngt_f32_e64 s1, 0xc2ce8ed0, v18
	v_fma_f32 v19, 0x3fb8aa3b, v18, -v16
	v_rndne_f32_e32 v20, v16
	v_fmamk_f32 v19, v18, 0x32a5705f, v19
	v_sub_f32_e32 v16, v16, v20
	v_add_f32_e32 v16, v16, v19
	v_cvt_i32_f32_e32 v19, v20
	v_exp_f32_e32 v16, v16
	v_ldexp_f32 v16, v16, v19
	v_cndmask_b32_e64 v19, 0, v16, s1
	v_cmp_nlt_f32_e64 s1, 0x42b17218, v18
	s_waitcnt vmcnt(0)
	v_lshlrev_b32_e32 v16, 16, v17
	v_cndmask_b32_e64 v17, 0x7f800000, v19, s1
.LBB317_6:
	s_or_b32 exec_lo, exec_lo, s2
	v_or_b32_e32 v18, 64, v6
	v_cmp_gt_i32_e64 s1, s14, v18
	s_and_b32 s2, s3, s1
	s_xor_b32 s2, s2, -1
	s_and_saveexec_b32 s4, s2
	s_xor_b32 s2, exec_lo, s4
; %bb.7:
	s_mov_b32 s4, 0
	v_mov_b32_e32 v15, s4
; %bb.8:
	s_or_saveexec_b32 s4, s2
	v_mov_b32_e32 v18, 1.0
	s_xor_b32 exec_lo, exec_lo, s4
	s_cbranch_execz .LBB317_10
; %bb.9:
	global_load_ushort v15, v[4:5], off offset:128
	global_load_ushort v18, v[2:3], off offset:128
	s_waitcnt vmcnt(1)
	v_lshlrev_b32_e32 v19, 16, v15
	v_mul_f32_e32 v15, 0x3fb8aa3b, v19
	v_cmp_ngt_f32_e64 s2, 0xc2ce8ed0, v19
	v_fma_f32 v20, 0x3fb8aa3b, v19, -v15
	v_rndne_f32_e32 v21, v15
	v_fmamk_f32 v20, v19, 0x32a5705f, v20
	v_sub_f32_e32 v15, v15, v21
	v_add_f32_e32 v15, v15, v20
	v_cvt_i32_f32_e32 v20, v21
	v_exp_f32_e32 v15, v15
	v_ldexp_f32 v15, v15, v20
	v_cndmask_b32_e64 v20, 0, v15, s2
	v_cmp_nlt_f32_e64 s2, 0x42b17218, v19
	s_waitcnt vmcnt(0)
	v_lshlrev_b32_e32 v15, 16, v18
	v_cndmask_b32_e64 v18, 0x7f800000, v20, s2
.LBB317_10:
	s_or_b32 exec_lo, exec_lo, s4
	v_or_b32_e32 v19, 0x60, v6
	v_cmp_gt_i32_e64 s2, s14, v19
	s_and_b32 s4, s3, s2
	s_xor_b32 s4, s4, -1
	s_and_saveexec_b32 s5, s4
	s_xor_b32 s4, exec_lo, s5
; %bb.11:
	s_mov_b32 s5, 0
	;; [unrolled: 36-line block ×6, first 2 shown]
                                        ; implicit-def: $vgpr2_vgpr3
                                        ; implicit-def: $vgpr4_vgpr5
	v_mov_b32_e32 v7, s10
; %bb.28:
	s_or_saveexec_b32 s10, s3
	v_mov_b32_e32 v6, 1.0
	s_xor_b32 exec_lo, exec_lo, s10
	s_cbranch_execz .LBB317_30
; %bb.29:
	global_load_ushort v4, v[4:5], off offset:448
	global_load_ushort v2, v[2:3], off offset:448
	s_waitcnt vmcnt(1)
	v_lshlrev_b32_e32 v3, 16, v4
	s_waitcnt vmcnt(0)
	v_lshlrev_b32_e32 v7, 16, v2
	v_mul_f32_e32 v4, 0x3fb8aa3b, v3
	v_cmp_ngt_f32_e64 s3, 0xc2ce8ed0, v3
	v_fma_f32 v5, 0x3fb8aa3b, v3, -v4
	v_rndne_f32_e32 v6, v4
	v_fmamk_f32 v5, v3, 0x32a5705f, v5
	v_sub_f32_e32 v4, v4, v6
	v_add_f32_e32 v4, v4, v5
	v_cvt_i32_f32_e32 v5, v6
	v_exp_f32_e32 v4, v4
	v_ldexp_f32 v4, v4, v5
	v_cndmask_b32_e64 v4, 0, v4, s3
	v_cmp_nlt_f32_e64 s3, 0x42b17218, v3
	v_cndmask_b32_e64 v6, 0x7f800000, v4, s3
.LBB317_30:
	s_or_b32 exec_lo, exec_lo, s10
	v_add_f32_e32 v2, 0, v12
	v_mbcnt_lo_u32_b32 v3, -1, 0
	s_mov_b32 s10, exec_lo
	v_add_f32_e32 v2, v2, v16
	v_xor_b32_e32 v4, 16, v3
	v_xor_b32_e32 v5, 8, v3
	v_add_f32_e32 v2, v2, v15
	v_cmp_gt_i32_e64 s3, 32, v4
	v_add_f32_e32 v2, v2, v13
	v_cndmask_b32_e64 v4, v3, v4, s3
	v_cmp_gt_i32_e64 s3, 32, v5
	v_add_f32_e32 v2, v2, v10
	v_lshlrev_b32_e32 v4, 2, v4
	v_cndmask_b32_e64 v5, v3, v5, s3
	v_add_f32_e32 v2, v2, v9
	v_lshlrev_b32_e32 v5, 2, v5
	v_add_f32_e32 v2, v2, v8
	v_add_f32_e32 v2, v2, v7
	ds_bpermute_b32 v4, v4, v2
	s_waitcnt lgkmcnt(0)
	v_add_f32_e32 v2, v2, v4
	ds_bpermute_b32 v4, v5, v2
	v_xor_b32_e32 v5, 4, v3
	v_cmp_gt_i32_e64 s3, 32, v5
	v_cndmask_b32_e64 v5, v3, v5, s3
	v_lshlrev_b32_e32 v5, 2, v5
	s_waitcnt lgkmcnt(0)
	v_add_f32_e32 v2, v2, v4
	ds_bpermute_b32 v4, v5, v2
	v_xor_b32_e32 v5, 2, v3
	v_cmp_gt_i32_e64 s3, 32, v5
	v_cndmask_b32_e64 v5, v3, v5, s3
	v_lshlrev_b32_e32 v5, 2, v5
	;; [unrolled: 7-line block ×3, first 2 shown]
	s_waitcnt lgkmcnt(0)
	v_add_f32_e32 v2, v2, v4
	ds_bpermute_b32 v3, v3, v2
	v_cmpx_lt_i32_e32 0, v14
	s_cbranch_execz .LBB317_40
; %bb.31:
	v_add_co_u32 v0, s3, s8, v0
	v_add_co_ci_u32_e64 v1, null, s9, v1, s3
	s_waitcnt lgkmcnt(0)
	v_add_f32_e32 v2, v2, v3
	s_and_saveexec_b32 s3, vcc_lo
	s_cbranch_execnz .LBB317_41
; %bb.32:
	s_or_b32 exec_lo, exec_lo, s3
	s_and_saveexec_b32 s3, s0
	s_cbranch_execnz .LBB317_42
.LBB317_33:
	s_or_b32 exec_lo, exec_lo, s3
	s_and_saveexec_b32 s0, s1
	s_cbranch_execnz .LBB317_43
.LBB317_34:
	s_or_b32 exec_lo, exec_lo, s0
	s_and_saveexec_b32 s0, s2
	s_cbranch_execnz .LBB317_44
.LBB317_35:
	s_or_b32 exec_lo, exec_lo, s0
	s_and_saveexec_b32 s0, s4
	s_cbranch_execnz .LBB317_45
.LBB317_36:
	s_or_b32 exec_lo, exec_lo, s0
	s_and_saveexec_b32 s0, s5
	s_cbranch_execnz .LBB317_46
.LBB317_37:
	s_or_b32 exec_lo, exec_lo, s0
	s_and_saveexec_b32 s0, s6
	s_cbranch_execnz .LBB317_47
.LBB317_38:
	s_or_b32 exec_lo, exec_lo, s0
	s_and_b32 exec_lo, exec_lo, s7
	s_cbranch_execz .LBB317_40
.LBB317_39:
	v_fma_f32 v2, -v2, v6, v7
	v_bfe_u32 v3, v2, 16, 1
	v_cmp_o_f32_e32 vcc_lo, v2, v2
	v_add3_u32 v2, v2, v3, 0x7fff
	v_mov_b32_e32 v3, 0x7fc0
	v_cndmask_b32_sdwa v2, v3, v2, vcc_lo dst_sel:DWORD dst_unused:UNUSED_PAD src0_sel:DWORD src1_sel:WORD_1
	global_store_short v[0:1], v2, off offset:448
.LBB317_40:
	s_endpgm
.LBB317_41:
	v_mul_f32_e32 v3, 0x3fb8aa3b, v11
	v_cmp_ngt_f32_e32 vcc_lo, 0xc2ce8ed0, v11
	v_rndne_f32_e32 v4, v3
	v_fma_f32 v5, 0x3fb8aa3b, v11, -v3
	v_sub_f32_e32 v3, v3, v4
	v_fmamk_f32 v5, v11, 0x32a5705f, v5
	v_cvt_i32_f32_e32 v4, v4
	v_add_f32_e32 v3, v3, v5
	v_exp_f32_e32 v3, v3
	v_ldexp_f32 v3, v3, v4
	v_cndmask_b32_e32 v3, 0, v3, vcc_lo
	v_cmp_nlt_f32_e32 vcc_lo, 0x42b17218, v11
	v_cndmask_b32_e32 v3, 0x7f800000, v3, vcc_lo
	v_fma_f32 v3, -v2, v3, v12
	v_bfe_u32 v4, v3, 16, 1
	v_cmp_o_f32_e32 vcc_lo, v3, v3
	v_add3_u32 v3, v3, v4, 0x7fff
	v_mov_b32_e32 v4, 0x7fc0
	v_cndmask_b32_sdwa v3, v4, v3, vcc_lo dst_sel:DWORD dst_unused:UNUSED_PAD src0_sel:DWORD src1_sel:WORD_1
	global_store_short v[0:1], v3, off
	s_or_b32 exec_lo, exec_lo, s3
	s_and_saveexec_b32 s3, s0
	s_cbranch_execz .LBB317_33
.LBB317_42:
	v_fma_f32 v3, -v2, v17, v16
	v_bfe_u32 v4, v3, 16, 1
	v_cmp_o_f32_e32 vcc_lo, v3, v3
	v_add3_u32 v3, v3, v4, 0x7fff
	v_mov_b32_e32 v4, 0x7fc0
	v_cndmask_b32_sdwa v3, v4, v3, vcc_lo dst_sel:DWORD dst_unused:UNUSED_PAD src0_sel:DWORD src1_sel:WORD_1
	global_store_short v[0:1], v3, off offset:64
	s_or_b32 exec_lo, exec_lo, s3
	s_and_saveexec_b32 s0, s1
	s_cbranch_execz .LBB317_34
.LBB317_43:
	v_fma_f32 v3, -v2, v18, v15
	v_bfe_u32 v4, v3, 16, 1
	v_cmp_o_f32_e32 vcc_lo, v3, v3
	v_add3_u32 v3, v3, v4, 0x7fff
	v_mov_b32_e32 v4, 0x7fc0
	v_cndmask_b32_sdwa v3, v4, v3, vcc_lo dst_sel:DWORD dst_unused:UNUSED_PAD src0_sel:DWORD src1_sel:WORD_1
	global_store_short v[0:1], v3, off offset:128
	s_or_b32 exec_lo, exec_lo, s0
	s_and_saveexec_b32 s0, s2
	s_cbranch_execz .LBB317_35
.LBB317_44:
	v_fma_f32 v3, -v2, v19, v13
	v_bfe_u32 v4, v3, 16, 1
	v_cmp_o_f32_e32 vcc_lo, v3, v3
	v_add3_u32 v3, v3, v4, 0x7fff
	v_mov_b32_e32 v4, 0x7fc0
	v_cndmask_b32_sdwa v3, v4, v3, vcc_lo dst_sel:DWORD dst_unused:UNUSED_PAD src0_sel:DWORD src1_sel:WORD_1
	global_store_short v[0:1], v3, off offset:192
	s_or_b32 exec_lo, exec_lo, s0
	s_and_saveexec_b32 s0, s4
	s_cbranch_execz .LBB317_36
.LBB317_45:
	v_fma_f32 v3, -v2, v20, v10
	v_bfe_u32 v4, v3, 16, 1
	v_cmp_o_f32_e32 vcc_lo, v3, v3
	v_add3_u32 v3, v3, v4, 0x7fff
	v_mov_b32_e32 v4, 0x7fc0
	v_cndmask_b32_sdwa v3, v4, v3, vcc_lo dst_sel:DWORD dst_unused:UNUSED_PAD src0_sel:DWORD src1_sel:WORD_1
	global_store_short v[0:1], v3, off offset:256
	s_or_b32 exec_lo, exec_lo, s0
	s_and_saveexec_b32 s0, s5
	s_cbranch_execz .LBB317_37
.LBB317_46:
	v_fma_f32 v3, -v2, v21, v9
	v_bfe_u32 v4, v3, 16, 1
	v_cmp_o_f32_e32 vcc_lo, v3, v3
	v_add3_u32 v3, v3, v4, 0x7fff
	v_mov_b32_e32 v4, 0x7fc0
	v_cndmask_b32_sdwa v3, v4, v3, vcc_lo dst_sel:DWORD dst_unused:UNUSED_PAD src0_sel:DWORD src1_sel:WORD_1
	global_store_short v[0:1], v3, off offset:320
	s_or_b32 exec_lo, exec_lo, s0
	s_and_saveexec_b32 s0, s6
	s_cbranch_execz .LBB317_38
.LBB317_47:
	v_fma_f32 v3, -v2, v22, v8
	v_bfe_u32 v4, v3, 16, 1
	v_cmp_o_f32_e32 vcc_lo, v3, v3
	v_add3_u32 v3, v3, v4, 0x7fff
	v_mov_b32_e32 v4, 0x7fc0
	v_cndmask_b32_sdwa v3, v4, v3, vcc_lo dst_sel:DWORD dst_unused:UNUSED_PAD src0_sel:DWORD src1_sel:WORD_1
	global_store_short v[0:1], v3, off offset:384
	s_or_b32 exec_lo, exec_lo, s0
	s_and_b32 exec_lo, exec_lo, s7
	s_cbranch_execnz .LBB317_39
	s_branch .LBB317_40
	.section	.rodata,"a",@progbits
	.p2align	6, 0x0
	.amdhsa_kernel _ZN12_GLOBAL__N_121softmax_warp_backwardIN3c108BFloat16ES2_fLi8ELb1ELb0ELi32EEEvPT0_PKT_S7_iiiPKb
		.amdhsa_group_segment_fixed_size 0
		.amdhsa_private_segment_fixed_size 0
		.amdhsa_kernarg_size 304
		.amdhsa_user_sgpr_count 6
		.amdhsa_user_sgpr_private_segment_buffer 1
		.amdhsa_user_sgpr_dispatch_ptr 0
		.amdhsa_user_sgpr_queue_ptr 0
		.amdhsa_user_sgpr_kernarg_segment_ptr 1
		.amdhsa_user_sgpr_dispatch_id 0
		.amdhsa_user_sgpr_flat_scratch_init 0
		.amdhsa_user_sgpr_private_segment_size 0
		.amdhsa_wavefront_size32 1
		.amdhsa_uses_dynamic_stack 0
		.amdhsa_system_sgpr_private_segment_wavefront_offset 0
		.amdhsa_system_sgpr_workgroup_id_x 1
		.amdhsa_system_sgpr_workgroup_id_y 0
		.amdhsa_system_sgpr_workgroup_id_z 0
		.amdhsa_system_sgpr_workgroup_info 0
		.amdhsa_system_vgpr_workitem_id 1
		.amdhsa_next_free_vgpr 26
		.amdhsa_next_free_sgpr 16
		.amdhsa_reserve_vcc 1
		.amdhsa_reserve_flat_scratch 0
		.amdhsa_float_round_mode_32 0
		.amdhsa_float_round_mode_16_64 0
		.amdhsa_float_denorm_mode_32 3
		.amdhsa_float_denorm_mode_16_64 3
		.amdhsa_dx10_clamp 1
		.amdhsa_ieee_mode 1
		.amdhsa_fp16_overflow 0
		.amdhsa_workgroup_processor_mode 1
		.amdhsa_memory_ordered 1
		.amdhsa_forward_progress 1
		.amdhsa_shared_vgpr_count 0
		.amdhsa_exception_fp_ieee_invalid_op 0
		.amdhsa_exception_fp_denorm_src 0
		.amdhsa_exception_fp_ieee_div_zero 0
		.amdhsa_exception_fp_ieee_overflow 0
		.amdhsa_exception_fp_ieee_underflow 0
		.amdhsa_exception_fp_ieee_inexact 0
		.amdhsa_exception_int_div_zero 0
	.end_amdhsa_kernel
	.section	.text._ZN12_GLOBAL__N_121softmax_warp_backwardIN3c108BFloat16ES2_fLi8ELb1ELb0ELi32EEEvPT0_PKT_S7_iiiPKb,"axG",@progbits,_ZN12_GLOBAL__N_121softmax_warp_backwardIN3c108BFloat16ES2_fLi8ELb1ELb0ELi32EEEvPT0_PKT_S7_iiiPKb,comdat
.Lfunc_end317:
	.size	_ZN12_GLOBAL__N_121softmax_warp_backwardIN3c108BFloat16ES2_fLi8ELb1ELb0ELi32EEEvPT0_PKT_S7_iiiPKb, .Lfunc_end317-_ZN12_GLOBAL__N_121softmax_warp_backwardIN3c108BFloat16ES2_fLi8ELb1ELb0ELi32EEEvPT0_PKT_S7_iiiPKb
                                        ; -- End function
	.set _ZN12_GLOBAL__N_121softmax_warp_backwardIN3c108BFloat16ES2_fLi8ELb1ELb0ELi32EEEvPT0_PKT_S7_iiiPKb.num_vgpr, 26
	.set _ZN12_GLOBAL__N_121softmax_warp_backwardIN3c108BFloat16ES2_fLi8ELb1ELb0ELi32EEEvPT0_PKT_S7_iiiPKb.num_agpr, 0
	.set _ZN12_GLOBAL__N_121softmax_warp_backwardIN3c108BFloat16ES2_fLi8ELb1ELb0ELi32EEEvPT0_PKT_S7_iiiPKb.numbered_sgpr, 16
	.set _ZN12_GLOBAL__N_121softmax_warp_backwardIN3c108BFloat16ES2_fLi8ELb1ELb0ELi32EEEvPT0_PKT_S7_iiiPKb.num_named_barrier, 0
	.set _ZN12_GLOBAL__N_121softmax_warp_backwardIN3c108BFloat16ES2_fLi8ELb1ELb0ELi32EEEvPT0_PKT_S7_iiiPKb.private_seg_size, 0
	.set _ZN12_GLOBAL__N_121softmax_warp_backwardIN3c108BFloat16ES2_fLi8ELb1ELb0ELi32EEEvPT0_PKT_S7_iiiPKb.uses_vcc, 1
	.set _ZN12_GLOBAL__N_121softmax_warp_backwardIN3c108BFloat16ES2_fLi8ELb1ELb0ELi32EEEvPT0_PKT_S7_iiiPKb.uses_flat_scratch, 0
	.set _ZN12_GLOBAL__N_121softmax_warp_backwardIN3c108BFloat16ES2_fLi8ELb1ELb0ELi32EEEvPT0_PKT_S7_iiiPKb.has_dyn_sized_stack, 0
	.set _ZN12_GLOBAL__N_121softmax_warp_backwardIN3c108BFloat16ES2_fLi8ELb1ELb0ELi32EEEvPT0_PKT_S7_iiiPKb.has_recursion, 0
	.set _ZN12_GLOBAL__N_121softmax_warp_backwardIN3c108BFloat16ES2_fLi8ELb1ELb0ELi32EEEvPT0_PKT_S7_iiiPKb.has_indirect_call, 0
	.section	.AMDGPU.csdata,"",@progbits
; Kernel info:
; codeLenInByte = 2504
; TotalNumSgprs: 18
; NumVgprs: 26
; ScratchSize: 0
; MemoryBound: 0
; FloatMode: 240
; IeeeMode: 1
; LDSByteSize: 0 bytes/workgroup (compile time only)
; SGPRBlocks: 0
; VGPRBlocks: 3
; NumSGPRsForWavesPerEU: 18
; NumVGPRsForWavesPerEU: 26
; Occupancy: 16
; WaveLimiterHint : 0
; COMPUTE_PGM_RSRC2:SCRATCH_EN: 0
; COMPUTE_PGM_RSRC2:USER_SGPR: 6
; COMPUTE_PGM_RSRC2:TRAP_HANDLER: 0
; COMPUTE_PGM_RSRC2:TGID_X_EN: 1
; COMPUTE_PGM_RSRC2:TGID_Y_EN: 0
; COMPUTE_PGM_RSRC2:TGID_Z_EN: 0
; COMPUTE_PGM_RSRC2:TIDIG_COMP_CNT: 1
	.section	.text._ZN12_GLOBAL__N_121softmax_warp_backwardIN3c108BFloat16ES2_fLi9ELb1ELb0ELi64EEEvPT0_PKT_S7_iiiPKb,"axG",@progbits,_ZN12_GLOBAL__N_121softmax_warp_backwardIN3c108BFloat16ES2_fLi9ELb1ELb0ELi64EEEvPT0_PKT_S7_iiiPKb,comdat
	.globl	_ZN12_GLOBAL__N_121softmax_warp_backwardIN3c108BFloat16ES2_fLi9ELb1ELb0ELi64EEEvPT0_PKT_S7_iiiPKb ; -- Begin function _ZN12_GLOBAL__N_121softmax_warp_backwardIN3c108BFloat16ES2_fLi9ELb1ELb0ELi64EEEvPT0_PKT_S7_iiiPKb
	.p2align	8
	.type	_ZN12_GLOBAL__N_121softmax_warp_backwardIN3c108BFloat16ES2_fLi9ELb1ELb0ELi64EEEvPT0_PKT_S7_iiiPKb,@function
_ZN12_GLOBAL__N_121softmax_warp_backwardIN3c108BFloat16ES2_fLi9ELb1ELb0ELi64EEEvPT0_PKT_S7_iiiPKb: ; @_ZN12_GLOBAL__N_121softmax_warp_backwardIN3c108BFloat16ES2_fLi9ELb1ELb0ELi64EEEvPT0_PKT_S7_iiiPKb
; %bb.0:
	s_clause 0x1
	s_load_dword s0, s[4:5], 0x3c
	s_load_dwordx4 s[12:15], s[4:5], 0x18
	v_and_b32_e32 v6, 63, v0
	s_clause 0x1
	s_load_dwordx4 s[8:11], s[4:5], 0x0
	s_load_dwordx2 s[2:3], s[4:5], 0x10
	v_mov_b32_e32 v11, 0
	v_mov_b32_e32 v12, 0
	s_waitcnt lgkmcnt(0)
	s_lshr_b32 s0, s0, 16
	v_cmp_gt_i32_e32 vcc_lo, s14, v6
	v_mad_u64_u32 v[1:2], null, s6, s0, v[1:2]
	v_mad_u64_u32 v[2:3], null, v1, s13, v[6:7]
	v_sub_nc_u32_e32 v14, s12, v1
	v_cmp_lt_i32_e64 s4, 0, v14
	v_ashrrev_i32_e32 v3, 31, v2
	s_and_b32 s1, s4, vcc_lo
	v_lshlrev_b64 v[0:1], 1, v[2:3]
	v_add_co_u32 v2, s0, s10, v0
	v_add_co_ci_u32_e64 v3, null, s11, v1, s0
	v_add_co_u32 v4, s0, s2, v0
	v_add_co_ci_u32_e64 v5, null, s3, v1, s0
	s_and_saveexec_b32 s0, s1
	s_cbranch_execz .LBB318_2
; %bb.1:
	global_load_ushort v7, v[2:3], off
	global_load_ushort v8, v[4:5], off
	s_waitcnt vmcnt(1)
	v_lshlrev_b32_e32 v12, 16, v7
	s_waitcnt vmcnt(0)
	v_lshlrev_b32_e32 v11, 16, v8
.LBB318_2:
	s_or_b32 exec_lo, exec_lo, s0
	v_or_b32_e32 v7, 64, v6
	v_cmp_gt_i32_e64 s0, s14, v7
	s_and_b32 s1, s4, s0
	s_xor_b32 s1, s1, -1
	s_and_saveexec_b32 s2, s1
	s_xor_b32 s1, exec_lo, s2
                                        ; implicit-def: $vgpr8
                                        ; implicit-def: $vgpr9
                                        ; implicit-def: $vgpr10
                                        ; implicit-def: $vgpr13
                                        ; implicit-def: $vgpr15
                                        ; implicit-def: $vgpr16
                                        ; implicit-def: $vgpr7
; %bb.3:
	s_mov_b32 s2, 0
                                        ; implicit-def: $vgpr8
                                        ; implicit-def: $vgpr9
                                        ; implicit-def: $vgpr10
                                        ; implicit-def: $vgpr13
                                        ; implicit-def: $vgpr15
                                        ; implicit-def: $vgpr7
	v_mov_b32_e32 v16, s2
; %bb.4:
	s_or_saveexec_b32 s2, s1
	v_mov_b32_e32 v17, 1.0
	s_xor_b32 exec_lo, exec_lo, s2
	s_cbranch_execz .LBB318_6
; %bb.5:
	global_load_ushort v16, v[4:5], off offset:128
	global_load_ushort v17, v[2:3], off offset:128
	s_waitcnt vmcnt(1)
	v_lshlrev_b32_e32 v18, 16, v16
	v_mul_f32_e32 v16, 0x3fb8aa3b, v18
	v_cmp_ngt_f32_e64 s1, 0xc2ce8ed0, v18
	v_fma_f32 v19, 0x3fb8aa3b, v18, -v16
	v_rndne_f32_e32 v20, v16
	v_fmamk_f32 v19, v18, 0x32a5705f, v19
	v_sub_f32_e32 v16, v16, v20
	v_add_f32_e32 v16, v16, v19
	v_cvt_i32_f32_e32 v19, v20
	v_exp_f32_e32 v16, v16
	v_ldexp_f32 v16, v16, v19
	v_cndmask_b32_e64 v19, 0, v16, s1
	v_cmp_nlt_f32_e64 s1, 0x42b17218, v18
	s_waitcnt vmcnt(0)
	v_lshlrev_b32_e32 v16, 16, v17
	v_cndmask_b32_e64 v17, 0x7f800000, v19, s1
.LBB318_6:
	s_or_b32 exec_lo, exec_lo, s2
	v_or_b32_e32 v18, 0x80, v6
	v_cmp_gt_i32_e64 s1, s14, v18
	s_and_b32 s2, s4, s1
	s_xor_b32 s2, s2, -1
	s_and_saveexec_b32 s3, s2
	s_xor_b32 s2, exec_lo, s3
; %bb.7:
	s_mov_b32 s3, 0
	v_mov_b32_e32 v15, s3
; %bb.8:
	s_or_saveexec_b32 s3, s2
	v_mov_b32_e32 v18, 1.0
	s_xor_b32 exec_lo, exec_lo, s3
	s_cbranch_execz .LBB318_10
; %bb.9:
	global_load_ushort v15, v[4:5], off offset:256
	global_load_ushort v18, v[2:3], off offset:256
	s_waitcnt vmcnt(1)
	v_lshlrev_b32_e32 v19, 16, v15
	v_mul_f32_e32 v15, 0x3fb8aa3b, v19
	v_cmp_ngt_f32_e64 s2, 0xc2ce8ed0, v19
	v_fma_f32 v20, 0x3fb8aa3b, v19, -v15
	v_rndne_f32_e32 v21, v15
	v_fmamk_f32 v20, v19, 0x32a5705f, v20
	v_sub_f32_e32 v15, v15, v21
	v_add_f32_e32 v15, v15, v20
	v_cvt_i32_f32_e32 v20, v21
	v_exp_f32_e32 v15, v15
	v_ldexp_f32 v15, v15, v20
	v_cndmask_b32_e64 v20, 0, v15, s2
	v_cmp_nlt_f32_e64 s2, 0x42b17218, v19
	s_waitcnt vmcnt(0)
	v_lshlrev_b32_e32 v15, 16, v18
	v_cndmask_b32_e64 v18, 0x7f800000, v20, s2
.LBB318_10:
	s_or_b32 exec_lo, exec_lo, s3
	v_or_b32_e32 v19, 0xc0, v6
	v_cmp_gt_i32_e64 s2, s14, v19
	s_and_b32 s3, s4, s2
	s_xor_b32 s3, s3, -1
	s_and_saveexec_b32 s5, s3
	s_xor_b32 s3, exec_lo, s5
; %bb.11:
	s_mov_b32 s5, 0
	;; [unrolled: 36-line block ×6, first 2 shown]
                                        ; implicit-def: $vgpr2_vgpr3
                                        ; implicit-def: $vgpr4_vgpr5
	v_mov_b32_e32 v7, s10
; %bb.28:
	s_or_saveexec_b32 s10, s4
	v_mov_b32_e32 v6, 1.0
	s_xor_b32 exec_lo, exec_lo, s10
	s_cbranch_execz .LBB318_30
; %bb.29:
	global_load_ushort v4, v[4:5], off offset:896
	global_load_ushort v2, v[2:3], off offset:896
	s_waitcnt vmcnt(1)
	v_lshlrev_b32_e32 v3, 16, v4
	s_waitcnt vmcnt(0)
	v_lshlrev_b32_e32 v7, 16, v2
	v_mul_f32_e32 v4, 0x3fb8aa3b, v3
	v_cmp_ngt_f32_e64 s4, 0xc2ce8ed0, v3
	v_fma_f32 v5, 0x3fb8aa3b, v3, -v4
	v_rndne_f32_e32 v6, v4
	v_fmamk_f32 v5, v3, 0x32a5705f, v5
	v_sub_f32_e32 v4, v4, v6
	v_add_f32_e32 v4, v4, v5
	v_cvt_i32_f32_e32 v5, v6
	v_exp_f32_e32 v4, v4
	v_ldexp_f32 v4, v4, v5
	v_cndmask_b32_e64 v4, 0, v4, s4
	v_cmp_nlt_f32_e64 s4, 0x42b17218, v3
	v_cndmask_b32_e64 v6, 0x7f800000, v4, s4
.LBB318_30:
	s_or_b32 exec_lo, exec_lo, s10
	v_add_f32_e32 v2, 0, v12
	v_mbcnt_lo_u32_b32 v3, -1, 0
	s_mov_b32 s10, exec_lo
	v_add_f32_e32 v2, v2, v16
	v_or_b32_e32 v4, 32, v3
	v_xor_b32_e32 v5, 16, v3
	v_add_f32_e32 v2, v2, v15
	v_cmp_gt_i32_e64 s4, 64, v4
	v_add_f32_e32 v2, v2, v13
	v_cndmask_b32_e64 v4, v3, v4, s4
	v_cmp_gt_i32_e64 s4, 64, v5
	v_add_f32_e32 v2, v2, v10
	v_lshlrev_b32_e32 v4, 2, v4
	v_cndmask_b32_e64 v5, v3, v5, s4
	v_add_f32_e32 v2, v2, v9
	v_lshlrev_b32_e32 v5, 2, v5
	v_add_f32_e32 v2, v2, v8
	v_add_f32_e32 v2, v2, v7
	ds_bpermute_b32 v4, v4, v2
	s_waitcnt lgkmcnt(0)
	v_add_f32_e32 v2, v2, v4
	ds_bpermute_b32 v4, v5, v2
	v_xor_b32_e32 v5, 8, v3
	v_cmp_gt_i32_e64 s4, 64, v5
	v_cndmask_b32_e64 v5, v3, v5, s4
	v_lshlrev_b32_e32 v5, 2, v5
	s_waitcnt lgkmcnt(0)
	v_add_f32_e32 v2, v2, v4
	ds_bpermute_b32 v4, v5, v2
	v_xor_b32_e32 v5, 4, v3
	v_cmp_gt_i32_e64 s4, 64, v5
	v_cndmask_b32_e64 v5, v3, v5, s4
	v_lshlrev_b32_e32 v5, 2, v5
	;; [unrolled: 7-line block ×4, first 2 shown]
	s_waitcnt lgkmcnt(0)
	v_add_f32_e32 v2, v2, v4
	ds_bpermute_b32 v3, v3, v2
	v_cmpx_lt_i32_e32 0, v14
	s_cbranch_execz .LBB318_40
; %bb.31:
	v_add_co_u32 v0, s4, s8, v0
	v_add_co_ci_u32_e64 v1, null, s9, v1, s4
	s_waitcnt lgkmcnt(0)
	v_add_f32_e32 v2, v2, v3
	s_and_saveexec_b32 s4, vcc_lo
	s_cbranch_execnz .LBB318_41
; %bb.32:
	s_or_b32 exec_lo, exec_lo, s4
	s_and_saveexec_b32 s4, s0
	s_cbranch_execnz .LBB318_42
.LBB318_33:
	s_or_b32 exec_lo, exec_lo, s4
	s_and_saveexec_b32 s0, s1
	s_cbranch_execnz .LBB318_43
.LBB318_34:
	s_or_b32 exec_lo, exec_lo, s0
	s_and_saveexec_b32 s0, s2
	s_cbranch_execnz .LBB318_44
.LBB318_35:
	s_or_b32 exec_lo, exec_lo, s0
	s_and_saveexec_b32 s0, s3
	s_cbranch_execnz .LBB318_45
.LBB318_36:
	s_or_b32 exec_lo, exec_lo, s0
	s_and_saveexec_b32 s0, s5
	s_cbranch_execnz .LBB318_46
.LBB318_37:
	s_or_b32 exec_lo, exec_lo, s0
	s_and_saveexec_b32 s0, s6
	s_cbranch_execnz .LBB318_47
.LBB318_38:
	s_or_b32 exec_lo, exec_lo, s0
	s_and_b32 exec_lo, exec_lo, s7
	s_cbranch_execz .LBB318_40
.LBB318_39:
	v_fma_f32 v2, -v2, v6, v7
	v_bfe_u32 v3, v2, 16, 1
	v_cmp_o_f32_e32 vcc_lo, v2, v2
	v_add3_u32 v2, v2, v3, 0x7fff
	v_mov_b32_e32 v3, 0x7fc0
	v_cndmask_b32_sdwa v2, v3, v2, vcc_lo dst_sel:DWORD dst_unused:UNUSED_PAD src0_sel:DWORD src1_sel:WORD_1
	global_store_short v[0:1], v2, off offset:896
.LBB318_40:
	s_endpgm
.LBB318_41:
	v_mul_f32_e32 v3, 0x3fb8aa3b, v11
	v_cmp_ngt_f32_e32 vcc_lo, 0xc2ce8ed0, v11
	v_rndne_f32_e32 v4, v3
	v_fma_f32 v5, 0x3fb8aa3b, v11, -v3
	v_sub_f32_e32 v3, v3, v4
	v_fmamk_f32 v5, v11, 0x32a5705f, v5
	v_cvt_i32_f32_e32 v4, v4
	v_add_f32_e32 v3, v3, v5
	v_exp_f32_e32 v3, v3
	v_ldexp_f32 v3, v3, v4
	v_cndmask_b32_e32 v3, 0, v3, vcc_lo
	v_cmp_nlt_f32_e32 vcc_lo, 0x42b17218, v11
	v_cndmask_b32_e32 v3, 0x7f800000, v3, vcc_lo
	v_fma_f32 v3, -v2, v3, v12
	v_bfe_u32 v4, v3, 16, 1
	v_cmp_o_f32_e32 vcc_lo, v3, v3
	v_add3_u32 v3, v3, v4, 0x7fff
	v_mov_b32_e32 v4, 0x7fc0
	v_cndmask_b32_sdwa v3, v4, v3, vcc_lo dst_sel:DWORD dst_unused:UNUSED_PAD src0_sel:DWORD src1_sel:WORD_1
	global_store_short v[0:1], v3, off
	s_or_b32 exec_lo, exec_lo, s4
	s_and_saveexec_b32 s4, s0
	s_cbranch_execz .LBB318_33
.LBB318_42:
	v_fma_f32 v3, -v2, v17, v16
	v_bfe_u32 v4, v3, 16, 1
	v_cmp_o_f32_e32 vcc_lo, v3, v3
	v_add3_u32 v3, v3, v4, 0x7fff
	v_mov_b32_e32 v4, 0x7fc0
	v_cndmask_b32_sdwa v3, v4, v3, vcc_lo dst_sel:DWORD dst_unused:UNUSED_PAD src0_sel:DWORD src1_sel:WORD_1
	global_store_short v[0:1], v3, off offset:128
	s_or_b32 exec_lo, exec_lo, s4
	s_and_saveexec_b32 s0, s1
	s_cbranch_execz .LBB318_34
.LBB318_43:
	v_fma_f32 v3, -v2, v18, v15
	v_bfe_u32 v4, v3, 16, 1
	v_cmp_o_f32_e32 vcc_lo, v3, v3
	v_add3_u32 v3, v3, v4, 0x7fff
	v_mov_b32_e32 v4, 0x7fc0
	v_cndmask_b32_sdwa v3, v4, v3, vcc_lo dst_sel:DWORD dst_unused:UNUSED_PAD src0_sel:DWORD src1_sel:WORD_1
	global_store_short v[0:1], v3, off offset:256
	s_or_b32 exec_lo, exec_lo, s0
	s_and_saveexec_b32 s0, s2
	s_cbranch_execz .LBB318_35
.LBB318_44:
	v_fma_f32 v3, -v2, v19, v13
	v_bfe_u32 v4, v3, 16, 1
	v_cmp_o_f32_e32 vcc_lo, v3, v3
	v_add3_u32 v3, v3, v4, 0x7fff
	v_mov_b32_e32 v4, 0x7fc0
	v_cndmask_b32_sdwa v3, v4, v3, vcc_lo dst_sel:DWORD dst_unused:UNUSED_PAD src0_sel:DWORD src1_sel:WORD_1
	global_store_short v[0:1], v3, off offset:384
	s_or_b32 exec_lo, exec_lo, s0
	s_and_saveexec_b32 s0, s3
	s_cbranch_execz .LBB318_36
.LBB318_45:
	v_fma_f32 v3, -v2, v20, v10
	v_bfe_u32 v4, v3, 16, 1
	v_cmp_o_f32_e32 vcc_lo, v3, v3
	v_add3_u32 v3, v3, v4, 0x7fff
	v_mov_b32_e32 v4, 0x7fc0
	v_cndmask_b32_sdwa v3, v4, v3, vcc_lo dst_sel:DWORD dst_unused:UNUSED_PAD src0_sel:DWORD src1_sel:WORD_1
	global_store_short v[0:1], v3, off offset:512
	s_or_b32 exec_lo, exec_lo, s0
	s_and_saveexec_b32 s0, s5
	s_cbranch_execz .LBB318_37
.LBB318_46:
	v_fma_f32 v3, -v2, v21, v9
	v_bfe_u32 v4, v3, 16, 1
	v_cmp_o_f32_e32 vcc_lo, v3, v3
	v_add3_u32 v3, v3, v4, 0x7fff
	v_mov_b32_e32 v4, 0x7fc0
	v_cndmask_b32_sdwa v3, v4, v3, vcc_lo dst_sel:DWORD dst_unused:UNUSED_PAD src0_sel:DWORD src1_sel:WORD_1
	global_store_short v[0:1], v3, off offset:640
	s_or_b32 exec_lo, exec_lo, s0
	s_and_saveexec_b32 s0, s6
	s_cbranch_execz .LBB318_38
.LBB318_47:
	v_fma_f32 v3, -v2, v22, v8
	v_bfe_u32 v4, v3, 16, 1
	v_cmp_o_f32_e32 vcc_lo, v3, v3
	v_add3_u32 v3, v3, v4, 0x7fff
	v_mov_b32_e32 v4, 0x7fc0
	v_cndmask_b32_sdwa v3, v4, v3, vcc_lo dst_sel:DWORD dst_unused:UNUSED_PAD src0_sel:DWORD src1_sel:WORD_1
	global_store_short v[0:1], v3, off offset:768
	s_or_b32 exec_lo, exec_lo, s0
	s_and_b32 exec_lo, exec_lo, s7
	s_cbranch_execnz .LBB318_39
	s_branch .LBB318_40
	.section	.rodata,"a",@progbits
	.p2align	6, 0x0
	.amdhsa_kernel _ZN12_GLOBAL__N_121softmax_warp_backwardIN3c108BFloat16ES2_fLi9ELb1ELb0ELi64EEEvPT0_PKT_S7_iiiPKb
		.amdhsa_group_segment_fixed_size 0
		.amdhsa_private_segment_fixed_size 0
		.amdhsa_kernarg_size 304
		.amdhsa_user_sgpr_count 6
		.amdhsa_user_sgpr_private_segment_buffer 1
		.amdhsa_user_sgpr_dispatch_ptr 0
		.amdhsa_user_sgpr_queue_ptr 0
		.amdhsa_user_sgpr_kernarg_segment_ptr 1
		.amdhsa_user_sgpr_dispatch_id 0
		.amdhsa_user_sgpr_flat_scratch_init 0
		.amdhsa_user_sgpr_private_segment_size 0
		.amdhsa_wavefront_size32 1
		.amdhsa_uses_dynamic_stack 0
		.amdhsa_system_sgpr_private_segment_wavefront_offset 0
		.amdhsa_system_sgpr_workgroup_id_x 1
		.amdhsa_system_sgpr_workgroup_id_y 0
		.amdhsa_system_sgpr_workgroup_id_z 0
		.amdhsa_system_sgpr_workgroup_info 0
		.amdhsa_system_vgpr_workitem_id 1
		.amdhsa_next_free_vgpr 26
		.amdhsa_next_free_sgpr 16
		.amdhsa_reserve_vcc 1
		.amdhsa_reserve_flat_scratch 0
		.amdhsa_float_round_mode_32 0
		.amdhsa_float_round_mode_16_64 0
		.amdhsa_float_denorm_mode_32 3
		.amdhsa_float_denorm_mode_16_64 3
		.amdhsa_dx10_clamp 1
		.amdhsa_ieee_mode 1
		.amdhsa_fp16_overflow 0
		.amdhsa_workgroup_processor_mode 1
		.amdhsa_memory_ordered 1
		.amdhsa_forward_progress 1
		.amdhsa_shared_vgpr_count 0
		.amdhsa_exception_fp_ieee_invalid_op 0
		.amdhsa_exception_fp_denorm_src 0
		.amdhsa_exception_fp_ieee_div_zero 0
		.amdhsa_exception_fp_ieee_overflow 0
		.amdhsa_exception_fp_ieee_underflow 0
		.amdhsa_exception_fp_ieee_inexact 0
		.amdhsa_exception_int_div_zero 0
	.end_amdhsa_kernel
	.section	.text._ZN12_GLOBAL__N_121softmax_warp_backwardIN3c108BFloat16ES2_fLi9ELb1ELb0ELi64EEEvPT0_PKT_S7_iiiPKb,"axG",@progbits,_ZN12_GLOBAL__N_121softmax_warp_backwardIN3c108BFloat16ES2_fLi9ELb1ELb0ELi64EEEvPT0_PKT_S7_iiiPKb,comdat
.Lfunc_end318:
	.size	_ZN12_GLOBAL__N_121softmax_warp_backwardIN3c108BFloat16ES2_fLi9ELb1ELb0ELi64EEEvPT0_PKT_S7_iiiPKb, .Lfunc_end318-_ZN12_GLOBAL__N_121softmax_warp_backwardIN3c108BFloat16ES2_fLi9ELb1ELb0ELi64EEEvPT0_PKT_S7_iiiPKb
                                        ; -- End function
	.set _ZN12_GLOBAL__N_121softmax_warp_backwardIN3c108BFloat16ES2_fLi9ELb1ELb0ELi64EEEvPT0_PKT_S7_iiiPKb.num_vgpr, 26
	.set _ZN12_GLOBAL__N_121softmax_warp_backwardIN3c108BFloat16ES2_fLi9ELb1ELb0ELi64EEEvPT0_PKT_S7_iiiPKb.num_agpr, 0
	.set _ZN12_GLOBAL__N_121softmax_warp_backwardIN3c108BFloat16ES2_fLi9ELb1ELb0ELi64EEEvPT0_PKT_S7_iiiPKb.numbered_sgpr, 16
	.set _ZN12_GLOBAL__N_121softmax_warp_backwardIN3c108BFloat16ES2_fLi9ELb1ELb0ELi64EEEvPT0_PKT_S7_iiiPKb.num_named_barrier, 0
	.set _ZN12_GLOBAL__N_121softmax_warp_backwardIN3c108BFloat16ES2_fLi9ELb1ELb0ELi64EEEvPT0_PKT_S7_iiiPKb.private_seg_size, 0
	.set _ZN12_GLOBAL__N_121softmax_warp_backwardIN3c108BFloat16ES2_fLi9ELb1ELb0ELi64EEEvPT0_PKT_S7_iiiPKb.uses_vcc, 1
	.set _ZN12_GLOBAL__N_121softmax_warp_backwardIN3c108BFloat16ES2_fLi9ELb1ELb0ELi64EEEvPT0_PKT_S7_iiiPKb.uses_flat_scratch, 0
	.set _ZN12_GLOBAL__N_121softmax_warp_backwardIN3c108BFloat16ES2_fLi9ELb1ELb0ELi64EEEvPT0_PKT_S7_iiiPKb.has_dyn_sized_stack, 0
	.set _ZN12_GLOBAL__N_121softmax_warp_backwardIN3c108BFloat16ES2_fLi9ELb1ELb0ELi64EEEvPT0_PKT_S7_iiiPKb.has_recursion, 0
	.set _ZN12_GLOBAL__N_121softmax_warp_backwardIN3c108BFloat16ES2_fLi9ELb1ELb0ELi64EEEvPT0_PKT_S7_iiiPKb.has_indirect_call, 0
	.section	.AMDGPU.csdata,"",@progbits
; Kernel info:
; codeLenInByte = 2548
; TotalNumSgprs: 18
; NumVgprs: 26
; ScratchSize: 0
; MemoryBound: 0
; FloatMode: 240
; IeeeMode: 1
; LDSByteSize: 0 bytes/workgroup (compile time only)
; SGPRBlocks: 0
; VGPRBlocks: 3
; NumSGPRsForWavesPerEU: 18
; NumVGPRsForWavesPerEU: 26
; Occupancy: 16
; WaveLimiterHint : 0
; COMPUTE_PGM_RSRC2:SCRATCH_EN: 0
; COMPUTE_PGM_RSRC2:USER_SGPR: 6
; COMPUTE_PGM_RSRC2:TRAP_HANDLER: 0
; COMPUTE_PGM_RSRC2:TGID_X_EN: 1
; COMPUTE_PGM_RSRC2:TGID_Y_EN: 0
; COMPUTE_PGM_RSRC2:TGID_Z_EN: 0
; COMPUTE_PGM_RSRC2:TIDIG_COMP_CNT: 1
	.section	.text._ZN12_GLOBAL__N_121softmax_warp_backwardIN3c108BFloat16ES2_fLi9ELb1ELb0ELi32EEEvPT0_PKT_S7_iiiPKb,"axG",@progbits,_ZN12_GLOBAL__N_121softmax_warp_backwardIN3c108BFloat16ES2_fLi9ELb1ELb0ELi32EEEvPT0_PKT_S7_iiiPKb,comdat
	.globl	_ZN12_GLOBAL__N_121softmax_warp_backwardIN3c108BFloat16ES2_fLi9ELb1ELb0ELi32EEEvPT0_PKT_S7_iiiPKb ; -- Begin function _ZN12_GLOBAL__N_121softmax_warp_backwardIN3c108BFloat16ES2_fLi9ELb1ELb0ELi32EEEvPT0_PKT_S7_iiiPKb
	.p2align	8
	.type	_ZN12_GLOBAL__N_121softmax_warp_backwardIN3c108BFloat16ES2_fLi9ELb1ELb0ELi32EEEvPT0_PKT_S7_iiiPKb,@function
_ZN12_GLOBAL__N_121softmax_warp_backwardIN3c108BFloat16ES2_fLi9ELb1ELb0ELi32EEEvPT0_PKT_S7_iiiPKb: ; @_ZN12_GLOBAL__N_121softmax_warp_backwardIN3c108BFloat16ES2_fLi9ELb1ELb0ELi32EEEvPT0_PKT_S7_iiiPKb
; %bb.0:
	s_clause 0x1
	s_load_dword s0, s[4:5], 0x3c
	s_load_dwordx4 s[20:23], s[4:5], 0x18
	v_and_b32_e32 v6, 31, v0
	s_clause 0x1
	s_load_dwordx4 s[16:19], s[4:5], 0x0
	s_load_dwordx2 s[4:5], s[4:5], 0x10
	v_mov_b32_e32 v18, 0
	v_mov_b32_e32 v20, 0
	s_waitcnt lgkmcnt(0)
	s_lshr_b32 s0, s0, 16
	v_cmp_gt_i32_e32 vcc_lo, s22, v6
	v_mad_u64_u32 v[1:2], null, s6, s0, v[1:2]
	v_mad_u64_u32 v[2:3], null, v1, s21, v[6:7]
	v_sub_nc_u32_e32 v21, s20, v1
	v_cmp_lt_i32_e64 s3, 0, v21
	v_ashrrev_i32_e32 v3, 31, v2
	s_and_b32 s1, s3, vcc_lo
	v_lshlrev_b64 v[0:1], 1, v[2:3]
	v_add_co_u32 v2, s0, s18, v0
	v_add_co_ci_u32_e64 v3, null, s19, v1, s0
	v_add_co_u32 v4, s0, s4, v0
	v_add_co_ci_u32_e64 v5, null, s5, v1, s0
	s_and_saveexec_b32 s0, s1
	s_cbranch_execz .LBB319_2
; %bb.1:
	global_load_ushort v7, v[2:3], off
	global_load_ushort v8, v[4:5], off
	s_waitcnt vmcnt(1)
	v_lshlrev_b32_e32 v20, 16, v7
	s_waitcnt vmcnt(0)
	v_lshlrev_b32_e32 v18, 16, v8
.LBB319_2:
	s_or_b32 exec_lo, exec_lo, s0
	v_or_b32_e32 v7, 32, v6
	v_cmp_gt_i32_e64 s0, s22, v7
	s_and_b32 s1, s3, s0
	s_xor_b32 s1, s1, -1
	s_and_saveexec_b32 s2, s1
	s_xor_b32 s1, exec_lo, s2
                                        ; implicit-def: $vgpr7
                                        ; implicit-def: $vgpr9
                                        ; implicit-def: $vgpr10
                                        ; implicit-def: $vgpr11
                                        ; implicit-def: $vgpr12
                                        ; implicit-def: $vgpr13
                                        ; implicit-def: $vgpr14
                                        ; implicit-def: $vgpr15
                                        ; implicit-def: $vgpr16
                                        ; implicit-def: $vgpr17
                                        ; implicit-def: $vgpr19
                                        ; implicit-def: $vgpr22
                                        ; implicit-def: $vgpr23
                                        ; implicit-def: $vgpr24
                                        ; implicit-def: $vgpr8
; %bb.3:
	s_mov_b32 s2, 0
                                        ; implicit-def: $vgpr7
                                        ; implicit-def: $vgpr9
                                        ; implicit-def: $vgpr10
                                        ; implicit-def: $vgpr11
                                        ; implicit-def: $vgpr12
                                        ; implicit-def: $vgpr13
                                        ; implicit-def: $vgpr14
                                        ; implicit-def: $vgpr15
                                        ; implicit-def: $vgpr16
                                        ; implicit-def: $vgpr17
                                        ; implicit-def: $vgpr19
                                        ; implicit-def: $vgpr22
                                        ; implicit-def: $vgpr23
                                        ; implicit-def: $vgpr8
	v_mov_b32_e32 v24, s2
; %bb.4:
	s_or_saveexec_b32 s2, s1
	v_mov_b32_e32 v25, 1.0
	s_xor_b32 exec_lo, exec_lo, s2
	s_cbranch_execz .LBB319_6
; %bb.5:
	global_load_ushort v24, v[4:5], off offset:64
	global_load_ushort v25, v[2:3], off offset:64
	s_waitcnt vmcnt(1)
	v_lshlrev_b32_e32 v26, 16, v24
	v_mul_f32_e32 v24, 0x3fb8aa3b, v26
	v_cmp_ngt_f32_e64 s1, 0xc2ce8ed0, v26
	v_fma_f32 v27, 0x3fb8aa3b, v26, -v24
	v_rndne_f32_e32 v28, v24
	v_fmamk_f32 v27, v26, 0x32a5705f, v27
	v_sub_f32_e32 v24, v24, v28
	v_add_f32_e32 v24, v24, v27
	v_cvt_i32_f32_e32 v27, v28
	v_exp_f32_e32 v24, v24
	v_ldexp_f32 v24, v24, v27
	v_cndmask_b32_e64 v27, 0, v24, s1
	v_cmp_nlt_f32_e64 s1, 0x42b17218, v26
	s_waitcnt vmcnt(0)
	v_lshlrev_b32_e32 v24, 16, v25
	v_cndmask_b32_e64 v25, 0x7f800000, v27, s1
.LBB319_6:
	s_or_b32 exec_lo, exec_lo, s2
	v_or_b32_e32 v26, 64, v6
	v_cmp_gt_i32_e64 s1, s22, v26
	s_and_b32 s2, s3, s1
	s_xor_b32 s2, s2, -1
	s_and_saveexec_b32 s4, s2
	s_xor_b32 s2, exec_lo, s4
; %bb.7:
	s_mov_b32 s4, 0
	v_mov_b32_e32 v23, s4
; %bb.8:
	s_or_saveexec_b32 s4, s2
	v_mov_b32_e32 v26, 1.0
	s_xor_b32 exec_lo, exec_lo, s4
	s_cbranch_execz .LBB319_10
; %bb.9:
	global_load_ushort v23, v[4:5], off offset:128
	global_load_ushort v26, v[2:3], off offset:128
	s_waitcnt vmcnt(1)
	v_lshlrev_b32_e32 v27, 16, v23
	v_mul_f32_e32 v23, 0x3fb8aa3b, v27
	v_cmp_ngt_f32_e64 s2, 0xc2ce8ed0, v27
	v_fma_f32 v28, 0x3fb8aa3b, v27, -v23
	v_rndne_f32_e32 v29, v23
	v_fmamk_f32 v28, v27, 0x32a5705f, v28
	v_sub_f32_e32 v23, v23, v29
	v_add_f32_e32 v23, v23, v28
	v_cvt_i32_f32_e32 v28, v29
	v_exp_f32_e32 v23, v23
	v_ldexp_f32 v23, v23, v28
	v_cndmask_b32_e64 v28, 0, v23, s2
	v_cmp_nlt_f32_e64 s2, 0x42b17218, v27
	s_waitcnt vmcnt(0)
	v_lshlrev_b32_e32 v23, 16, v26
	v_cndmask_b32_e64 v26, 0x7f800000, v28, s2
.LBB319_10:
	s_or_b32 exec_lo, exec_lo, s4
	v_or_b32_e32 v27, 0x60, v6
	v_cmp_gt_i32_e64 s2, s22, v27
	s_and_b32 s4, s3, s2
	s_xor_b32 s4, s4, -1
	s_and_saveexec_b32 s5, s4
	s_xor_b32 s4, exec_lo, s5
; %bb.11:
	s_mov_b32 s5, 0
	;; [unrolled: 36-line block ×14, first 2 shown]
                                        ; implicit-def: $vgpr2_vgpr3
                                        ; implicit-def: $vgpr4_vgpr5
	v_mov_b32_e32 v8, s18
; %bb.60:
	s_or_saveexec_b32 s18, s3
	v_mov_b32_e32 v6, 1.0
	s_xor_b32 exec_lo, exec_lo, s18
	s_cbranch_execz .LBB319_62
; %bb.61:
	global_load_ushort v4, v[4:5], off offset:960
	global_load_ushort v2, v[2:3], off offset:960
	s_waitcnt vmcnt(1)
	v_lshlrev_b32_e32 v3, 16, v4
	s_waitcnt vmcnt(0)
	v_lshlrev_b32_e32 v8, 16, v2
	v_mul_f32_e32 v4, 0x3fb8aa3b, v3
	v_cmp_ngt_f32_e64 s3, 0xc2ce8ed0, v3
	v_fma_f32 v5, 0x3fb8aa3b, v3, -v4
	v_rndne_f32_e32 v6, v4
	v_fmamk_f32 v5, v3, 0x32a5705f, v5
	v_sub_f32_e32 v4, v4, v6
	v_add_f32_e32 v4, v4, v5
	v_cvt_i32_f32_e32 v5, v6
	v_exp_f32_e32 v4, v4
	v_ldexp_f32 v4, v4, v5
	v_cndmask_b32_e64 v4, 0, v4, s3
	v_cmp_nlt_f32_e64 s3, 0x42b17218, v3
	v_cndmask_b32_e64 v6, 0x7f800000, v4, s3
.LBB319_62:
	s_or_b32 exec_lo, exec_lo, s18
	v_add_f32_e32 v2, 0, v20
	v_mbcnt_lo_u32_b32 v3, -1, 0
	s_mov_b32 s18, exec_lo
	v_add_f32_e32 v2, v2, v24
	v_xor_b32_e32 v4, 16, v3
	v_xor_b32_e32 v5, 8, v3
	v_add_f32_e32 v2, v2, v23
	v_cmp_gt_i32_e64 s3, 32, v4
	v_add_f32_e32 v2, v2, v22
	v_cndmask_b32_e64 v4, v3, v4, s3
	v_cmp_gt_i32_e64 s3, 32, v5
	v_add_f32_e32 v2, v2, v19
	v_lshlrev_b32_e32 v4, 2, v4
	v_cndmask_b32_e64 v5, v3, v5, s3
	v_add_f32_e32 v2, v2, v17
	v_lshlrev_b32_e32 v5, 2, v5
	v_add_f32_e32 v2, v2, v16
	v_add_f32_e32 v2, v2, v15
	;; [unrolled: 1-line block ×10, first 2 shown]
	ds_bpermute_b32 v4, v4, v2
	s_waitcnt lgkmcnt(0)
	v_add_f32_e32 v2, v2, v4
	ds_bpermute_b32 v4, v5, v2
	v_xor_b32_e32 v5, 4, v3
	v_cmp_gt_i32_e64 s3, 32, v5
	v_cndmask_b32_e64 v5, v3, v5, s3
	v_lshlrev_b32_e32 v5, 2, v5
	s_waitcnt lgkmcnt(0)
	v_add_f32_e32 v2, v2, v4
	ds_bpermute_b32 v4, v5, v2
	v_xor_b32_e32 v5, 2, v3
	v_cmp_gt_i32_e64 s3, 32, v5
	v_cndmask_b32_e64 v5, v3, v5, s3
	v_lshlrev_b32_e32 v5, 2, v5
	;; [unrolled: 7-line block ×3, first 2 shown]
	s_waitcnt lgkmcnt(0)
	v_add_f32_e32 v2, v2, v4
	ds_bpermute_b32 v3, v3, v2
	v_cmpx_lt_i32_e32 0, v21
	s_cbranch_execz .LBB319_80
; %bb.63:
	v_add_co_u32 v0, s3, s16, v0
	v_add_co_ci_u32_e64 v1, null, s17, v1, s3
	s_waitcnt lgkmcnt(0)
	v_add_f32_e32 v2, v2, v3
	s_and_saveexec_b32 s3, vcc_lo
	s_cbranch_execnz .LBB319_81
; %bb.64:
	s_or_b32 exec_lo, exec_lo, s3
	s_and_saveexec_b32 s3, s0
	s_cbranch_execnz .LBB319_82
.LBB319_65:
	s_or_b32 exec_lo, exec_lo, s3
	s_and_saveexec_b32 s0, s1
	s_cbranch_execnz .LBB319_83
.LBB319_66:
	s_or_b32 exec_lo, exec_lo, s0
	s_and_saveexec_b32 s0, s2
	s_cbranch_execnz .LBB319_84
.LBB319_67:
	s_or_b32 exec_lo, exec_lo, s0
	s_and_saveexec_b32 s0, s4
	s_cbranch_execnz .LBB319_85
.LBB319_68:
	s_or_b32 exec_lo, exec_lo, s0
	s_and_saveexec_b32 s0, s5
	s_cbranch_execnz .LBB319_86
.LBB319_69:
	s_or_b32 exec_lo, exec_lo, s0
	s_and_saveexec_b32 s0, s6
	s_cbranch_execnz .LBB319_87
.LBB319_70:
	s_or_b32 exec_lo, exec_lo, s0
	s_and_saveexec_b32 s0, s7
	s_cbranch_execnz .LBB319_88
.LBB319_71:
	s_or_b32 exec_lo, exec_lo, s0
	s_and_saveexec_b32 s0, s8
	s_cbranch_execnz .LBB319_89
.LBB319_72:
	s_or_b32 exec_lo, exec_lo, s0
	s_and_saveexec_b32 s0, s9
	s_cbranch_execnz .LBB319_90
.LBB319_73:
	s_or_b32 exec_lo, exec_lo, s0
	s_and_saveexec_b32 s0, s10
	s_cbranch_execnz .LBB319_91
.LBB319_74:
	s_or_b32 exec_lo, exec_lo, s0
	s_and_saveexec_b32 s0, s11
	s_cbranch_execnz .LBB319_92
.LBB319_75:
	s_or_b32 exec_lo, exec_lo, s0
	s_and_saveexec_b32 s0, s12
	s_cbranch_execnz .LBB319_93
.LBB319_76:
	s_or_b32 exec_lo, exec_lo, s0
	s_and_saveexec_b32 s0, s13
	s_cbranch_execnz .LBB319_94
.LBB319_77:
	s_or_b32 exec_lo, exec_lo, s0
	s_and_saveexec_b32 s0, s14
	s_cbranch_execnz .LBB319_95
.LBB319_78:
	s_or_b32 exec_lo, exec_lo, s0
	s_and_b32 exec_lo, exec_lo, s15
	s_cbranch_execz .LBB319_80
.LBB319_79:
	v_fma_f32 v2, -v2, v6, v8
	v_bfe_u32 v3, v2, 16, 1
	v_cmp_o_f32_e32 vcc_lo, v2, v2
	v_add3_u32 v2, v2, v3, 0x7fff
	v_mov_b32_e32 v3, 0x7fc0
	v_cndmask_b32_sdwa v2, v3, v2, vcc_lo dst_sel:DWORD dst_unused:UNUSED_PAD src0_sel:DWORD src1_sel:WORD_1
	global_store_short v[0:1], v2, off offset:960
.LBB319_80:
	s_endpgm
.LBB319_81:
	v_mul_f32_e32 v3, 0x3fb8aa3b, v18
	v_cmp_ngt_f32_e32 vcc_lo, 0xc2ce8ed0, v18
	v_rndne_f32_e32 v4, v3
	v_fma_f32 v5, 0x3fb8aa3b, v18, -v3
	v_sub_f32_e32 v3, v3, v4
	v_fmamk_f32 v5, v18, 0x32a5705f, v5
	v_cvt_i32_f32_e32 v4, v4
	v_add_f32_e32 v3, v3, v5
	v_exp_f32_e32 v3, v3
	v_ldexp_f32 v3, v3, v4
	v_cndmask_b32_e32 v3, 0, v3, vcc_lo
	v_cmp_nlt_f32_e32 vcc_lo, 0x42b17218, v18
	v_cndmask_b32_e32 v3, 0x7f800000, v3, vcc_lo
	v_fma_f32 v3, -v2, v3, v20
	v_bfe_u32 v4, v3, 16, 1
	v_cmp_o_f32_e32 vcc_lo, v3, v3
	v_add3_u32 v3, v3, v4, 0x7fff
	v_mov_b32_e32 v4, 0x7fc0
	v_cndmask_b32_sdwa v3, v4, v3, vcc_lo dst_sel:DWORD dst_unused:UNUSED_PAD src0_sel:DWORD src1_sel:WORD_1
	global_store_short v[0:1], v3, off
	s_or_b32 exec_lo, exec_lo, s3
	s_and_saveexec_b32 s3, s0
	s_cbranch_execz .LBB319_65
.LBB319_82:
	v_fma_f32 v3, -v2, v25, v24
	v_bfe_u32 v4, v3, 16, 1
	v_cmp_o_f32_e32 vcc_lo, v3, v3
	v_add3_u32 v3, v3, v4, 0x7fff
	v_mov_b32_e32 v4, 0x7fc0
	v_cndmask_b32_sdwa v3, v4, v3, vcc_lo dst_sel:DWORD dst_unused:UNUSED_PAD src0_sel:DWORD src1_sel:WORD_1
	global_store_short v[0:1], v3, off offset:64
	s_or_b32 exec_lo, exec_lo, s3
	s_and_saveexec_b32 s0, s1
	s_cbranch_execz .LBB319_66
.LBB319_83:
	v_fma_f32 v3, -v2, v26, v23
	v_bfe_u32 v4, v3, 16, 1
	v_cmp_o_f32_e32 vcc_lo, v3, v3
	v_add3_u32 v3, v3, v4, 0x7fff
	v_mov_b32_e32 v4, 0x7fc0
	v_cndmask_b32_sdwa v3, v4, v3, vcc_lo dst_sel:DWORD dst_unused:UNUSED_PAD src0_sel:DWORD src1_sel:WORD_1
	global_store_short v[0:1], v3, off offset:128
	s_or_b32 exec_lo, exec_lo, s0
	s_and_saveexec_b32 s0, s2
	s_cbranch_execz .LBB319_67
.LBB319_84:
	v_fma_f32 v3, -v2, v27, v22
	v_bfe_u32 v4, v3, 16, 1
	v_cmp_o_f32_e32 vcc_lo, v3, v3
	v_add3_u32 v3, v3, v4, 0x7fff
	v_mov_b32_e32 v4, 0x7fc0
	v_cndmask_b32_sdwa v3, v4, v3, vcc_lo dst_sel:DWORD dst_unused:UNUSED_PAD src0_sel:DWORD src1_sel:WORD_1
	global_store_short v[0:1], v3, off offset:192
	s_or_b32 exec_lo, exec_lo, s0
	s_and_saveexec_b32 s0, s4
	s_cbranch_execz .LBB319_68
.LBB319_85:
	v_fma_f32 v3, -v2, v28, v19
	v_bfe_u32 v4, v3, 16, 1
	v_cmp_o_f32_e32 vcc_lo, v3, v3
	v_add3_u32 v3, v3, v4, 0x7fff
	v_mov_b32_e32 v4, 0x7fc0
	v_cndmask_b32_sdwa v3, v4, v3, vcc_lo dst_sel:DWORD dst_unused:UNUSED_PAD src0_sel:DWORD src1_sel:WORD_1
	global_store_short v[0:1], v3, off offset:256
	s_or_b32 exec_lo, exec_lo, s0
	s_and_saveexec_b32 s0, s5
	s_cbranch_execz .LBB319_69
.LBB319_86:
	v_fma_f32 v3, -v2, v29, v17
	v_bfe_u32 v4, v3, 16, 1
	v_cmp_o_f32_e32 vcc_lo, v3, v3
	v_add3_u32 v3, v3, v4, 0x7fff
	v_mov_b32_e32 v4, 0x7fc0
	v_cndmask_b32_sdwa v3, v4, v3, vcc_lo dst_sel:DWORD dst_unused:UNUSED_PAD src0_sel:DWORD src1_sel:WORD_1
	global_store_short v[0:1], v3, off offset:320
	s_or_b32 exec_lo, exec_lo, s0
	s_and_saveexec_b32 s0, s6
	s_cbranch_execz .LBB319_70
.LBB319_87:
	v_fma_f32 v3, -v2, v30, v16
	v_bfe_u32 v4, v3, 16, 1
	v_cmp_o_f32_e32 vcc_lo, v3, v3
	v_add3_u32 v3, v3, v4, 0x7fff
	v_mov_b32_e32 v4, 0x7fc0
	v_cndmask_b32_sdwa v3, v4, v3, vcc_lo dst_sel:DWORD dst_unused:UNUSED_PAD src0_sel:DWORD src1_sel:WORD_1
	global_store_short v[0:1], v3, off offset:384
	s_or_b32 exec_lo, exec_lo, s0
	s_and_saveexec_b32 s0, s7
	s_cbranch_execz .LBB319_71
.LBB319_88:
	v_fma_f32 v3, -v2, v31, v15
	v_bfe_u32 v4, v3, 16, 1
	v_cmp_o_f32_e32 vcc_lo, v3, v3
	v_add3_u32 v3, v3, v4, 0x7fff
	v_mov_b32_e32 v4, 0x7fc0
	v_cndmask_b32_sdwa v3, v4, v3, vcc_lo dst_sel:DWORD dst_unused:UNUSED_PAD src0_sel:DWORD src1_sel:WORD_1
	global_store_short v[0:1], v3, off offset:448
	s_or_b32 exec_lo, exec_lo, s0
	s_and_saveexec_b32 s0, s8
	s_cbranch_execz .LBB319_72
.LBB319_89:
	v_fma_f32 v3, -v2, v32, v14
	v_bfe_u32 v4, v3, 16, 1
	v_cmp_o_f32_e32 vcc_lo, v3, v3
	v_add3_u32 v3, v3, v4, 0x7fff
	v_mov_b32_e32 v4, 0x7fc0
	v_cndmask_b32_sdwa v3, v4, v3, vcc_lo dst_sel:DWORD dst_unused:UNUSED_PAD src0_sel:DWORD src1_sel:WORD_1
	global_store_short v[0:1], v3, off offset:512
	s_or_b32 exec_lo, exec_lo, s0
	s_and_saveexec_b32 s0, s9
	s_cbranch_execz .LBB319_73
.LBB319_90:
	v_fma_f32 v3, -v2, v33, v13
	v_bfe_u32 v4, v3, 16, 1
	v_cmp_o_f32_e32 vcc_lo, v3, v3
	v_add3_u32 v3, v3, v4, 0x7fff
	v_mov_b32_e32 v4, 0x7fc0
	v_cndmask_b32_sdwa v3, v4, v3, vcc_lo dst_sel:DWORD dst_unused:UNUSED_PAD src0_sel:DWORD src1_sel:WORD_1
	global_store_short v[0:1], v3, off offset:576
	s_or_b32 exec_lo, exec_lo, s0
	s_and_saveexec_b32 s0, s10
	s_cbranch_execz .LBB319_74
.LBB319_91:
	v_fma_f32 v3, -v2, v34, v12
	v_bfe_u32 v4, v3, 16, 1
	v_cmp_o_f32_e32 vcc_lo, v3, v3
	v_add3_u32 v3, v3, v4, 0x7fff
	v_mov_b32_e32 v4, 0x7fc0
	v_cndmask_b32_sdwa v3, v4, v3, vcc_lo dst_sel:DWORD dst_unused:UNUSED_PAD src0_sel:DWORD src1_sel:WORD_1
	global_store_short v[0:1], v3, off offset:640
	s_or_b32 exec_lo, exec_lo, s0
	s_and_saveexec_b32 s0, s11
	s_cbranch_execz .LBB319_75
.LBB319_92:
	v_fma_f32 v3, -v2, v35, v11
	v_bfe_u32 v4, v3, 16, 1
	v_cmp_o_f32_e32 vcc_lo, v3, v3
	v_add3_u32 v3, v3, v4, 0x7fff
	v_mov_b32_e32 v4, 0x7fc0
	v_cndmask_b32_sdwa v3, v4, v3, vcc_lo dst_sel:DWORD dst_unused:UNUSED_PAD src0_sel:DWORD src1_sel:WORD_1
	global_store_short v[0:1], v3, off offset:704
	s_or_b32 exec_lo, exec_lo, s0
	s_and_saveexec_b32 s0, s12
	s_cbranch_execz .LBB319_76
.LBB319_93:
	v_fma_f32 v3, -v2, v36, v10
	v_bfe_u32 v4, v3, 16, 1
	v_cmp_o_f32_e32 vcc_lo, v3, v3
	v_add3_u32 v3, v3, v4, 0x7fff
	v_mov_b32_e32 v4, 0x7fc0
	v_cndmask_b32_sdwa v3, v4, v3, vcc_lo dst_sel:DWORD dst_unused:UNUSED_PAD src0_sel:DWORD src1_sel:WORD_1
	global_store_short v[0:1], v3, off offset:768
	s_or_b32 exec_lo, exec_lo, s0
	s_and_saveexec_b32 s0, s13
	s_cbranch_execz .LBB319_77
.LBB319_94:
	v_fma_f32 v3, -v2, v37, v9
	v_bfe_u32 v4, v3, 16, 1
	v_cmp_o_f32_e32 vcc_lo, v3, v3
	v_add3_u32 v3, v3, v4, 0x7fff
	v_mov_b32_e32 v4, 0x7fc0
	v_cndmask_b32_sdwa v3, v4, v3, vcc_lo dst_sel:DWORD dst_unused:UNUSED_PAD src0_sel:DWORD src1_sel:WORD_1
	global_store_short v[0:1], v3, off offset:832
	s_or_b32 exec_lo, exec_lo, s0
	s_and_saveexec_b32 s0, s14
	s_cbranch_execz .LBB319_78
.LBB319_95:
	v_fma_f32 v3, -v2, v38, v7
	v_bfe_u32 v4, v3, 16, 1
	v_cmp_o_f32_e32 vcc_lo, v3, v3
	v_add3_u32 v3, v3, v4, 0x7fff
	v_mov_b32_e32 v4, 0x7fc0
	v_cndmask_b32_sdwa v3, v4, v3, vcc_lo dst_sel:DWORD dst_unused:UNUSED_PAD src0_sel:DWORD src1_sel:WORD_1
	global_store_short v[0:1], v3, off offset:896
	s_or_b32 exec_lo, exec_lo, s0
	s_and_b32 exec_lo, exec_lo, s15
	s_cbranch_execnz .LBB319_79
	s_branch .LBB319_80
	.section	.rodata,"a",@progbits
	.p2align	6, 0x0
	.amdhsa_kernel _ZN12_GLOBAL__N_121softmax_warp_backwardIN3c108BFloat16ES2_fLi9ELb1ELb0ELi32EEEvPT0_PKT_S7_iiiPKb
		.amdhsa_group_segment_fixed_size 0
		.amdhsa_private_segment_fixed_size 0
		.amdhsa_kernarg_size 304
		.amdhsa_user_sgpr_count 6
		.amdhsa_user_sgpr_private_segment_buffer 1
		.amdhsa_user_sgpr_dispatch_ptr 0
		.amdhsa_user_sgpr_queue_ptr 0
		.amdhsa_user_sgpr_kernarg_segment_ptr 1
		.amdhsa_user_sgpr_dispatch_id 0
		.amdhsa_user_sgpr_flat_scratch_init 0
		.amdhsa_user_sgpr_private_segment_size 0
		.amdhsa_wavefront_size32 1
		.amdhsa_uses_dynamic_stack 0
		.amdhsa_system_sgpr_private_segment_wavefront_offset 0
		.amdhsa_system_sgpr_workgroup_id_x 1
		.amdhsa_system_sgpr_workgroup_id_y 0
		.amdhsa_system_sgpr_workgroup_id_z 0
		.amdhsa_system_sgpr_workgroup_info 0
		.amdhsa_system_vgpr_workitem_id 1
		.amdhsa_next_free_vgpr 42
		.amdhsa_next_free_sgpr 24
		.amdhsa_reserve_vcc 1
		.amdhsa_reserve_flat_scratch 0
		.amdhsa_float_round_mode_32 0
		.amdhsa_float_round_mode_16_64 0
		.amdhsa_float_denorm_mode_32 3
		.amdhsa_float_denorm_mode_16_64 3
		.amdhsa_dx10_clamp 1
		.amdhsa_ieee_mode 1
		.amdhsa_fp16_overflow 0
		.amdhsa_workgroup_processor_mode 1
		.amdhsa_memory_ordered 1
		.amdhsa_forward_progress 1
		.amdhsa_shared_vgpr_count 0
		.amdhsa_exception_fp_ieee_invalid_op 0
		.amdhsa_exception_fp_denorm_src 0
		.amdhsa_exception_fp_ieee_div_zero 0
		.amdhsa_exception_fp_ieee_overflow 0
		.amdhsa_exception_fp_ieee_underflow 0
		.amdhsa_exception_fp_ieee_inexact 0
		.amdhsa_exception_int_div_zero 0
	.end_amdhsa_kernel
	.section	.text._ZN12_GLOBAL__N_121softmax_warp_backwardIN3c108BFloat16ES2_fLi9ELb1ELb0ELi32EEEvPT0_PKT_S7_iiiPKb,"axG",@progbits,_ZN12_GLOBAL__N_121softmax_warp_backwardIN3c108BFloat16ES2_fLi9ELb1ELb0ELi32EEEvPT0_PKT_S7_iiiPKb,comdat
.Lfunc_end319:
	.size	_ZN12_GLOBAL__N_121softmax_warp_backwardIN3c108BFloat16ES2_fLi9ELb1ELb0ELi32EEEvPT0_PKT_S7_iiiPKb, .Lfunc_end319-_ZN12_GLOBAL__N_121softmax_warp_backwardIN3c108BFloat16ES2_fLi9ELb1ELb0ELi32EEEvPT0_PKT_S7_iiiPKb
                                        ; -- End function
	.set _ZN12_GLOBAL__N_121softmax_warp_backwardIN3c108BFloat16ES2_fLi9ELb1ELb0ELi32EEEvPT0_PKT_S7_iiiPKb.num_vgpr, 42
	.set _ZN12_GLOBAL__N_121softmax_warp_backwardIN3c108BFloat16ES2_fLi9ELb1ELb0ELi32EEEvPT0_PKT_S7_iiiPKb.num_agpr, 0
	.set _ZN12_GLOBAL__N_121softmax_warp_backwardIN3c108BFloat16ES2_fLi9ELb1ELb0ELi32EEEvPT0_PKT_S7_iiiPKb.numbered_sgpr, 24
	.set _ZN12_GLOBAL__N_121softmax_warp_backwardIN3c108BFloat16ES2_fLi9ELb1ELb0ELi32EEEvPT0_PKT_S7_iiiPKb.num_named_barrier, 0
	.set _ZN12_GLOBAL__N_121softmax_warp_backwardIN3c108BFloat16ES2_fLi9ELb1ELb0ELi32EEEvPT0_PKT_S7_iiiPKb.private_seg_size, 0
	.set _ZN12_GLOBAL__N_121softmax_warp_backwardIN3c108BFloat16ES2_fLi9ELb1ELb0ELi32EEEvPT0_PKT_S7_iiiPKb.uses_vcc, 1
	.set _ZN12_GLOBAL__N_121softmax_warp_backwardIN3c108BFloat16ES2_fLi9ELb1ELb0ELi32EEEvPT0_PKT_S7_iiiPKb.uses_flat_scratch, 0
	.set _ZN12_GLOBAL__N_121softmax_warp_backwardIN3c108BFloat16ES2_fLi9ELb1ELb0ELi32EEEvPT0_PKT_S7_iiiPKb.has_dyn_sized_stack, 0
	.set _ZN12_GLOBAL__N_121softmax_warp_backwardIN3c108BFloat16ES2_fLi9ELb1ELb0ELi32EEEvPT0_PKT_S7_iiiPKb.has_recursion, 0
	.set _ZN12_GLOBAL__N_121softmax_warp_backwardIN3c108BFloat16ES2_fLi9ELb1ELb0ELi32EEEvPT0_PKT_S7_iiiPKb.has_indirect_call, 0
	.section	.AMDGPU.csdata,"",@progbits
; Kernel info:
; codeLenInByte = 4712
; TotalNumSgprs: 26
; NumVgprs: 42
; ScratchSize: 0
; MemoryBound: 0
; FloatMode: 240
; IeeeMode: 1
; LDSByteSize: 0 bytes/workgroup (compile time only)
; SGPRBlocks: 0
; VGPRBlocks: 5
; NumSGPRsForWavesPerEU: 26
; NumVGPRsForWavesPerEU: 42
; Occupancy: 16
; WaveLimiterHint : 0
; COMPUTE_PGM_RSRC2:SCRATCH_EN: 0
; COMPUTE_PGM_RSRC2:USER_SGPR: 6
; COMPUTE_PGM_RSRC2:TRAP_HANDLER: 0
; COMPUTE_PGM_RSRC2:TGID_X_EN: 1
; COMPUTE_PGM_RSRC2:TGID_Y_EN: 0
; COMPUTE_PGM_RSRC2:TGID_Z_EN: 0
; COMPUTE_PGM_RSRC2:TIDIG_COMP_CNT: 1
	.section	.text._ZN12_GLOBAL__N_121softmax_warp_backwardIN3c108BFloat16ES2_fLi10ELb1ELb0ELi64EEEvPT0_PKT_S7_iiiPKb,"axG",@progbits,_ZN12_GLOBAL__N_121softmax_warp_backwardIN3c108BFloat16ES2_fLi10ELb1ELb0ELi64EEEvPT0_PKT_S7_iiiPKb,comdat
	.globl	_ZN12_GLOBAL__N_121softmax_warp_backwardIN3c108BFloat16ES2_fLi10ELb1ELb0ELi64EEEvPT0_PKT_S7_iiiPKb ; -- Begin function _ZN12_GLOBAL__N_121softmax_warp_backwardIN3c108BFloat16ES2_fLi10ELb1ELb0ELi64EEEvPT0_PKT_S7_iiiPKb
	.p2align	8
	.type	_ZN12_GLOBAL__N_121softmax_warp_backwardIN3c108BFloat16ES2_fLi10ELb1ELb0ELi64EEEvPT0_PKT_S7_iiiPKb,@function
_ZN12_GLOBAL__N_121softmax_warp_backwardIN3c108BFloat16ES2_fLi10ELb1ELb0ELi64EEEvPT0_PKT_S7_iiiPKb: ; @_ZN12_GLOBAL__N_121softmax_warp_backwardIN3c108BFloat16ES2_fLi10ELb1ELb0ELi64EEEvPT0_PKT_S7_iiiPKb
; %bb.0:
	s_clause 0x1
	s_load_dword s0, s[4:5], 0x3c
	s_load_dwordx4 s[20:23], s[4:5], 0x18
	v_and_b32_e32 v7, 63, v0
	s_clause 0x1
	s_load_dwordx4 s[16:19], s[4:5], 0x0
	s_load_dwordx2 s[4:5], s[4:5], 0x10
	v_mov_b32_e32 v19, 0
	v_mov_b32_e32 v21, 0
	s_waitcnt lgkmcnt(0)
	s_lshr_b32 s0, s0, 16
	v_cmp_gt_i32_e32 vcc_lo, s22, v7
	v_mad_u64_u32 v[1:2], null, s6, s0, v[1:2]
	v_mad_u64_u32 v[2:3], null, v1, s21, v[7:8]
	v_sub_nc_u32_e32 v22, s20, v1
	v_cmp_lt_i32_e64 s3, 0, v22
	v_ashrrev_i32_e32 v3, 31, v2
	s_and_b32 s1, s3, vcc_lo
	v_lshlrev_b64 v[1:2], 1, v[2:3]
	v_add_co_u32 v3, s0, s18, v1
	v_add_co_ci_u32_e64 v4, null, s19, v2, s0
	v_add_co_u32 v5, s0, s4, v1
	v_add_co_ci_u32_e64 v6, null, s5, v2, s0
	s_and_saveexec_b32 s0, s1
	s_cbranch_execz .LBB320_2
; %bb.1:
	global_load_ushort v8, v[3:4], off
	global_load_ushort v9, v[5:6], off
	s_waitcnt vmcnt(1)
	v_lshlrev_b32_e32 v21, 16, v8
	s_waitcnt vmcnt(0)
	v_lshlrev_b32_e32 v19, 16, v9
.LBB320_2:
	s_or_b32 exec_lo, exec_lo, s0
	v_or_b32_e32 v8, 64, v7
	v_cmp_gt_i32_e64 s0, s22, v8
	s_and_b32 s1, s3, s0
	s_xor_b32 s1, s1, -1
	s_and_saveexec_b32 s2, s1
	s_xor_b32 s1, exec_lo, s2
                                        ; implicit-def: $vgpr8
                                        ; implicit-def: $vgpr10
                                        ; implicit-def: $vgpr11
                                        ; implicit-def: $vgpr12
                                        ; implicit-def: $vgpr13
                                        ; implicit-def: $vgpr14
                                        ; implicit-def: $vgpr15
                                        ; implicit-def: $vgpr16
                                        ; implicit-def: $vgpr17
                                        ; implicit-def: $vgpr18
                                        ; implicit-def: $vgpr20
                                        ; implicit-def: $vgpr23
                                        ; implicit-def: $vgpr24
                                        ; implicit-def: $vgpr25
                                        ; implicit-def: $vgpr9
; %bb.3:
	s_mov_b32 s2, 0
                                        ; implicit-def: $vgpr8
                                        ; implicit-def: $vgpr10
                                        ; implicit-def: $vgpr11
                                        ; implicit-def: $vgpr12
                                        ; implicit-def: $vgpr13
                                        ; implicit-def: $vgpr14
                                        ; implicit-def: $vgpr15
                                        ; implicit-def: $vgpr16
                                        ; implicit-def: $vgpr17
                                        ; implicit-def: $vgpr18
                                        ; implicit-def: $vgpr20
                                        ; implicit-def: $vgpr23
                                        ; implicit-def: $vgpr24
                                        ; implicit-def: $vgpr9
	v_mov_b32_e32 v25, s2
; %bb.4:
	s_or_saveexec_b32 s2, s1
	v_mov_b32_e32 v26, 1.0
	s_xor_b32 exec_lo, exec_lo, s2
	s_cbranch_execz .LBB320_6
; %bb.5:
	global_load_ushort v25, v[5:6], off offset:128
	global_load_ushort v26, v[3:4], off offset:128
	s_waitcnt vmcnt(1)
	v_lshlrev_b32_e32 v27, 16, v25
	v_mul_f32_e32 v25, 0x3fb8aa3b, v27
	v_cmp_ngt_f32_e64 s1, 0xc2ce8ed0, v27
	v_fma_f32 v28, 0x3fb8aa3b, v27, -v25
	v_rndne_f32_e32 v29, v25
	v_fmamk_f32 v28, v27, 0x32a5705f, v28
	v_sub_f32_e32 v25, v25, v29
	v_add_f32_e32 v25, v25, v28
	v_cvt_i32_f32_e32 v28, v29
	v_exp_f32_e32 v25, v25
	v_ldexp_f32 v25, v25, v28
	v_cndmask_b32_e64 v28, 0, v25, s1
	v_cmp_nlt_f32_e64 s1, 0x42b17218, v27
	s_waitcnt vmcnt(0)
	v_lshlrev_b32_e32 v25, 16, v26
	v_cndmask_b32_e64 v26, 0x7f800000, v28, s1
.LBB320_6:
	s_or_b32 exec_lo, exec_lo, s2
	v_or_b32_e32 v27, 0x80, v7
	v_cmp_gt_i32_e64 s1, s22, v27
	s_and_b32 s2, s3, s1
	s_xor_b32 s2, s2, -1
	s_and_saveexec_b32 s4, s2
	s_xor_b32 s2, exec_lo, s4
; %bb.7:
	s_mov_b32 s4, 0
	v_mov_b32_e32 v24, s4
; %bb.8:
	s_or_saveexec_b32 s4, s2
	v_mov_b32_e32 v27, 1.0
	s_xor_b32 exec_lo, exec_lo, s4
	s_cbranch_execz .LBB320_10
; %bb.9:
	global_load_ushort v24, v[5:6], off offset:256
	global_load_ushort v27, v[3:4], off offset:256
	s_waitcnt vmcnt(1)
	v_lshlrev_b32_e32 v28, 16, v24
	v_mul_f32_e32 v24, 0x3fb8aa3b, v28
	v_cmp_ngt_f32_e64 s2, 0xc2ce8ed0, v28
	v_fma_f32 v29, 0x3fb8aa3b, v28, -v24
	v_rndne_f32_e32 v30, v24
	v_fmamk_f32 v29, v28, 0x32a5705f, v29
	v_sub_f32_e32 v24, v24, v30
	v_add_f32_e32 v24, v24, v29
	v_cvt_i32_f32_e32 v29, v30
	v_exp_f32_e32 v24, v24
	v_ldexp_f32 v24, v24, v29
	v_cndmask_b32_e64 v29, 0, v24, s2
	v_cmp_nlt_f32_e64 s2, 0x42b17218, v28
	s_waitcnt vmcnt(0)
	v_lshlrev_b32_e32 v24, 16, v27
	v_cndmask_b32_e64 v27, 0x7f800000, v29, s2
.LBB320_10:
	s_or_b32 exec_lo, exec_lo, s4
	v_or_b32_e32 v28, 0xc0, v7
	v_cmp_gt_i32_e64 s2, s22, v28
	s_and_b32 s4, s3, s2
	s_xor_b32 s4, s4, -1
	s_and_saveexec_b32 s5, s4
	s_xor_b32 s4, exec_lo, s5
; %bb.11:
	s_mov_b32 s5, 0
	;; [unrolled: 36-line block ×13, first 2 shown]
	v_mov_b32_e32 v8, s18
; %bb.56:
	s_or_saveexec_b32 s18, s15
	v_mov_b32_e32 v7, 1.0
	s_xor_b32 exec_lo, exec_lo, s18
	s_cbranch_execz .LBB320_58
; %bb.57:
	global_load_ushort v7, v[5:6], off offset:1792
	global_load_ushort v8, v[3:4], off offset:1792
	s_waitcnt vmcnt(1)
	v_lshlrev_b32_e32 v7, 16, v7
	s_waitcnt vmcnt(0)
	v_lshlrev_b32_e32 v8, 16, v8
	v_mul_f32_e32 v39, 0x3fb8aa3b, v7
	v_cmp_ngt_f32_e64 s15, 0xc2ce8ed0, v7
	v_fma_f32 v40, 0x3fb8aa3b, v7, -v39
	v_rndne_f32_e32 v41, v39
	v_fmamk_f32 v40, v7, 0x32a5705f, v40
	v_sub_f32_e32 v39, v39, v41
	v_add_f32_e32 v39, v39, v40
	v_cvt_i32_f32_e32 v40, v41
	v_exp_f32_e32 v39, v39
	v_ldexp_f32 v39, v39, v40
	v_cndmask_b32_e64 v39, 0, v39, s15
	v_cmp_nlt_f32_e64 s15, 0x42b17218, v7
	v_cndmask_b32_e64 v7, 0x7f800000, v39, s15
.LBB320_58:
	s_or_b32 exec_lo, exec_lo, s18
	v_or_b32_e32 v0, 0x3c0, v0
	v_cmp_gt_i32_e64 s15, s22, v0
	s_and_b32 s3, s3, s15
	s_xor_b32 s3, s3, -1
	s_and_saveexec_b32 s18, s3
	s_xor_b32 s3, exec_lo, s18
; %bb.59:
	s_mov_b32 s18, 0
                                        ; implicit-def: $vgpr3_vgpr4
                                        ; implicit-def: $vgpr5_vgpr6
	v_mov_b32_e32 v9, s18
; %bb.60:
	s_or_saveexec_b32 s18, s3
	v_mov_b32_e32 v39, 1.0
	s_xor_b32 exec_lo, exec_lo, s18
	s_cbranch_execz .LBB320_62
; %bb.61:
	global_load_ushort v0, v[5:6], off offset:1920
	global_load_ushort v3, v[3:4], off offset:1920
	s_waitcnt vmcnt(1)
	v_lshlrev_b32_e32 v0, 16, v0
	s_waitcnt vmcnt(0)
	v_lshlrev_b32_e32 v9, 16, v3
	v_mul_f32_e32 v4, 0x3fb8aa3b, v0
	v_cmp_ngt_f32_e64 s3, 0xc2ce8ed0, v0
	v_fma_f32 v5, 0x3fb8aa3b, v0, -v4
	v_rndne_f32_e32 v6, v4
	v_fmamk_f32 v5, v0, 0x32a5705f, v5
	v_sub_f32_e32 v4, v4, v6
	v_add_f32_e32 v4, v4, v5
	v_cvt_i32_f32_e32 v5, v6
	v_exp_f32_e32 v4, v4
	v_ldexp_f32 v4, v4, v5
	v_cndmask_b32_e64 v4, 0, v4, s3
	v_cmp_nlt_f32_e64 s3, 0x42b17218, v0
	v_cndmask_b32_e64 v39, 0x7f800000, v4, s3
.LBB320_62:
	s_or_b32 exec_lo, exec_lo, s18
	v_add_f32_e32 v0, 0, v21
	v_mbcnt_lo_u32_b32 v3, -1, 0
	s_mov_b32 s18, exec_lo
	v_add_f32_e32 v0, v0, v25
	v_or_b32_e32 v4, 32, v3
	v_xor_b32_e32 v5, 16, v3
	v_add_f32_e32 v0, v0, v24
	v_cmp_gt_i32_e64 s3, 64, v4
	v_add_f32_e32 v0, v0, v23
	v_cndmask_b32_e64 v4, v3, v4, s3
	v_cmp_gt_i32_e64 s3, 64, v5
	v_add_f32_e32 v0, v0, v20
	v_lshlrev_b32_e32 v4, 2, v4
	v_cndmask_b32_e64 v5, v3, v5, s3
	v_add_f32_e32 v0, v0, v18
	v_lshlrev_b32_e32 v5, 2, v5
	v_add_f32_e32 v0, v0, v17
	v_add_f32_e32 v0, v0, v16
	;; [unrolled: 1-line block ×10, first 2 shown]
	ds_bpermute_b32 v4, v4, v0
	s_waitcnt lgkmcnt(0)
	v_add_f32_e32 v0, v0, v4
	ds_bpermute_b32 v4, v5, v0
	v_xor_b32_e32 v5, 8, v3
	v_cmp_gt_i32_e64 s3, 64, v5
	v_cndmask_b32_e64 v5, v3, v5, s3
	v_lshlrev_b32_e32 v5, 2, v5
	s_waitcnt lgkmcnt(0)
	v_add_f32_e32 v0, v0, v4
	ds_bpermute_b32 v4, v5, v0
	v_xor_b32_e32 v5, 4, v3
	v_cmp_gt_i32_e64 s3, 64, v5
	v_cndmask_b32_e64 v5, v3, v5, s3
	v_lshlrev_b32_e32 v5, 2, v5
	;; [unrolled: 7-line block ×3, first 2 shown]
	s_waitcnt lgkmcnt(0)
	v_add_f32_e32 v0, v0, v4
	ds_bpermute_b32 v4, v5, v0
	v_xor_b32_e32 v5, 1, v3
	v_cmp_gt_i32_e64 s3, 64, v5
	v_cndmask_b32_e64 v5, v3, v5, s3
	s_waitcnt lgkmcnt(0)
	v_add_f32_e32 v3, v0, v4
	v_lshlrev_b32_e32 v0, 2, v5
	ds_bpermute_b32 v4, v0, v3
	v_cmpx_lt_i32_e32 0, v22
	s_cbranch_execz .LBB320_80
; %bb.63:
	v_add_co_u32 v0, s3, s16, v1
	v_add_co_ci_u32_e64 v1, null, s17, v2, s3
	s_waitcnt lgkmcnt(0)
	v_add_f32_e32 v2, v3, v4
	s_and_saveexec_b32 s3, vcc_lo
	s_cbranch_execnz .LBB320_81
; %bb.64:
	s_or_b32 exec_lo, exec_lo, s3
	s_and_saveexec_b32 s3, s0
	s_cbranch_execnz .LBB320_82
.LBB320_65:
	s_or_b32 exec_lo, exec_lo, s3
	s_and_saveexec_b32 s0, s1
	s_cbranch_execnz .LBB320_83
.LBB320_66:
	s_or_b32 exec_lo, exec_lo, s0
	s_and_saveexec_b32 s0, s2
	s_cbranch_execnz .LBB320_84
.LBB320_67:
	s_or_b32 exec_lo, exec_lo, s0
	s_and_saveexec_b32 s0, s4
	s_cbranch_execnz .LBB320_85
.LBB320_68:
	s_or_b32 exec_lo, exec_lo, s0
	s_and_saveexec_b32 s0, s5
	s_cbranch_execnz .LBB320_86
.LBB320_69:
	s_or_b32 exec_lo, exec_lo, s0
	s_and_saveexec_b32 s0, s6
	s_cbranch_execnz .LBB320_87
.LBB320_70:
	s_or_b32 exec_lo, exec_lo, s0
	s_and_saveexec_b32 s0, s7
	s_cbranch_execnz .LBB320_88
.LBB320_71:
	s_or_b32 exec_lo, exec_lo, s0
	s_and_saveexec_b32 s0, s8
	s_cbranch_execnz .LBB320_89
.LBB320_72:
	s_or_b32 exec_lo, exec_lo, s0
	s_and_saveexec_b32 s0, s9
	s_cbranch_execnz .LBB320_90
.LBB320_73:
	s_or_b32 exec_lo, exec_lo, s0
	s_and_saveexec_b32 s0, s10
	s_cbranch_execnz .LBB320_91
.LBB320_74:
	s_or_b32 exec_lo, exec_lo, s0
	s_and_saveexec_b32 s0, s11
	s_cbranch_execnz .LBB320_92
.LBB320_75:
	s_or_b32 exec_lo, exec_lo, s0
	s_and_saveexec_b32 s0, s12
	s_cbranch_execnz .LBB320_93
.LBB320_76:
	s_or_b32 exec_lo, exec_lo, s0
	s_and_saveexec_b32 s0, s13
	s_cbranch_execnz .LBB320_94
.LBB320_77:
	s_or_b32 exec_lo, exec_lo, s0
	s_and_saveexec_b32 s0, s14
	s_cbranch_execnz .LBB320_95
.LBB320_78:
	s_or_b32 exec_lo, exec_lo, s0
	s_and_b32 exec_lo, exec_lo, s15
	s_cbranch_execz .LBB320_80
.LBB320_79:
	v_fma_f32 v2, -v2, v39, v9
	v_bfe_u32 v3, v2, 16, 1
	v_cmp_o_f32_e32 vcc_lo, v2, v2
	v_add3_u32 v2, v2, v3, 0x7fff
	v_mov_b32_e32 v3, 0x7fc0
	v_cndmask_b32_sdwa v2, v3, v2, vcc_lo dst_sel:DWORD dst_unused:UNUSED_PAD src0_sel:DWORD src1_sel:WORD_1
	global_store_short v[0:1], v2, off offset:1920
.LBB320_80:
	s_endpgm
.LBB320_81:
	v_mul_f32_e32 v3, 0x3fb8aa3b, v19
	v_cmp_ngt_f32_e32 vcc_lo, 0xc2ce8ed0, v19
	v_rndne_f32_e32 v4, v3
	v_fma_f32 v5, 0x3fb8aa3b, v19, -v3
	v_sub_f32_e32 v3, v3, v4
	v_fmamk_f32 v5, v19, 0x32a5705f, v5
	v_cvt_i32_f32_e32 v4, v4
	v_add_f32_e32 v3, v3, v5
	v_exp_f32_e32 v3, v3
	v_ldexp_f32 v3, v3, v4
	v_cndmask_b32_e32 v3, 0, v3, vcc_lo
	v_cmp_nlt_f32_e32 vcc_lo, 0x42b17218, v19
	v_cndmask_b32_e32 v3, 0x7f800000, v3, vcc_lo
	v_fma_f32 v3, -v2, v3, v21
	v_bfe_u32 v4, v3, 16, 1
	v_cmp_o_f32_e32 vcc_lo, v3, v3
	v_add3_u32 v3, v3, v4, 0x7fff
	v_mov_b32_e32 v4, 0x7fc0
	v_cndmask_b32_sdwa v3, v4, v3, vcc_lo dst_sel:DWORD dst_unused:UNUSED_PAD src0_sel:DWORD src1_sel:WORD_1
	global_store_short v[0:1], v3, off
	s_or_b32 exec_lo, exec_lo, s3
	s_and_saveexec_b32 s3, s0
	s_cbranch_execz .LBB320_65
.LBB320_82:
	v_fma_f32 v3, -v2, v26, v25
	v_bfe_u32 v4, v3, 16, 1
	v_cmp_o_f32_e32 vcc_lo, v3, v3
	v_add3_u32 v3, v3, v4, 0x7fff
	v_mov_b32_e32 v4, 0x7fc0
	v_cndmask_b32_sdwa v3, v4, v3, vcc_lo dst_sel:DWORD dst_unused:UNUSED_PAD src0_sel:DWORD src1_sel:WORD_1
	global_store_short v[0:1], v3, off offset:128
	s_or_b32 exec_lo, exec_lo, s3
	s_and_saveexec_b32 s0, s1
	s_cbranch_execz .LBB320_66
.LBB320_83:
	v_fma_f32 v3, -v2, v27, v24
	v_bfe_u32 v4, v3, 16, 1
	v_cmp_o_f32_e32 vcc_lo, v3, v3
	v_add3_u32 v3, v3, v4, 0x7fff
	v_mov_b32_e32 v4, 0x7fc0
	v_cndmask_b32_sdwa v3, v4, v3, vcc_lo dst_sel:DWORD dst_unused:UNUSED_PAD src0_sel:DWORD src1_sel:WORD_1
	global_store_short v[0:1], v3, off offset:256
	s_or_b32 exec_lo, exec_lo, s0
	s_and_saveexec_b32 s0, s2
	s_cbranch_execz .LBB320_67
.LBB320_84:
	v_fma_f32 v3, -v2, v28, v23
	v_bfe_u32 v4, v3, 16, 1
	v_cmp_o_f32_e32 vcc_lo, v3, v3
	v_add3_u32 v3, v3, v4, 0x7fff
	v_mov_b32_e32 v4, 0x7fc0
	v_cndmask_b32_sdwa v3, v4, v3, vcc_lo dst_sel:DWORD dst_unused:UNUSED_PAD src0_sel:DWORD src1_sel:WORD_1
	global_store_short v[0:1], v3, off offset:384
	s_or_b32 exec_lo, exec_lo, s0
	s_and_saveexec_b32 s0, s4
	s_cbranch_execz .LBB320_68
.LBB320_85:
	v_fma_f32 v3, -v2, v29, v20
	v_bfe_u32 v4, v3, 16, 1
	v_cmp_o_f32_e32 vcc_lo, v3, v3
	v_add3_u32 v3, v3, v4, 0x7fff
	v_mov_b32_e32 v4, 0x7fc0
	v_cndmask_b32_sdwa v3, v4, v3, vcc_lo dst_sel:DWORD dst_unused:UNUSED_PAD src0_sel:DWORD src1_sel:WORD_1
	global_store_short v[0:1], v3, off offset:512
	s_or_b32 exec_lo, exec_lo, s0
	s_and_saveexec_b32 s0, s5
	s_cbranch_execz .LBB320_69
.LBB320_86:
	v_fma_f32 v3, -v2, v30, v18
	v_bfe_u32 v4, v3, 16, 1
	v_cmp_o_f32_e32 vcc_lo, v3, v3
	v_add3_u32 v3, v3, v4, 0x7fff
	v_mov_b32_e32 v4, 0x7fc0
	v_cndmask_b32_sdwa v3, v4, v3, vcc_lo dst_sel:DWORD dst_unused:UNUSED_PAD src0_sel:DWORD src1_sel:WORD_1
	global_store_short v[0:1], v3, off offset:640
	s_or_b32 exec_lo, exec_lo, s0
	s_and_saveexec_b32 s0, s6
	s_cbranch_execz .LBB320_70
.LBB320_87:
	v_fma_f32 v3, -v2, v31, v17
	v_bfe_u32 v4, v3, 16, 1
	v_cmp_o_f32_e32 vcc_lo, v3, v3
	v_add3_u32 v3, v3, v4, 0x7fff
	v_mov_b32_e32 v4, 0x7fc0
	v_cndmask_b32_sdwa v3, v4, v3, vcc_lo dst_sel:DWORD dst_unused:UNUSED_PAD src0_sel:DWORD src1_sel:WORD_1
	global_store_short v[0:1], v3, off offset:768
	s_or_b32 exec_lo, exec_lo, s0
	s_and_saveexec_b32 s0, s7
	s_cbranch_execz .LBB320_71
.LBB320_88:
	v_fma_f32 v3, -v2, v32, v16
	v_bfe_u32 v4, v3, 16, 1
	v_cmp_o_f32_e32 vcc_lo, v3, v3
	v_add3_u32 v3, v3, v4, 0x7fff
	v_mov_b32_e32 v4, 0x7fc0
	v_cndmask_b32_sdwa v3, v4, v3, vcc_lo dst_sel:DWORD dst_unused:UNUSED_PAD src0_sel:DWORD src1_sel:WORD_1
	global_store_short v[0:1], v3, off offset:896
	s_or_b32 exec_lo, exec_lo, s0
	s_and_saveexec_b32 s0, s8
	s_cbranch_execz .LBB320_72
.LBB320_89:
	v_fma_f32 v3, -v2, v33, v15
	v_bfe_u32 v4, v3, 16, 1
	v_cmp_o_f32_e32 vcc_lo, v3, v3
	v_add3_u32 v3, v3, v4, 0x7fff
	v_mov_b32_e32 v4, 0x7fc0
	v_cndmask_b32_sdwa v3, v4, v3, vcc_lo dst_sel:DWORD dst_unused:UNUSED_PAD src0_sel:DWORD src1_sel:WORD_1
	global_store_short v[0:1], v3, off offset:1024
	s_or_b32 exec_lo, exec_lo, s0
	s_and_saveexec_b32 s0, s9
	s_cbranch_execz .LBB320_73
.LBB320_90:
	v_fma_f32 v3, -v2, v34, v14
	v_bfe_u32 v4, v3, 16, 1
	v_cmp_o_f32_e32 vcc_lo, v3, v3
	v_add3_u32 v3, v3, v4, 0x7fff
	v_mov_b32_e32 v4, 0x7fc0
	v_cndmask_b32_sdwa v3, v4, v3, vcc_lo dst_sel:DWORD dst_unused:UNUSED_PAD src0_sel:DWORD src1_sel:WORD_1
	global_store_short v[0:1], v3, off offset:1152
	s_or_b32 exec_lo, exec_lo, s0
	s_and_saveexec_b32 s0, s10
	s_cbranch_execz .LBB320_74
.LBB320_91:
	v_fma_f32 v3, -v2, v35, v13
	v_bfe_u32 v4, v3, 16, 1
	v_cmp_o_f32_e32 vcc_lo, v3, v3
	v_add3_u32 v3, v3, v4, 0x7fff
	v_mov_b32_e32 v4, 0x7fc0
	v_cndmask_b32_sdwa v3, v4, v3, vcc_lo dst_sel:DWORD dst_unused:UNUSED_PAD src0_sel:DWORD src1_sel:WORD_1
	global_store_short v[0:1], v3, off offset:1280
	s_or_b32 exec_lo, exec_lo, s0
	s_and_saveexec_b32 s0, s11
	s_cbranch_execz .LBB320_75
.LBB320_92:
	v_fma_f32 v3, -v2, v36, v12
	v_bfe_u32 v4, v3, 16, 1
	v_cmp_o_f32_e32 vcc_lo, v3, v3
	v_add3_u32 v3, v3, v4, 0x7fff
	v_mov_b32_e32 v4, 0x7fc0
	v_cndmask_b32_sdwa v3, v4, v3, vcc_lo dst_sel:DWORD dst_unused:UNUSED_PAD src0_sel:DWORD src1_sel:WORD_1
	global_store_short v[0:1], v3, off offset:1408
	s_or_b32 exec_lo, exec_lo, s0
	s_and_saveexec_b32 s0, s12
	s_cbranch_execz .LBB320_76
.LBB320_93:
	v_fma_f32 v3, -v2, v37, v11
	v_bfe_u32 v4, v3, 16, 1
	v_cmp_o_f32_e32 vcc_lo, v3, v3
	v_add3_u32 v3, v3, v4, 0x7fff
	v_mov_b32_e32 v4, 0x7fc0
	v_cndmask_b32_sdwa v3, v4, v3, vcc_lo dst_sel:DWORD dst_unused:UNUSED_PAD src0_sel:DWORD src1_sel:WORD_1
	global_store_short v[0:1], v3, off offset:1536
	s_or_b32 exec_lo, exec_lo, s0
	s_and_saveexec_b32 s0, s13
	s_cbranch_execz .LBB320_77
.LBB320_94:
	v_fma_f32 v3, -v2, v38, v10
	v_bfe_u32 v4, v3, 16, 1
	v_cmp_o_f32_e32 vcc_lo, v3, v3
	v_add3_u32 v3, v3, v4, 0x7fff
	v_mov_b32_e32 v4, 0x7fc0
	v_cndmask_b32_sdwa v3, v4, v3, vcc_lo dst_sel:DWORD dst_unused:UNUSED_PAD src0_sel:DWORD src1_sel:WORD_1
	global_store_short v[0:1], v3, off offset:1664
	s_or_b32 exec_lo, exec_lo, s0
	s_and_saveexec_b32 s0, s14
	s_cbranch_execz .LBB320_78
.LBB320_95:
	v_fma_f32 v3, -v2, v7, v8
	v_bfe_u32 v4, v3, 16, 1
	v_cmp_o_f32_e32 vcc_lo, v3, v3
	v_add3_u32 v3, v3, v4, 0x7fff
	v_mov_b32_e32 v4, 0x7fc0
	v_cndmask_b32_sdwa v3, v4, v3, vcc_lo dst_sel:DWORD dst_unused:UNUSED_PAD src0_sel:DWORD src1_sel:WORD_1
	global_store_short v[0:1], v3, off offset:1792
	s_or_b32 exec_lo, exec_lo, s0
	s_and_b32 exec_lo, exec_lo, s15
	s_cbranch_execnz .LBB320_79
	s_branch .LBB320_80
	.section	.rodata,"a",@progbits
	.p2align	6, 0x0
	.amdhsa_kernel _ZN12_GLOBAL__N_121softmax_warp_backwardIN3c108BFloat16ES2_fLi10ELb1ELb0ELi64EEEvPT0_PKT_S7_iiiPKb
		.amdhsa_group_segment_fixed_size 0
		.amdhsa_private_segment_fixed_size 0
		.amdhsa_kernarg_size 304
		.amdhsa_user_sgpr_count 6
		.amdhsa_user_sgpr_private_segment_buffer 1
		.amdhsa_user_sgpr_dispatch_ptr 0
		.amdhsa_user_sgpr_queue_ptr 0
		.amdhsa_user_sgpr_kernarg_segment_ptr 1
		.amdhsa_user_sgpr_dispatch_id 0
		.amdhsa_user_sgpr_flat_scratch_init 0
		.amdhsa_user_sgpr_private_segment_size 0
		.amdhsa_wavefront_size32 1
		.amdhsa_uses_dynamic_stack 0
		.amdhsa_system_sgpr_private_segment_wavefront_offset 0
		.amdhsa_system_sgpr_workgroup_id_x 1
		.amdhsa_system_sgpr_workgroup_id_y 0
		.amdhsa_system_sgpr_workgroup_id_z 0
		.amdhsa_system_sgpr_workgroup_info 0
		.amdhsa_system_vgpr_workitem_id 1
		.amdhsa_next_free_vgpr 42
		.amdhsa_next_free_sgpr 24
		.amdhsa_reserve_vcc 1
		.amdhsa_reserve_flat_scratch 0
		.amdhsa_float_round_mode_32 0
		.amdhsa_float_round_mode_16_64 0
		.amdhsa_float_denorm_mode_32 3
		.amdhsa_float_denorm_mode_16_64 3
		.amdhsa_dx10_clamp 1
		.amdhsa_ieee_mode 1
		.amdhsa_fp16_overflow 0
		.amdhsa_workgroup_processor_mode 1
		.amdhsa_memory_ordered 1
		.amdhsa_forward_progress 1
		.amdhsa_shared_vgpr_count 0
		.amdhsa_exception_fp_ieee_invalid_op 0
		.amdhsa_exception_fp_denorm_src 0
		.amdhsa_exception_fp_ieee_div_zero 0
		.amdhsa_exception_fp_ieee_overflow 0
		.amdhsa_exception_fp_ieee_underflow 0
		.amdhsa_exception_fp_ieee_inexact 0
		.amdhsa_exception_int_div_zero 0
	.end_amdhsa_kernel
	.section	.text._ZN12_GLOBAL__N_121softmax_warp_backwardIN3c108BFloat16ES2_fLi10ELb1ELb0ELi64EEEvPT0_PKT_S7_iiiPKb,"axG",@progbits,_ZN12_GLOBAL__N_121softmax_warp_backwardIN3c108BFloat16ES2_fLi10ELb1ELb0ELi64EEEvPT0_PKT_S7_iiiPKb,comdat
.Lfunc_end320:
	.size	_ZN12_GLOBAL__N_121softmax_warp_backwardIN3c108BFloat16ES2_fLi10ELb1ELb0ELi64EEEvPT0_PKT_S7_iiiPKb, .Lfunc_end320-_ZN12_GLOBAL__N_121softmax_warp_backwardIN3c108BFloat16ES2_fLi10ELb1ELb0ELi64EEEvPT0_PKT_S7_iiiPKb
                                        ; -- End function
	.set _ZN12_GLOBAL__N_121softmax_warp_backwardIN3c108BFloat16ES2_fLi10ELb1ELb0ELi64EEEvPT0_PKT_S7_iiiPKb.num_vgpr, 42
	.set _ZN12_GLOBAL__N_121softmax_warp_backwardIN3c108BFloat16ES2_fLi10ELb1ELb0ELi64EEEvPT0_PKT_S7_iiiPKb.num_agpr, 0
	.set _ZN12_GLOBAL__N_121softmax_warp_backwardIN3c108BFloat16ES2_fLi10ELb1ELb0ELi64EEEvPT0_PKT_S7_iiiPKb.numbered_sgpr, 24
	.set _ZN12_GLOBAL__N_121softmax_warp_backwardIN3c108BFloat16ES2_fLi10ELb1ELb0ELi64EEEvPT0_PKT_S7_iiiPKb.num_named_barrier, 0
	.set _ZN12_GLOBAL__N_121softmax_warp_backwardIN3c108BFloat16ES2_fLi10ELb1ELb0ELi64EEEvPT0_PKT_S7_iiiPKb.private_seg_size, 0
	.set _ZN12_GLOBAL__N_121softmax_warp_backwardIN3c108BFloat16ES2_fLi10ELb1ELb0ELi64EEEvPT0_PKT_S7_iiiPKb.uses_vcc, 1
	.set _ZN12_GLOBAL__N_121softmax_warp_backwardIN3c108BFloat16ES2_fLi10ELb1ELb0ELi64EEEvPT0_PKT_S7_iiiPKb.uses_flat_scratch, 0
	.set _ZN12_GLOBAL__N_121softmax_warp_backwardIN3c108BFloat16ES2_fLi10ELb1ELb0ELi64EEEvPT0_PKT_S7_iiiPKb.has_dyn_sized_stack, 0
	.set _ZN12_GLOBAL__N_121softmax_warp_backwardIN3c108BFloat16ES2_fLi10ELb1ELb0ELi64EEEvPT0_PKT_S7_iiiPKb.has_recursion, 0
	.set _ZN12_GLOBAL__N_121softmax_warp_backwardIN3c108BFloat16ES2_fLi10ELb1ELb0ELi64EEEvPT0_PKT_S7_iiiPKb.has_indirect_call, 0
	.section	.AMDGPU.csdata,"",@progbits
; Kernel info:
; codeLenInByte = 4756
; TotalNumSgprs: 26
; NumVgprs: 42
; ScratchSize: 0
; MemoryBound: 0
; FloatMode: 240
; IeeeMode: 1
; LDSByteSize: 0 bytes/workgroup (compile time only)
; SGPRBlocks: 0
; VGPRBlocks: 5
; NumSGPRsForWavesPerEU: 26
; NumVGPRsForWavesPerEU: 42
; Occupancy: 16
; WaveLimiterHint : 0
; COMPUTE_PGM_RSRC2:SCRATCH_EN: 0
; COMPUTE_PGM_RSRC2:USER_SGPR: 6
; COMPUTE_PGM_RSRC2:TRAP_HANDLER: 0
; COMPUTE_PGM_RSRC2:TGID_X_EN: 1
; COMPUTE_PGM_RSRC2:TGID_Y_EN: 0
; COMPUTE_PGM_RSRC2:TGID_Z_EN: 0
; COMPUTE_PGM_RSRC2:TIDIG_COMP_CNT: 1
	.section	.text._ZN12_GLOBAL__N_121softmax_warp_backwardIN3c108BFloat16ES2_fLi10ELb1ELb0ELi32EEEvPT0_PKT_S7_iiiPKb,"axG",@progbits,_ZN12_GLOBAL__N_121softmax_warp_backwardIN3c108BFloat16ES2_fLi10ELb1ELb0ELi32EEEvPT0_PKT_S7_iiiPKb,comdat
	.globl	_ZN12_GLOBAL__N_121softmax_warp_backwardIN3c108BFloat16ES2_fLi10ELb1ELb0ELi32EEEvPT0_PKT_S7_iiiPKb ; -- Begin function _ZN12_GLOBAL__N_121softmax_warp_backwardIN3c108BFloat16ES2_fLi10ELb1ELb0ELi32EEEvPT0_PKT_S7_iiiPKb
	.p2align	8
	.type	_ZN12_GLOBAL__N_121softmax_warp_backwardIN3c108BFloat16ES2_fLi10ELb1ELb0ELi32EEEvPT0_PKT_S7_iiiPKb,@function
_ZN12_GLOBAL__N_121softmax_warp_backwardIN3c108BFloat16ES2_fLi10ELb1ELb0ELi32EEEvPT0_PKT_S7_iiiPKb: ; @_ZN12_GLOBAL__N_121softmax_warp_backwardIN3c108BFloat16ES2_fLi10ELb1ELb0ELi32EEEvPT0_PKT_S7_iiiPKb
; %bb.0:
	s_clause 0x1
	s_load_dword s0, s[4:5], 0x3c
	s_load_dwordx4 s[40:43], s[4:5], 0x18
	v_and_b32_e32 v7, 31, v0
	s_clause 0x1
	s_load_dwordx4 s[36:39], s[4:5], 0x0
	s_load_dwordx2 s[4:5], s[4:5], 0x10
	v_mov_b32_e32 v34, 0
	v_mov_b32_e32 v36, 1.0
	s_waitcnt lgkmcnt(0)
	s_lshr_b32 s0, s0, 16
	v_cmp_gt_i32_e32 vcc_lo, s42, v7
	v_mad_u64_u32 v[1:2], null, s6, s0, v[1:2]
	v_mad_u64_u32 v[2:3], null, v1, s41, v[7:8]
	v_sub_nc_u32_e32 v33, s40, v1
	v_cmp_lt_i32_e64 s2, 0, v33
	v_ashrrev_i32_e32 v3, 31, v2
	v_lshlrev_b64 v[1:2], 1, v[2:3]
	v_add_co_u32 v3, s0, s38, v1
	v_add_co_ci_u32_e64 v4, null, s39, v2, s0
	v_add_co_u32 v5, s0, s4, v1
	v_add_co_ci_u32_e64 v6, null, s5, v2, s0
	s_and_b32 s0, s2, vcc_lo
	s_and_saveexec_b32 s1, s0
	s_cbranch_execz .LBB321_2
; %bb.1:
	global_load_ushort v8, v[5:6], off
	global_load_ushort v9, v[3:4], off
	s_waitcnt vmcnt(1)
	v_lshlrev_b32_e32 v8, 16, v8
	s_waitcnt vmcnt(0)
	v_lshlrev_b32_e32 v34, 16, v9
	v_mul_f32_e32 v10, 0x3fb8aa3b, v8
	v_cmp_ngt_f32_e64 s0, 0xc2ce8ed0, v8
	v_fma_f32 v11, 0x3fb8aa3b, v8, -v10
	v_rndne_f32_e32 v12, v10
	v_fmamk_f32 v11, v8, 0x32a5705f, v11
	v_sub_f32_e32 v10, v10, v12
	v_add_f32_e32 v10, v10, v11
	v_cvt_i32_f32_e32 v11, v12
	v_exp_f32_e32 v10, v10
	v_ldexp_f32 v10, v10, v11
	v_cndmask_b32_e64 v10, 0, v10, s0
	v_cmp_nlt_f32_e64 s0, 0x42b17218, v8
	v_cndmask_b32_e64 v36, 0x7f800000, v10, s0
.LBB321_2:
	s_or_b32 exec_lo, exec_lo, s1
	v_or_b32_e32 v8, 32, v7
	v_cmp_gt_i32_e64 s0, s42, v8
	s_and_b32 s1, s2, s0
	s_xor_b32 s1, s1, -1
	s_mov_b32 s3, exec_lo
	s_and_b32 s4, s3, s1
                                        ; implicit-def: $vgpr8
                                        ; implicit-def: $vgpr9
                                        ; implicit-def: $vgpr10
                                        ; implicit-def: $vgpr12
                                        ; implicit-def: $vgpr13
                                        ; implicit-def: $vgpr14
                                        ; implicit-def: $vgpr15
                                        ; implicit-def: $vgpr16
                                        ; implicit-def: $vgpr17
                                        ; implicit-def: $vgpr18
                                        ; implicit-def: $vgpr19
                                        ; implicit-def: $vgpr20
                                        ; implicit-def: $vgpr21
                                        ; implicit-def: $vgpr22
                                        ; implicit-def: $vgpr23
                                        ; implicit-def: $vgpr24
                                        ; implicit-def: $vgpr25
                                        ; implicit-def: $vgpr26
                                        ; implicit-def: $vgpr27
                                        ; implicit-def: $vgpr28
                                        ; implicit-def: $vgpr29
                                        ; implicit-def: $vgpr30
                                        ; implicit-def: $vgpr31
                                        ; implicit-def: $vgpr32
                                        ; implicit-def: $vgpr35
                                        ; implicit-def: $vgpr37
                                        ; implicit-def: $vgpr38
                                        ; implicit-def: $vgpr39
                                        ; implicit-def: $vgpr41
                                        ; implicit-def: $vgpr40
                                        ; implicit-def: $vgpr11
	s_xor_b32 s1, s4, s3
	s_mov_b32 exec_lo, s4
; %bb.3:
	s_mov_b32 s3, 0
                                        ; implicit-def: $vgpr8
                                        ; implicit-def: $vgpr9
                                        ; implicit-def: $vgpr10
                                        ; implicit-def: $vgpr12
                                        ; implicit-def: $vgpr13
                                        ; implicit-def: $vgpr14
                                        ; implicit-def: $vgpr15
                                        ; implicit-def: $vgpr16
                                        ; implicit-def: $vgpr17
                                        ; implicit-def: $vgpr18
                                        ; implicit-def: $vgpr19
                                        ; implicit-def: $vgpr20
                                        ; implicit-def: $vgpr21
                                        ; implicit-def: $vgpr22
                                        ; implicit-def: $vgpr23
                                        ; implicit-def: $vgpr24
                                        ; implicit-def: $vgpr25
                                        ; implicit-def: $vgpr26
                                        ; implicit-def: $vgpr27
                                        ; implicit-def: $vgpr28
                                        ; implicit-def: $vgpr29
                                        ; implicit-def: $vgpr30
                                        ; implicit-def: $vgpr31
                                        ; implicit-def: $vgpr32
                                        ; implicit-def: $vgpr35
                                        ; implicit-def: $vgpr37
                                        ; implicit-def: $vgpr38
                                        ; implicit-def: $vgpr39
                                        ; implicit-def: $vgpr41
                                        ; implicit-def: $vgpr11
	v_mov_b32_e32 v40, s3
; %bb.4:
	s_or_saveexec_b32 s3, s1
	v_mov_b32_e32 v42, 1.0
	s_xor_b32 exec_lo, exec_lo, s3
	s_cbranch_execz .LBB321_6
; %bb.5:
	global_load_ushort v40, v[5:6], off offset:64
	global_load_ushort v42, v[3:4], off offset:64
	s_waitcnt vmcnt(1)
	v_lshlrev_b32_e32 v43, 16, v40
	v_mul_f32_e32 v40, 0x3fb8aa3b, v43
	v_cmp_ngt_f32_e64 s1, 0xc2ce8ed0, v43
	v_fma_f32 v44, 0x3fb8aa3b, v43, -v40
	v_rndne_f32_e32 v45, v40
	v_fmamk_f32 v44, v43, 0x32a5705f, v44
	v_sub_f32_e32 v40, v40, v45
	v_add_f32_e32 v40, v40, v44
	v_cvt_i32_f32_e32 v44, v45
	v_exp_f32_e32 v40, v40
	v_ldexp_f32 v40, v40, v44
	v_cndmask_b32_e64 v44, 0, v40, s1
	v_cmp_nlt_f32_e64 s1, 0x42b17218, v43
	s_waitcnt vmcnt(0)
	v_lshlrev_b32_e32 v40, 16, v42
	v_cndmask_b32_e64 v42, 0x7f800000, v44, s1
.LBB321_6:
	s_or_b32 exec_lo, exec_lo, s3
	v_or_b32_e32 v43, 64, v7
	v_cmp_gt_i32_e64 s1, s42, v43
	s_and_b32 s3, s2, s1
	s_xor_b32 s3, s3, -1
	s_and_saveexec_b32 s4, s3
	s_xor_b32 s3, exec_lo, s4
; %bb.7:
	s_mov_b32 s4, 0
	v_mov_b32_e32 v41, s4
; %bb.8:
	s_or_saveexec_b32 s4, s3
	v_mov_b32_e32 v43, 1.0
	s_xor_b32 exec_lo, exec_lo, s4
	s_cbranch_execz .LBB321_10
; %bb.9:
	global_load_ushort v41, v[5:6], off offset:128
	global_load_ushort v43, v[3:4], off offset:128
	s_waitcnt vmcnt(1)
	v_lshlrev_b32_e32 v44, 16, v41
	v_mul_f32_e32 v41, 0x3fb8aa3b, v44
	v_cmp_ngt_f32_e64 s3, 0xc2ce8ed0, v44
	v_fma_f32 v45, 0x3fb8aa3b, v44, -v41
	v_rndne_f32_e32 v46, v41
	v_fmamk_f32 v45, v44, 0x32a5705f, v45
	v_sub_f32_e32 v41, v41, v46
	v_add_f32_e32 v41, v41, v45
	v_cvt_i32_f32_e32 v45, v46
	v_exp_f32_e32 v41, v41
	v_ldexp_f32 v41, v41, v45
	v_cndmask_b32_e64 v45, 0, v41, s3
	v_cmp_nlt_f32_e64 s3, 0x42b17218, v44
	s_waitcnt vmcnt(0)
	v_lshlrev_b32_e32 v41, 16, v43
	v_cndmask_b32_e64 v43, 0x7f800000, v45, s3
.LBB321_10:
	s_or_b32 exec_lo, exec_lo, s4
	v_or_b32_e32 v44, 0x60, v7
	v_cmp_gt_i32_e64 s3, s42, v44
	s_and_b32 s4, s2, s3
	s_xor_b32 s4, s4, -1
	s_and_saveexec_b32 s5, s4
	s_xor_b32 s4, exec_lo, s5
; %bb.11:
	s_mov_b32 s5, 0
	;; [unrolled: 36-line block ×29, first 2 shown]
	v_mov_b32_e32 v8, s33
; %bb.120:
	s_or_saveexec_b32 s33, s31
	v_mov_b32_e32 v7, 1.0
	s_xor_b32 exec_lo, exec_lo, s33
	s_cbranch_execz .LBB321_122
; %bb.121:
	global_load_ushort v7, v[5:6], off offset:1920
	global_load_ushort v8, v[3:4], off offset:1920
	s_waitcnt vmcnt(1)
	v_lshlrev_b32_e32 v7, 16, v7
	s_waitcnt vmcnt(0)
	v_lshlrev_b32_e32 v8, 16, v8
	v_mul_f32_e32 v71, 0x3fb8aa3b, v7
	v_cmp_ngt_f32_e64 s31, 0xc2ce8ed0, v7
	v_fma_f32 v72, 0x3fb8aa3b, v7, -v71
	v_rndne_f32_e32 v73, v71
	v_fmamk_f32 v72, v7, 0x32a5705f, v72
	v_sub_f32_e32 v71, v71, v73
	v_add_f32_e32 v71, v71, v72
	v_cvt_i32_f32_e32 v72, v73
	v_exp_f32_e32 v71, v71
	v_ldexp_f32 v71, v71, v72
	v_cndmask_b32_e64 v71, 0, v71, s31
	v_cmp_nlt_f32_e64 s31, 0x42b17218, v7
	v_cndmask_b32_e64 v7, 0x7f800000, v71, s31
.LBB321_122:
	s_or_b32 exec_lo, exec_lo, s33
	v_or_b32_e32 v0, 0x3e0, v0
	v_cmp_gt_i32_e64 s31, s42, v0
	s_and_b32 s2, s2, s31
	s_xor_b32 s2, s2, -1
	s_and_saveexec_b32 s33, s2
	s_xor_b32 s2, exec_lo, s33
; %bb.123:
	s_mov_b32 s33, 0
                                        ; implicit-def: $vgpr3_vgpr4
                                        ; implicit-def: $vgpr5_vgpr6
	v_mov_b32_e32 v11, s33
; %bb.124:
	s_or_saveexec_b32 s33, s2
	v_mov_b32_e32 v71, 1.0
	s_xor_b32 exec_lo, exec_lo, s33
	s_cbranch_execz .LBB321_126
; %bb.125:
	global_load_ushort v0, v[5:6], off offset:1984
	global_load_ushort v3, v[3:4], off offset:1984
	s_waitcnt vmcnt(1)
	v_lshlrev_b32_e32 v0, 16, v0
	s_waitcnt vmcnt(0)
	v_lshlrev_b32_e32 v11, 16, v3
	v_mul_f32_e32 v4, 0x3fb8aa3b, v0
	v_cmp_ngt_f32_e64 s2, 0xc2ce8ed0, v0
	v_fma_f32 v5, 0x3fb8aa3b, v0, -v4
	v_rndne_f32_e32 v6, v4
	v_fmamk_f32 v5, v0, 0x32a5705f, v5
	v_sub_f32_e32 v4, v4, v6
	v_add_f32_e32 v4, v4, v5
	v_cvt_i32_f32_e32 v5, v6
	v_exp_f32_e32 v4, v4
	v_ldexp_f32 v4, v4, v5
	v_cndmask_b32_e64 v4, 0, v4, s2
	v_cmp_nlt_f32_e64 s2, 0x42b17218, v0
	v_cndmask_b32_e64 v71, 0x7f800000, v4, s2
.LBB321_126:
	s_or_b32 exec_lo, exec_lo, s33
	v_add_f32_e32 v0, 0, v34
	v_mbcnt_lo_u32_b32 v3, -1, 0
	s_mov_b32 s33, exec_lo
	v_add_f32_e32 v0, v0, v40
	v_xor_b32_e32 v4, 16, v3
	v_xor_b32_e32 v5, 8, v3
	v_add_f32_e32 v0, v0, v41
	v_cmp_gt_i32_e64 s2, 32, v4
	v_add_f32_e32 v0, v0, v39
	v_cndmask_b32_e64 v4, v3, v4, s2
	v_cmp_gt_i32_e64 s2, 32, v5
	v_add_f32_e32 v0, v0, v38
	v_lshlrev_b32_e32 v4, 2, v4
	v_cndmask_b32_e64 v5, v3, v5, s2
	v_add_f32_e32 v0, v0, v37
	v_lshlrev_b32_e32 v5, 2, v5
	v_add_f32_e32 v0, v0, v35
	v_add_f32_e32 v0, v0, v32
	;; [unrolled: 1-line block ×26, first 2 shown]
	ds_bpermute_b32 v4, v4, v0
	s_waitcnt lgkmcnt(0)
	v_add_f32_e32 v0, v0, v4
	ds_bpermute_b32 v4, v5, v0
	v_xor_b32_e32 v5, 4, v3
	v_cmp_gt_i32_e64 s2, 32, v5
	v_cndmask_b32_e64 v5, v3, v5, s2
	v_lshlrev_b32_e32 v5, 2, v5
	s_waitcnt lgkmcnt(0)
	v_add_f32_e32 v0, v0, v4
	ds_bpermute_b32 v4, v5, v0
	v_xor_b32_e32 v5, 2, v3
	v_cmp_gt_i32_e64 s2, 32, v5
	v_cndmask_b32_e64 v5, v3, v5, s2
	v_lshlrev_b32_e32 v5, 2, v5
	s_waitcnt lgkmcnt(0)
	v_add_f32_e32 v0, v0, v4
	ds_bpermute_b32 v4, v5, v0
	v_xor_b32_e32 v5, 1, v3
	v_cmp_gt_i32_e64 s2, 32, v5
	v_cndmask_b32_e64 v5, v3, v5, s2
	s_waitcnt lgkmcnt(0)
	v_add_f32_e32 v3, v0, v4
	v_lshlrev_b32_e32 v0, 2, v5
	ds_bpermute_b32 v4, v0, v3
	v_cmpx_lt_i32_e32 0, v33
	s_cbranch_execz .LBB321_160
; %bb.127:
	v_add_co_u32 v0, s2, s36, v1
	v_add_co_ci_u32_e64 v1, null, s37, v2, s2
	s_waitcnt lgkmcnt(0)
	v_add_f32_e32 v2, v3, v4
	s_and_saveexec_b32 s2, vcc_lo
	s_cbranch_execnz .LBB321_161
; %bb.128:
	s_or_b32 exec_lo, exec_lo, s2
	s_and_saveexec_b32 s2, s0
	s_cbranch_execnz .LBB321_162
.LBB321_129:
	s_or_b32 exec_lo, exec_lo, s2
	s_and_saveexec_b32 s0, s1
	s_cbranch_execnz .LBB321_163
.LBB321_130:
	s_or_b32 exec_lo, exec_lo, s0
	s_and_saveexec_b32 s0, s3
	s_cbranch_execnz .LBB321_164
.LBB321_131:
	s_or_b32 exec_lo, exec_lo, s0
	s_and_saveexec_b32 s0, s4
	s_cbranch_execnz .LBB321_165
.LBB321_132:
	s_or_b32 exec_lo, exec_lo, s0
	s_and_saveexec_b32 s0, s5
	s_cbranch_execnz .LBB321_166
.LBB321_133:
	s_or_b32 exec_lo, exec_lo, s0
	s_and_saveexec_b32 s0, s6
	s_cbranch_execnz .LBB321_167
.LBB321_134:
	s_or_b32 exec_lo, exec_lo, s0
	s_and_saveexec_b32 s0, s7
	s_cbranch_execnz .LBB321_168
.LBB321_135:
	s_or_b32 exec_lo, exec_lo, s0
	s_and_saveexec_b32 s0, s8
	s_cbranch_execnz .LBB321_169
.LBB321_136:
	s_or_b32 exec_lo, exec_lo, s0
	s_and_saveexec_b32 s0, s9
	s_cbranch_execnz .LBB321_170
.LBB321_137:
	s_or_b32 exec_lo, exec_lo, s0
	s_and_saveexec_b32 s0, s10
	s_cbranch_execnz .LBB321_171
.LBB321_138:
	s_or_b32 exec_lo, exec_lo, s0
	s_and_saveexec_b32 s0, s11
	s_cbranch_execnz .LBB321_172
.LBB321_139:
	s_or_b32 exec_lo, exec_lo, s0
	s_and_saveexec_b32 s0, s12
	s_cbranch_execnz .LBB321_173
.LBB321_140:
	s_or_b32 exec_lo, exec_lo, s0
	s_and_saveexec_b32 s0, s13
	s_cbranch_execnz .LBB321_174
.LBB321_141:
	s_or_b32 exec_lo, exec_lo, s0
	s_and_saveexec_b32 s0, s14
	s_cbranch_execnz .LBB321_175
.LBB321_142:
	s_or_b32 exec_lo, exec_lo, s0
	s_and_saveexec_b32 s0, s15
	s_cbranch_execnz .LBB321_176
.LBB321_143:
	s_or_b32 exec_lo, exec_lo, s0
	s_and_saveexec_b32 s0, s16
	s_cbranch_execnz .LBB321_177
.LBB321_144:
	s_or_b32 exec_lo, exec_lo, s0
	s_and_saveexec_b32 s0, s17
	s_cbranch_execnz .LBB321_178
.LBB321_145:
	s_or_b32 exec_lo, exec_lo, s0
	s_and_saveexec_b32 s0, s18
	s_cbranch_execnz .LBB321_179
.LBB321_146:
	s_or_b32 exec_lo, exec_lo, s0
	s_and_saveexec_b32 s0, s19
	s_cbranch_execnz .LBB321_180
.LBB321_147:
	s_or_b32 exec_lo, exec_lo, s0
	s_and_saveexec_b32 s0, s20
	s_cbranch_execnz .LBB321_181
.LBB321_148:
	s_or_b32 exec_lo, exec_lo, s0
	s_and_saveexec_b32 s0, s21
	s_cbranch_execnz .LBB321_182
.LBB321_149:
	s_or_b32 exec_lo, exec_lo, s0
	s_and_saveexec_b32 s0, s22
	s_cbranch_execnz .LBB321_183
.LBB321_150:
	s_or_b32 exec_lo, exec_lo, s0
	s_and_saveexec_b32 s0, s23
	s_cbranch_execnz .LBB321_184
.LBB321_151:
	s_or_b32 exec_lo, exec_lo, s0
	s_and_saveexec_b32 s0, s24
	s_cbranch_execnz .LBB321_185
.LBB321_152:
	s_or_b32 exec_lo, exec_lo, s0
	s_and_saveexec_b32 s0, s25
	s_cbranch_execnz .LBB321_186
.LBB321_153:
	s_or_b32 exec_lo, exec_lo, s0
	s_and_saveexec_b32 s0, s26
	s_cbranch_execnz .LBB321_187
.LBB321_154:
	s_or_b32 exec_lo, exec_lo, s0
	s_and_saveexec_b32 s0, s27
	s_cbranch_execnz .LBB321_188
.LBB321_155:
	s_or_b32 exec_lo, exec_lo, s0
	s_and_saveexec_b32 s0, s28
	s_cbranch_execnz .LBB321_189
.LBB321_156:
	s_or_b32 exec_lo, exec_lo, s0
	s_and_saveexec_b32 s0, s29
	s_cbranch_execnz .LBB321_190
.LBB321_157:
	s_or_b32 exec_lo, exec_lo, s0
	s_and_saveexec_b32 s0, s30
	s_cbranch_execnz .LBB321_191
.LBB321_158:
	s_or_b32 exec_lo, exec_lo, s0
	s_and_b32 exec_lo, exec_lo, s31
	s_cbranch_execz .LBB321_160
.LBB321_159:
	v_fma_f32 v2, -v2, v71, v11
	v_bfe_u32 v3, v2, 16, 1
	v_cmp_o_f32_e32 vcc_lo, v2, v2
	v_add3_u32 v2, v2, v3, 0x7fff
	v_mov_b32_e32 v3, 0x7fc0
	v_cndmask_b32_sdwa v2, v3, v2, vcc_lo dst_sel:DWORD dst_unused:UNUSED_PAD src0_sel:DWORD src1_sel:WORD_1
	global_store_short v[0:1], v2, off offset:1984
.LBB321_160:
	s_endpgm
.LBB321_161:
	v_fma_f32 v3, -v2, v36, v34
	v_bfe_u32 v4, v3, 16, 1
	v_cmp_o_f32_e32 vcc_lo, v3, v3
	v_add3_u32 v3, v3, v4, 0x7fff
	v_mov_b32_e32 v4, 0x7fc0
	v_cndmask_b32_sdwa v3, v4, v3, vcc_lo dst_sel:DWORD dst_unused:UNUSED_PAD src0_sel:DWORD src1_sel:WORD_1
	global_store_short v[0:1], v3, off
	s_or_b32 exec_lo, exec_lo, s2
	s_and_saveexec_b32 s2, s0
	s_cbranch_execz .LBB321_129
.LBB321_162:
	v_fma_f32 v3, -v2, v42, v40
	v_bfe_u32 v4, v3, 16, 1
	v_cmp_o_f32_e32 vcc_lo, v3, v3
	v_add3_u32 v3, v3, v4, 0x7fff
	v_mov_b32_e32 v4, 0x7fc0
	v_cndmask_b32_sdwa v3, v4, v3, vcc_lo dst_sel:DWORD dst_unused:UNUSED_PAD src0_sel:DWORD src1_sel:WORD_1
	global_store_short v[0:1], v3, off offset:64
	s_or_b32 exec_lo, exec_lo, s2
	s_and_saveexec_b32 s0, s1
	s_cbranch_execz .LBB321_130
.LBB321_163:
	v_fma_f32 v3, -v2, v43, v41
	v_bfe_u32 v4, v3, 16, 1
	v_cmp_o_f32_e32 vcc_lo, v3, v3
	v_add3_u32 v3, v3, v4, 0x7fff
	v_mov_b32_e32 v4, 0x7fc0
	v_cndmask_b32_sdwa v3, v4, v3, vcc_lo dst_sel:DWORD dst_unused:UNUSED_PAD src0_sel:DWORD src1_sel:WORD_1
	global_store_short v[0:1], v3, off offset:128
	s_or_b32 exec_lo, exec_lo, s0
	s_and_saveexec_b32 s0, s3
	s_cbranch_execz .LBB321_131
.LBB321_164:
	v_fma_f32 v3, -v2, v44, v39
	v_bfe_u32 v4, v3, 16, 1
	v_cmp_o_f32_e32 vcc_lo, v3, v3
	v_add3_u32 v3, v3, v4, 0x7fff
	v_mov_b32_e32 v4, 0x7fc0
	v_cndmask_b32_sdwa v3, v4, v3, vcc_lo dst_sel:DWORD dst_unused:UNUSED_PAD src0_sel:DWORD src1_sel:WORD_1
	global_store_short v[0:1], v3, off offset:192
	s_or_b32 exec_lo, exec_lo, s0
	s_and_saveexec_b32 s0, s4
	s_cbranch_execz .LBB321_132
.LBB321_165:
	v_fma_f32 v3, -v2, v45, v38
	v_bfe_u32 v4, v3, 16, 1
	v_cmp_o_f32_e32 vcc_lo, v3, v3
	v_add3_u32 v3, v3, v4, 0x7fff
	v_mov_b32_e32 v4, 0x7fc0
	v_cndmask_b32_sdwa v3, v4, v3, vcc_lo dst_sel:DWORD dst_unused:UNUSED_PAD src0_sel:DWORD src1_sel:WORD_1
	global_store_short v[0:1], v3, off offset:256
	s_or_b32 exec_lo, exec_lo, s0
	s_and_saveexec_b32 s0, s5
	s_cbranch_execz .LBB321_133
.LBB321_166:
	v_fma_f32 v3, -v2, v46, v37
	v_bfe_u32 v4, v3, 16, 1
	v_cmp_o_f32_e32 vcc_lo, v3, v3
	v_add3_u32 v3, v3, v4, 0x7fff
	v_mov_b32_e32 v4, 0x7fc0
	v_cndmask_b32_sdwa v3, v4, v3, vcc_lo dst_sel:DWORD dst_unused:UNUSED_PAD src0_sel:DWORD src1_sel:WORD_1
	global_store_short v[0:1], v3, off offset:320
	s_or_b32 exec_lo, exec_lo, s0
	s_and_saveexec_b32 s0, s6
	s_cbranch_execz .LBB321_134
.LBB321_167:
	v_fma_f32 v3, -v2, v47, v35
	v_bfe_u32 v4, v3, 16, 1
	v_cmp_o_f32_e32 vcc_lo, v3, v3
	v_add3_u32 v3, v3, v4, 0x7fff
	v_mov_b32_e32 v4, 0x7fc0
	v_cndmask_b32_sdwa v3, v4, v3, vcc_lo dst_sel:DWORD dst_unused:UNUSED_PAD src0_sel:DWORD src1_sel:WORD_1
	global_store_short v[0:1], v3, off offset:384
	s_or_b32 exec_lo, exec_lo, s0
	s_and_saveexec_b32 s0, s7
	s_cbranch_execz .LBB321_135
.LBB321_168:
	v_fma_f32 v3, -v2, v48, v32
	v_bfe_u32 v4, v3, 16, 1
	v_cmp_o_f32_e32 vcc_lo, v3, v3
	v_add3_u32 v3, v3, v4, 0x7fff
	v_mov_b32_e32 v4, 0x7fc0
	v_cndmask_b32_sdwa v3, v4, v3, vcc_lo dst_sel:DWORD dst_unused:UNUSED_PAD src0_sel:DWORD src1_sel:WORD_1
	global_store_short v[0:1], v3, off offset:448
	s_or_b32 exec_lo, exec_lo, s0
	s_and_saveexec_b32 s0, s8
	s_cbranch_execz .LBB321_136
.LBB321_169:
	v_fma_f32 v3, -v2, v49, v31
	v_bfe_u32 v4, v3, 16, 1
	v_cmp_o_f32_e32 vcc_lo, v3, v3
	v_add3_u32 v3, v3, v4, 0x7fff
	v_mov_b32_e32 v4, 0x7fc0
	v_cndmask_b32_sdwa v3, v4, v3, vcc_lo dst_sel:DWORD dst_unused:UNUSED_PAD src0_sel:DWORD src1_sel:WORD_1
	global_store_short v[0:1], v3, off offset:512
	s_or_b32 exec_lo, exec_lo, s0
	s_and_saveexec_b32 s0, s9
	s_cbranch_execz .LBB321_137
.LBB321_170:
	v_fma_f32 v3, -v2, v50, v30
	v_bfe_u32 v4, v3, 16, 1
	v_cmp_o_f32_e32 vcc_lo, v3, v3
	v_add3_u32 v3, v3, v4, 0x7fff
	v_mov_b32_e32 v4, 0x7fc0
	v_cndmask_b32_sdwa v3, v4, v3, vcc_lo dst_sel:DWORD dst_unused:UNUSED_PAD src0_sel:DWORD src1_sel:WORD_1
	global_store_short v[0:1], v3, off offset:576
	s_or_b32 exec_lo, exec_lo, s0
	s_and_saveexec_b32 s0, s10
	s_cbranch_execz .LBB321_138
.LBB321_171:
	v_fma_f32 v3, -v2, v51, v29
	v_bfe_u32 v4, v3, 16, 1
	v_cmp_o_f32_e32 vcc_lo, v3, v3
	v_add3_u32 v3, v3, v4, 0x7fff
	v_mov_b32_e32 v4, 0x7fc0
	v_cndmask_b32_sdwa v3, v4, v3, vcc_lo dst_sel:DWORD dst_unused:UNUSED_PAD src0_sel:DWORD src1_sel:WORD_1
	global_store_short v[0:1], v3, off offset:640
	s_or_b32 exec_lo, exec_lo, s0
	s_and_saveexec_b32 s0, s11
	s_cbranch_execz .LBB321_139
.LBB321_172:
	v_fma_f32 v3, -v2, v52, v28
	v_bfe_u32 v4, v3, 16, 1
	v_cmp_o_f32_e32 vcc_lo, v3, v3
	v_add3_u32 v3, v3, v4, 0x7fff
	v_mov_b32_e32 v4, 0x7fc0
	v_cndmask_b32_sdwa v3, v4, v3, vcc_lo dst_sel:DWORD dst_unused:UNUSED_PAD src0_sel:DWORD src1_sel:WORD_1
	global_store_short v[0:1], v3, off offset:704
	s_or_b32 exec_lo, exec_lo, s0
	s_and_saveexec_b32 s0, s12
	s_cbranch_execz .LBB321_140
.LBB321_173:
	v_fma_f32 v3, -v2, v53, v27
	v_bfe_u32 v4, v3, 16, 1
	v_cmp_o_f32_e32 vcc_lo, v3, v3
	v_add3_u32 v3, v3, v4, 0x7fff
	v_mov_b32_e32 v4, 0x7fc0
	v_cndmask_b32_sdwa v3, v4, v3, vcc_lo dst_sel:DWORD dst_unused:UNUSED_PAD src0_sel:DWORD src1_sel:WORD_1
	global_store_short v[0:1], v3, off offset:768
	s_or_b32 exec_lo, exec_lo, s0
	s_and_saveexec_b32 s0, s13
	s_cbranch_execz .LBB321_141
.LBB321_174:
	v_fma_f32 v3, -v2, v54, v26
	v_bfe_u32 v4, v3, 16, 1
	v_cmp_o_f32_e32 vcc_lo, v3, v3
	v_add3_u32 v3, v3, v4, 0x7fff
	v_mov_b32_e32 v4, 0x7fc0
	v_cndmask_b32_sdwa v3, v4, v3, vcc_lo dst_sel:DWORD dst_unused:UNUSED_PAD src0_sel:DWORD src1_sel:WORD_1
	global_store_short v[0:1], v3, off offset:832
	s_or_b32 exec_lo, exec_lo, s0
	s_and_saveexec_b32 s0, s14
	s_cbranch_execz .LBB321_142
.LBB321_175:
	v_fma_f32 v3, -v2, v55, v25
	v_bfe_u32 v4, v3, 16, 1
	v_cmp_o_f32_e32 vcc_lo, v3, v3
	v_add3_u32 v3, v3, v4, 0x7fff
	v_mov_b32_e32 v4, 0x7fc0
	v_cndmask_b32_sdwa v3, v4, v3, vcc_lo dst_sel:DWORD dst_unused:UNUSED_PAD src0_sel:DWORD src1_sel:WORD_1
	global_store_short v[0:1], v3, off offset:896
	s_or_b32 exec_lo, exec_lo, s0
	s_and_saveexec_b32 s0, s15
	s_cbranch_execz .LBB321_143
.LBB321_176:
	v_fma_f32 v3, -v2, v56, v24
	v_bfe_u32 v4, v3, 16, 1
	v_cmp_o_f32_e32 vcc_lo, v3, v3
	v_add3_u32 v3, v3, v4, 0x7fff
	v_mov_b32_e32 v4, 0x7fc0
	v_cndmask_b32_sdwa v3, v4, v3, vcc_lo dst_sel:DWORD dst_unused:UNUSED_PAD src0_sel:DWORD src1_sel:WORD_1
	global_store_short v[0:1], v3, off offset:960
	s_or_b32 exec_lo, exec_lo, s0
	s_and_saveexec_b32 s0, s16
	s_cbranch_execz .LBB321_144
.LBB321_177:
	v_fma_f32 v3, -v2, v57, v23
	v_bfe_u32 v4, v3, 16, 1
	v_cmp_o_f32_e32 vcc_lo, v3, v3
	v_add3_u32 v3, v3, v4, 0x7fff
	v_mov_b32_e32 v4, 0x7fc0
	v_cndmask_b32_sdwa v3, v4, v3, vcc_lo dst_sel:DWORD dst_unused:UNUSED_PAD src0_sel:DWORD src1_sel:WORD_1
	global_store_short v[0:1], v3, off offset:1024
	s_or_b32 exec_lo, exec_lo, s0
	s_and_saveexec_b32 s0, s17
	s_cbranch_execz .LBB321_145
.LBB321_178:
	v_fma_f32 v3, -v2, v58, v22
	v_bfe_u32 v4, v3, 16, 1
	v_cmp_o_f32_e32 vcc_lo, v3, v3
	v_add3_u32 v3, v3, v4, 0x7fff
	v_mov_b32_e32 v4, 0x7fc0
	v_cndmask_b32_sdwa v3, v4, v3, vcc_lo dst_sel:DWORD dst_unused:UNUSED_PAD src0_sel:DWORD src1_sel:WORD_1
	global_store_short v[0:1], v3, off offset:1088
	s_or_b32 exec_lo, exec_lo, s0
	s_and_saveexec_b32 s0, s18
	s_cbranch_execz .LBB321_146
.LBB321_179:
	v_fma_f32 v3, -v2, v59, v21
	v_bfe_u32 v4, v3, 16, 1
	v_cmp_o_f32_e32 vcc_lo, v3, v3
	v_add3_u32 v3, v3, v4, 0x7fff
	v_mov_b32_e32 v4, 0x7fc0
	v_cndmask_b32_sdwa v3, v4, v3, vcc_lo dst_sel:DWORD dst_unused:UNUSED_PAD src0_sel:DWORD src1_sel:WORD_1
	global_store_short v[0:1], v3, off offset:1152
	s_or_b32 exec_lo, exec_lo, s0
	s_and_saveexec_b32 s0, s19
	s_cbranch_execz .LBB321_147
.LBB321_180:
	v_fma_f32 v3, -v2, v60, v20
	v_bfe_u32 v4, v3, 16, 1
	v_cmp_o_f32_e32 vcc_lo, v3, v3
	v_add3_u32 v3, v3, v4, 0x7fff
	v_mov_b32_e32 v4, 0x7fc0
	v_cndmask_b32_sdwa v3, v4, v3, vcc_lo dst_sel:DWORD dst_unused:UNUSED_PAD src0_sel:DWORD src1_sel:WORD_1
	global_store_short v[0:1], v3, off offset:1216
	s_or_b32 exec_lo, exec_lo, s0
	s_and_saveexec_b32 s0, s20
	s_cbranch_execz .LBB321_148
.LBB321_181:
	v_fma_f32 v3, -v2, v61, v19
	v_bfe_u32 v4, v3, 16, 1
	v_cmp_o_f32_e32 vcc_lo, v3, v3
	v_add3_u32 v3, v3, v4, 0x7fff
	v_mov_b32_e32 v4, 0x7fc0
	v_cndmask_b32_sdwa v3, v4, v3, vcc_lo dst_sel:DWORD dst_unused:UNUSED_PAD src0_sel:DWORD src1_sel:WORD_1
	global_store_short v[0:1], v3, off offset:1280
	s_or_b32 exec_lo, exec_lo, s0
	s_and_saveexec_b32 s0, s21
	s_cbranch_execz .LBB321_149
.LBB321_182:
	v_fma_f32 v3, -v2, v62, v18
	v_bfe_u32 v4, v3, 16, 1
	v_cmp_o_f32_e32 vcc_lo, v3, v3
	v_add3_u32 v3, v3, v4, 0x7fff
	v_mov_b32_e32 v4, 0x7fc0
	v_cndmask_b32_sdwa v3, v4, v3, vcc_lo dst_sel:DWORD dst_unused:UNUSED_PAD src0_sel:DWORD src1_sel:WORD_1
	global_store_short v[0:1], v3, off offset:1344
	s_or_b32 exec_lo, exec_lo, s0
	s_and_saveexec_b32 s0, s22
	s_cbranch_execz .LBB321_150
.LBB321_183:
	v_fma_f32 v3, -v2, v63, v17
	v_bfe_u32 v4, v3, 16, 1
	v_cmp_o_f32_e32 vcc_lo, v3, v3
	v_add3_u32 v3, v3, v4, 0x7fff
	v_mov_b32_e32 v4, 0x7fc0
	v_cndmask_b32_sdwa v3, v4, v3, vcc_lo dst_sel:DWORD dst_unused:UNUSED_PAD src0_sel:DWORD src1_sel:WORD_1
	global_store_short v[0:1], v3, off offset:1408
	s_or_b32 exec_lo, exec_lo, s0
	s_and_saveexec_b32 s0, s23
	s_cbranch_execz .LBB321_151
.LBB321_184:
	v_fma_f32 v3, -v2, v64, v16
	v_bfe_u32 v4, v3, 16, 1
	v_cmp_o_f32_e32 vcc_lo, v3, v3
	v_add3_u32 v3, v3, v4, 0x7fff
	v_mov_b32_e32 v4, 0x7fc0
	v_cndmask_b32_sdwa v3, v4, v3, vcc_lo dst_sel:DWORD dst_unused:UNUSED_PAD src0_sel:DWORD src1_sel:WORD_1
	global_store_short v[0:1], v3, off offset:1472
	s_or_b32 exec_lo, exec_lo, s0
	s_and_saveexec_b32 s0, s24
	s_cbranch_execz .LBB321_152
.LBB321_185:
	v_fma_f32 v3, -v2, v65, v15
	v_bfe_u32 v4, v3, 16, 1
	v_cmp_o_f32_e32 vcc_lo, v3, v3
	v_add3_u32 v3, v3, v4, 0x7fff
	v_mov_b32_e32 v4, 0x7fc0
	v_cndmask_b32_sdwa v3, v4, v3, vcc_lo dst_sel:DWORD dst_unused:UNUSED_PAD src0_sel:DWORD src1_sel:WORD_1
	global_store_short v[0:1], v3, off offset:1536
	s_or_b32 exec_lo, exec_lo, s0
	s_and_saveexec_b32 s0, s25
	s_cbranch_execz .LBB321_153
.LBB321_186:
	v_fma_f32 v3, -v2, v66, v14
	v_bfe_u32 v4, v3, 16, 1
	v_cmp_o_f32_e32 vcc_lo, v3, v3
	v_add3_u32 v3, v3, v4, 0x7fff
	v_mov_b32_e32 v4, 0x7fc0
	v_cndmask_b32_sdwa v3, v4, v3, vcc_lo dst_sel:DWORD dst_unused:UNUSED_PAD src0_sel:DWORD src1_sel:WORD_1
	global_store_short v[0:1], v3, off offset:1600
	s_or_b32 exec_lo, exec_lo, s0
	s_and_saveexec_b32 s0, s26
	s_cbranch_execz .LBB321_154
.LBB321_187:
	v_fma_f32 v3, -v2, v67, v13
	v_bfe_u32 v4, v3, 16, 1
	v_cmp_o_f32_e32 vcc_lo, v3, v3
	v_add3_u32 v3, v3, v4, 0x7fff
	v_mov_b32_e32 v4, 0x7fc0
	v_cndmask_b32_sdwa v3, v4, v3, vcc_lo dst_sel:DWORD dst_unused:UNUSED_PAD src0_sel:DWORD src1_sel:WORD_1
	global_store_short v[0:1], v3, off offset:1664
	s_or_b32 exec_lo, exec_lo, s0
	s_and_saveexec_b32 s0, s27
	s_cbranch_execz .LBB321_155
.LBB321_188:
	v_fma_f32 v3, -v2, v68, v12
	v_bfe_u32 v4, v3, 16, 1
	v_cmp_o_f32_e32 vcc_lo, v3, v3
	v_add3_u32 v3, v3, v4, 0x7fff
	v_mov_b32_e32 v4, 0x7fc0
	v_cndmask_b32_sdwa v3, v4, v3, vcc_lo dst_sel:DWORD dst_unused:UNUSED_PAD src0_sel:DWORD src1_sel:WORD_1
	global_store_short v[0:1], v3, off offset:1728
	s_or_b32 exec_lo, exec_lo, s0
	s_and_saveexec_b32 s0, s28
	s_cbranch_execz .LBB321_156
.LBB321_189:
	v_fma_f32 v3, -v2, v69, v10
	v_bfe_u32 v4, v3, 16, 1
	v_cmp_o_f32_e32 vcc_lo, v3, v3
	v_add3_u32 v3, v3, v4, 0x7fff
	v_mov_b32_e32 v4, 0x7fc0
	v_cndmask_b32_sdwa v3, v4, v3, vcc_lo dst_sel:DWORD dst_unused:UNUSED_PAD src0_sel:DWORD src1_sel:WORD_1
	global_store_short v[0:1], v3, off offset:1792
	s_or_b32 exec_lo, exec_lo, s0
	s_and_saveexec_b32 s0, s29
	s_cbranch_execz .LBB321_157
.LBB321_190:
	v_fma_f32 v3, -v2, v70, v9
	v_bfe_u32 v4, v3, 16, 1
	v_cmp_o_f32_e32 vcc_lo, v3, v3
	v_add3_u32 v3, v3, v4, 0x7fff
	v_mov_b32_e32 v4, 0x7fc0
	v_cndmask_b32_sdwa v3, v4, v3, vcc_lo dst_sel:DWORD dst_unused:UNUSED_PAD src0_sel:DWORD src1_sel:WORD_1
	global_store_short v[0:1], v3, off offset:1856
	s_or_b32 exec_lo, exec_lo, s0
	s_and_saveexec_b32 s0, s30
	s_cbranch_execz .LBB321_158
.LBB321_191:
	v_fma_f32 v3, -v2, v7, v8
	v_bfe_u32 v4, v3, 16, 1
	v_cmp_o_f32_e32 vcc_lo, v3, v3
	v_add3_u32 v3, v3, v4, 0x7fff
	v_mov_b32_e32 v4, 0x7fc0
	v_cndmask_b32_sdwa v3, v4, v3, vcc_lo dst_sel:DWORD dst_unused:UNUSED_PAD src0_sel:DWORD src1_sel:WORD_1
	global_store_short v[0:1], v3, off offset:1920
	s_or_b32 exec_lo, exec_lo, s0
	s_and_b32 exec_lo, exec_lo, s31
	s_cbranch_execnz .LBB321_159
	s_branch .LBB321_160
	.section	.rodata,"a",@progbits
	.p2align	6, 0x0
	.amdhsa_kernel _ZN12_GLOBAL__N_121softmax_warp_backwardIN3c108BFloat16ES2_fLi10ELb1ELb0ELi32EEEvPT0_PKT_S7_iiiPKb
		.amdhsa_group_segment_fixed_size 0
		.amdhsa_private_segment_fixed_size 0
		.amdhsa_kernarg_size 304
		.amdhsa_user_sgpr_count 6
		.amdhsa_user_sgpr_private_segment_buffer 1
		.amdhsa_user_sgpr_dispatch_ptr 0
		.amdhsa_user_sgpr_queue_ptr 0
		.amdhsa_user_sgpr_kernarg_segment_ptr 1
		.amdhsa_user_sgpr_dispatch_id 0
		.amdhsa_user_sgpr_flat_scratch_init 0
		.amdhsa_user_sgpr_private_segment_size 0
		.amdhsa_wavefront_size32 1
		.amdhsa_uses_dynamic_stack 0
		.amdhsa_system_sgpr_private_segment_wavefront_offset 0
		.amdhsa_system_sgpr_workgroup_id_x 1
		.amdhsa_system_sgpr_workgroup_id_y 0
		.amdhsa_system_sgpr_workgroup_id_z 0
		.amdhsa_system_sgpr_workgroup_info 0
		.amdhsa_system_vgpr_workitem_id 1
		.amdhsa_next_free_vgpr 74
		.amdhsa_next_free_sgpr 44
		.amdhsa_reserve_vcc 1
		.amdhsa_reserve_flat_scratch 0
		.amdhsa_float_round_mode_32 0
		.amdhsa_float_round_mode_16_64 0
		.amdhsa_float_denorm_mode_32 3
		.amdhsa_float_denorm_mode_16_64 3
		.amdhsa_dx10_clamp 1
		.amdhsa_ieee_mode 1
		.amdhsa_fp16_overflow 0
		.amdhsa_workgroup_processor_mode 1
		.amdhsa_memory_ordered 1
		.amdhsa_forward_progress 1
		.amdhsa_shared_vgpr_count 0
		.amdhsa_exception_fp_ieee_invalid_op 0
		.amdhsa_exception_fp_denorm_src 0
		.amdhsa_exception_fp_ieee_div_zero 0
		.amdhsa_exception_fp_ieee_overflow 0
		.amdhsa_exception_fp_ieee_underflow 0
		.amdhsa_exception_fp_ieee_inexact 0
		.amdhsa_exception_int_div_zero 0
	.end_amdhsa_kernel
	.section	.text._ZN12_GLOBAL__N_121softmax_warp_backwardIN3c108BFloat16ES2_fLi10ELb1ELb0ELi32EEEvPT0_PKT_S7_iiiPKb,"axG",@progbits,_ZN12_GLOBAL__N_121softmax_warp_backwardIN3c108BFloat16ES2_fLi10ELb1ELb0ELi32EEEvPT0_PKT_S7_iiiPKb,comdat
.Lfunc_end321:
	.size	_ZN12_GLOBAL__N_121softmax_warp_backwardIN3c108BFloat16ES2_fLi10ELb1ELb0ELi32EEEvPT0_PKT_S7_iiiPKb, .Lfunc_end321-_ZN12_GLOBAL__N_121softmax_warp_backwardIN3c108BFloat16ES2_fLi10ELb1ELb0ELi32EEEvPT0_PKT_S7_iiiPKb
                                        ; -- End function
	.set _ZN12_GLOBAL__N_121softmax_warp_backwardIN3c108BFloat16ES2_fLi10ELb1ELb0ELi32EEEvPT0_PKT_S7_iiiPKb.num_vgpr, 74
	.set _ZN12_GLOBAL__N_121softmax_warp_backwardIN3c108BFloat16ES2_fLi10ELb1ELb0ELi32EEEvPT0_PKT_S7_iiiPKb.num_agpr, 0
	.set _ZN12_GLOBAL__N_121softmax_warp_backwardIN3c108BFloat16ES2_fLi10ELb1ELb0ELi32EEEvPT0_PKT_S7_iiiPKb.numbered_sgpr, 44
	.set _ZN12_GLOBAL__N_121softmax_warp_backwardIN3c108BFloat16ES2_fLi10ELb1ELb0ELi32EEEvPT0_PKT_S7_iiiPKb.num_named_barrier, 0
	.set _ZN12_GLOBAL__N_121softmax_warp_backwardIN3c108BFloat16ES2_fLi10ELb1ELb0ELi32EEEvPT0_PKT_S7_iiiPKb.private_seg_size, 0
	.set _ZN12_GLOBAL__N_121softmax_warp_backwardIN3c108BFloat16ES2_fLi10ELb1ELb0ELi32EEEvPT0_PKT_S7_iiiPKb.uses_vcc, 1
	.set _ZN12_GLOBAL__N_121softmax_warp_backwardIN3c108BFloat16ES2_fLi10ELb1ELb0ELi32EEEvPT0_PKT_S7_iiiPKb.uses_flat_scratch, 0
	.set _ZN12_GLOBAL__N_121softmax_warp_backwardIN3c108BFloat16ES2_fLi10ELb1ELb0ELi32EEEvPT0_PKT_S7_iiiPKb.has_dyn_sized_stack, 0
	.set _ZN12_GLOBAL__N_121softmax_warp_backwardIN3c108BFloat16ES2_fLi10ELb1ELb0ELi32EEEvPT0_PKT_S7_iiiPKb.has_recursion, 0
	.set _ZN12_GLOBAL__N_121softmax_warp_backwardIN3c108BFloat16ES2_fLi10ELb1ELb0ELi32EEEvPT0_PKT_S7_iiiPKb.has_indirect_call, 0
	.section	.AMDGPU.csdata,"",@progbits
; Kernel info:
; codeLenInByte = 9152
; TotalNumSgprs: 46
; NumVgprs: 74
; ScratchSize: 0
; MemoryBound: 0
; FloatMode: 240
; IeeeMode: 1
; LDSByteSize: 0 bytes/workgroup (compile time only)
; SGPRBlocks: 0
; VGPRBlocks: 9
; NumSGPRsForWavesPerEU: 46
; NumVGPRsForWavesPerEU: 74
; Occupancy: 12
; WaveLimiterHint : 0
; COMPUTE_PGM_RSRC2:SCRATCH_EN: 0
; COMPUTE_PGM_RSRC2:USER_SGPR: 6
; COMPUTE_PGM_RSRC2:TRAP_HANDLER: 0
; COMPUTE_PGM_RSRC2:TGID_X_EN: 1
; COMPUTE_PGM_RSRC2:TGID_Y_EN: 0
; COMPUTE_PGM_RSRC2:TGID_Z_EN: 0
; COMPUTE_PGM_RSRC2:TIDIG_COMP_CNT: 1
	.section	.text._ZN2at6native12_GLOBAL__N_124cunn_SoftMaxBackwardSmemILi8EN3c108BFloat16EfS4_NS1_26LogSoftMaxBackwardEpilogueEEEvPT0_PKT2_SA_l,"axG",@progbits,_ZN2at6native12_GLOBAL__N_124cunn_SoftMaxBackwardSmemILi8EN3c108BFloat16EfS4_NS1_26LogSoftMaxBackwardEpilogueEEEvPT0_PKT2_SA_l,comdat
	.globl	_ZN2at6native12_GLOBAL__N_124cunn_SoftMaxBackwardSmemILi8EN3c108BFloat16EfS4_NS1_26LogSoftMaxBackwardEpilogueEEEvPT0_PKT2_SA_l ; -- Begin function _ZN2at6native12_GLOBAL__N_124cunn_SoftMaxBackwardSmemILi8EN3c108BFloat16EfS4_NS1_26LogSoftMaxBackwardEpilogueEEEvPT0_PKT2_SA_l
	.p2align	8
	.type	_ZN2at6native12_GLOBAL__N_124cunn_SoftMaxBackwardSmemILi8EN3c108BFloat16EfS4_NS1_26LogSoftMaxBackwardEpilogueEEEvPT0_PKT2_SA_l,@function
_ZN2at6native12_GLOBAL__N_124cunn_SoftMaxBackwardSmemILi8EN3c108BFloat16EfS4_NS1_26LogSoftMaxBackwardEpilogueEEEvPT0_PKT2_SA_l: ; @_ZN2at6native12_GLOBAL__N_124cunn_SoftMaxBackwardSmemILi8EN3c108BFloat16EfS4_NS1_26LogSoftMaxBackwardEpilogueEEEvPT0_PKT2_SA_l
; %bb.0:
	s_load_dwordx8 s[8:15], s[4:5], 0x0
	v_mov_b32_e32 v2, 0
	v_lshlrev_b32_e32 v1, 3, v0
	v_lshl_add_u32 v6, v0, 4, 0
	s_waitcnt lgkmcnt(0)
	v_cmp_gt_i64_e32 vcc_lo, s[14:15], v[1:2]
	s_mul_i32 s0, s15, s6
	s_mul_hi_u32 s1, s14, s6
	s_mul_i32 s2, s14, s6
	s_add_i32 s3, s1, s0
	s_and_saveexec_b32 s1, vcc_lo
	s_cbranch_execz .LBB322_4
; %bb.1:
	s_load_dword s0, s[4:5], 0x2c
	s_lshl_b64 s[6:7], s[2:3], 1
	v_lshl_add_u32 v5, v0, 4, 0
	s_add_u32 s6, s12, s6
	s_addc_u32 s7, s13, s7
	v_mov_b32_e32 v2, 0
	v_mov_b32_e32 v3, v0
	s_mov_b32 s13, 0
	s_waitcnt lgkmcnt(0)
	s_and_b32 s12, s0, 0xffff
	v_add_lshl_u32 v1, v0, s12, 3
	s_lshl_b32 s16, s12, 3
	s_lshl_b32 s17, s12, 4
	s_inst_prefetch 0x1
	.p2align	6
.LBB322_2:                              ; =>This Inner Loop Header: Depth=1
	v_ashrrev_i32_e32 v4, 31, v3
	v_lshlrev_b64 v[7:8], 4, v[3:4]
	v_add_nc_u32_e32 v3, s12, v3
	v_add_co_u32 v7, s0, s6, v7
	v_add_co_ci_u32_e64 v8, null, s7, v8, s0
	global_load_dwordx4 v[7:10], v[7:8], off
	s_waitcnt vmcnt(0)
	v_lshlrev_b32_e32 v4, 16, v7
	v_and_b32_e32 v11, 0xffff0000, v7
	v_and_b32_e32 v12, 0xffff0000, v10
	ds_write_b128 v5, v[7:10]
	v_add_nc_u32_e32 v5, s17, v5
	v_add_f32_e32 v2, v2, v4
	v_lshlrev_b32_e32 v4, 16, v8
	v_add_f32_e32 v2, v2, v11
	v_and_b32_e32 v11, 0xffff0000, v8
	v_add_f32_e32 v2, v2, v4
	v_lshlrev_b32_e32 v4, 16, v9
	v_add_f32_e32 v2, v2, v11
	v_and_b32_e32 v11, 0xffff0000, v9
	v_add_f32_e32 v2, v2, v4
	v_lshlrev_b32_e32 v4, 16, v10
	v_add_f32_e32 v11, v2, v11
	v_ashrrev_i32_e32 v2, 31, v1
	v_add_f32_e32 v4, v11, v4
	v_cmp_le_i64_e64 s0, s[14:15], v[1:2]
	v_add_nc_u32_e32 v1, s16, v1
	v_add_f32_e32 v2, v4, v12
	s_or_b32 s13, s0, s13
	s_andn2_b32 exec_lo, exec_lo, s13
	s_cbranch_execnz .LBB322_2
; %bb.3:
	s_inst_prefetch 0x2
	s_or_b32 exec_lo, exec_lo, s13
.LBB322_4:
	s_or_b32 exec_lo, exec_lo, s1
	v_mbcnt_lo_u32_b32 v5, -1, 0
	s_lshl_b32 s1, s14, 1
	s_mov_b32 s6, exec_lo
	s_add_i32 s1, s1, 0
	s_waitcnt lgkmcnt(0)
	v_lshl_or_b32 v1, v5, 2, 64
	v_cmp_gt_u32_e64 s0, 24, v5
	s_barrier
	buffer_gl0_inv
	ds_bpermute_b32 v4, v1, v2
	v_cndmask_b32_e64 v3, 0, 8, s0
	v_cmp_gt_u32_e64 s0, 28, v5
	v_add_lshl_u32 v3, v3, v5, 2
	s_waitcnt lgkmcnt(0)
	v_add_f32_e32 v4, v2, v4
	v_cndmask_b32_e64 v2, 0, 4, s0
	v_cmp_gt_u32_e64 s0, 30, v5
	ds_bpermute_b32 v7, v3, v4
	v_add_lshl_u32 v2, v2, v5, 2
	s_waitcnt lgkmcnt(0)
	v_add_f32_e32 v7, v4, v7
	v_cndmask_b32_e64 v4, 0, 2, s0
	v_cmp_ne_u32_e64 s0, 31, v5
	ds_bpermute_b32 v8, v2, v7
	v_add_lshl_u32 v4, v4, v5, 2
	v_add_co_ci_u32_e64 v5, null, 0, v5, s0
	v_lshlrev_b32_e32 v5, 2, v5
	s_waitcnt lgkmcnt(0)
	v_add_f32_e32 v7, v7, v8
	ds_bpermute_b32 v8, v4, v7
	s_waitcnt lgkmcnt(0)
	v_add_f32_e32 v8, v7, v8
	v_and_b32_e32 v7, 31, v0
	ds_bpermute_b32 v9, v5, v8
	v_cmpx_eq_u32_e32 0, v7
	s_cbranch_execz .LBB322_6
; %bb.5:
	v_lshrrev_b32_e32 v10, 3, v0
	s_waitcnt lgkmcnt(0)
	v_add_f32_e32 v8, v8, v9
	v_add_nc_u32_e32 v10, s1, v10
	ds_write_b32 v10, v8
.LBB322_6:
	s_or_b32 exec_lo, exec_lo, s6
	s_waitcnt lgkmcnt(0)
	s_barrier
	buffer_gl0_inv
	s_load_dword s4, s[4:5], 0x2c
	v_mov_b32_e32 v8, 0
	s_mov_b32 s5, exec_lo
	s_waitcnt lgkmcnt(0)
	s_bfe_u32 s0, s4, 0xb0005
	v_cmpx_gt_u32_e64 s0, v0
; %bb.7:
	v_lshl_add_u32 v7, v7, 2, s1
	ds_read_b32 v8, v7
; %bb.8:
	s_or_b32 exec_lo, exec_lo, s5
	s_mov_b32 s5, exec_lo
	v_cmpx_gt_u32_e32 32, v0
	s_cbranch_execz .LBB322_10
; %bb.9:
	s_waitcnt lgkmcnt(0)
	ds_bpermute_b32 v1, v1, v8
	s_waitcnt lgkmcnt(0)
	v_add_f32_e32 v1, v8, v1
	ds_bpermute_b32 v3, v3, v1
	s_waitcnt lgkmcnt(0)
	v_add_f32_e32 v1, v1, v3
	;; [unrolled: 3-line block ×5, first 2 shown]
.LBB322_10:
	s_or_b32 exec_lo, exec_lo, s5
	s_mov_b32 s5, exec_lo
	v_cmpx_eq_u32_e32 0, v0
	s_cbranch_execz .LBB322_12
; %bb.11:
	v_mov_b32_e32 v1, s1
	s_waitcnt lgkmcnt(0)
	ds_write_b32 v1, v8
.LBB322_12:
	s_or_b32 exec_lo, exec_lo, s5
	s_waitcnt lgkmcnt(0)
	s_barrier
	buffer_gl0_inv
	s_and_saveexec_b32 s0, vcc_lo
	s_cbranch_execz .LBB322_15
; %bb.13:
	v_mov_b32_e32 v1, s1
	s_lshl_b64 s[0:1], s[2:3], 1
	s_and_b32 s12, 0xffff, s4
	s_add_u32 s13, s8, s0
	v_add_lshl_u32 v2, v0, s12, 3
	ds_read_b32 v7, v1
	v_mov_b32_e32 v8, 1
	s_addc_u32 s9, s9, s1
	s_add_u32 s10, s10, s0
	s_addc_u32 s11, s11, s1
	s_lshl_b32 s16, s12, 3
	s_mov_b32 s17, 0
	s_lshl_b32 s18, s12, 4
.LBB322_14:                             ; =>This Inner Loop Header: Depth=1
	v_ashrrev_i32_e32 v1, 31, v0
	ds_read_b128 v[13:16], v6
	v_ashrrev_i32_e32 v3, 31, v2
	v_add_nc_u32_e32 v6, s18, v6
	v_lshlrev_b64 v[4:5], 4, v[0:1]
	v_add_nc_u32_e32 v0, s12, v0
	v_add_co_u32 v9, vcc_lo, s10, v4
	v_add_co_ci_u32_e64 v10, null, s11, v5, vcc_lo
	v_cmp_le_i64_e32 vcc_lo, s[14:15], v[2:3]
	v_add_co_u32 v3, s0, s13, v4
	global_load_dwordx4 v[9:12], v[9:10], off
	v_add_nc_u32_e32 v2, s16, v2
	s_waitcnt lgkmcnt(0)
	v_and_b32_e32 v1, 0xffff0000, v13
	v_lshlrev_b32_e32 v4, 16, v13
	v_and_b32_e32 v13, 0xffff0000, v14
	v_lshlrev_b32_e32 v14, 16, v14
	;; [unrolled: 2-line block ×4, first 2 shown]
	s_or_b32 s17, vcc_lo, s17
	s_waitcnt vmcnt(0)
	v_lshlrev_b32_e32 v19, 16, v9
	v_and_b32_e32 v9, 0xffff0000, v9
	v_lshlrev_b32_e32 v20, 16, v10
	v_and_b32_e32 v10, 0xffff0000, v10
	v_lshlrev_b32_e32 v21, 16, v11
	v_and_b32_e32 v11, 0xffff0000, v11
	v_lshlrev_b32_e32 v22, 16, v12
	v_and_b32_e32 v12, 0xffff0000, v12
	v_mul_f32_e32 v23, 0x3fb8aa3b, v19
	v_mul_f32_e32 v24, 0x3fb8aa3b, v9
	;; [unrolled: 1-line block ×8, first 2 shown]
	v_fma_f32 v31, 0x3fb8aa3b, v19, -v23
	v_rndne_f32_e32 v32, v23
	v_fma_f32 v33, 0x3fb8aa3b, v9, -v24
	v_rndne_f32_e32 v34, v24
	;; [unrolled: 2-line block ×8, first 2 shown]
	v_fmac_f32_e32 v31, 0x32a5705f, v19
	v_sub_f32_e32 v23, v23, v32
	v_fmac_f32_e32 v33, 0x32a5705f, v9
	v_sub_f32_e32 v24, v24, v34
	;; [unrolled: 2-line block ×8, first 2 shown]
	v_add_f32_e32 v23, v23, v31
	v_add_f32_e32 v24, v24, v33
	;; [unrolled: 1-line block ×8, first 2 shown]
	v_exp_f32_e32 v23, v23
	v_exp_f32_e32 v24, v24
	;; [unrolled: 1-line block ×8, first 2 shown]
	v_cvt_i32_f32_e32 v32, v32
	v_cvt_i32_f32_e32 v34, v34
	;; [unrolled: 1-line block ×8, first 2 shown]
	v_ldexp_f32 v23, v23, v32
	v_ldexp_f32 v24, v24, v34
	v_cmp_ngt_f32_e64 s1, 0xc2ce8ed0, v9
	v_ldexp_f32 v25, v25, v36
	v_cmp_ngt_f32_e64 s2, 0xc2ce8ed0, v20
	;; [unrolled: 2-line block ×7, first 2 shown]
	v_cmp_ngt_f32_e64 s8, 0xc2ce8ed0, v19
	v_cndmask_b32_e64 v24, 0, v24, s1
	v_cmp_nlt_f32_e64 s1, 0x42b17218, v9
	v_cndmask_b32_e64 v9, 0, v25, s2
	v_cmp_nlt_f32_e64 s2, 0x42b17218, v20
	v_cndmask_b32_e64 v23, 0, v23, s8
	v_cndmask_b32_e64 v20, 0, v26, s3
	v_cmp_nlt_f32_e64 s3, 0x42b17218, v10
	v_cndmask_b32_e64 v10, 0, v27, s4
	v_cmp_nlt_f32_e64 s4, 0x42b17218, v21
	;; [unrolled: 2-line block ×5, first 2 shown]
	v_cmp_nlt_f32_e64 s8, 0x42b17218, v19
	v_cndmask_b32_e64 v19, 0x7f800000, v24, s1
	v_cndmask_b32_e64 v9, 0x7f800000, v9, s2
	;; [unrolled: 1-line block ×8, first 2 shown]
	v_fma_f32 v1, -v7, v19, v1
	v_fma_f32 v4, -v7, v12, v4
	;; [unrolled: 1-line block ×8, first 2 shown]
	v_and_b32_sdwa v15, v1, v8 dst_sel:DWORD dst_unused:UNUSED_PAD src0_sel:WORD_1 src1_sel:DWORD
	v_and_b32_sdwa v16, v4, v8 dst_sel:DWORD dst_unused:UNUSED_PAD src0_sel:WORD_1 src1_sel:DWORD
	;; [unrolled: 1-line block ×8, first 2 shown]
	v_add3_u32 v15, v1, v15, 0x7fff
	v_add3_u32 v16, v4, v16, 0x7fff
	;; [unrolled: 1-line block ×8, first 2 shown]
	v_lshrrev_b32_e32 v16, 16, v16
	v_lshrrev_b32_e32 v15, 16, v15
	v_cmp_o_f32_e64 s1, v1, v1
	v_lshrrev_b32_e32 v1, 16, v18
	v_lshrrev_b32_e32 v17, 16, v17
	v_cmp_o_f32_e64 s2, v9, v9
	v_cmp_o_f32_e64 s3, v12, v12
	v_lshrrev_b32_e32 v9, 16, v20
	v_lshrrev_b32_e32 v12, 16, v19
	v_cmp_o_f32_e64 s4, v10, v10
	;; [unrolled: 4-line block ×3, first 2 shown]
	v_cmp_o_f32_e64 s7, v14, v14
	v_cmp_o_f32_e64 s8, v4, v4
	v_cndmask_b32_e64 v15, 0x7fc0, v15, s1
	v_cndmask_b32_e64 v1, 0x7fc0, v1, s2
	;; [unrolled: 1-line block ×8, first 2 shown]
	v_add_co_ci_u32_e64 v4, null, s9, v5, s0
	v_perm_b32 v12, v11, v10, 0x5040100
	v_perm_b32 v11, v13, v9, 0x5040100
	;; [unrolled: 1-line block ×4, first 2 shown]
	global_store_dwordx4 v[3:4], v[9:12], off
	s_andn2_b32 exec_lo, exec_lo, s17
	s_cbranch_execnz .LBB322_14
.LBB322_15:
	s_endpgm
	.section	.rodata,"a",@progbits
	.p2align	6, 0x0
	.amdhsa_kernel _ZN2at6native12_GLOBAL__N_124cunn_SoftMaxBackwardSmemILi8EN3c108BFloat16EfS4_NS1_26LogSoftMaxBackwardEpilogueEEEvPT0_PKT2_SA_l
		.amdhsa_group_segment_fixed_size 0
		.amdhsa_private_segment_fixed_size 0
		.amdhsa_kernarg_size 288
		.amdhsa_user_sgpr_count 6
		.amdhsa_user_sgpr_private_segment_buffer 1
		.amdhsa_user_sgpr_dispatch_ptr 0
		.amdhsa_user_sgpr_queue_ptr 0
		.amdhsa_user_sgpr_kernarg_segment_ptr 1
		.amdhsa_user_sgpr_dispatch_id 0
		.amdhsa_user_sgpr_flat_scratch_init 0
		.amdhsa_user_sgpr_private_segment_size 0
		.amdhsa_wavefront_size32 1
		.amdhsa_uses_dynamic_stack 0
		.amdhsa_system_sgpr_private_segment_wavefront_offset 0
		.amdhsa_system_sgpr_workgroup_id_x 1
		.amdhsa_system_sgpr_workgroup_id_y 0
		.amdhsa_system_sgpr_workgroup_id_z 0
		.amdhsa_system_sgpr_workgroup_info 0
		.amdhsa_system_vgpr_workitem_id 0
		.amdhsa_next_free_vgpr 47
		.amdhsa_next_free_sgpr 19
		.amdhsa_reserve_vcc 1
		.amdhsa_reserve_flat_scratch 0
		.amdhsa_float_round_mode_32 0
		.amdhsa_float_round_mode_16_64 0
		.amdhsa_float_denorm_mode_32 3
		.amdhsa_float_denorm_mode_16_64 3
		.amdhsa_dx10_clamp 1
		.amdhsa_ieee_mode 1
		.amdhsa_fp16_overflow 0
		.amdhsa_workgroup_processor_mode 1
		.amdhsa_memory_ordered 1
		.amdhsa_forward_progress 1
		.amdhsa_shared_vgpr_count 0
		.amdhsa_exception_fp_ieee_invalid_op 0
		.amdhsa_exception_fp_denorm_src 0
		.amdhsa_exception_fp_ieee_div_zero 0
		.amdhsa_exception_fp_ieee_overflow 0
		.amdhsa_exception_fp_ieee_underflow 0
		.amdhsa_exception_fp_ieee_inexact 0
		.amdhsa_exception_int_div_zero 0
	.end_amdhsa_kernel
	.section	.text._ZN2at6native12_GLOBAL__N_124cunn_SoftMaxBackwardSmemILi8EN3c108BFloat16EfS4_NS1_26LogSoftMaxBackwardEpilogueEEEvPT0_PKT2_SA_l,"axG",@progbits,_ZN2at6native12_GLOBAL__N_124cunn_SoftMaxBackwardSmemILi8EN3c108BFloat16EfS4_NS1_26LogSoftMaxBackwardEpilogueEEEvPT0_PKT2_SA_l,comdat
.Lfunc_end322:
	.size	_ZN2at6native12_GLOBAL__N_124cunn_SoftMaxBackwardSmemILi8EN3c108BFloat16EfS4_NS1_26LogSoftMaxBackwardEpilogueEEEvPT0_PKT2_SA_l, .Lfunc_end322-_ZN2at6native12_GLOBAL__N_124cunn_SoftMaxBackwardSmemILi8EN3c108BFloat16EfS4_NS1_26LogSoftMaxBackwardEpilogueEEEvPT0_PKT2_SA_l
                                        ; -- End function
	.set _ZN2at6native12_GLOBAL__N_124cunn_SoftMaxBackwardSmemILi8EN3c108BFloat16EfS4_NS1_26LogSoftMaxBackwardEpilogueEEEvPT0_PKT2_SA_l.num_vgpr, 47
	.set _ZN2at6native12_GLOBAL__N_124cunn_SoftMaxBackwardSmemILi8EN3c108BFloat16EfS4_NS1_26LogSoftMaxBackwardEpilogueEEEvPT0_PKT2_SA_l.num_agpr, 0
	.set _ZN2at6native12_GLOBAL__N_124cunn_SoftMaxBackwardSmemILi8EN3c108BFloat16EfS4_NS1_26LogSoftMaxBackwardEpilogueEEEvPT0_PKT2_SA_l.numbered_sgpr, 19
	.set _ZN2at6native12_GLOBAL__N_124cunn_SoftMaxBackwardSmemILi8EN3c108BFloat16EfS4_NS1_26LogSoftMaxBackwardEpilogueEEEvPT0_PKT2_SA_l.num_named_barrier, 0
	.set _ZN2at6native12_GLOBAL__N_124cunn_SoftMaxBackwardSmemILi8EN3c108BFloat16EfS4_NS1_26LogSoftMaxBackwardEpilogueEEEvPT0_PKT2_SA_l.private_seg_size, 0
	.set _ZN2at6native12_GLOBAL__N_124cunn_SoftMaxBackwardSmemILi8EN3c108BFloat16EfS4_NS1_26LogSoftMaxBackwardEpilogueEEEvPT0_PKT2_SA_l.uses_vcc, 1
	.set _ZN2at6native12_GLOBAL__N_124cunn_SoftMaxBackwardSmemILi8EN3c108BFloat16EfS4_NS1_26LogSoftMaxBackwardEpilogueEEEvPT0_PKT2_SA_l.uses_flat_scratch, 0
	.set _ZN2at6native12_GLOBAL__N_124cunn_SoftMaxBackwardSmemILi8EN3c108BFloat16EfS4_NS1_26LogSoftMaxBackwardEpilogueEEEvPT0_PKT2_SA_l.has_dyn_sized_stack, 0
	.set _ZN2at6native12_GLOBAL__N_124cunn_SoftMaxBackwardSmemILi8EN3c108BFloat16EfS4_NS1_26LogSoftMaxBackwardEpilogueEEEvPT0_PKT2_SA_l.has_recursion, 0
	.set _ZN2at6native12_GLOBAL__N_124cunn_SoftMaxBackwardSmemILi8EN3c108BFloat16EfS4_NS1_26LogSoftMaxBackwardEpilogueEEEvPT0_PKT2_SA_l.has_indirect_call, 0
	.section	.AMDGPU.csdata,"",@progbits
; Kernel info:
; codeLenInByte = 2316
; TotalNumSgprs: 21
; NumVgprs: 47
; ScratchSize: 0
; MemoryBound: 0
; FloatMode: 240
; IeeeMode: 1
; LDSByteSize: 0 bytes/workgroup (compile time only)
; SGPRBlocks: 0
; VGPRBlocks: 5
; NumSGPRsForWavesPerEU: 21
; NumVGPRsForWavesPerEU: 47
; Occupancy: 16
; WaveLimiterHint : 0
; COMPUTE_PGM_RSRC2:SCRATCH_EN: 0
; COMPUTE_PGM_RSRC2:USER_SGPR: 6
; COMPUTE_PGM_RSRC2:TRAP_HANDLER: 0
; COMPUTE_PGM_RSRC2:TGID_X_EN: 1
; COMPUTE_PGM_RSRC2:TGID_Y_EN: 0
; COMPUTE_PGM_RSRC2:TGID_Z_EN: 0
; COMPUTE_PGM_RSRC2:TIDIG_COMP_CNT: 0
	.section	.text._ZN2at6native12_GLOBAL__N_120cunn_SoftMaxBackwardILi8EN3c108BFloat16EfS4_NS1_26LogSoftMaxBackwardEpilogueEEEvPT0_PKT2_SA_l,"axG",@progbits,_ZN2at6native12_GLOBAL__N_120cunn_SoftMaxBackwardILi8EN3c108BFloat16EfS4_NS1_26LogSoftMaxBackwardEpilogueEEEvPT0_PKT2_SA_l,comdat
	.globl	_ZN2at6native12_GLOBAL__N_120cunn_SoftMaxBackwardILi8EN3c108BFloat16EfS4_NS1_26LogSoftMaxBackwardEpilogueEEEvPT0_PKT2_SA_l ; -- Begin function _ZN2at6native12_GLOBAL__N_120cunn_SoftMaxBackwardILi8EN3c108BFloat16EfS4_NS1_26LogSoftMaxBackwardEpilogueEEEvPT0_PKT2_SA_l
	.p2align	8
	.type	_ZN2at6native12_GLOBAL__N_120cunn_SoftMaxBackwardILi8EN3c108BFloat16EfS4_NS1_26LogSoftMaxBackwardEpilogueEEEvPT0_PKT2_SA_l,@function
_ZN2at6native12_GLOBAL__N_120cunn_SoftMaxBackwardILi8EN3c108BFloat16EfS4_NS1_26LogSoftMaxBackwardEpilogueEEEvPT0_PKT2_SA_l: ; @_ZN2at6native12_GLOBAL__N_120cunn_SoftMaxBackwardILi8EN3c108BFloat16EfS4_NS1_26LogSoftMaxBackwardEpilogueEEEvPT0_PKT2_SA_l
; %bb.0:
	s_load_dwordx8 s[8:15], s[4:5], 0x0
	s_mov_b32 s29, 0
	s_waitcnt lgkmcnt(0)
	s_mul_i32 s1, s15, s6
	s_mul_hi_u32 s2, s14, s6
	s_mul_i32 s0, s14, s6
	s_add_i32 s1, s2, s1
	v_cmp_lt_i64_e64 s30, 0x7ffffffe, s[14:15]
	s_lshl_b64 s[2:3], s[0:1], 1
	s_mov_b64 s[18:19], s[14:15]
	s_add_u32 s16, s12, s2
	s_addc_u32 s17, s13, s3
	s_bfe_u32 s28, s16, 0x30001
	s_cmp_lg_u32 s28, 0
	s_cselect_b32 s7, -1, 0
	s_and_b32 vcc_lo, exec_lo, s30
	s_cbranch_vccz .LBB323_16
; %bb.1:
	v_mov_b32_e32 v1, 0
	s_add_u32 s0, s4, 32
	s_addc_u32 s1, s5, 0
	s_and_b32 vcc_lo, exec_lo, s7
	s_cbranch_vccz .LBB323_39
; %bb.2:
	s_lshl_b32 s0, s28, 1
	v_mov_b32_e32 v6, v1
	s_sub_u32 s22, s16, s0
	s_mov_b32 s24, 0
	s_subb_u32 s23, s17, 0
	s_mov_b32 s0, exec_lo
	v_cmpx_le_u64_e64 s[28:29], v[0:1]
	s_cbranch_execz .LBB323_4
; %bb.3:
	v_lshlrev_b32_e32 v2, 1, v0
	global_load_ushort v2, v2, s[22:23]
	s_waitcnt vmcnt(0)
	v_lshlrev_b32_e32 v2, 16, v2
	v_add_f32_e32 v6, 0, v2
.LBB323_4:
	s_or_b32 exec_lo, exec_lo, s0
	s_load_dword s20, s[4:5], 0x2c
	s_add_u32 s21, s28, s14
	s_addc_u32 s25, 0, s15
	s_add_u32 s0, s4, 32
	s_addc_u32 s1, s5, 0
	s_waitcnt lgkmcnt(0)
	s_and_b32 s26, s20, 0xffff
	s_sub_u32 s20, s21, s26
	s_subb_u32 s21, s25, 0
	s_lshl_b32 s25, s26, 1
	s_add_u32 s22, s22, s25
	s_addc_u32 s23, s23, 0
	s_and_b32 vcc_lo, exec_lo, s24
	s_cbranch_vccz .LBB323_6
.LBB323_5:
	v_mov_b32_e32 v6, 0
	s_mov_b64 s[20:21], s[18:19]
	s_mov_b64 s[22:23], s[16:17]
.LBB323_6:
	s_load_dword s24, s[0:1], 0x0
	v_mov_b32_e32 v2, 0
	s_waitcnt lgkmcnt(0)
	s_cmp_lt_u32 s6, s24
	s_cselect_b32 s24, 12, 18
	s_add_u32 s0, s0, s24
	s_addc_u32 s1, s1, 0
	global_load_ushort v2, v2, s[0:1]
	s_mov_b32 s0, 0
	s_waitcnt vmcnt(0)
	v_readfirstlane_b32 s1, v2
	v_and_b32_e32 v7, 0xffff, v2
	s_and_b32 s24, 0xffff, s1
	s_mov_b32 s1, s21
	s_lshl_b32 s26, s24, 3
	s_cmp_lg_u64 s[0:1], 0
	s_cbranch_scc0 .LBB323_40
; %bb.7:
	v_cvt_f32_u32_e32 v2, s26
	s_sub_u32 s25, 0, s26
	s_subb_u32 s27, 0, 0
	v_fmamk_f32 v2, 0, 0x4f800000, v2
	v_rcp_f32_e32 v2, v2
	v_mul_f32_e32 v2, 0x5f7ffffc, v2
	v_mul_f32_e32 v3, 0x2f800000, v2
	v_trunc_f32_e32 v3, v3
	v_fmamk_f32 v2, v3, 0xcf800000, v2
	v_cvt_u32_f32_e32 v3, v3
	v_cvt_u32_f32_e32 v2, v2
	v_readfirstlane_b32 s1, v3
	v_readfirstlane_b32 s24, v2
	s_mul_i32 s31, s25, s1
	s_mul_hi_u32 s34, s25, s24
	s_mul_i32 s33, s27, s24
	s_add_i32 s31, s34, s31
	s_mul_i32 s35, s25, s24
	s_add_i32 s31, s31, s33
	s_mul_hi_u32 s34, s24, s35
	s_mul_i32 s37, s24, s31
	s_mul_hi_u32 s36, s1, s35
	s_mul_i32 s33, s1, s35
	s_mul_hi_u32 s35, s24, s31
	s_add_u32 s34, s34, s37
	s_addc_u32 s35, 0, s35
	s_mul_hi_u32 s38, s1, s31
	s_add_u32 s33, s34, s33
	s_mul_i32 s31, s1, s31
	s_addc_u32 s33, s35, s36
	s_addc_u32 s34, s38, 0
	s_add_u32 s31, s33, s31
	s_addc_u32 s33, 0, s34
	s_add_u32 s24, s24, s31
	s_cselect_b32 s31, -1, 0
	s_mul_hi_u32 s34, s25, s24
	s_cmp_lg_u32 s31, 0
	s_mul_i32 s31, s25, s24
	s_addc_u32 s1, s1, s33
	s_mul_i32 s27, s27, s24
	s_mul_i32 s25, s25, s1
	s_mul_hi_u32 s33, s24, s31
	s_add_i32 s25, s34, s25
	s_mul_hi_u32 s34, s1, s31
	s_add_i32 s25, s25, s27
	s_mul_i32 s27, s1, s31
	s_mul_i32 s36, s24, s25
	s_mul_hi_u32 s35, s24, s25
	s_add_u32 s33, s33, s36
	s_addc_u32 s35, 0, s35
	s_mul_hi_u32 s31, s1, s25
	s_add_u32 s27, s33, s27
	s_mul_i32 s25, s1, s25
	s_addc_u32 s27, s35, s34
	s_addc_u32 s31, s31, 0
	s_add_u32 s25, s27, s25
	s_addc_u32 s27, 0, s31
	s_add_u32 s24, s24, s25
	s_cselect_b32 s25, -1, 0
	s_mul_hi_u32 s31, s20, s24
	s_cmp_lg_u32 s25, 0
	s_mul_hi_u32 s25, s21, s24
	s_addc_u32 s1, s1, s27
	s_mul_i32 s24, s21, s24
	s_mul_i32 s33, s20, s1
	s_mul_hi_u32 s27, s20, s1
	s_add_u32 s31, s31, s33
	s_addc_u32 s27, 0, s27
	s_mul_hi_u32 s34, s21, s1
	s_add_u32 s24, s31, s24
	s_mul_i32 s1, s21, s1
	s_addc_u32 s24, s27, s25
	s_addc_u32 s25, s34, 0
	s_add_u32 s1, s24, s1
	s_addc_u32 s24, 0, s25
	s_mul_hi_u32 s25, s26, s1
	s_mul_i32 s24, s26, s24
	s_mul_i32 s1, s26, s1
	s_add_i32 s25, s25, s24
	s_sub_u32 s1, s20, s1
	s_cselect_b32 s24, -1, 0
	s_cmp_lg_u32 s24, 0
	s_subb_u32 s24, s21, s25
	s_sub_u32 s25, s1, s26
	s_cselect_b32 s27, -1, 0
	s_cmp_lg_u32 s27, 0
	s_subb_u32 s27, s24, 0
	;; [unrolled: 4-line block ×3, first 2 shown]
	s_cmp_ge_u32 s25, s26
	s_cselect_b32 s34, -1, 0
	s_cmp_eq_u32 s27, 0
	s_cselect_b32 s34, s34, -1
	s_cmp_lg_u32 s34, 0
	s_cselect_b32 s27, s33, s27
	s_cselect_b32 s31, s31, s25
	s_cmp_ge_u32 s1, s26
	s_cselect_b32 s25, -1, 0
	s_cmp_eq_u32 s24, 0
	s_cselect_b32 s25, s25, -1
	s_cmp_lg_u32 s25, 0
	s_cselect_b32 s25, s27, s24
	s_cselect_b32 s24, s31, s1
	s_andn2_b32 vcc_lo, exec_lo, s0
	s_cbranch_vccnz .LBB323_9
.LBB323_8:
	v_cvt_f32_u32_e32 v2, s26
	s_sub_i32 s1, 0, s26
	s_mov_b32 s25, 0
	v_rcp_iflag_f32_e32 v2, v2
	v_mul_f32_e32 v2, 0x4f7ffffe, v2
	v_cvt_u32_f32_e32 v2, v2
	v_readfirstlane_b32 s0, v2
	s_mul_i32 s1, s1, s0
	s_mul_hi_u32 s1, s0, s1
	s_add_i32 s0, s0, s1
	s_mul_hi_u32 s0, s20, s0
	s_mul_i32 s0, s0, s26
	s_sub_i32 s0, s20, s0
	s_sub_i32 s1, s0, s26
	s_cmp_ge_u32 s0, s26
	s_cselect_b32 s0, s1, s0
	s_sub_i32 s1, s0, s26
	s_cmp_ge_u32 s0, s26
	s_cselect_b32 s24, s1, s0
.LBB323_9:
	v_lshlrev_b32_e32 v2, 4, v0
	v_mov_b32_e32 v5, v1
	v_lshlrev_b32_e32 v8, 4, v7
	v_mov_b32_e32 v4, v0
	s_sub_u32 s24, s20, s24
	v_add_co_u32 v2, s0, s22, v2
	v_add_co_ci_u32_e64 v3, null, s23, 0, s0
	s_subb_u32 s25, s21, s25
	s_mov_b32 s1, 0
	s_inst_prefetch 0x1
	.p2align	6
.LBB323_10:                             ; =>This Inner Loop Header: Depth=1
	global_load_dwordx4 v[9:12], v[2:3], off
	v_add_co_u32 v4, vcc_lo, v4, v7
	v_add_co_ci_u32_e64 v5, null, 0, v5, vcc_lo
	v_add_co_u32 v2, s0, v2, v8
	v_add_co_ci_u32_e64 v3, null, 0, v3, s0
	s_waitcnt vmcnt(0)
	v_lshlrev_b32_e32 v1, 16, v9
	v_and_b32_e32 v9, 0xffff0000, v9
	v_add_f32_e32 v1, v6, v1
	v_lshlrev_b32_e32 v6, 16, v10
	v_add_f32_e32 v1, v1, v9
	v_and_b32_e32 v9, 0xffff0000, v10
	v_add_f32_e32 v1, v1, v6
	v_lshlrev_b32_e32 v6, 16, v11
	v_and_b32_e32 v11, 0xffff0000, v11
	v_add_f32_e32 v1, v1, v9
	v_lshlrev_b64 v[9:10], 3, v[4:5]
	v_add_f32_e32 v1, v1, v6
	v_lshlrev_b32_e32 v6, 16, v12
	v_cmp_le_i64_e32 vcc_lo, s[24:25], v[9:10]
	v_and_b32_e32 v9, 0xffff0000, v12
	v_add_f32_e32 v1, v1, v11
	s_or_b32 s1, vcc_lo, s1
	v_add_f32_e32 v1, v1, v6
	v_add_f32_e32 v6, v1, v9
	s_andn2_b32 exec_lo, exec_lo, s1
	s_cbranch_execnz .LBB323_10
; %bb.11:
	s_inst_prefetch 0x2
	s_or_b32 exec_lo, exec_lo, s1
	v_add_co_u32 v1, s0, s24, v0
	v_add_co_ci_u32_e64 v2, null, s25, 0, s0
	s_mov_b32 s0, exec_lo
	v_cmpx_gt_u64_e64 s[20:21], v[1:2]
	s_cbranch_execz .LBB323_15
; %bb.12:
	s_mov_b32 s1, 0
	.p2align	6
.LBB323_13:                             ; =>This Inner Loop Header: Depth=1
	v_lshlrev_b64 v[3:4], 1, v[1:2]
	v_add_co_u32 v3, vcc_lo, s22, v3
	v_add_co_ci_u32_e64 v4, null, s23, v4, vcc_lo
	v_add_co_u32 v1, vcc_lo, v1, v7
	v_add_co_ci_u32_e64 v2, null, 0, v2, vcc_lo
	global_load_ushort v3, v[3:4], off
	v_cmp_le_i64_e32 vcc_lo, s[20:21], v[1:2]
	s_or_b32 s1, vcc_lo, s1
	s_waitcnt vmcnt(0)
	v_lshlrev_b32_e32 v3, 16, v3
	v_add_f32_e32 v6, v6, v3
	s_andn2_b32 exec_lo, exec_lo, s1
	s_cbranch_execnz .LBB323_13
; %bb.14:
	s_or_b32 exec_lo, exec_lo, s1
.LBB323_15:
	s_or_b32 exec_lo, exec_lo, s0
	s_branch .LBB323_31
.LBB323_16:
                                        ; implicit-def: $vgpr6
	s_cbranch_execz .LBB323_31
; %bb.17:
	s_add_u32 s20, s4, 32
	s_addc_u32 s21, s5, 0
	s_and_b32 vcc_lo, exec_lo, s7
	s_cbranch_vccz .LBB323_41
; %bb.18:
	s_lshl_b64 s[0:1], s[28:29], 1
	v_cmp_le_u32_e32 vcc_lo, s28, v0
	s_sub_u32 s22, s16, s0
	s_subb_u32 s23, s17, s1
	s_add_i32 s1, s28, s14
	v_mov_b32_e32 v6, 0
	v_cmp_gt_i32_e64 s0, s1, v0
	s_and_b32 s7, vcc_lo, s0
	s_and_saveexec_b32 s0, s7
	s_cbranch_execz .LBB323_20
; %bb.19:
	v_lshlrev_b32_e32 v1, 1, v0
	global_load_ushort v1, v1, s[22:23]
	s_waitcnt vmcnt(0)
	v_lshlrev_b32_e32 v1, 16, v1
	v_add_f32_e32 v6, 0, v1
.LBB323_20:
	s_or_b32 exec_lo, exec_lo, s0
	s_load_dword s0, s[4:5], 0x2c
	s_add_u32 s20, s4, 32
	s_addc_u32 s21, s5, 0
	s_waitcnt lgkmcnt(0)
	s_and_b32 s0, s0, 0xffff
	v_sub_nc_u32_e64 v1, s1, s0 clamp
	s_lshl_b32 s0, s0, 1
	s_add_u32 s0, s22, s0
	s_addc_u32 s1, s23, 0
	v_readfirstlane_b32 s7, v1
	s_branch .LBB323_22
.LBB323_21:
	v_mov_b32_e32 v6, 0
	s_mov_b32 s7, s14
	s_mov_b64 s[0:1], s[16:17]
.LBB323_22:
	s_load_dword s22, s[20:21], 0x0
	v_mov_b32_e32 v1, 0
	s_waitcnt lgkmcnt(0)
	s_cmp_lt_u32 s6, s22
	s_cselect_b32 s22, 12, 18
	s_add_u32 s20, s20, s22
	s_addc_u32 s21, s21, 0
	global_load_ushort v3, v1, s[20:21]
	s_waitcnt vmcnt(0)
	v_readfirstlane_b32 s20, v3
	s_lshl_b32 s20, s20, 3
	v_cvt_f32_u32_e32 v1, s20
	s_sub_i32 s22, 0, s20
	v_rcp_iflag_f32_e32 v1, v1
	v_mul_f32_e32 v1, 0x4f7ffffe, v1
	v_cvt_u32_f32_e32 v1, v1
	v_readfirstlane_b32 s21, v1
	v_lshlrev_b32_e32 v1, 3, v0
	s_mul_i32 s22, s22, s21
	s_mul_hi_u32 s22, s21, s22
	s_add_i32 s21, s21, s22
	s_mul_hi_u32 s21, s7, s21
	s_mul_i32 s21, s21, s20
	s_sub_i32 s21, s7, s21
	s_sub_i32 s22, s21, s20
	s_cmp_ge_u32 s21, s20
	s_cselect_b32 s21, s22, s21
	s_sub_i32 s22, s21, s20
	s_cmp_ge_u32 s21, s20
	s_cselect_b32 s20, s22, s21
	s_mov_b32 s22, 0
	s_sub_i32 s20, s7, s20
	s_mov_b32 s21, exec_lo
	v_cmpx_gt_i32_e64 s20, v1
	s_cbranch_execz .LBB323_26
; %bb.23:
	v_mov_b32_e32 v1, v0
	s_inst_prefetch 0x1
	.p2align	6
.LBB323_24:                             ; =>This Inner Loop Header: Depth=1
	v_ashrrev_i32_e32 v2, 31, v1
	v_lshlrev_b64 v[4:5], 4, v[1:2]
	v_add_nc_u32_e32 v1, v1, v3
	v_add_co_u32 v4, vcc_lo, s0, v4
	v_add_co_ci_u32_e64 v5, null, s1, v5, vcc_lo
	global_load_dwordx4 v[7:10], v[4:5], off
	s_waitcnt vmcnt(0)
	v_lshlrev_b32_e32 v2, 16, v7
	v_and_b32_e32 v4, 0xffff0000, v7
	v_lshlrev_b32_e32 v5, 16, v8
	v_add_f32_e32 v2, v6, v2
	v_and_b32_e32 v6, 0xffff0000, v10
	v_add_f32_e32 v2, v2, v4
	v_and_b32_e32 v4, 0xffff0000, v8
	v_add_f32_e32 v2, v2, v5
	v_lshlrev_b32_e32 v5, 16, v9
	v_add_f32_e32 v2, v2, v4
	v_and_b32_e32 v4, 0xffff0000, v9
	v_add_f32_e32 v2, v2, v5
	v_lshlrev_b32_e32 v5, 16, v10
	v_add_f32_e32 v2, v2, v4
	v_lshlrev_b32_e32 v4, 3, v1
	v_add_f32_e32 v2, v2, v5
	v_cmp_le_i32_e32 vcc_lo, s20, v4
	v_add_f32_e32 v6, v2, v6
	s_or_b32 s22, vcc_lo, s22
	s_andn2_b32 exec_lo, exec_lo, s22
	s_cbranch_execnz .LBB323_24
; %bb.25:
	s_inst_prefetch 0x2
	s_or_b32 exec_lo, exec_lo, s22
.LBB323_26:
	s_or_b32 exec_lo, exec_lo, s21
	v_add_nc_u32_e32 v1, s20, v0
	s_mov_b32 s20, exec_lo
	v_cmpx_gt_i32_e64 s7, v1
	s_cbranch_execz .LBB323_30
; %bb.27:
	s_mov_b32 s21, 0
.LBB323_28:                             ; =>This Inner Loop Header: Depth=1
	v_ashrrev_i32_e32 v2, 31, v1
	v_lshlrev_b64 v[4:5], 1, v[1:2]
	v_add_nc_u32_e32 v1, v1, v3
	v_add_co_u32 v4, vcc_lo, s0, v4
	v_add_co_ci_u32_e64 v5, null, s1, v5, vcc_lo
	v_cmp_le_i32_e32 vcc_lo, s7, v1
	global_load_ushort v2, v[4:5], off
	s_or_b32 s21, vcc_lo, s21
	s_waitcnt vmcnt(0)
	v_lshlrev_b32_e32 v2, 16, v2
	v_add_f32_e32 v6, v6, v2
	s_andn2_b32 exec_lo, exec_lo, s21
	s_cbranch_execnz .LBB323_28
; %bb.29:
	s_or_b32 exec_lo, exec_lo, s21
.LBB323_30:
	s_or_b32 exec_lo, exec_lo, s20
.LBB323_31:
	v_lshl_add_u32 v1, v0, 2, 0
	s_barrier
	buffer_gl0_inv
	s_add_u32 s24, s4, 32
	ds_write_b32 v1, v6
	s_waitcnt lgkmcnt(0)
	s_barrier
	buffer_gl0_inv
	s_load_dword s1, s[4:5], 0x2c
	s_addc_u32 s25, s5, 0
	s_waitcnt lgkmcnt(0)
	s_bfe_u32 s0, s1, 0xb0005
	s_and_b32 s0, s0, 0xffff
	s_min_u32 s4, s0, 32
	v_cmp_gt_u32_e32 vcc_lo, s4, v0
	s_and_saveexec_b32 s4, vcc_lo
	s_cbranch_execz .LBB323_33
; %bb.32:
	v_mad_u32_u24 v10, 0x7c, v0, v1
	ds_read2_b32 v[2:3], v10 offset1:1
	ds_read2_b32 v[4:5], v10 offset0:2 offset1:3
	ds_read2_b32 v[6:7], v10 offset0:4 offset1:5
	;; [unrolled: 1-line block ×3, first 2 shown]
	s_waitcnt lgkmcnt(3)
	v_add_f32_e32 v2, 0, v2
	v_add_f32_e32 v2, v2, v3
	s_waitcnt lgkmcnt(2)
	v_add_f32_e32 v2, v2, v4
	v_add_f32_e32 v4, v2, v5
	ds_read2_b32 v[2:3], v10 offset0:8 offset1:9
	s_waitcnt lgkmcnt(2)
	v_add_f32_e32 v4, v4, v6
	v_add_f32_e32 v6, v4, v7
	ds_read2_b32 v[4:5], v10 offset0:10 offset1:11
	;; [unrolled: 4-line block ×3, first 2 shown]
	ds_read2_b32 v[8:9], v10 offset0:14 offset1:15
	s_waitcnt lgkmcnt(3)
	v_add_f32_e32 v2, v11, v2
	v_add_f32_e32 v2, v2, v3
	s_waitcnt lgkmcnt(2)
	v_add_f32_e32 v2, v2, v4
	v_add_f32_e32 v4, v2, v5
	ds_read2_b32 v[2:3], v10 offset0:16 offset1:17
	s_waitcnt lgkmcnt(2)
	v_add_f32_e32 v4, v4, v6
	v_add_f32_e32 v6, v4, v7
	ds_read2_b32 v[4:5], v10 offset0:18 offset1:19
	;; [unrolled: 4-line block ×3, first 2 shown]
	ds_read2_b32 v[8:9], v10 offset0:22 offset1:23
	s_waitcnt lgkmcnt(3)
	v_add_f32_e32 v2, v11, v2
	v_add_f32_e32 v2, v2, v3
	s_waitcnt lgkmcnt(2)
	v_add_f32_e32 v2, v2, v4
	v_add_f32_e32 v2, v2, v5
	s_waitcnt lgkmcnt(1)
	v_add_f32_e32 v4, v2, v6
	ds_read2_b32 v[2:3], v10 offset0:24 offset1:25
	v_add_f32_e32 v4, v4, v7
	s_waitcnt lgkmcnt(1)
	v_add_f32_e32 v6, v4, v8
	ds_read2_b32 v[4:5], v10 offset0:26 offset1:27
	v_add_f32_e32 v11, v6, v9
	ds_read2_b32 v[6:7], v10 offset0:28 offset1:29
	ds_read2_b32 v[8:9], v10 offset0:30 offset1:31
	s_waitcnt lgkmcnt(3)
	v_add_f32_e32 v2, v11, v2
	v_add_f32_e32 v2, v2, v3
	s_waitcnt lgkmcnt(2)
	v_add_f32_e32 v2, v2, v4
	v_add_f32_e32 v2, v2, v5
	;; [unrolled: 3-line block ×4, first 2 shown]
	ds_write_b32 v1, v2
.LBB323_33:
	s_or_b32 exec_lo, exec_lo, s4
	s_and_b32 s33, 0xffff, s1
	s_mov_b32 s1, exec_lo
	s_waitcnt lgkmcnt(0)
	s_barrier
	buffer_gl0_inv
	v_cmpx_eq_u32_e32 0, v0
	s_cbranch_execz .LBB323_46
; %bb.34:
	v_mov_b32_e32 v1, 0
	s_cmp_lt_u32 s33, 32
	s_cbranch_scc1 .LBB323_45
; %bb.35:
	s_add_i32 s4, s0, -1
	v_mov_b32_e32 v1, 0
	s_and_b32 s4, s4, 0xffff
	s_cmp_lt_u32 s4, 7
	s_cbranch_scc1 .LBB323_42
; %bb.36:
	s_and_b32 s4, s0, 0x7f8
	s_mov_b32 s5, 0
	s_mov_b32 s7, 0
	.p2align	6
.LBB323_37:                             ; =>This Inner Loop Header: Depth=1
	v_mov_b32_e32 v8, s7
	s_add_i32 s5, s5, 8
	s_add_i32 s7, s7, 32
	s_cmp_eq_u32 s4, s5
	ds_read2_b32 v[2:3], v8 offset1:1
	ds_read2_b32 v[4:5], v8 offset0:2 offset1:3
	ds_read2_b32 v[6:7], v8 offset0:4 offset1:5
	;; [unrolled: 1-line block ×3, first 2 shown]
	s_waitcnt lgkmcnt(3)
	v_add_f32_e32 v1, v1, v2
	v_add_f32_e32 v1, v1, v3
	s_waitcnt lgkmcnt(2)
	v_add_f32_e32 v1, v1, v4
	v_add_f32_e32 v1, v1, v5
	;; [unrolled: 3-line block ×4, first 2 shown]
	s_cbranch_scc0 .LBB323_37
; %bb.38:
	s_and_b32 s0, s0, 7
	s_cmp_eq_u32 s0, 0
	s_cbranch_scc0 .LBB323_43
	s_branch .LBB323_45
.LBB323_39:
                                        ; implicit-def: $sgpr22_sgpr23
                                        ; implicit-def: $sgpr20_sgpr21
                                        ; implicit-def: $vgpr6
	s_cbranch_execnz .LBB323_5
	s_branch .LBB323_6
.LBB323_40:
                                        ; implicit-def: $sgpr24_sgpr25
	s_branch .LBB323_8
.LBB323_41:
                                        ; implicit-def: $sgpr0_sgpr1
                                        ; implicit-def: $sgpr7
                                        ; implicit-def: $vgpr6
	s_cbranch_execnz .LBB323_21
	s_branch .LBB323_22
.LBB323_42:
	s_mov_b32 s4, 0
	s_and_b32 s0, s0, 7
	s_cmp_eq_u32 s0, 0
	s_cbranch_scc1 .LBB323_45
.LBB323_43:
	s_lshl_b32 s4, s4, 2
	s_add_i32 s4, s4, 0
.LBB323_44:                             ; =>This Inner Loop Header: Depth=1
	v_mov_b32_e32 v2, s4
	s_add_i32 s0, s0, -1
	s_add_i32 s4, s4, 4
	s_cmp_lg_u32 s0, 0
	ds_read_b32 v2, v2
	s_waitcnt lgkmcnt(0)
	v_add_f32_e32 v1, v1, v2
	s_cbranch_scc1 .LBB323_44
.LBB323_45:
	v_mov_b32_e32 v2, 0
	ds_write_b32 v2, v1
.LBB323_46:
	s_or_b32 exec_lo, exec_lo, s1
	v_mov_b32_e32 v1, 0
	s_waitcnt lgkmcnt(0)
	s_barrier
	buffer_gl0_inv
	s_add_u32 s20, s8, s2
	ds_read_b32 v20, v1
	s_addc_u32 s21, s9, s3
	s_add_u32 s22, s10, s2
	s_addc_u32 s23, s11, s3
	s_lshr_b64 s[0:1], s[20:21], 1
	s_mov_b32 s27, 0
	s_and_b32 s26, s0, 7
	s_bfe_u32 s0, s22, 0x30001
	s_mov_b32 s1, s27
	s_cmp_eq_u64 s[26:27], s[0:1]
	s_cselect_b32 s0, -1, 0
	s_cmp_eq_u64 s[26:27], s[28:29]
	s_cselect_b32 s1, -1, 0
	s_and_b32 s0, s0, s1
	s_andn2_b32 vcc_lo, exec_lo, s0
	s_mov_b32 s0, -1
	s_cbranch_vccz .LBB323_65
; %bb.47:
	s_and_b32 vcc_lo, exec_lo, s30
	s_cbranch_vccz .LBB323_56
; %bb.48:
	s_lshl_b32 s7, s33, 3
	s_mov_b32 s34, 0
	v_cvt_f32_u32_e32 v1, s7
	s_sub_i32 s1, 0, s7
	s_mov_b32 s31, exec_lo
	v_rcp_iflag_f32_e32 v1, v1
	v_mul_f32_e32 v1, 0x4f7ffffe, v1
	v_cvt_u32_f32_e32 v1, v1
	v_readfirstlane_b32 s0, v1
	v_mov_b32_e32 v1, 0
	s_mul_i32 s1, s1, s0
	v_mov_b32_e32 v3, v1
	s_mul_hi_u32 s1, s0, s1
	v_mov_b32_e32 v2, v0
	s_add_i32 s0, s0, s1
	s_mul_hi_u32 s0, s14, s0
	s_mul_i32 s0, s0, s7
	s_sub_i32 s0, s14, s0
	s_sub_i32 s1, s0, s7
	s_cmp_ge_u32 s0, s7
	s_cselect_b32 s0, s1, s0
	s_sub_i32 s1, s0, s7
	s_cmp_ge_u32 s0, s7
	s_cselect_b32 s0, s1, s0
	s_bfe_i64 s[4:5], s[14:15], 0x200000
	s_sub_u32 s28, s4, s0
	s_subb_u32 s29, s5, 0
	v_cmpx_gt_i64_e64 s[28:29], v[0:1]
	s_cbranch_execz .LBB323_52
; %bb.49:
	v_lshlrev_b64 v[2:3], 1, v[0:1]
	s_lshl_b32 s35, s33, 1
	s_lshl_b32 s36, s33, 4
	v_add_co_u32 v6, vcc_lo, s2, v2
	v_add_co_ci_u32_e64 v7, null, s3, v3, vcc_lo
	v_mov_b32_e32 v3, v1
	v_mov_b32_e32 v2, v0
.LBB323_50:                             ; =>This Inner Loop Header: Depth=1
	v_add_co_u32 v4, vcc_lo, s10, v6
	v_add_co_ci_u32_e64 v5, null, s11, v7, vcc_lo
	v_add_co_u32 v8, vcc_lo, s12, v6
	v_add_co_ci_u32_e64 v9, null, s13, v7, vcc_lo
	;; [unrolled: 2-line block ×4, first 2 shown]
	global_load_ushort v1, v[4:5], off
	global_load_ushort v12, v[8:9], off
	v_add_co_u32 v4, vcc_lo, v10, s35
	v_add_co_ci_u32_e64 v5, null, 0, v11, vcc_lo
	v_add_co_u32 v8, vcc_lo, v13, s35
	v_add_co_ci_u32_e64 v9, null, 0, v14, vcc_lo
	global_load_ushort v19, v[10:11], off
	global_load_ushort v35, v[13:14], off
	v_add_co_u32 v10, vcc_lo, v4, s35
	v_add_co_ci_u32_e64 v11, null, 0, v5, vcc_lo
	v_add_co_u32 v13, vcc_lo, v8, s35
	v_add_co_ci_u32_e64 v14, null, 0, v9, vcc_lo
	;; [unrolled: 6-line block ×3, first 2 shown]
	global_load_ushort v17, v[10:11], off
	global_load_ushort v18, v[13:14], off
	v_add_co_u32 v10, vcc_lo, v4, s35
	v_add_co_ci_u32_e64 v11, null, 0, v5, vcc_lo
	global_load_ushort v15, v[4:5], off
	global_load_ushort v16, v[8:9], off
	v_add_co_u32 v4, vcc_lo, v8, s35
	v_add_co_ci_u32_e64 v5, null, 0, v9, vcc_lo
	v_add_co_u32 v8, vcc_lo, v10, s35
	v_add_co_ci_u32_e64 v9, null, 0, v11, vcc_lo
	global_load_ushort v13, v[10:11], off
	global_load_ushort v14, v[4:5], off
	v_add_co_u32 v4, vcc_lo, v4, s35
	v_add_co_ci_u32_e64 v5, null, 0, v5, vcc_lo
	global_load_ushort v10, v[8:9], off
	global_load_ushort v11, v[4:5], off
	v_add_co_u32 v8, vcc_lo, v8, s35
	v_add_co_ci_u32_e64 v9, null, 0, v9, vcc_lo
	v_add_co_u32 v4, vcc_lo, v4, s35
	v_add_co_ci_u32_e64 v5, null, 0, v5, vcc_lo
	global_load_ushort v8, v[8:9], off
	global_load_ushort v9, v[4:5], off
	v_add_co_u32 v4, vcc_lo, s8, v6
	v_add_co_ci_u32_e64 v5, null, s9, v7, vcc_lo
	v_add_co_u32 v2, vcc_lo, v2, s7
	v_add_co_ci_u32_e64 v3, null, 0, v3, vcc_lo
	;; [unrolled: 2-line block ×4, first 2 shown]
	v_cmp_le_i64_e32 vcc_lo, s[28:29], v[2:3]
	v_add_co_u32 v23, s0, v21, s35
	v_add_co_ci_u32_e64 v24, null, 0, v22, s0
	s_or_b32 s34, vcc_lo, s34
	v_add_co_u32 v25, vcc_lo, v23, s35
	v_add_co_ci_u32_e64 v26, null, 0, v24, vcc_lo
	v_add_co_u32 v27, vcc_lo, v25, s35
	v_add_co_ci_u32_e64 v28, null, 0, v26, vcc_lo
	;; [unrolled: 2-line block ×5, first 2 shown]
	s_waitcnt vmcnt(15)
	v_lshlrev_b32_e32 v1, 16, v1
	s_waitcnt vmcnt(14)
	v_lshlrev_b32_e32 v12, 16, v12
	v_mul_f32_e32 v38, 0x3fb8aa3b, v1
	v_cmp_ngt_f32_e32 vcc_lo, 0xc2ce8ed0, v1
	v_cmp_nlt_f32_e64 s0, 0x42b17218, v1
	s_waitcnt vmcnt(13)
	v_lshlrev_b32_e32 v19, 16, v19
	v_fma_f32 v39, 0x3fb8aa3b, v1, -v38
	v_rndne_f32_e32 v40, v38
	s_waitcnt vmcnt(12)
	v_lshlrev_b32_e32 v35, 16, v35
	v_mul_f32_e32 v41, 0x3fb8aa3b, v19
	v_fmac_f32_e32 v39, 0x32a5705f, v1
	v_sub_f32_e32 v38, v38, v40
	v_cvt_i32_f32_e32 v40, v40
	s_waitcnt vmcnt(11)
	v_lshlrev_b32_e32 v36, 16, v36
	v_fma_f32 v42, 0x3fb8aa3b, v19, -v41
	v_rndne_f32_e32 v43, v41
	v_add_f32_e32 v38, v38, v39
	s_waitcnt vmcnt(10)
	v_lshlrev_b32_e32 v37, 16, v37
	v_mul_f32_e32 v44, 0x3fb8aa3b, v36
	v_fmac_f32_e32 v42, 0x32a5705f, v19
	v_sub_f32_e32 v39, v41, v43
	v_cvt_i32_f32_e32 v41, v43
	s_waitcnt vmcnt(9)
	v_lshlrev_b32_e32 v17, 16, v17
	v_fma_f32 v43, 0x3fb8aa3b, v36, -v44
	v_rndne_f32_e32 v45, v44
	v_exp_f32_e32 v38, v38
	v_add_f32_e32 v39, v39, v42
	v_mul_f32_e32 v46, 0x3fb8aa3b, v17
	s_waitcnt vmcnt(7)
	v_lshlrev_b32_e32 v15, 16, v15
	v_fmac_f32_e32 v43, 0x32a5705f, v36
	v_sub_f32_e32 v42, v44, v45
	v_cvt_i32_f32_e32 v44, v45
	v_fma_f32 v45, 0x3fb8aa3b, v17, -v46
	v_rndne_f32_e32 v47, v46
	v_mul_f32_e32 v48, 0x3fb8aa3b, v15
	v_exp_f32_e32 v39, v39
	s_waitcnt vmcnt(5)
	v_lshlrev_b32_e32 v13, 16, v13
	v_add_f32_e32 v42, v42, v43
	v_fmac_f32_e32 v45, 0x32a5705f, v17
	v_sub_f32_e32 v43, v46, v47
	v_cvt_i32_f32_e32 v46, v47
	v_fma_f32 v47, 0x3fb8aa3b, v15, -v48
	v_rndne_f32_e32 v49, v48
	v_mul_f32_e32 v50, 0x3fb8aa3b, v13
	s_waitcnt vmcnt(3)
	v_lshlrev_b32_e32 v10, 16, v10
	v_ldexp_f32 v38, v38, v40
	v_exp_f32_e32 v40, v42
	v_add_f32_e32 v42, v43, v45
	v_fmac_f32_e32 v47, 0x32a5705f, v15
	v_sub_f32_e32 v43, v48, v49
	v_cvt_i32_f32_e32 v45, v49
	v_fma_f32 v48, 0x3fb8aa3b, v13, -v50
	v_rndne_f32_e32 v49, v50
	v_mul_f32_e32 v51, 0x3fb8aa3b, v10
	s_waitcnt vmcnt(1)
	v_lshlrev_b32_e32 v8, 16, v8
	v_cndmask_b32_e32 v38, 0, v38, vcc_lo
	v_ldexp_f32 v39, v39, v41
	v_cmp_ngt_f32_e32 vcc_lo, 0xc2ce8ed0, v19
	v_exp_f32_e32 v41, v42
	v_add_f32_e32 v42, v43, v47
	v_fmac_f32_e32 v48, 0x32a5705f, v13
	v_sub_f32_e32 v43, v50, v49
	v_cvt_i32_f32_e32 v47, v49
	v_fma_f32 v49, 0x3fb8aa3b, v10, -v51
	v_rndne_f32_e32 v50, v51
	v_mul_f32_e32 v52, 0x3fb8aa3b, v8
	v_cndmask_b32_e64 v1, 0x7f800000, v38, s0
	v_cndmask_b32_e32 v38, 0, v39, vcc_lo
	v_cmp_nlt_f32_e32 vcc_lo, 0x42b17218, v19
	v_ldexp_f32 v19, v40, v44
	v_cmp_ngt_f32_e64 s0, 0xc2ce8ed0, v36
	v_exp_f32_e32 v39, v42
	v_add_f32_e32 v40, v43, v48
	v_fmac_f32_e32 v49, 0x32a5705f, v10
	v_sub_f32_e32 v42, v51, v50
	v_fma_f32 v44, 0x3fb8aa3b, v8, -v52
	v_rndne_f32_e32 v48, v52
	s_waitcnt lgkmcnt(0)
	v_fma_f32 v1, -v20, v1, v12
	v_cndmask_b32_e32 v12, 0x7f800000, v38, vcc_lo
	v_cndmask_b32_e64 v19, 0, v19, s0
	v_cmp_nlt_f32_e32 vcc_lo, 0x42b17218, v36
	v_ldexp_f32 v36, v41, v46
	v_cmp_ngt_f32_e64 s0, 0xc2ce8ed0, v17
	v_exp_f32_e32 v38, v40
	v_add_f32_e32 v40, v42, v49
	v_fmac_f32_e32 v44, 0x32a5705f, v8
	v_sub_f32_e32 v41, v52, v48
	v_bfe_u32 v46, v1, 16, 1
	v_fma_f32 v12, -v20, v12, v35
	v_cndmask_b32_e32 v19, 0x7f800000, v19, vcc_lo
	v_cndmask_b32_e64 v35, 0, v36, s0
	v_cmp_nlt_f32_e32 vcc_lo, 0x42b17218, v17
	v_ldexp_f32 v17, v39, v45
	v_cmp_ngt_f32_e64 s0, 0xc2ce8ed0, v15
	v_exp_f32_e32 v36, v40
	v_add_f32_e32 v39, v41, v44
	v_lshlrev_b32_e32 v18, 16, v18
	v_cvt_i32_f32_e32 v43, v50
	v_add3_u32 v40, v1, v46, 0x7fff
	v_bfe_u32 v41, v12, 16, 1
	v_fma_f32 v19, -v20, v19, v37
	v_cndmask_b32_e32 v35, 0x7f800000, v35, vcc_lo
	v_cndmask_b32_e64 v17, 0, v17, s0
	v_cmp_nlt_f32_e32 vcc_lo, 0x42b17218, v15
	v_ldexp_f32 v15, v38, v47
	v_cmp_ngt_f32_e64 s0, 0xc2ce8ed0, v13
	v_exp_f32_e32 v37, v39
	v_lshlrev_b32_e32 v16, 16, v16
	v_cvt_i32_f32_e32 v42, v48
	v_lshrrev_b32_e32 v38, 16, v40
	v_add3_u32 v39, v12, v41, 0x7fff
	v_bfe_u32 v40, v19, 16, 1
	v_fma_f32 v18, -v20, v35, v18
	v_cndmask_b32_e32 v17, 0x7f800000, v17, vcc_lo
	v_cndmask_b32_e64 v15, 0, v15, s0
	v_cmp_nlt_f32_e32 vcc_lo, 0x42b17218, v13
	v_ldexp_f32 v13, v36, v43
	v_cmp_ngt_f32_e64 s0, 0xc2ce8ed0, v10
	v_cmp_o_f32_e64 s1, v1, v1
	v_lshlrev_b32_e32 v14, 16, v14
	v_lshrrev_b32_e32 v35, 16, v39
	v_bfe_u32 v36, v18, 16, 1
	v_fma_f32 v16, -v20, v17, v16
	v_cndmask_b32_e64 v1, 0x7fc0, v38, s1
	v_cmp_o_f32_e64 s1, v12, v12
	v_add3_u32 v12, v19, v40, 0x7fff
	v_cndmask_b32_e32 v15, 0x7f800000, v15, vcc_lo
	v_cndmask_b32_e64 v13, 0, v13, s0
	v_cmp_nlt_f32_e32 vcc_lo, 0x42b17218, v10
	v_ldexp_f32 v10, v37, v42
	v_cmp_ngt_f32_e64 s0, 0xc2ce8ed0, v8
	v_lshlrev_b32_e32 v11, 16, v11
	global_store_short v[4:5], v1, off
	v_cndmask_b32_e64 v1, 0x7fc0, v35, s1
	v_lshrrev_b32_e32 v4, 16, v12
	v_cmp_o_f32_e64 s1, v19, v19
	v_add3_u32 v5, v18, v36, 0x7fff
	v_bfe_u32 v12, v16, 16, 1
	v_fma_f32 v14, -v20, v15, v14
	v_cndmask_b32_e32 v13, 0x7f800000, v13, vcc_lo
	v_cndmask_b32_e64 v10, 0, v10, s0
	v_cmp_nlt_f32_e32 vcc_lo, 0x42b17218, v8
	s_waitcnt vmcnt(0)
	v_lshlrev_b32_e32 v9, 16, v9
	global_store_short v[21:22], v1, off
	v_cndmask_b32_e64 v1, 0x7fc0, v4, s1
	v_lshrrev_b32_e32 v4, 16, v5
	v_cndmask_b32_e32 v5, 0x7f800000, v10, vcc_lo
	v_cmp_o_f32_e32 vcc_lo, v18, v18
	v_add3_u32 v8, v16, v12, 0x7fff
	v_fma_f32 v10, -v20, v13, v11
	v_bfe_u32 v11, v14, 16, 1
	v_fma_f32 v5, -v20, v5, v9
	global_store_short v[23:24], v1, off
	v_cndmask_b32_e32 v1, 0x7fc0, v4, vcc_lo
	v_bfe_u32 v4, v10, 16, 1
	v_lshrrev_b32_e32 v8, 16, v8
	v_add3_u32 v11, v14, v11, 0x7fff
	v_cmp_o_f32_e32 vcc_lo, v16, v16
	v_bfe_u32 v9, v5, 16, 1
	v_add3_u32 v4, v10, v4, 0x7fff
	v_lshrrev_b32_e32 v11, 16, v11
	v_cndmask_b32_e32 v8, 0x7fc0, v8, vcc_lo
	v_cmp_o_f32_e32 vcc_lo, v14, v14
	v_add3_u32 v9, v5, v9, 0x7fff
	v_lshrrev_b32_e32 v4, 16, v4
	v_cndmask_b32_e32 v11, 0x7fc0, v11, vcc_lo
	v_cmp_o_f32_e32 vcc_lo, v10, v10
	v_lshrrev_b32_e32 v9, 16, v9
	v_cndmask_b32_e32 v4, 0x7fc0, v4, vcc_lo
	v_cmp_o_f32_e32 vcc_lo, v5, v5
	v_cndmask_b32_e32 v5, 0x7fc0, v9, vcc_lo
	global_store_short v[25:26], v1, off
	global_store_short v[27:28], v8, off
	;; [unrolled: 1-line block ×5, first 2 shown]
	s_andn2_b32 exec_lo, exec_lo, s34
	s_cbranch_execnz .LBB323_50
; %bb.51:
	s_or_b32 exec_lo, exec_lo, s34
.LBB323_52:
	s_or_b32 exec_lo, exec_lo, s31
	s_mov_b32 s7, exec_lo
	v_cmpx_gt_i64_e64 s[4:5], v[2:3]
	s_cbranch_execz .LBB323_55
; %bb.53:
	v_lshlrev_b64 v[4:5], 1, v[2:3]
	v_add_co_u32 v1, vcc_lo, s2, v4
	v_add_co_ci_u32_e64 v4, null, s3, v5, vcc_lo
	s_mov_b32 s2, 0
	s_lshl_b32 s3, s33, 1
.LBB323_54:                             ; =>This Inner Loop Header: Depth=1
	v_add_co_u32 v5, vcc_lo, s10, v1
	v_add_co_ci_u32_e64 v6, null, s11, v4, vcc_lo
	global_load_ushort v7, v[5:6], off
	v_add_co_u32 v5, vcc_lo, s12, v1
	v_add_co_ci_u32_e64 v6, null, s13, v4, vcc_lo
	global_load_ushort v5, v[5:6], off
	s_waitcnt vmcnt(1)
	v_lshlrev_b32_e32 v6, 16, v7
	v_mul_f32_e32 v7, 0x3fb8aa3b, v6
	v_cmp_ngt_f32_e32 vcc_lo, 0xc2ce8ed0, v6
	s_waitcnt vmcnt(0)
	v_lshlrev_b32_e32 v5, 16, v5
	v_fma_f32 v8, 0x3fb8aa3b, v6, -v7
	v_rndne_f32_e32 v9, v7
	v_fmac_f32_e32 v8, 0x32a5705f, v6
	v_sub_f32_e32 v7, v7, v9
	v_add_f32_e32 v7, v7, v8
	v_cvt_i32_f32_e32 v8, v9
	v_exp_f32_e32 v7, v7
	v_ldexp_f32 v7, v7, v8
	v_cndmask_b32_e32 v7, 0, v7, vcc_lo
	v_cmp_nlt_f32_e32 vcc_lo, 0x42b17218, v6
	v_cndmask_b32_e32 v6, 0x7f800000, v7, vcc_lo
	v_add_co_u32 v2, vcc_lo, v2, s33
	v_add_co_ci_u32_e64 v3, null, 0, v3, vcc_lo
	s_waitcnt lgkmcnt(0)
	v_fma_f32 v7, -v20, v6, v5
	v_cmp_le_i64_e64 s0, s[4:5], v[2:3]
	v_bfe_u32 v5, v7, 16, 1
	v_cmp_o_f32_e64 s1, v7, v7
	s_or_b32 s2, s0, s2
	v_add3_u32 v8, v7, v5, 0x7fff
	v_add_co_u32 v5, vcc_lo, s8, v1
	v_add_co_ci_u32_e64 v6, null, s9, v4, vcc_lo
	v_lshrrev_b32_e32 v8, 16, v8
	v_add_co_u32 v1, vcc_lo, v1, s3
	v_add_co_ci_u32_e64 v4, null, 0, v4, vcc_lo
	v_cndmask_b32_e64 v7, 0x7fc0, v8, s1
	global_store_short v[5:6], v7, off
	s_andn2_b32 exec_lo, exec_lo, s2
	s_cbranch_execnz .LBB323_54
.LBB323_55:
	s_or_b32 exec_lo, exec_lo, s7
	s_mov_b32 s0, 0
.LBB323_56:
	s_and_b32 vcc_lo, exec_lo, s0
	s_cbranch_vccz .LBB323_91
; %bb.57:
	s_lshl_b32 s0, s33, 3
	s_mov_b32 s10, 0
	v_cvt_f32_u32_e32 v1, s0
	s_sub_i32 s2, 0, s0
	s_mov_b32 s8, exec_lo
	v_rcp_iflag_f32_e32 v1, v1
	v_mul_f32_e32 v1, 0x4f7ffffe, v1
	v_cvt_u32_f32_e32 v1, v1
	v_readfirstlane_b32 s1, v1
	v_mov_b32_e32 v1, v0
	s_mul_i32 s2, s2, s1
	s_mul_hi_u32 s2, s1, s2
	s_add_i32 s1, s1, s2
	s_mul_hi_u32 s1, s14, s1
	s_mul_i32 s1, s1, s0
	s_sub_i32 s1, s14, s1
	s_sub_i32 s2, s1, s0
	s_cmp_ge_u32 s1, s0
	s_cselect_b32 s1, s2, s1
	s_sub_i32 s2, s1, s0
	s_cmp_ge_u32 s1, s0
	s_cselect_b32 s0, s2, s1
	s_sub_i32 s9, s14, s0
	v_cmpx_gt_i32_e64 s9, v0
	s_cbranch_execz .LBB323_61
; %bb.58:
	s_add_i32 s31, s33, s33
	v_mov_b32_e32 v2, 0
	v_mov_b32_e32 v21, 0x7fc0
	;; [unrolled: 1-line block ×3, first 2 shown]
	s_add_i32 s0, s31, s33
	s_lshl_b32 s11, s33, 1
	s_mul_i32 s12, s33, 3
	s_lshl_b32 s13, s33, 2
	s_mul_i32 s28, s33, 5
	s_mul_i32 s29, s33, 6
	;; [unrolled: 1-line block ×3, first 2 shown]
	s_add_i32 s35, s31, s0
.LBB323_59:                             ; =>This Inner Loop Header: Depth=1
	v_add_nc_u32_e32 v5, s33, v1
	v_mov_b32_e32 v6, v2
	v_lshlrev_b64 v[3:4], 1, v[1:2]
	v_add_nc_u32_e32 v7, s11, v1
	v_mov_b32_e32 v8, v2
	v_add_nc_u32_e32 v9, s12, v1
	v_mov_b32_e32 v10, v2
	;; [unrolled: 2-line block ×4, first 2 shown]
	v_lshlrev_b64 v[18:19], 1, v[5:6]
	v_lshlrev_b64 v[16:17], 1, v[7:8]
	;; [unrolled: 1-line block ×4, first 2 shown]
	v_add_co_u32 v22, vcc_lo, s22, v3
	v_lshlrev_b64 v[6:7], 1, v[24:25]
	v_add_co_ci_u32_e64 v23, null, s23, v4, vcc_lo
	v_add_co_u32 v24, vcc_lo, s16, v3
	v_add_co_ci_u32_e64 v25, null, s17, v4, vcc_lo
	v_add_co_u32 v26, vcc_lo, s22, v18
	v_add_nc_u32_e32 v11, s13, v1
	v_mov_b32_e32 v12, v2
	v_add_co_ci_u32_e64 v27, null, s23, v19, vcc_lo
	v_add_co_u32 v28, vcc_lo, s16, v18
	v_add_co_ci_u32_e64 v29, null, s17, v19, vcc_lo
	v_add_co_u32 v30, vcc_lo, s22, v16
	v_lshlrev_b64 v[12:13], 1, v[11:12]
	v_add_co_ci_u32_e64 v31, null, s23, v17, vcc_lo
	v_add_co_u32 v32, vcc_lo, s16, v16
	v_add_co_ci_u32_e64 v33, null, s17, v17, vcc_lo
	v_add_co_u32 v34, vcc_lo, s22, v14
	;; [unrolled: 2-line block ×4, first 2 shown]
	v_add_nc_u32_e32 v1, s34, v1
	v_add_co_ci_u32_e64 v39, null, s23, v13, vcc_lo
	v_add_co_u32 v40, vcc_lo, s16, v12
	v_add_co_ci_u32_e64 v41, null, s17, v13, vcc_lo
	v_add_co_u32 v42, vcc_lo, s22, v8
	v_lshlrev_b64 v[10:11], 1, v[1:2]
	v_add_co_ci_u32_e64 v43, null, s23, v9, vcc_lo
	v_add_co_u32 v44, vcc_lo, s16, v8
	global_load_ushort v52, v[22:23], off
	global_load_ushort v24, v[24:25], off
	v_add_co_ci_u32_e64 v45, null, s17, v9, vcc_lo
	v_add_co_u32 v46, vcc_lo, s22, v6
	v_add_co_ci_u32_e64 v47, null, s23, v7, vcc_lo
	v_add_co_u32 v48, vcc_lo, s16, v6
	;; [unrolled: 2-line block ×4, first 2 shown]
	v_add_co_ci_u32_e64 v23, null, s17, v11, vcc_lo
	global_load_ushort v25, v[26:27], off
	global_load_ushort v26, v[28:29], off
	;; [unrolled: 1-line block ×14, first 2 shown]
	v_add_co_u32 v18, s0, s20, v18
	v_add_co_ci_u32_e64 v19, null, s21, v19, s0
	v_add_co_u32 v16, s0, s20, v16
	v_add_co_ci_u32_e64 v17, null, s21, v17, s0
	;; [unrolled: 2-line block ×4, first 2 shown]
	v_add_co_u32 v8, s0, s20, v8
	v_add3_u32 v1, s31, s35, v5
	v_add_co_ci_u32_e64 v9, null, s21, v9, s0
	v_add_co_u32 v5, s0, s20, v6
	v_add_co_ci_u32_e64 v6, null, s21, v7, s0
	v_add_co_u32 v3, vcc_lo, s20, v3
	v_add_co_ci_u32_e64 v4, null, s21, v4, vcc_lo
	v_cmp_le_i32_e32 vcc_lo, s9, v1
	v_add_co_u32 v10, s0, s20, v10
	v_add_co_ci_u32_e64 v11, null, s21, v11, s0
	s_or_b32 s10, vcc_lo, s10
	s_waitcnt vmcnt(15)
	v_lshlrev_b32_e32 v7, 16, v52
	s_waitcnt vmcnt(14)
	v_lshlrev_b32_e32 v23, 16, v24
	v_mul_f32_e32 v24, 0x3fb8aa3b, v7
	v_cmp_ngt_f32_e32 vcc_lo, 0xc2ce8ed0, v7
	s_waitcnt vmcnt(13)
	v_lshlrev_b32_e32 v25, 16, v25
	v_cmp_nlt_f32_e64 s7, 0x42b17218, v7
	s_waitcnt vmcnt(11)
	v_lshlrev_b32_e32 v27, 16, v27
	v_fma_f32 v38, 0x3fb8aa3b, v7, -v24
	s_waitcnt vmcnt(9)
	v_lshlrev_b32_e32 v29, 16, v29
	v_rndne_f32_e32 v39, v24
	s_waitcnt vmcnt(7)
	v_lshlrev_b32_e32 v31, 16, v31
	v_mul_f32_e32 v40, 0x3fb8aa3b, v25
	s_waitcnt vmcnt(5)
	v_lshlrev_b32_e32 v33, 16, v33
	v_mul_f32_e32 v41, 0x3fb8aa3b, v27
	;; [unrolled: 3-line block ×4, first 2 shown]
	v_mul_f32_e32 v44, 0x3fb8aa3b, v33
	v_mul_f32_e32 v45, 0x3fb8aa3b, v35
	v_fmac_f32_e32 v38, 0x32a5705f, v7
	v_mul_f32_e32 v46, 0x3fb8aa3b, v37
	v_sub_f32_e32 v24, v24, v39
	v_fma_f32 v47, 0x3fb8aa3b, v25, -v40
	v_rndne_f32_e32 v48, v40
	v_fma_f32 v49, 0x3fb8aa3b, v27, -v41
	v_rndne_f32_e32 v50, v41
	;; [unrolled: 2-line block ×7, first 2 shown]
	v_add_f32_e32 v24, v24, v38
	v_fmac_f32_e32 v47, 0x32a5705f, v25
	v_sub_f32_e32 v38, v40, v48
	v_fmac_f32_e32 v49, 0x32a5705f, v27
	v_sub_f32_e32 v41, v41, v50
	v_fmac_f32_e32 v51, 0x32a5705f, v29
	v_sub_f32_e32 v42, v42, v52
	v_fmac_f32_e32 v53, 0x32a5705f, v31
	v_sub_f32_e32 v43, v43, v54
	v_fmac_f32_e32 v55, 0x32a5705f, v33
	v_sub_f32_e32 v44, v44, v56
	v_fmac_f32_e32 v57, 0x32a5705f, v35
	v_sub_f32_e32 v45, v45, v58
	v_fmac_f32_e32 v59, 0x32a5705f, v37
	v_sub_f32_e32 v46, v46, v60
	v_exp_f32_e32 v24, v24
	v_add_f32_e32 v38, v38, v47
	v_add_f32_e32 v41, v41, v49
	;; [unrolled: 1-line block ×5, first 2 shown]
	v_cvt_i32_f32_e32 v39, v39
	v_add_f32_e32 v45, v45, v57
	v_add_f32_e32 v46, v46, v59
	v_exp_f32_e32 v38, v38
	v_exp_f32_e32 v41, v41
	;; [unrolled: 1-line block ×5, first 2 shown]
	v_cvt_i32_f32_e32 v40, v48
	v_exp_f32_e32 v45, v45
	v_exp_f32_e32 v46, v46
	v_ldexp_f32 v24, v24, v39
	v_cvt_i32_f32_e32 v48, v50
	v_cvt_i32_f32_e32 v50, v52
	;; [unrolled: 1-line block ×6, first 2 shown]
	v_cndmask_b32_e32 v24, 0, v24, vcc_lo
	v_ldexp_f32 v38, v38, v40
	v_cmp_ngt_f32_e32 vcc_lo, 0xc2ce8ed0, v25
	v_ldexp_f32 v39, v41, v48
	v_cmp_ngt_f32_e64 s0, 0xc2ce8ed0, v27
	v_ldexp_f32 v40, v42, v50
	v_cmp_ngt_f32_e64 s1, 0xc2ce8ed0, v29
	v_ldexp_f32 v41, v43, v52
	v_cmp_ngt_f32_e64 s2, 0xc2ce8ed0, v31
	v_ldexp_f32 v42, v44, v54
	v_cmp_ngt_f32_e64 s3, 0xc2ce8ed0, v33
	v_ldexp_f32 v43, v45, v56
	v_cmp_ngt_f32_e64 s4, 0xc2ce8ed0, v35
	v_ldexp_f32 v44, v46, v58
	v_cmp_ngt_f32_e64 s5, 0xc2ce8ed0, v37
	v_cndmask_b32_e64 v7, 0x7f800000, v24, s7
	v_cndmask_b32_e32 v24, 0, v38, vcc_lo
	v_cmp_nlt_f32_e32 vcc_lo, 0x42b17218, v25
	v_cndmask_b32_e64 v25, 0, v39, s0
	v_cmp_nlt_f32_e64 s0, 0x42b17218, v27
	v_cndmask_b32_e64 v27, 0, v40, s1
	v_cmp_nlt_f32_e64 s1, 0x42b17218, v29
	;; [unrolled: 2-line block ×4, first 2 shown]
	v_lshlrev_b32_e32 v26, 16, v26
	v_cndmask_b32_e64 v33, 0, v43, s4
	v_cmp_nlt_f32_e64 s4, 0x42b17218, v35
	v_cndmask_b32_e64 v35, 0, v44, s5
	v_cmp_nlt_f32_e64 s5, 0x42b17218, v37
	s_waitcnt lgkmcnt(0)
	v_fma_f32 v7, -v20, v7, v23
	v_cndmask_b32_e32 v23, 0x7f800000, v24, vcc_lo
	v_lshlrev_b32_e32 v28, 16, v28
	v_cndmask_b32_e64 v24, 0x7f800000, v25, s0
	v_lshlrev_b32_e32 v30, 16, v30
	v_cndmask_b32_e64 v25, 0x7f800000, v27, s1
	;; [unrolled: 2-line block ×5, first 2 shown]
	v_cndmask_b32_e64 v33, 0x7f800000, v35, s5
	v_bfe_u32 v35, v7, 16, 1
	v_fma_f32 v23, -v20, v23, v26
	v_fma_f32 v24, -v20, v24, v28
	;; [unrolled: 1-line block ×3, first 2 shown]
	s_waitcnt vmcnt(0)
	v_lshlrev_b32_e32 v22, 16, v22
	v_fma_f32 v26, -v20, v27, v32
	v_fma_f32 v27, -v20, v29, v34
	;; [unrolled: 1-line block ×3, first 2 shown]
	v_add3_u32 v29, v7, v35, 0x7fff
	v_bfe_u32 v30, v23, 16, 1
	v_bfe_u32 v31, v24, 16, 1
	v_bfe_u32 v32, v25, 16, 1
	v_fma_f32 v22, -v20, v33, v22
	v_bfe_u32 v33, v26, 16, 1
	v_bfe_u32 v34, v27, 16, 1
	;; [unrolled: 1-line block ×3, first 2 shown]
	v_lshrrev_b32_e32 v29, 16, v29
	v_add3_u32 v30, v23, v30, 0x7fff
	v_cmp_o_f32_e64 s0, v7, v7
	v_add3_u32 v31, v24, v31, 0x7fff
	v_add3_u32 v32, v25, v32, 0x7fff
	v_add3_u32 v33, v26, v33, 0x7fff
	v_add3_u32 v34, v27, v34, 0x7fff
	v_bfe_u32 v36, v22, 16, 1
	v_add3_u32 v35, v28, v35, 0x7fff
	v_cndmask_b32_e64 v7, 0x7fc0, v29, s0
	v_lshrrev_b32_e32 v29, 16, v30
	v_cmp_o_f32_e64 s0, v23, v23
	v_lshrrev_b32_e32 v23, 16, v31
	v_cmp_o_f32_e64 s1, v24, v24
	;; [unrolled: 2-line block ×5, first 2 shown]
	v_cmp_o_f32_e32 vcc_lo, v22, v22
	v_add3_u32 v22, v22, v36, 0x7fff
	v_lshrrev_b32_e32 v27, 16, v35
	v_cmp_o_f32_e64 s5, v28, v28
	global_store_short v[3:4], v7, off
	v_cndmask_b32_e64 v3, 0x7fc0, v29, s0
	v_cndmask_b32_e64 v4, 0x7fc0, v23, s1
	;; [unrolled: 1-line block ×5, first 2 shown]
	v_cndmask_b32_sdwa v22, v21, v22, vcc_lo dst_sel:DWORD dst_unused:UNUSED_PAD src0_sel:DWORD src1_sel:WORD_1
	v_cndmask_b32_e64 v25, 0x7fc0, v27, s5
	global_store_short v[18:19], v3, off
	global_store_short v[16:17], v4, off
	;; [unrolled: 1-line block ×7, first 2 shown]
	s_andn2_b32 exec_lo, exec_lo, s10
	s_cbranch_execnz .LBB323_59
; %bb.60:
	s_or_b32 exec_lo, exec_lo, s10
.LBB323_61:
	s_or_b32 exec_lo, exec_lo, s8
	s_mov_b32 s1, exec_lo
	v_cmpx_gt_i32_e64 s14, v1
	s_cbranch_execz .LBB323_64
; %bb.62:
	v_mov_b32_e32 v3, 0x7fc0
	s_mov_b32 s2, 0
.LBB323_63:                             ; =>This Inner Loop Header: Depth=1
	v_ashrrev_i32_e32 v2, 31, v1
	v_lshlrev_b64 v[4:5], 1, v[1:2]
	v_add_nc_u32_e32 v1, s33, v1
	v_cmp_le_i32_e64 s0, s14, v1
	v_add_co_u32 v6, vcc_lo, s22, v4
	v_add_co_ci_u32_e64 v7, null, s23, v5, vcc_lo
	s_or_b32 s2, s0, s2
	global_load_ushort v2, v[6:7], off
	v_add_co_u32 v6, vcc_lo, s16, v4
	v_add_co_ci_u32_e64 v7, null, s17, v5, vcc_lo
	global_load_ushort v6, v[6:7], off
	s_waitcnt vmcnt(1)
	v_lshlrev_b32_e32 v2, 16, v2
	v_mul_f32_e32 v7, 0x3fb8aa3b, v2
	v_cmp_ngt_f32_e32 vcc_lo, 0xc2ce8ed0, v2
	s_waitcnt vmcnt(0)
	v_lshlrev_b32_e32 v6, 16, v6
	v_fma_f32 v8, 0x3fb8aa3b, v2, -v7
	v_rndne_f32_e32 v9, v7
	v_fmac_f32_e32 v8, 0x32a5705f, v2
	v_sub_f32_e32 v7, v7, v9
	v_add_f32_e32 v7, v7, v8
	v_cvt_i32_f32_e32 v8, v9
	v_exp_f32_e32 v7, v7
	v_ldexp_f32 v7, v7, v8
	v_cndmask_b32_e32 v7, 0, v7, vcc_lo
	v_cmp_nlt_f32_e32 vcc_lo, 0x42b17218, v2
	v_cndmask_b32_e32 v2, 0x7f800000, v7, vcc_lo
	s_waitcnt lgkmcnt(0)
	v_fma_f32 v2, -v20, v2, v6
	v_bfe_u32 v6, v2, 16, 1
	v_cmp_o_f32_e32 vcc_lo, v2, v2
	v_add3_u32 v2, v2, v6, 0x7fff
	v_cndmask_b32_sdwa v2, v3, v2, vcc_lo dst_sel:DWORD dst_unused:UNUSED_PAD src0_sel:DWORD src1_sel:WORD_1
	v_add_co_u32 v4, vcc_lo, s20, v4
	v_add_co_ci_u32_e64 v5, null, s21, v5, vcc_lo
	global_store_short v[4:5], v2, off
	s_andn2_b32 exec_lo, exec_lo, s2
	s_cbranch_execnz .LBB323_63
.LBB323_64:
	s_or_b32 exec_lo, exec_lo, s1
	s_mov_b32 s0, 0
.LBB323_65:
	s_andn2_b32 vcc_lo, exec_lo, s0
	s_cbranch_vccnz .LBB323_92
.LBB323_66:
	s_cmp_lg_u64 s[26:27], 0
	s_mov_b32 s1, -1
	s_cselect_b32 s38, -1, 0
	s_and_b32 vcc_lo, exec_lo, s30
	v_cndmask_b32_e64 v1, 0, 1, s38
	v_cmp_ne_u32_e64 s0, 1, v1
	s_cbranch_vccz .LBB323_80
; %bb.67:
	v_mov_b32_e32 v1, 0
	s_and_b32 vcc_lo, exec_lo, s0
	s_mov_b64 s[8:9], s[20:21]
	s_mov_b64 s[10:11], s[22:23]
	;; [unrolled: 1-line block ×3, first 2 shown]
	s_cbranch_vccnz .LBB323_71
; %bb.68:
	s_lshl_b32 s2, s26, 1
	s_mov_b32 s7, exec_lo
	s_sub_u32 s0, s20, s2
	s_subb_u32 s1, s21, 0
	s_sub_u32 s4, s22, s2
	s_subb_u32 s5, s23, 0
	;; [unrolled: 2-line block ×3, first 2 shown]
	v_cmpx_le_u64_e64 s[26:27], v[0:1]
	s_cbranch_execz .LBB323_70
; %bb.69:
	v_lshlrev_b64 v[2:3], 1, v[0:1]
	v_add_co_u32 v4, vcc_lo, s4, v2
	v_add_co_ci_u32_e64 v5, null, s5, v3, vcc_lo
	global_load_ushort v6, v[4:5], off
	v_add_co_u32 v4, vcc_lo, s2, v2
	v_add_co_ci_u32_e64 v5, null, s3, v3, vcc_lo
	global_load_ushort v4, v[4:5], off
	s_waitcnt vmcnt(1)
	v_lshlrev_b32_e32 v5, 16, v6
	v_mul_f32_e32 v6, 0x3fb8aa3b, v5
	v_cmp_ngt_f32_e32 vcc_lo, 0xc2ce8ed0, v5
	s_waitcnt vmcnt(0)
	v_lshlrev_b32_e32 v4, 16, v4
	v_fma_f32 v7, 0x3fb8aa3b, v5, -v6
	v_rndne_f32_e32 v8, v6
	v_fmamk_f32 v7, v5, 0x32a5705f, v7
	v_sub_f32_e32 v6, v6, v8
	v_add_f32_e32 v6, v6, v7
	v_cvt_i32_f32_e32 v7, v8
	v_exp_f32_e32 v6, v6
	v_ldexp_f32 v6, v6, v7
	v_cndmask_b32_e32 v6, 0, v6, vcc_lo
	v_cmp_nlt_f32_e32 vcc_lo, 0x42b17218, v5
	v_cndmask_b32_e32 v5, 0x7f800000, v6, vcc_lo
	v_mov_b32_e32 v6, 0x7fc0
	s_waitcnt lgkmcnt(0)
	v_fma_f32 v4, -v20, v5, v4
	v_bfe_u32 v5, v4, 16, 1
	v_cmp_o_f32_e32 vcc_lo, v4, v4
	v_add3_u32 v4, v4, v5, 0x7fff
	v_cndmask_b32_sdwa v4, v6, v4, vcc_lo dst_sel:DWORD dst_unused:UNUSED_PAD src0_sel:DWORD src1_sel:WORD_1
	v_add_co_u32 v2, vcc_lo, s0, v2
	v_add_co_ci_u32_e64 v3, null, s1, v3, vcc_lo
	global_store_short v[2:3], v4, off
.LBB323_70:
	s_or_b32 exec_lo, exec_lo, s7
	s_add_u32 s7, s26, s14
	s_addc_u32 s8, 0, s15
	s_sub_u32 s18, s7, s33
	s_subb_u32 s19, s8, 0
	s_lshl_b32 s7, s33, 1
	s_add_u32 s8, s0, s7
	s_addc_u32 s9, s1, 0
	s_add_u32 s10, s4, s7
	s_addc_u32 s11, s5, 0
	s_add_u32 s12, s2, s7
	s_addc_u32 s13, s3, 0
.LBB323_71:
	s_load_dword s0, s[24:25], 0x0
	v_mov_b32_e32 v2, 0
	s_waitcnt lgkmcnt(0)
	s_cmp_lt_u32 s6, s0
	s_cselect_b32 s0, 12, 18
	s_add_u32 s0, s24, s0
	s_addc_u32 s1, s25, 0
	global_load_ushort v2, v2, s[0:1]
	s_mov_b32 s0, 0
	s_waitcnt vmcnt(0)
	v_readfirstlane_b32 s1, v2
	s_and_b32 s15, s1, 0xffff
	s_mov_b32 s1, s19
	s_lshl_b32 s4, s15, 3
	s_cmp_lg_u64 s[0:1], 0
	s_cbranch_scc0 .LBB323_93
; %bb.72:
	v_cvt_f32_u32_e32 v2, s4
	s_sub_u32 s3, 0, s4
	s_subb_u32 s5, 0, 0
	v_fmamk_f32 v2, 0, 0x4f800000, v2
	v_rcp_f32_e32 v2, v2
	v_mul_f32_e32 v2, 0x5f7ffffc, v2
	v_mul_f32_e32 v3, 0x2f800000, v2
	v_trunc_f32_e32 v3, v3
	v_fmamk_f32 v2, v3, 0xcf800000, v2
	v_cvt_u32_f32_e32 v3, v3
	v_cvt_u32_f32_e32 v2, v2
	v_readfirstlane_b32 s1, v3
	v_readfirstlane_b32 s2, v2
	s_mul_i32 s7, s3, s1
	s_mul_hi_u32 s28, s3, s2
	s_mul_i32 s27, s5, s2
	s_add_i32 s7, s28, s7
	s_mul_i32 s29, s3, s2
	s_add_i32 s7, s7, s27
	s_mul_hi_u32 s28, s2, s29
	s_mul_i32 s31, s2, s7
	s_mul_hi_u32 s30, s1, s29
	s_mul_i32 s27, s1, s29
	s_mul_hi_u32 s29, s2, s7
	s_add_u32 s28, s28, s31
	s_addc_u32 s29, 0, s29
	s_mul_hi_u32 s34, s1, s7
	s_add_u32 s27, s28, s27
	s_mul_i32 s7, s1, s7
	s_addc_u32 s27, s29, s30
	s_addc_u32 s28, s34, 0
	s_add_u32 s7, s27, s7
	s_addc_u32 s27, 0, s28
	s_add_u32 s2, s2, s7
	s_cselect_b32 s7, -1, 0
	s_mul_hi_u32 s28, s3, s2
	s_cmp_lg_u32 s7, 0
	s_mul_i32 s7, s3, s2
	s_addc_u32 s1, s1, s27
	s_mul_i32 s5, s5, s2
	s_mul_i32 s3, s3, s1
	s_mul_hi_u32 s27, s2, s7
	s_add_i32 s3, s28, s3
	s_mul_hi_u32 s28, s1, s7
	s_add_i32 s3, s3, s5
	s_mul_i32 s5, s1, s7
	s_mul_i32 s30, s2, s3
	s_mul_hi_u32 s29, s2, s3
	s_add_u32 s27, s27, s30
	s_addc_u32 s29, 0, s29
	s_mul_hi_u32 s7, s1, s3
	s_add_u32 s5, s27, s5
	s_mul_i32 s3, s1, s3
	s_addc_u32 s5, s29, s28
	s_addc_u32 s7, s7, 0
	s_add_u32 s3, s5, s3
	s_addc_u32 s5, 0, s7
	s_add_u32 s2, s2, s3
	s_cselect_b32 s3, -1, 0
	s_mul_hi_u32 s7, s18, s2
	s_cmp_lg_u32 s3, 0
	s_mul_hi_u32 s3, s19, s2
	s_addc_u32 s1, s1, s5
	s_mul_i32 s2, s19, s2
	s_mul_i32 s27, s18, s1
	s_mul_hi_u32 s5, s18, s1
	s_add_u32 s7, s7, s27
	s_addc_u32 s5, 0, s5
	s_mul_hi_u32 s28, s19, s1
	s_add_u32 s2, s7, s2
	s_mul_i32 s1, s19, s1
	s_addc_u32 s2, s5, s3
	s_addc_u32 s3, s28, 0
	s_add_u32 s1, s2, s1
	s_addc_u32 s2, 0, s3
	s_mul_hi_u32 s3, s4, s1
	s_mul_i32 s2, s4, s2
	s_mul_i32 s1, s4, s1
	s_add_i32 s3, s3, s2
	s_sub_u32 s1, s18, s1
	s_cselect_b32 s2, -1, 0
	s_cmp_lg_u32 s2, 0
	s_subb_u32 s2, s19, s3
	s_sub_u32 s3, s1, s4
	s_cselect_b32 s5, -1, 0
	s_cmp_lg_u32 s5, 0
	s_subb_u32 s5, s2, 0
	;; [unrolled: 4-line block ×3, first 2 shown]
	s_cmp_ge_u32 s3, s4
	s_cselect_b32 s28, -1, 0
	s_cmp_eq_u32 s5, 0
	s_cselect_b32 s28, s28, -1
	s_cmp_lg_u32 s28, 0
	s_cselect_b32 s5, s27, s5
	s_cselect_b32 s7, s7, s3
	s_cmp_ge_u32 s1, s4
	s_cselect_b32 s3, -1, 0
	s_cmp_eq_u32 s2, 0
	s_cselect_b32 s3, s3, -1
	s_cmp_lg_u32 s3, 0
	s_cselect_b32 s3, s5, s2
	s_cselect_b32 s2, s7, s1
	s_andn2_b32 vcc_lo, exec_lo, s0
	s_cbranch_vccnz .LBB323_74
.LBB323_73:
	v_cvt_f32_u32_e32 v2, s4
	s_sub_i32 s1, 0, s4
	s_mov_b32 s3, 0
	v_rcp_iflag_f32_e32 v2, v2
	v_mul_f32_e32 v2, 0x4f7ffffe, v2
	v_cvt_u32_f32_e32 v2, v2
	v_readfirstlane_b32 s0, v2
	s_mul_i32 s1, s1, s0
	s_mul_hi_u32 s1, s0, s1
	s_add_i32 s0, s0, s1
	s_mul_hi_u32 s0, s18, s0
	s_mul_i32 s0, s0, s4
	s_sub_i32 s0, s18, s0
	s_sub_i32 s1, s0, s4
	s_cmp_ge_u32 s0, s4
	s_cselect_b32 s0, s1, s0
	s_sub_i32 s1, s0, s4
	s_cmp_ge_u32 s0, s4
	s_cselect_b32 s2, s1, s0
.LBB323_74:
	v_lshlrev_b64 v[2:3], 4, v[0:1]
	v_mov_b32_e32 v5, v1
	v_mov_b32_e32 v8, 1
	;; [unrolled: 1-line block ×3, first 2 shown]
	s_sub_u32 s28, s18, s2
	s_subb_u32 s29, s19, s3
	s_lshl_b32 s39, s15, 4
	s_mov_b32 s27, 0
	s_mov_b64 s[30:31], s[12:13]
	s_mov_b64 s[34:35], s[10:11]
	;; [unrolled: 1-line block ×3, first 2 shown]
.LBB323_75:                             ; =>This Inner Loop Header: Depth=1
	v_add_co_u32 v6, vcc_lo, s34, v2
	v_add_co_ci_u32_e64 v7, null, s35, v3, vcc_lo
	v_add_co_u32 v13, vcc_lo, s30, v2
	v_add_co_ci_u32_e64 v14, null, s31, v3, vcc_lo
	global_load_dwordx4 v[9:12], v[6:7], off
	global_load_dwordx4 v[13:16], v[13:14], off
	v_add_co_u32 v6, vcc_lo, s36, v2
	v_add_co_ci_u32_e64 v7, null, s37, v3, vcc_lo
	v_add_co_u32 v4, vcc_lo, v4, s15
	v_add_co_ci_u32_e64 v5, null, 0, v5, vcc_lo
	s_add_u32 s36, s36, s39
	s_addc_u32 s37, s37, 0
	s_add_u32 s34, s34, s39
	v_lshlrev_b64 v[17:18], 3, v[4:5]
	s_addc_u32 s35, s35, 0
	s_add_u32 s30, s30, s39
	s_addc_u32 s31, s31, 0
	s_waitcnt vmcnt(1)
	v_lshlrev_b32_e32 v1, 16, v9
	v_and_b32_e32 v9, 0xffff0000, v9
	v_lshlrev_b32_e32 v19, 16, v10
	v_and_b32_e32 v10, 0xffff0000, v10
	;; [unrolled: 2-line block ×4, first 2 shown]
	v_mul_f32_e32 v27, 0x3fb8aa3b, v1
	v_mul_f32_e32 v28, 0x3fb8aa3b, v9
	;; [unrolled: 1-line block ×8, first 2 shown]
	v_fma_f32 v35, 0x3fb8aa3b, v1, -v27
	v_rndne_f32_e32 v36, v27
	v_fma_f32 v37, 0x3fb8aa3b, v9, -v28
	v_rndne_f32_e32 v38, v28
	;; [unrolled: 2-line block ×8, first 2 shown]
	v_fmac_f32_e32 v35, 0x32a5705f, v1
	v_sub_f32_e32 v27, v27, v36
	v_fmac_f32_e32 v37, 0x32a5705f, v9
	v_sub_f32_e32 v28, v28, v38
	;; [unrolled: 2-line block ×8, first 2 shown]
	v_add_f32_e32 v27, v27, v35
	v_add_f32_e32 v28, v28, v37
	;; [unrolled: 1-line block ×8, first 2 shown]
	v_exp_f32_e32 v27, v27
	v_exp_f32_e32 v28, v28
	;; [unrolled: 1-line block ×8, first 2 shown]
	v_cvt_i32_f32_e32 v36, v36
	v_cvt_i32_f32_e32 v38, v38
	;; [unrolled: 1-line block ×8, first 2 shown]
	v_ldexp_f32 v27, v27, v36
	v_ldexp_f32 v28, v28, v38
	v_cmp_ngt_f32_e32 vcc_lo, 0xc2ce8ed0, v9
	v_ldexp_f32 v29, v29, v40
	v_cmp_ngt_f32_e64 s0, 0xc2ce8ed0, v19
	v_ldexp_f32 v30, v30, v42
	v_cmp_ngt_f32_e64 s1, 0xc2ce8ed0, v10
	;; [unrolled: 2-line block ×6, first 2 shown]
	v_cmp_ngt_f32_e64 s7, 0xc2ce8ed0, v1
	v_cndmask_b32_e32 v28, 0, v28, vcc_lo
	v_cmp_nlt_f32_e32 vcc_lo, 0x42b17218, v9
	v_cndmask_b32_e64 v9, 0, v29, s0
	v_cmp_nlt_f32_e64 s0, 0x42b17218, v19
	v_cndmask_b32_e64 v27, 0, v27, s7
	v_cndmask_b32_e64 v19, 0, v30, s1
	v_cmp_nlt_f32_e64 s1, 0x42b17218, v10
	v_cndmask_b32_e64 v10, 0, v31, s2
	v_cmp_nlt_f32_e64 s2, 0x42b17218, v21
	;; [unrolled: 2-line block ×5, first 2 shown]
	v_cmp_nlt_f32_e64 s7, 0x42b17218, v1
	s_waitcnt vmcnt(0)
	v_and_b32_e32 v23, 0xffff0000, v13
	v_lshlrev_b32_e32 v13, 16, v13
	v_and_b32_e32 v24, 0xffff0000, v14
	v_lshlrev_b32_e32 v14, 16, v14
	;; [unrolled: 2-line block ×4, first 2 shown]
	v_cndmask_b32_e64 v1, 0x7f800000, v27, s7
	v_cndmask_b32_e32 v12, 0x7f800000, v28, vcc_lo
	v_cndmask_b32_e64 v9, 0x7f800000, v9, s0
	v_cndmask_b32_e64 v19, 0x7f800000, v19, s1
	;; [unrolled: 1-line block ×6, first 2 shown]
	v_fma_f32 v1, -v20, v1, v13
	v_fma_f32 v12, -v20, v12, v23
	v_fma_f32 v9, -v20, v9, v14
	v_fma_f32 v13, -v20, v19, v24
	v_fma_f32 v10, -v20, v10, v15
	v_fma_f32 v14, -v20, v21, v25
	v_fma_f32 v11, -v20, v11, v16
	v_fma_f32 v15, -v20, v22, v26
	v_and_b32_sdwa v16, v12, v8 dst_sel:DWORD dst_unused:UNUSED_PAD src0_sel:WORD_1 src1_sel:DWORD
	v_and_b32_sdwa v19, v1, v8 dst_sel:DWORD dst_unused:UNUSED_PAD src0_sel:WORD_1 src1_sel:DWORD
	;; [unrolled: 1-line block ×8, first 2 shown]
	v_add3_u32 v16, v12, v16, 0x7fff
	v_add3_u32 v19, v1, v19, 0x7fff
	;; [unrolled: 1-line block ×8, first 2 shown]
	v_lshrrev_b32_e32 v19, 16, v19
	v_lshrrev_b32_e32 v16, 16, v16
	v_cmp_o_f32_e32 vcc_lo, v12, v12
	v_lshrrev_b32_e32 v12, 16, v22
	v_lshrrev_b32_e32 v21, 16, v21
	v_cmp_o_f32_e64 s0, v9, v9
	v_cmp_o_f32_e64 s1, v13, v13
	v_lshrrev_b32_e32 v9, 16, v24
	v_lshrrev_b32_e32 v13, 16, v23
	v_cmp_o_f32_e64 s2, v10, v10
	v_cmp_o_f32_e64 s3, v14, v14
	;; [unrolled: 4-line block ×3, first 2 shown]
	v_cmp_o_f32_e64 s7, v1, v1
	v_cndmask_b32_e64 v15, 0x7fc0, v12, s0
	v_cndmask_b32_e64 v9, 0x7fc0, v9, s2
	v_cndmask_b32_e64 v10, 0x7fc0, v10, s4
	v_cndmask_b32_e64 v11, 0x7fc0, v14, s5
	v_cndmask_b32_e64 v1, 0x7fc0, v19, s7
	v_cndmask_b32_e64 v13, 0x7fc0, v13, s3
	v_cndmask_b32_e64 v14, 0x7fc0, v21, s1
	v_cndmask_b32_e32 v16, 0x7fc0, v16, vcc_lo
	v_cmp_le_i64_e32 vcc_lo, s[28:29], v[17:18]
	v_perm_b32 v12, v11, v10, 0x5040100
	v_perm_b32 v11, v13, v9, 0x5040100
	v_perm_b32 v10, v14, v15, 0x5040100
	v_perm_b32 v9, v16, v1, 0x5040100
	s_or_b32 s27, vcc_lo, s27
	global_store_dwordx4 v[6:7], v[9:12], off
	s_andn2_b32 exec_lo, exec_lo, s27
	s_cbranch_execnz .LBB323_75
; %bb.76:
	s_or_b32 exec_lo, exec_lo, s27
	v_add_co_u32 v1, s0, s28, v0
	v_add_co_ci_u32_e64 v2, null, s29, 0, s0
	s_mov_b32 s1, exec_lo
	v_cmpx_gt_u64_e64 s[18:19], v[1:2]
	s_cbranch_execz .LBB323_79
; %bb.77:
	s_mov_b32 s2, 0
.LBB323_78:                             ; =>This Inner Loop Header: Depth=1
	v_lshlrev_b64 v[3:4], 1, v[1:2]
	v_add_co_u32 v5, vcc_lo, s10, v3
	v_add_co_ci_u32_e64 v6, null, s11, v4, vcc_lo
	v_add_co_u32 v7, vcc_lo, s12, v3
	v_add_co_ci_u32_e64 v8, null, s13, v4, vcc_lo
	global_load_ushort v5, v[5:6], off
	global_load_ushort v6, v[7:8], off
	v_add_co_u32 v1, vcc_lo, v1, s15
	v_add_co_ci_u32_e64 v2, null, 0, v2, vcc_lo
	v_cmp_le_i64_e32 vcc_lo, s[18:19], v[1:2]
	s_or_b32 s2, vcc_lo, s2
	s_waitcnt vmcnt(1)
	v_lshlrev_b32_e32 v5, 16, v5
	s_waitcnt vmcnt(0)
	v_lshlrev_b32_e32 v6, 16, v6
	v_mul_f32_e32 v7, 0x3fb8aa3b, v5
	v_cmp_ngt_f32_e64 s0, 0xc2ce8ed0, v5
	v_fma_f32 v8, 0x3fb8aa3b, v5, -v7
	v_rndne_f32_e32 v9, v7
	v_fmac_f32_e32 v8, 0x32a5705f, v5
	v_sub_f32_e32 v7, v7, v9
	v_add_f32_e32 v7, v7, v8
	v_cvt_i32_f32_e32 v8, v9
	v_exp_f32_e32 v7, v7
	v_ldexp_f32 v7, v7, v8
	v_cndmask_b32_e64 v7, 0, v7, s0
	v_cmp_nlt_f32_e64 s0, 0x42b17218, v5
	v_cndmask_b32_e64 v5, 0x7f800000, v7, s0
	v_add_co_u32 v3, s0, s8, v3
	v_add_co_ci_u32_e64 v4, null, s9, v4, s0
	v_fma_f32 v5, -v20, v5, v6
	v_bfe_u32 v6, v5, 16, 1
	v_cmp_o_f32_e64 s0, v5, v5
	v_add3_u32 v6, v5, v6, 0x7fff
	v_lshrrev_b32_e32 v6, 16, v6
	v_cndmask_b32_e64 v5, 0x7fc0, v6, s0
	global_store_short v[3:4], v5, off
	s_andn2_b32 exec_lo, exec_lo, s2
	s_cbranch_execnz .LBB323_78
.LBB323_79:
	s_or_b32 exec_lo, exec_lo, s1
	s_mov_b32 s1, 0
.LBB323_80:
	s_and_b32 vcc_lo, exec_lo, s1
	s_cbranch_vccz .LBB323_92
; %bb.81:
	s_andn2_b32 vcc_lo, exec_lo, s38
	s_cbranch_vccnz .LBB323_85
; %bb.82:
	s_lshl_b32 s1, s26, 1
	s_mov_b32 s7, exec_lo
	s_sub_u32 s3, s20, s1
	s_subb_u32 s4, s21, 0
	s_sub_u32 s0, s22, s1
	s_subb_u32 s5, s23, 0
	;; [unrolled: 2-line block ×3, first 2 shown]
	v_cmpx_le_u32_e64 s26, v0
	s_cbranch_execz .LBB323_84
; %bb.83:
	v_mov_b32_e32 v1, 0
	v_lshlrev_b64 v[1:2], 1, v[0:1]
	v_add_co_u32 v3, vcc_lo, s0, v1
	v_add_co_ci_u32_e64 v4, null, s5, v2, vcc_lo
	global_load_ushort v5, v[3:4], off
	v_add_co_u32 v3, vcc_lo, s1, v1
	v_add_co_ci_u32_e64 v4, null, s2, v2, vcc_lo
	global_load_ushort v3, v[3:4], off
	s_waitcnt vmcnt(1)
	v_lshlrev_b32_e32 v4, 16, v5
	v_mul_f32_e32 v5, 0x3fb8aa3b, v4
	v_cmp_ngt_f32_e32 vcc_lo, 0xc2ce8ed0, v4
	s_waitcnt vmcnt(0)
	v_lshlrev_b32_e32 v3, 16, v3
	v_fma_f32 v6, 0x3fb8aa3b, v4, -v5
	v_rndne_f32_e32 v7, v5
	v_fmamk_f32 v6, v4, 0x32a5705f, v6
	v_sub_f32_e32 v5, v5, v7
	v_add_f32_e32 v5, v5, v6
	v_cvt_i32_f32_e32 v6, v7
	v_exp_f32_e32 v5, v5
	v_ldexp_f32 v5, v5, v6
	v_cndmask_b32_e32 v5, 0, v5, vcc_lo
	v_cmp_nlt_f32_e32 vcc_lo, 0x42b17218, v4
	v_cndmask_b32_e32 v4, 0x7f800000, v5, vcc_lo
	v_mov_b32_e32 v5, 0x7fc0
	s_waitcnt lgkmcnt(0)
	v_fma_f32 v3, -v20, v4, v3
	v_bfe_u32 v4, v3, 16, 1
	v_cmp_o_f32_e32 vcc_lo, v3, v3
	v_add3_u32 v3, v3, v4, 0x7fff
	v_cndmask_b32_sdwa v3, v5, v3, vcc_lo dst_sel:DWORD dst_unused:UNUSED_PAD src0_sel:DWORD src1_sel:WORD_1
	v_add_co_u32 v1, vcc_lo, s3, v1
	v_add_co_ci_u32_e64 v2, null, s4, v2, vcc_lo
	global_store_short v[1:2], v3, off
.LBB323_84:
	s_or_b32 exec_lo, exec_lo, s7
	s_add_i32 s7, s26, s14
	v_sub_nc_u32_e64 v1, s7, s33 clamp
	s_lshl_b32 s7, s33, 1
	s_add_u32 s20, s3, s7
	s_addc_u32 s21, s4, 0
	v_readfirstlane_b32 s14, v1
	s_add_u32 s22, s0, s7
	s_addc_u32 s23, s5, 0
	s_add_u32 s16, s1, s7
	s_addc_u32 s17, s2, 0
.LBB323_85:
	s_load_dword s0, s[24:25], 0x0
	v_mov_b32_e32 v1, 0
	s_waitcnt lgkmcnt(0)
	s_cmp_lt_u32 s6, s0
	s_cselect_b32 s0, 12, 18
	s_add_u32 s0, s24, s0
	s_addc_u32 s1, s25, 0
	global_load_ushort v3, v1, s[0:1]
	s_waitcnt vmcnt(0)
	v_readfirstlane_b32 s0, v3
	s_lshl_b32 s0, s0, 3
	v_cvt_f32_u32_e32 v1, s0
	s_sub_i32 s2, 0, s0
	v_rcp_iflag_f32_e32 v1, v1
	v_mul_f32_e32 v1, 0x4f7ffffe, v1
	v_cvt_u32_f32_e32 v1, v1
	v_readfirstlane_b32 s1, v1
	v_lshlrev_b32_e32 v1, 3, v0
	s_mul_i32 s2, s2, s1
	s_mul_hi_u32 s2, s1, s2
	s_add_i32 s1, s1, s2
	s_mul_hi_u32 s1, s14, s1
	s_mul_i32 s1, s1, s0
	s_sub_i32 s1, s14, s1
	s_sub_i32 s2, s1, s0
	s_cmp_ge_u32 s1, s0
	s_cselect_b32 s1, s2, s1
	s_sub_i32 s2, s1, s0
	s_cmp_ge_u32 s1, s0
	s_cselect_b32 s0, s2, s1
	s_mov_b32 s2, 0
	s_sub_i32 s0, s14, s0
	s_mov_b32 s1, exec_lo
	v_cmpx_gt_i32_e64 s0, v1
	s_cbranch_execz .LBB323_88
; %bb.86:
	v_mov_b32_e32 v4, 1
	v_mov_b32_e32 v1, v0
.LBB323_87:                             ; =>This Inner Loop Header: Depth=1
	v_ashrrev_i32_e32 v2, 31, v1
	v_lshlrev_b64 v[13:14], 4, v[1:2]
	v_add_nc_u32_e32 v1, v1, v3
	v_lshlrev_b32_e32 v2, 3, v1
	v_add_co_u32 v5, vcc_lo, s22, v13
	v_add_co_ci_u32_e64 v6, null, s23, v14, vcc_lo
	v_add_co_u32 v9, vcc_lo, s16, v13
	v_add_co_ci_u32_e64 v10, null, s17, v14, vcc_lo
	global_load_dwordx4 v[5:8], v[5:6], off
	v_add_co_u32 v13, vcc_lo, s20, v13
	global_load_dwordx4 v[9:12], v[9:10], off
	v_add_co_ci_u32_e64 v14, null, s21, v14, vcc_lo
	s_waitcnt vmcnt(1)
	v_lshlrev_b32_e32 v15, 16, v5
	v_and_b32_e32 v5, 0xffff0000, v5
	v_lshlrev_b32_e32 v16, 16, v6
	v_and_b32_e32 v6, 0xffff0000, v6
	v_lshlrev_b32_e32 v17, 16, v7
	v_mul_f32_e32 v24, 0x3fb8aa3b, v15
	v_mul_f32_e32 v25, 0x3fb8aa3b, v5
	;; [unrolled: 1-line block ×4, first 2 shown]
	v_and_b32_e32 v7, 0xffff0000, v7
	v_fma_f32 v32, 0x3fb8aa3b, v15, -v24
	v_rndne_f32_e32 v33, v24
	v_fma_f32 v34, 0x3fb8aa3b, v5, -v25
	v_rndne_f32_e32 v35, v25
	v_fma_f32 v36, 0x3fb8aa3b, v16, -v26
	v_fmac_f32_e32 v32, 0x32a5705f, v15
	v_sub_f32_e32 v24, v24, v33
	v_rndne_f32_e32 v37, v26
	v_fmac_f32_e32 v34, 0x32a5705f, v5
	v_sub_f32_e32 v25, v25, v35
	v_mul_f32_e32 v28, 0x3fb8aa3b, v17
	v_add_f32_e32 v24, v24, v32
	v_fma_f32 v38, 0x3fb8aa3b, v6, -v27
	v_rndne_f32_e32 v39, v27
	v_fmac_f32_e32 v36, 0x32a5705f, v16
	v_sub_f32_e32 v26, v26, v37
	v_add_f32_e32 v25, v25, v34
	v_exp_f32_e32 v24, v24
	v_lshlrev_b32_e32 v18, 16, v8
	v_mul_f32_e32 v29, 0x3fb8aa3b, v7
	v_fma_f32 v40, 0x3fb8aa3b, v17, -v28
	v_rndne_f32_e32 v41, v28
	v_cvt_i32_f32_e32 v33, v33
	v_fmac_f32_e32 v38, 0x32a5705f, v6
	v_sub_f32_e32 v27, v27, v39
	v_add_f32_e32 v26, v26, v36
	v_exp_f32_e32 v25, v25
	v_and_b32_e32 v8, 0xffff0000, v8
	v_mul_f32_e32 v30, 0x3fb8aa3b, v18
	v_fma_f32 v42, 0x3fb8aa3b, v7, -v29
	v_rndne_f32_e32 v43, v29
	v_cvt_i32_f32_e32 v35, v35
	v_fmac_f32_e32 v40, 0x32a5705f, v17
	v_sub_f32_e32 v28, v28, v41
	v_add_f32_e32 v27, v27, v38
	v_exp_f32_e32 v26, v26
	v_ldexp_f32 v24, v24, v33
	v_cmp_ngt_f32_e32 vcc_lo, 0xc2ce8ed0, v15
	v_mul_f32_e32 v31, 0x3fb8aa3b, v8
	v_fma_f32 v44, 0x3fb8aa3b, v18, -v30
	v_rndne_f32_e32 v45, v30
	v_cvt_i32_f32_e32 v37, v37
	v_fmac_f32_e32 v42, 0x32a5705f, v7
	v_sub_f32_e32 v29, v29, v43
	v_add_f32_e32 v28, v28, v40
	v_exp_f32_e32 v27, v27
	v_ldexp_f32 v25, v25, v35
	v_cndmask_b32_e32 v24, 0, v24, vcc_lo
	v_cmp_ngt_f32_e32 vcc_lo, 0xc2ce8ed0, v5
	v_fma_f32 v46, 0x3fb8aa3b, v8, -v31
	v_rndne_f32_e32 v47, v31
	v_cvt_i32_f32_e32 v39, v39
	v_fmac_f32_e32 v44, 0x32a5705f, v18
	v_sub_f32_e32 v30, v30, v45
	v_add_f32_e32 v29, v29, v42
	v_exp_f32_e32 v28, v28
	v_ldexp_f32 v26, v26, v37
	v_cndmask_b32_e32 v25, 0, v25, vcc_lo
	v_cmp_ngt_f32_e32 vcc_lo, 0xc2ce8ed0, v16
	v_cvt_i32_f32_e32 v41, v41
	v_fmac_f32_e32 v46, 0x32a5705f, v8
	v_sub_f32_e32 v31, v31, v47
	v_add_f32_e32 v30, v30, v44
	v_exp_f32_e32 v29, v29
	v_ldexp_f32 v27, v27, v39
	v_cndmask_b32_e32 v26, 0, v26, vcc_lo
	v_cmp_ngt_f32_e32 vcc_lo, 0xc2ce8ed0, v6
	v_cvt_i32_f32_e32 v43, v43
	v_add_f32_e32 v31, v31, v46
	v_exp_f32_e32 v30, v30
	v_ldexp_f32 v28, v28, v41
	v_cndmask_b32_e32 v27, 0, v27, vcc_lo
	v_cmp_ngt_f32_e32 vcc_lo, 0xc2ce8ed0, v17
	v_exp_f32_e32 v31, v31
	v_cvt_i32_f32_e32 v32, v45
	v_ldexp_f32 v29, v29, v43
	v_cvt_i32_f32_e32 v34, v47
	v_cndmask_b32_e32 v28, 0, v28, vcc_lo
	v_cmp_ngt_f32_e32 vcc_lo, 0xc2ce8ed0, v7
	v_ldexp_f32 v30, v30, v32
	s_waitcnt vmcnt(0)
	v_and_b32_e32 v19, 0xffff0000, v9
	v_lshlrev_b32_e32 v9, 16, v9
	v_and_b32_e32 v21, 0xffff0000, v10
	v_cndmask_b32_e32 v29, 0, v29, vcc_lo
	v_cmp_ngt_f32_e32 vcc_lo, 0xc2ce8ed0, v18
	v_ldexp_f32 v31, v31, v34
	v_lshlrev_b32_e32 v10, 16, v10
	v_and_b32_e32 v23, 0xffff0000, v12
	v_lshlrev_b32_e32 v12, 16, v12
	v_cndmask_b32_e32 v30, 0, v30, vcc_lo
	v_cmp_ngt_f32_e32 vcc_lo, 0xc2ce8ed0, v8
	v_and_b32_e32 v22, 0xffff0000, v11
	v_lshlrev_b32_e32 v11, 16, v11
	v_cndmask_b32_e32 v31, 0, v31, vcc_lo
	v_cmp_nlt_f32_e32 vcc_lo, 0x42b17218, v15
	v_cndmask_b32_e32 v15, 0x7f800000, v24, vcc_lo
	v_cmp_nlt_f32_e32 vcc_lo, 0x42b17218, v5
	v_fma_f32 v9, -v20, v15, v9
	v_cndmask_b32_e32 v5, 0x7f800000, v25, vcc_lo
	v_cmp_nlt_f32_e32 vcc_lo, 0x42b17218, v16
	v_fma_f32 v5, -v20, v5, v19
	v_cndmask_b32_e32 v16, 0x7f800000, v26, vcc_lo
	v_cmp_nlt_f32_e32 vcc_lo, 0x42b17218, v6
	v_and_b32_sdwa v15, v5, v4 dst_sel:DWORD dst_unused:UNUSED_PAD src0_sel:WORD_1 src1_sel:DWORD
	v_fma_f32 v10, -v20, v16, v10
	v_cndmask_b32_e32 v6, 0x7f800000, v27, vcc_lo
	v_cmp_nlt_f32_e32 vcc_lo, 0x42b17218, v17
	v_and_b32_sdwa v16, v9, v4 dst_sel:DWORD dst_unused:UNUSED_PAD src0_sel:WORD_1 src1_sel:DWORD
	v_add3_u32 v15, v5, v15, 0x7fff
	v_fma_f32 v6, -v20, v6, v21
	v_cndmask_b32_e32 v17, 0x7f800000, v28, vcc_lo
	v_cmp_nlt_f32_e32 vcc_lo, 0x42b17218, v7
	v_add3_u32 v16, v9, v16, 0x7fff
	v_lshrrev_b32_e32 v15, 16, v15
	v_fma_f32 v11, -v20, v17, v11
	v_cndmask_b32_e32 v7, 0x7f800000, v29, vcc_lo
	v_cmp_nlt_f32_e32 vcc_lo, 0x42b17218, v18
	v_and_b32_sdwa v17, v6, v4 dst_sel:DWORD dst_unused:UNUSED_PAD src0_sel:WORD_1 src1_sel:DWORD
	v_lshrrev_b32_e32 v16, 16, v16
	v_and_b32_sdwa v21, v11, v4 dst_sel:DWORD dst_unused:UNUSED_PAD src0_sel:WORD_1 src1_sel:DWORD
	v_fma_f32 v7, -v20, v7, v22
	v_cndmask_b32_e32 v18, 0x7f800000, v30, vcc_lo
	v_cmp_nlt_f32_e32 vcc_lo, 0x42b17218, v8
	v_add3_u32 v17, v6, v17, 0x7fff
	v_add3_u32 v21, v11, v21, 0x7fff
	v_and_b32_sdwa v19, v7, v4 dst_sel:DWORD dst_unused:UNUSED_PAD src0_sel:WORD_1 src1_sel:DWORD
	v_fma_f32 v12, -v20, v18, v12
	v_and_b32_sdwa v18, v10, v4 dst_sel:DWORD dst_unused:UNUSED_PAD src0_sel:WORD_1 src1_sel:DWORD
	v_cndmask_b32_e32 v8, 0x7f800000, v31, vcc_lo
	v_cmp_o_f32_e32 vcc_lo, v9, v9
	v_lshrrev_b32_e32 v17, 16, v17
	v_lshrrev_b32_e32 v21, 16, v21
	v_add3_u32 v18, v10, v18, 0x7fff
	v_fma_f32 v8, -v20, v8, v23
	v_cndmask_b32_e32 v9, 0x7fc0, v16, vcc_lo
	v_cmp_o_f32_e32 vcc_lo, v10, v10
	v_and_b32_sdwa v23, v12, v4 dst_sel:DWORD dst_unused:UNUSED_PAD src0_sel:WORD_1 src1_sel:DWORD
	v_lshrrev_b32_e32 v18, 16, v18
	v_and_b32_sdwa v22, v8, v4 dst_sel:DWORD dst_unused:UNUSED_PAD src0_sel:WORD_1 src1_sel:DWORD
	v_add3_u32 v19, v7, v19, 0x7fff
	v_add3_u32 v23, v12, v23, 0x7fff
	v_cndmask_b32_e32 v10, 0x7fc0, v18, vcc_lo
	v_cmp_o_f32_e32 vcc_lo, v6, v6
	v_add3_u32 v22, v8, v22, 0x7fff
	v_lshrrev_b32_e32 v19, 16, v19
	v_lshrrev_b32_e32 v23, 16, v23
	v_cndmask_b32_e32 v6, 0x7fc0, v17, vcc_lo
	v_cmp_o_f32_e32 vcc_lo, v11, v11
	v_lshrrev_b32_e32 v22, 16, v22
	v_perm_b32 v6, v6, v10, 0x5040100
	v_cndmask_b32_e32 v11, 0x7fc0, v21, vcc_lo
	v_cmp_o_f32_e32 vcc_lo, v12, v12
	v_cndmask_b32_e32 v12, 0x7fc0, v23, vcc_lo
	v_cmp_o_f32_e32 vcc_lo, v8, v8
	;; [unrolled: 2-line block ×3, first 2 shown]
	v_perm_b32 v8, v8, v12, 0x5040100
	v_cndmask_b32_e32 v7, 0x7fc0, v19, vcc_lo
	v_cmp_o_f32_e32 vcc_lo, v5, v5
	v_perm_b32 v7, v7, v11, 0x5040100
	v_cndmask_b32_e32 v5, 0x7fc0, v15, vcc_lo
	v_cmp_le_i32_e32 vcc_lo, s0, v2
	v_perm_b32 v5, v5, v9, 0x5040100
	s_or_b32 s2, vcc_lo, s2
	global_store_dwordx4 v[13:14], v[5:8], off
	s_andn2_b32 exec_lo, exec_lo, s2
	s_cbranch_execnz .LBB323_87
.LBB323_88:
	s_or_b32 exec_lo, exec_lo, s1
	v_add_nc_u32_e32 v0, s0, v0
	s_mov_b32 s0, exec_lo
	v_cmpx_gt_i32_e64 s14, v0
	s_cbranch_execz .LBB323_92
; %bb.89:
	v_mov_b32_e32 v2, 0x7fc0
	s_mov_b32 s1, 0
.LBB323_90:                             ; =>This Inner Loop Header: Depth=1
	v_ashrrev_i32_e32 v1, 31, v0
	v_lshlrev_b64 v[4:5], 1, v[0:1]
	v_add_nc_u32_e32 v0, v0, v3
	v_cmp_le_i32_e64 s0, s14, v0
	v_add_co_u32 v6, vcc_lo, s22, v4
	v_add_co_ci_u32_e64 v7, null, s23, v5, vcc_lo
	s_or_b32 s1, s0, s1
	global_load_ushort v1, v[6:7], off
	v_add_co_u32 v6, vcc_lo, s16, v4
	v_add_co_ci_u32_e64 v7, null, s17, v5, vcc_lo
	global_load_ushort v6, v[6:7], off
	s_waitcnt vmcnt(1)
	v_lshlrev_b32_e32 v1, 16, v1
	v_mul_f32_e32 v7, 0x3fb8aa3b, v1
	v_cmp_ngt_f32_e32 vcc_lo, 0xc2ce8ed0, v1
	s_waitcnt vmcnt(0)
	v_lshlrev_b32_e32 v6, 16, v6
	v_fma_f32 v8, 0x3fb8aa3b, v1, -v7
	v_rndne_f32_e32 v9, v7
	v_fmac_f32_e32 v8, 0x32a5705f, v1
	v_sub_f32_e32 v7, v7, v9
	v_add_f32_e32 v7, v7, v8
	v_cvt_i32_f32_e32 v8, v9
	v_exp_f32_e32 v7, v7
	v_ldexp_f32 v7, v7, v8
	v_cndmask_b32_e32 v7, 0, v7, vcc_lo
	v_cmp_nlt_f32_e32 vcc_lo, 0x42b17218, v1
	v_cndmask_b32_e32 v1, 0x7f800000, v7, vcc_lo
	v_fma_f32 v1, -v20, v1, v6
	v_bfe_u32 v6, v1, 16, 1
	v_cmp_o_f32_e32 vcc_lo, v1, v1
	v_add3_u32 v1, v1, v6, 0x7fff
	v_cndmask_b32_sdwa v1, v2, v1, vcc_lo dst_sel:DWORD dst_unused:UNUSED_PAD src0_sel:DWORD src1_sel:WORD_1
	v_add_co_u32 v4, vcc_lo, s20, v4
	v_add_co_ci_u32_e64 v5, null, s21, v5, vcc_lo
	global_store_short v[4:5], v1, off
	s_andn2_b32 exec_lo, exec_lo, s1
	s_cbranch_execnz .LBB323_90
	s_branch .LBB323_92
.LBB323_91:
	s_cbranch_execz .LBB323_66
.LBB323_92:
	s_endpgm
.LBB323_93:
                                        ; implicit-def: $sgpr2_sgpr3
	s_branch .LBB323_73
	.section	.rodata,"a",@progbits
	.p2align	6, 0x0
	.amdhsa_kernel _ZN2at6native12_GLOBAL__N_120cunn_SoftMaxBackwardILi8EN3c108BFloat16EfS4_NS1_26LogSoftMaxBackwardEpilogueEEEvPT0_PKT2_SA_l
		.amdhsa_group_segment_fixed_size 0
		.amdhsa_private_segment_fixed_size 0
		.amdhsa_kernarg_size 288
		.amdhsa_user_sgpr_count 6
		.amdhsa_user_sgpr_private_segment_buffer 1
		.amdhsa_user_sgpr_dispatch_ptr 0
		.amdhsa_user_sgpr_queue_ptr 0
		.amdhsa_user_sgpr_kernarg_segment_ptr 1
		.amdhsa_user_sgpr_dispatch_id 0
		.amdhsa_user_sgpr_flat_scratch_init 0
		.amdhsa_user_sgpr_private_segment_size 0
		.amdhsa_wavefront_size32 1
		.amdhsa_uses_dynamic_stack 0
		.amdhsa_system_sgpr_private_segment_wavefront_offset 0
		.amdhsa_system_sgpr_workgroup_id_x 1
		.amdhsa_system_sgpr_workgroup_id_y 0
		.amdhsa_system_sgpr_workgroup_id_z 0
		.amdhsa_system_sgpr_workgroup_info 0
		.amdhsa_system_vgpr_workitem_id 0
		.amdhsa_next_free_vgpr 61
		.amdhsa_next_free_sgpr 40
		.amdhsa_reserve_vcc 1
		.amdhsa_reserve_flat_scratch 0
		.amdhsa_float_round_mode_32 0
		.amdhsa_float_round_mode_16_64 0
		.amdhsa_float_denorm_mode_32 3
		.amdhsa_float_denorm_mode_16_64 3
		.amdhsa_dx10_clamp 1
		.amdhsa_ieee_mode 1
		.amdhsa_fp16_overflow 0
		.amdhsa_workgroup_processor_mode 1
		.amdhsa_memory_ordered 1
		.amdhsa_forward_progress 1
		.amdhsa_shared_vgpr_count 0
		.amdhsa_exception_fp_ieee_invalid_op 0
		.amdhsa_exception_fp_denorm_src 0
		.amdhsa_exception_fp_ieee_div_zero 0
		.amdhsa_exception_fp_ieee_overflow 0
		.amdhsa_exception_fp_ieee_underflow 0
		.amdhsa_exception_fp_ieee_inexact 0
		.amdhsa_exception_int_div_zero 0
	.end_amdhsa_kernel
	.section	.text._ZN2at6native12_GLOBAL__N_120cunn_SoftMaxBackwardILi8EN3c108BFloat16EfS4_NS1_26LogSoftMaxBackwardEpilogueEEEvPT0_PKT2_SA_l,"axG",@progbits,_ZN2at6native12_GLOBAL__N_120cunn_SoftMaxBackwardILi8EN3c108BFloat16EfS4_NS1_26LogSoftMaxBackwardEpilogueEEEvPT0_PKT2_SA_l,comdat
.Lfunc_end323:
	.size	_ZN2at6native12_GLOBAL__N_120cunn_SoftMaxBackwardILi8EN3c108BFloat16EfS4_NS1_26LogSoftMaxBackwardEpilogueEEEvPT0_PKT2_SA_l, .Lfunc_end323-_ZN2at6native12_GLOBAL__N_120cunn_SoftMaxBackwardILi8EN3c108BFloat16EfS4_NS1_26LogSoftMaxBackwardEpilogueEEEvPT0_PKT2_SA_l
                                        ; -- End function
	.set _ZN2at6native12_GLOBAL__N_120cunn_SoftMaxBackwardILi8EN3c108BFloat16EfS4_NS1_26LogSoftMaxBackwardEpilogueEEEvPT0_PKT2_SA_l.num_vgpr, 61
	.set _ZN2at6native12_GLOBAL__N_120cunn_SoftMaxBackwardILi8EN3c108BFloat16EfS4_NS1_26LogSoftMaxBackwardEpilogueEEEvPT0_PKT2_SA_l.num_agpr, 0
	.set _ZN2at6native12_GLOBAL__N_120cunn_SoftMaxBackwardILi8EN3c108BFloat16EfS4_NS1_26LogSoftMaxBackwardEpilogueEEEvPT0_PKT2_SA_l.numbered_sgpr, 40
	.set _ZN2at6native12_GLOBAL__N_120cunn_SoftMaxBackwardILi8EN3c108BFloat16EfS4_NS1_26LogSoftMaxBackwardEpilogueEEEvPT0_PKT2_SA_l.num_named_barrier, 0
	.set _ZN2at6native12_GLOBAL__N_120cunn_SoftMaxBackwardILi8EN3c108BFloat16EfS4_NS1_26LogSoftMaxBackwardEpilogueEEEvPT0_PKT2_SA_l.private_seg_size, 0
	.set _ZN2at6native12_GLOBAL__N_120cunn_SoftMaxBackwardILi8EN3c108BFloat16EfS4_NS1_26LogSoftMaxBackwardEpilogueEEEvPT0_PKT2_SA_l.uses_vcc, 1
	.set _ZN2at6native12_GLOBAL__N_120cunn_SoftMaxBackwardILi8EN3c108BFloat16EfS4_NS1_26LogSoftMaxBackwardEpilogueEEEvPT0_PKT2_SA_l.uses_flat_scratch, 0
	.set _ZN2at6native12_GLOBAL__N_120cunn_SoftMaxBackwardILi8EN3c108BFloat16EfS4_NS1_26LogSoftMaxBackwardEpilogueEEEvPT0_PKT2_SA_l.has_dyn_sized_stack, 0
	.set _ZN2at6native12_GLOBAL__N_120cunn_SoftMaxBackwardILi8EN3c108BFloat16EfS4_NS1_26LogSoftMaxBackwardEpilogueEEEvPT0_PKT2_SA_l.has_recursion, 0
	.set _ZN2at6native12_GLOBAL__N_120cunn_SoftMaxBackwardILi8EN3c108BFloat16EfS4_NS1_26LogSoftMaxBackwardEpilogueEEEvPT0_PKT2_SA_l.has_indirect_call, 0
	.section	.AMDGPU.csdata,"",@progbits
; Kernel info:
; codeLenInByte = 12516
; TotalNumSgprs: 42
; NumVgprs: 61
; ScratchSize: 0
; MemoryBound: 0
; FloatMode: 240
; IeeeMode: 1
; LDSByteSize: 0 bytes/workgroup (compile time only)
; SGPRBlocks: 0
; VGPRBlocks: 7
; NumSGPRsForWavesPerEU: 42
; NumVGPRsForWavesPerEU: 61
; Occupancy: 16
; WaveLimiterHint : 0
; COMPUTE_PGM_RSRC2:SCRATCH_EN: 0
; COMPUTE_PGM_RSRC2:USER_SGPR: 6
; COMPUTE_PGM_RSRC2:TRAP_HANDLER: 0
; COMPUTE_PGM_RSRC2:TGID_X_EN: 1
; COMPUTE_PGM_RSRC2:TGID_Y_EN: 0
; COMPUTE_PGM_RSRC2:TGID_Z_EN: 0
; COMPUTE_PGM_RSRC2:TIDIG_COMP_CNT: 0
	.section	.text._ZN12_GLOBAL__N_121softmax_warp_backwardIfN3c108BFloat16EfLi0ELb1ELb0ELi64EEEvPT0_PKT_S7_iiiPKb,"axG",@progbits,_ZN12_GLOBAL__N_121softmax_warp_backwardIfN3c108BFloat16EfLi0ELb1ELb0ELi64EEEvPT0_PKT_S7_iiiPKb,comdat
	.globl	_ZN12_GLOBAL__N_121softmax_warp_backwardIfN3c108BFloat16EfLi0ELb1ELb0ELi64EEEvPT0_PKT_S7_iiiPKb ; -- Begin function _ZN12_GLOBAL__N_121softmax_warp_backwardIfN3c108BFloat16EfLi0ELb1ELb0ELi64EEEvPT0_PKT_S7_iiiPKb
	.p2align	8
	.type	_ZN12_GLOBAL__N_121softmax_warp_backwardIfN3c108BFloat16EfLi0ELb1ELb0ELi64EEEvPT0_PKT_S7_iiiPKb,@function
_ZN12_GLOBAL__N_121softmax_warp_backwardIfN3c108BFloat16EfLi0ELb1ELb0ELi64EEEvPT0_PKT_S7_iiiPKb: ; @_ZN12_GLOBAL__N_121softmax_warp_backwardIfN3c108BFloat16EfLi0ELb1ELb0ELi64EEEvPT0_PKT_S7_iiiPKb
; %bb.0:
	s_clause 0x3
	s_load_dword s7, s[4:5], 0x3c
	s_load_dwordx4 s[0:3], s[4:5], 0x18
	s_load_dwordx4 s[8:11], s[4:5], 0x0
	s_load_dwordx2 s[4:5], s[4:5], 0x10
	v_mov_b32_e32 v7, 0
	v_mov_b32_e32 v8, 0
	s_waitcnt lgkmcnt(0)
	s_lshr_b32 s3, s7, 16
	s_and_b32 s3, s3, 0xffff
	s_cmp_gt_i32 s2, 0
	s_mul_i32 s6, s6, s3
	v_add_lshl_u32 v2, s6, v1, 1
	v_mul_lo_u32 v0, v2, s1
	v_sub_nc_u32_e32 v6, s0, v2
	s_cselect_b32 s1, -1, 0
	v_cmp_lt_i32_e32 vcc_lo, 0, v6
	v_ashrrev_i32_e32 v1, 31, v0
	s_and_b32 s3, s1, vcc_lo
	v_lshlrev_b64 v[4:5], 2, v[0:1]
	v_add_co_u32 v2, s0, s10, v4
	v_add_co_ci_u32_e64 v3, null, s11, v5, s0
	v_add_co_u32 v4, s0, s4, v4
	v_add_co_ci_u32_e64 v5, null, s5, v5, s0
	s_and_saveexec_b32 s0, s3
	s_cbranch_execz .LBB324_2
; %bb.1:
	global_load_dword v8, v[2:3], off
	global_load_dword v7, v[4:5], off
.LBB324_2:
	s_or_b32 exec_lo, exec_lo, s0
	v_cmp_gt_i32_e64 s0, 2, v6
	s_xor_b32 s3, s1, -1
	s_or_b32 s0, s3, s0
	s_and_saveexec_b32 s3, s0
	s_xor_b32 s0, exec_lo, s3
                                        ; implicit-def: $vgpr9
	s_cbranch_execnz .LBB324_6
; %bb.3:
	s_or_saveexec_b32 s4, s0
	v_mov_b32_e32 v10, 1.0
	s_xor_b32 exec_lo, exec_lo, s4
	s_cbranch_execnz .LBB324_7
.LBB324_4:
	s_or_b32 exec_lo, exec_lo, s4
	s_and_saveexec_b32 s0, vcc_lo
	s_cbranch_execnz .LBB324_8
.LBB324_5:
	s_endpgm
.LBB324_6:
	v_mov_b32_e32 v9, 0
                                        ; implicit-def: $vgpr4
                                        ; implicit-def: $vgpr2
	s_or_saveexec_b32 s4, s0
	v_mov_b32_e32 v10, 1.0
	s_xor_b32 exec_lo, exec_lo, s4
	s_cbranch_execz .LBB324_4
.LBB324_7:
	s_mov_b32 s3, 0
	s_lshl_b64 s[6:7], s[2:3], 2
	v_add_co_u32 v4, s0, v4, s6
	v_add_co_ci_u32_e64 v5, null, s7, v5, s0
	v_add_co_u32 v2, s0, v2, s6
	v_add_co_ci_u32_e64 v3, null, s7, v3, s0
	global_load_dword v4, v[4:5], off
	global_load_dword v9, v[2:3], off
	s_waitcnt vmcnt(1)
	v_mul_f32_e32 v2, 0x3fb8aa3b, v4
	v_cmp_ngt_f32_e64 s0, 0xc2ce8ed0, v4
	v_fma_f32 v3, 0x3fb8aa3b, v4, -v2
	v_rndne_f32_e32 v5, v2
	v_fmamk_f32 v3, v4, 0x32a5705f, v3
	v_sub_f32_e32 v2, v2, v5
	v_add_f32_e32 v2, v2, v3
	v_cvt_i32_f32_e32 v3, v5
	v_exp_f32_e32 v2, v2
	v_ldexp_f32 v2, v2, v3
	v_cndmask_b32_e64 v2, 0, v2, s0
	v_cmp_nlt_f32_e64 s0, 0x42b17218, v4
	v_cndmask_b32_e64 v10, 0x7f800000, v2, s0
	s_or_b32 exec_lo, exec_lo, s4
	s_and_saveexec_b32 s0, vcc_lo
	s_cbranch_execz .LBB324_5
.LBB324_8:
	v_lshlrev_b64 v[0:1], 1, v[0:1]
	v_add_co_u32 v0, vcc_lo, s8, v0
	v_add_co_ci_u32_e64 v1, null, s9, v1, vcc_lo
	s_andn2_b32 vcc_lo, exec_lo, s1
	s_cbranch_vccnz .LBB324_10
; %bb.9:
	s_waitcnt vmcnt(0)
	v_mul_f32_e32 v2, 0x3fb8aa3b, v7
	v_cmp_ngt_f32_e32 vcc_lo, 0xc2ce8ed0, v7
	v_rndne_f32_e32 v3, v2
	v_fma_f32 v4, 0x3fb8aa3b, v7, -v2
	v_sub_f32_e32 v2, v2, v3
	v_fmamk_f32 v4, v7, 0x32a5705f, v4
	v_cvt_i32_f32_e32 v3, v3
	v_add_f32_e32 v2, v2, v4
	v_exp_f32_e32 v2, v2
	v_ldexp_f32 v2, v2, v3
	v_add_f32_e32 v3, 0, v8
	v_cndmask_b32_e32 v2, 0, v2, vcc_lo
	v_cmp_nlt_f32_e32 vcc_lo, 0x42b17218, v7
	v_cndmask_b32_e32 v2, 0x7f800000, v2, vcc_lo
	v_fma_f32 v2, -v3, v2, v8
	v_bfe_u32 v3, v2, 16, 1
	v_cmp_o_f32_e32 vcc_lo, v2, v2
	v_add3_u32 v2, v2, v3, 0x7fff
	v_mov_b32_e32 v3, 0x7fc0
	v_cndmask_b32_sdwa v2, v3, v2, vcc_lo dst_sel:DWORD dst_unused:UNUSED_PAD src0_sel:DWORD src1_sel:WORD_1
	global_store_short v[0:1], v2, off
.LBB324_10:
	v_cmp_ne_u32_e32 vcc_lo, 1, v6
	s_and_b32 s0, vcc_lo, s1
	s_and_b32 exec_lo, exec_lo, s0
	s_cbranch_execz .LBB324_5
; %bb.11:
	s_waitcnt vmcnt(0)
	v_add_f32_e32 v2, 0, v9
	s_mov_b32 s3, 0
	v_mov_b32_e32 v4, 0x7fc0
	s_lshl_b64 s[0:1], s[2:3], 1
	v_add_co_u32 v0, s0, v0, s0
	v_fma_f32 v2, -v2, v10, v9
	v_add_co_ci_u32_e64 v1, null, s1, v1, s0
	v_bfe_u32 v3, v2, 16, 1
	v_cmp_o_f32_e32 vcc_lo, v2, v2
	v_add3_u32 v2, v2, v3, 0x7fff
	v_cndmask_b32_sdwa v2, v4, v2, vcc_lo dst_sel:DWORD dst_unused:UNUSED_PAD src0_sel:DWORD src1_sel:WORD_1
	global_store_short v[0:1], v2, off
	s_endpgm
	.section	.rodata,"a",@progbits
	.p2align	6, 0x0
	.amdhsa_kernel _ZN12_GLOBAL__N_121softmax_warp_backwardIfN3c108BFloat16EfLi0ELb1ELb0ELi64EEEvPT0_PKT_S7_iiiPKb
		.amdhsa_group_segment_fixed_size 0
		.amdhsa_private_segment_fixed_size 0
		.amdhsa_kernarg_size 304
		.amdhsa_user_sgpr_count 6
		.amdhsa_user_sgpr_private_segment_buffer 1
		.amdhsa_user_sgpr_dispatch_ptr 0
		.amdhsa_user_sgpr_queue_ptr 0
		.amdhsa_user_sgpr_kernarg_segment_ptr 1
		.amdhsa_user_sgpr_dispatch_id 0
		.amdhsa_user_sgpr_flat_scratch_init 0
		.amdhsa_user_sgpr_private_segment_size 0
		.amdhsa_wavefront_size32 1
		.amdhsa_uses_dynamic_stack 0
		.amdhsa_system_sgpr_private_segment_wavefront_offset 0
		.amdhsa_system_sgpr_workgroup_id_x 1
		.amdhsa_system_sgpr_workgroup_id_y 0
		.amdhsa_system_sgpr_workgroup_id_z 0
		.amdhsa_system_sgpr_workgroup_info 0
		.amdhsa_system_vgpr_workitem_id 1
		.amdhsa_next_free_vgpr 11
		.amdhsa_next_free_sgpr 12
		.amdhsa_reserve_vcc 1
		.amdhsa_reserve_flat_scratch 0
		.amdhsa_float_round_mode_32 0
		.amdhsa_float_round_mode_16_64 0
		.amdhsa_float_denorm_mode_32 3
		.amdhsa_float_denorm_mode_16_64 3
		.amdhsa_dx10_clamp 1
		.amdhsa_ieee_mode 1
		.amdhsa_fp16_overflow 0
		.amdhsa_workgroup_processor_mode 1
		.amdhsa_memory_ordered 1
		.amdhsa_forward_progress 1
		.amdhsa_shared_vgpr_count 0
		.amdhsa_exception_fp_ieee_invalid_op 0
		.amdhsa_exception_fp_denorm_src 0
		.amdhsa_exception_fp_ieee_div_zero 0
		.amdhsa_exception_fp_ieee_overflow 0
		.amdhsa_exception_fp_ieee_underflow 0
		.amdhsa_exception_fp_ieee_inexact 0
		.amdhsa_exception_int_div_zero 0
	.end_amdhsa_kernel
	.section	.text._ZN12_GLOBAL__N_121softmax_warp_backwardIfN3c108BFloat16EfLi0ELb1ELb0ELi64EEEvPT0_PKT_S7_iiiPKb,"axG",@progbits,_ZN12_GLOBAL__N_121softmax_warp_backwardIfN3c108BFloat16EfLi0ELb1ELb0ELi64EEEvPT0_PKT_S7_iiiPKb,comdat
.Lfunc_end324:
	.size	_ZN12_GLOBAL__N_121softmax_warp_backwardIfN3c108BFloat16EfLi0ELb1ELb0ELi64EEEvPT0_PKT_S7_iiiPKb, .Lfunc_end324-_ZN12_GLOBAL__N_121softmax_warp_backwardIfN3c108BFloat16EfLi0ELb1ELb0ELi64EEEvPT0_PKT_S7_iiiPKb
                                        ; -- End function
	.set _ZN12_GLOBAL__N_121softmax_warp_backwardIfN3c108BFloat16EfLi0ELb1ELb0ELi64EEEvPT0_PKT_S7_iiiPKb.num_vgpr, 11
	.set _ZN12_GLOBAL__N_121softmax_warp_backwardIfN3c108BFloat16EfLi0ELb1ELb0ELi64EEEvPT0_PKT_S7_iiiPKb.num_agpr, 0
	.set _ZN12_GLOBAL__N_121softmax_warp_backwardIfN3c108BFloat16EfLi0ELb1ELb0ELi64EEEvPT0_PKT_S7_iiiPKb.numbered_sgpr, 12
	.set _ZN12_GLOBAL__N_121softmax_warp_backwardIfN3c108BFloat16EfLi0ELb1ELb0ELi64EEEvPT0_PKT_S7_iiiPKb.num_named_barrier, 0
	.set _ZN12_GLOBAL__N_121softmax_warp_backwardIfN3c108BFloat16EfLi0ELb1ELb0ELi64EEEvPT0_PKT_S7_iiiPKb.private_seg_size, 0
	.set _ZN12_GLOBAL__N_121softmax_warp_backwardIfN3c108BFloat16EfLi0ELb1ELb0ELi64EEEvPT0_PKT_S7_iiiPKb.uses_vcc, 1
	.set _ZN12_GLOBAL__N_121softmax_warp_backwardIfN3c108BFloat16EfLi0ELb1ELb0ELi64EEEvPT0_PKT_S7_iiiPKb.uses_flat_scratch, 0
	.set _ZN12_GLOBAL__N_121softmax_warp_backwardIfN3c108BFloat16EfLi0ELb1ELb0ELi64EEEvPT0_PKT_S7_iiiPKb.has_dyn_sized_stack, 0
	.set _ZN12_GLOBAL__N_121softmax_warp_backwardIfN3c108BFloat16EfLi0ELb1ELb0ELi64EEEvPT0_PKT_S7_iiiPKb.has_recursion, 0
	.set _ZN12_GLOBAL__N_121softmax_warp_backwardIfN3c108BFloat16EfLi0ELb1ELb0ELi64EEEvPT0_PKT_S7_iiiPKb.has_indirect_call, 0
	.section	.AMDGPU.csdata,"",@progbits
; Kernel info:
; codeLenInByte = 712
; TotalNumSgprs: 14
; NumVgprs: 11
; ScratchSize: 0
; MemoryBound: 0
; FloatMode: 240
; IeeeMode: 1
; LDSByteSize: 0 bytes/workgroup (compile time only)
; SGPRBlocks: 0
; VGPRBlocks: 1
; NumSGPRsForWavesPerEU: 14
; NumVGPRsForWavesPerEU: 11
; Occupancy: 16
; WaveLimiterHint : 0
; COMPUTE_PGM_RSRC2:SCRATCH_EN: 0
; COMPUTE_PGM_RSRC2:USER_SGPR: 6
; COMPUTE_PGM_RSRC2:TRAP_HANDLER: 0
; COMPUTE_PGM_RSRC2:TGID_X_EN: 1
; COMPUTE_PGM_RSRC2:TGID_Y_EN: 0
; COMPUTE_PGM_RSRC2:TGID_Z_EN: 0
; COMPUTE_PGM_RSRC2:TIDIG_COMP_CNT: 1
	.section	.text._ZN12_GLOBAL__N_121softmax_warp_backwardIfN3c108BFloat16EfLi0ELb1ELb0ELi32EEEvPT0_PKT_S7_iiiPKb,"axG",@progbits,_ZN12_GLOBAL__N_121softmax_warp_backwardIfN3c108BFloat16EfLi0ELb1ELb0ELi32EEEvPT0_PKT_S7_iiiPKb,comdat
	.globl	_ZN12_GLOBAL__N_121softmax_warp_backwardIfN3c108BFloat16EfLi0ELb1ELb0ELi32EEEvPT0_PKT_S7_iiiPKb ; -- Begin function _ZN12_GLOBAL__N_121softmax_warp_backwardIfN3c108BFloat16EfLi0ELb1ELb0ELi32EEEvPT0_PKT_S7_iiiPKb
	.p2align	8
	.type	_ZN12_GLOBAL__N_121softmax_warp_backwardIfN3c108BFloat16EfLi0ELb1ELb0ELi32EEEvPT0_PKT_S7_iiiPKb,@function
_ZN12_GLOBAL__N_121softmax_warp_backwardIfN3c108BFloat16EfLi0ELb1ELb0ELi32EEEvPT0_PKT_S7_iiiPKb: ; @_ZN12_GLOBAL__N_121softmax_warp_backwardIfN3c108BFloat16EfLi0ELb1ELb0ELi32EEEvPT0_PKT_S7_iiiPKb
; %bb.0:
	s_clause 0x3
	s_load_dword s7, s[4:5], 0x3c
	s_load_dwordx4 s[0:3], s[4:5], 0x18
	s_load_dwordx4 s[8:11], s[4:5], 0x0
	s_load_dwordx2 s[4:5], s[4:5], 0x10
	v_mov_b32_e32 v7, 0
	v_mov_b32_e32 v8, 0
	s_waitcnt lgkmcnt(0)
	s_lshr_b32 s3, s7, 16
	s_and_b32 s3, s3, 0xffff
	s_cmp_gt_i32 s2, 0
	s_mul_i32 s6, s6, s3
	v_add_lshl_u32 v2, s6, v1, 1
	v_mul_lo_u32 v0, v2, s1
	v_sub_nc_u32_e32 v6, s0, v2
	s_cselect_b32 s1, -1, 0
	v_cmp_lt_i32_e32 vcc_lo, 0, v6
	v_ashrrev_i32_e32 v1, 31, v0
	s_and_b32 s3, s1, vcc_lo
	v_lshlrev_b64 v[4:5], 2, v[0:1]
	v_add_co_u32 v2, s0, s10, v4
	v_add_co_ci_u32_e64 v3, null, s11, v5, s0
	v_add_co_u32 v4, s0, s4, v4
	v_add_co_ci_u32_e64 v5, null, s5, v5, s0
	s_and_saveexec_b32 s0, s3
	s_cbranch_execz .LBB325_2
; %bb.1:
	global_load_dword v8, v[2:3], off
	global_load_dword v7, v[4:5], off
.LBB325_2:
	s_or_b32 exec_lo, exec_lo, s0
	v_cmp_gt_i32_e64 s0, 2, v6
	s_xor_b32 s3, s1, -1
	s_or_b32 s0, s3, s0
	s_and_saveexec_b32 s3, s0
	s_xor_b32 s0, exec_lo, s3
                                        ; implicit-def: $vgpr9
	s_cbranch_execnz .LBB325_6
; %bb.3:
	s_or_saveexec_b32 s4, s0
	v_mov_b32_e32 v10, 1.0
	s_xor_b32 exec_lo, exec_lo, s4
	s_cbranch_execnz .LBB325_7
.LBB325_4:
	s_or_b32 exec_lo, exec_lo, s4
	s_and_saveexec_b32 s0, vcc_lo
	s_cbranch_execnz .LBB325_8
.LBB325_5:
	s_endpgm
.LBB325_6:
	v_mov_b32_e32 v9, 0
                                        ; implicit-def: $vgpr4
                                        ; implicit-def: $vgpr2
	s_or_saveexec_b32 s4, s0
	v_mov_b32_e32 v10, 1.0
	s_xor_b32 exec_lo, exec_lo, s4
	s_cbranch_execz .LBB325_4
.LBB325_7:
	s_mov_b32 s3, 0
	s_lshl_b64 s[6:7], s[2:3], 2
	v_add_co_u32 v4, s0, v4, s6
	v_add_co_ci_u32_e64 v5, null, s7, v5, s0
	v_add_co_u32 v2, s0, v2, s6
	v_add_co_ci_u32_e64 v3, null, s7, v3, s0
	global_load_dword v4, v[4:5], off
	global_load_dword v9, v[2:3], off
	s_waitcnt vmcnt(1)
	v_mul_f32_e32 v2, 0x3fb8aa3b, v4
	v_cmp_ngt_f32_e64 s0, 0xc2ce8ed0, v4
	v_fma_f32 v3, 0x3fb8aa3b, v4, -v2
	v_rndne_f32_e32 v5, v2
	v_fmamk_f32 v3, v4, 0x32a5705f, v3
	v_sub_f32_e32 v2, v2, v5
	v_add_f32_e32 v2, v2, v3
	v_cvt_i32_f32_e32 v3, v5
	v_exp_f32_e32 v2, v2
	v_ldexp_f32 v2, v2, v3
	v_cndmask_b32_e64 v2, 0, v2, s0
	v_cmp_nlt_f32_e64 s0, 0x42b17218, v4
	v_cndmask_b32_e64 v10, 0x7f800000, v2, s0
	s_or_b32 exec_lo, exec_lo, s4
	s_and_saveexec_b32 s0, vcc_lo
	s_cbranch_execz .LBB325_5
.LBB325_8:
	v_lshlrev_b64 v[0:1], 1, v[0:1]
	v_add_co_u32 v0, vcc_lo, s8, v0
	v_add_co_ci_u32_e64 v1, null, s9, v1, vcc_lo
	s_andn2_b32 vcc_lo, exec_lo, s1
	s_cbranch_vccnz .LBB325_10
; %bb.9:
	s_waitcnt vmcnt(0)
	v_mul_f32_e32 v2, 0x3fb8aa3b, v7
	v_cmp_ngt_f32_e32 vcc_lo, 0xc2ce8ed0, v7
	v_rndne_f32_e32 v3, v2
	v_fma_f32 v4, 0x3fb8aa3b, v7, -v2
	v_sub_f32_e32 v2, v2, v3
	v_fmamk_f32 v4, v7, 0x32a5705f, v4
	v_cvt_i32_f32_e32 v3, v3
	v_add_f32_e32 v2, v2, v4
	v_exp_f32_e32 v2, v2
	v_ldexp_f32 v2, v2, v3
	v_add_f32_e32 v3, 0, v8
	v_cndmask_b32_e32 v2, 0, v2, vcc_lo
	v_cmp_nlt_f32_e32 vcc_lo, 0x42b17218, v7
	v_cndmask_b32_e32 v2, 0x7f800000, v2, vcc_lo
	v_fma_f32 v2, -v3, v2, v8
	v_bfe_u32 v3, v2, 16, 1
	v_cmp_o_f32_e32 vcc_lo, v2, v2
	v_add3_u32 v2, v2, v3, 0x7fff
	v_mov_b32_e32 v3, 0x7fc0
	v_cndmask_b32_sdwa v2, v3, v2, vcc_lo dst_sel:DWORD dst_unused:UNUSED_PAD src0_sel:DWORD src1_sel:WORD_1
	global_store_short v[0:1], v2, off
.LBB325_10:
	v_cmp_ne_u32_e32 vcc_lo, 1, v6
	s_and_b32 s0, vcc_lo, s1
	s_and_b32 exec_lo, exec_lo, s0
	s_cbranch_execz .LBB325_5
; %bb.11:
	s_waitcnt vmcnt(0)
	v_add_f32_e32 v2, 0, v9
	s_mov_b32 s3, 0
	v_mov_b32_e32 v4, 0x7fc0
	s_lshl_b64 s[0:1], s[2:3], 1
	v_add_co_u32 v0, s0, v0, s0
	v_fma_f32 v2, -v2, v10, v9
	v_add_co_ci_u32_e64 v1, null, s1, v1, s0
	v_bfe_u32 v3, v2, 16, 1
	v_cmp_o_f32_e32 vcc_lo, v2, v2
	v_add3_u32 v2, v2, v3, 0x7fff
	v_cndmask_b32_sdwa v2, v4, v2, vcc_lo dst_sel:DWORD dst_unused:UNUSED_PAD src0_sel:DWORD src1_sel:WORD_1
	global_store_short v[0:1], v2, off
	s_endpgm
	.section	.rodata,"a",@progbits
	.p2align	6, 0x0
	.amdhsa_kernel _ZN12_GLOBAL__N_121softmax_warp_backwardIfN3c108BFloat16EfLi0ELb1ELb0ELi32EEEvPT0_PKT_S7_iiiPKb
		.amdhsa_group_segment_fixed_size 0
		.amdhsa_private_segment_fixed_size 0
		.amdhsa_kernarg_size 304
		.amdhsa_user_sgpr_count 6
		.amdhsa_user_sgpr_private_segment_buffer 1
		.amdhsa_user_sgpr_dispatch_ptr 0
		.amdhsa_user_sgpr_queue_ptr 0
		.amdhsa_user_sgpr_kernarg_segment_ptr 1
		.amdhsa_user_sgpr_dispatch_id 0
		.amdhsa_user_sgpr_flat_scratch_init 0
		.amdhsa_user_sgpr_private_segment_size 0
		.amdhsa_wavefront_size32 1
		.amdhsa_uses_dynamic_stack 0
		.amdhsa_system_sgpr_private_segment_wavefront_offset 0
		.amdhsa_system_sgpr_workgroup_id_x 1
		.amdhsa_system_sgpr_workgroup_id_y 0
		.amdhsa_system_sgpr_workgroup_id_z 0
		.amdhsa_system_sgpr_workgroup_info 0
		.amdhsa_system_vgpr_workitem_id 1
		.amdhsa_next_free_vgpr 11
		.amdhsa_next_free_sgpr 12
		.amdhsa_reserve_vcc 1
		.amdhsa_reserve_flat_scratch 0
		.amdhsa_float_round_mode_32 0
		.amdhsa_float_round_mode_16_64 0
		.amdhsa_float_denorm_mode_32 3
		.amdhsa_float_denorm_mode_16_64 3
		.amdhsa_dx10_clamp 1
		.amdhsa_ieee_mode 1
		.amdhsa_fp16_overflow 0
		.amdhsa_workgroup_processor_mode 1
		.amdhsa_memory_ordered 1
		.amdhsa_forward_progress 1
		.amdhsa_shared_vgpr_count 0
		.amdhsa_exception_fp_ieee_invalid_op 0
		.amdhsa_exception_fp_denorm_src 0
		.amdhsa_exception_fp_ieee_div_zero 0
		.amdhsa_exception_fp_ieee_overflow 0
		.amdhsa_exception_fp_ieee_underflow 0
		.amdhsa_exception_fp_ieee_inexact 0
		.amdhsa_exception_int_div_zero 0
	.end_amdhsa_kernel
	.section	.text._ZN12_GLOBAL__N_121softmax_warp_backwardIfN3c108BFloat16EfLi0ELb1ELb0ELi32EEEvPT0_PKT_S7_iiiPKb,"axG",@progbits,_ZN12_GLOBAL__N_121softmax_warp_backwardIfN3c108BFloat16EfLi0ELb1ELb0ELi32EEEvPT0_PKT_S7_iiiPKb,comdat
.Lfunc_end325:
	.size	_ZN12_GLOBAL__N_121softmax_warp_backwardIfN3c108BFloat16EfLi0ELb1ELb0ELi32EEEvPT0_PKT_S7_iiiPKb, .Lfunc_end325-_ZN12_GLOBAL__N_121softmax_warp_backwardIfN3c108BFloat16EfLi0ELb1ELb0ELi32EEEvPT0_PKT_S7_iiiPKb
                                        ; -- End function
	.set _ZN12_GLOBAL__N_121softmax_warp_backwardIfN3c108BFloat16EfLi0ELb1ELb0ELi32EEEvPT0_PKT_S7_iiiPKb.num_vgpr, 11
	.set _ZN12_GLOBAL__N_121softmax_warp_backwardIfN3c108BFloat16EfLi0ELb1ELb0ELi32EEEvPT0_PKT_S7_iiiPKb.num_agpr, 0
	.set _ZN12_GLOBAL__N_121softmax_warp_backwardIfN3c108BFloat16EfLi0ELb1ELb0ELi32EEEvPT0_PKT_S7_iiiPKb.numbered_sgpr, 12
	.set _ZN12_GLOBAL__N_121softmax_warp_backwardIfN3c108BFloat16EfLi0ELb1ELb0ELi32EEEvPT0_PKT_S7_iiiPKb.num_named_barrier, 0
	.set _ZN12_GLOBAL__N_121softmax_warp_backwardIfN3c108BFloat16EfLi0ELb1ELb0ELi32EEEvPT0_PKT_S7_iiiPKb.private_seg_size, 0
	.set _ZN12_GLOBAL__N_121softmax_warp_backwardIfN3c108BFloat16EfLi0ELb1ELb0ELi32EEEvPT0_PKT_S7_iiiPKb.uses_vcc, 1
	.set _ZN12_GLOBAL__N_121softmax_warp_backwardIfN3c108BFloat16EfLi0ELb1ELb0ELi32EEEvPT0_PKT_S7_iiiPKb.uses_flat_scratch, 0
	.set _ZN12_GLOBAL__N_121softmax_warp_backwardIfN3c108BFloat16EfLi0ELb1ELb0ELi32EEEvPT0_PKT_S7_iiiPKb.has_dyn_sized_stack, 0
	.set _ZN12_GLOBAL__N_121softmax_warp_backwardIfN3c108BFloat16EfLi0ELb1ELb0ELi32EEEvPT0_PKT_S7_iiiPKb.has_recursion, 0
	.set _ZN12_GLOBAL__N_121softmax_warp_backwardIfN3c108BFloat16EfLi0ELb1ELb0ELi32EEEvPT0_PKT_S7_iiiPKb.has_indirect_call, 0
	.section	.AMDGPU.csdata,"",@progbits
; Kernel info:
; codeLenInByte = 712
; TotalNumSgprs: 14
; NumVgprs: 11
; ScratchSize: 0
; MemoryBound: 0
; FloatMode: 240
; IeeeMode: 1
; LDSByteSize: 0 bytes/workgroup (compile time only)
; SGPRBlocks: 0
; VGPRBlocks: 1
; NumSGPRsForWavesPerEU: 14
; NumVGPRsForWavesPerEU: 11
; Occupancy: 16
; WaveLimiterHint : 0
; COMPUTE_PGM_RSRC2:SCRATCH_EN: 0
; COMPUTE_PGM_RSRC2:USER_SGPR: 6
; COMPUTE_PGM_RSRC2:TRAP_HANDLER: 0
; COMPUTE_PGM_RSRC2:TGID_X_EN: 1
; COMPUTE_PGM_RSRC2:TGID_Y_EN: 0
; COMPUTE_PGM_RSRC2:TGID_Z_EN: 0
; COMPUTE_PGM_RSRC2:TIDIG_COMP_CNT: 1
	.section	.text._ZN12_GLOBAL__N_121softmax_warp_backwardIfN3c108BFloat16EfLi1ELb1ELb0ELi64EEEvPT0_PKT_S7_iiiPKb,"axG",@progbits,_ZN12_GLOBAL__N_121softmax_warp_backwardIfN3c108BFloat16EfLi1ELb1ELb0ELi64EEEvPT0_PKT_S7_iiiPKb,comdat
	.globl	_ZN12_GLOBAL__N_121softmax_warp_backwardIfN3c108BFloat16EfLi1ELb1ELb0ELi64EEEvPT0_PKT_S7_iiiPKb ; -- Begin function _ZN12_GLOBAL__N_121softmax_warp_backwardIfN3c108BFloat16EfLi1ELb1ELb0ELi64EEEvPT0_PKT_S7_iiiPKb
	.p2align	8
	.type	_ZN12_GLOBAL__N_121softmax_warp_backwardIfN3c108BFloat16EfLi1ELb1ELb0ELi64EEEvPT0_PKT_S7_iiiPKb,@function
_ZN12_GLOBAL__N_121softmax_warp_backwardIfN3c108BFloat16EfLi1ELb1ELb0ELi64EEEvPT0_PKT_S7_iiiPKb: ; @_ZN12_GLOBAL__N_121softmax_warp_backwardIfN3c108BFloat16EfLi1ELb1ELb0ELi64EEEvPT0_PKT_S7_iiiPKb
; %bb.0:
	s_clause 0x1
	s_load_dword s7, s[4:5], 0x3c
	s_load_dwordx4 s[0:3], s[4:5], 0x18
	v_and_b32_e32 v3, 1, v0
	s_clause 0x1
	s_load_dwordx4 s[8:11], s[4:5], 0x0
	s_load_dwordx2 s[4:5], s[4:5], 0x10
	v_mov_b32_e32 v7, 0
	v_mov_b32_e32 v8, 0
	s_waitcnt lgkmcnt(0)
	s_lshr_b32 s3, s7, 16
	s_and_b32 s3, s3, 0xffff
	s_mul_i32 s6, s6, s3
	v_add_lshl_u32 v2, s6, v1, 1
	v_mul_lo_u32 v1, v2, s1
	v_sub_nc_u32_e32 v6, s0, v2
	v_cmp_gt_i32_e64 s0, s2, v3
	v_cmp_lt_i32_e32 vcc_lo, 0, v6
	v_or_b32_e32 v0, v1, v3
	s_and_b32 s3, s0, vcc_lo
	v_ashrrev_i32_e32 v1, 31, v0
	v_lshlrev_b64 v[4:5], 2, v[0:1]
	v_add_co_u32 v2, s1, s10, v4
	v_add_co_ci_u32_e64 v3, null, s11, v5, s1
	v_add_co_u32 v4, s1, s4, v4
	v_add_co_ci_u32_e64 v5, null, s5, v5, s1
	s_and_saveexec_b32 s1, s3
	s_cbranch_execz .LBB326_2
; %bb.1:
	global_load_dword v8, v[2:3], off
	global_load_dword v7, v[4:5], off
.LBB326_2:
	s_or_b32 exec_lo, exec_lo, s1
	v_cmp_gt_i32_e64 s1, 2, v6
	s_xor_b32 s3, s0, -1
	s_or_b32 s1, s3, s1
	s_and_saveexec_b32 s3, s1
	s_xor_b32 s1, exec_lo, s3
                                        ; implicit-def: $vgpr9
; %bb.3:
	v_mov_b32_e32 v9, 0
                                        ; implicit-def: $vgpr4
                                        ; implicit-def: $vgpr2
; %bb.4:
	s_or_saveexec_b32 s4, s1
	v_mov_b32_e32 v10, 1.0
	s_xor_b32 exec_lo, exec_lo, s4
	s_cbranch_execz .LBB326_6
; %bb.5:
	s_mov_b32 s3, 0
	s_lshl_b64 s[6:7], s[2:3], 2
	v_add_co_u32 v4, s1, v4, s6
	v_add_co_ci_u32_e64 v5, null, s7, v5, s1
	v_add_co_u32 v2, s1, v2, s6
	v_add_co_ci_u32_e64 v3, null, s7, v3, s1
	global_load_dword v4, v[4:5], off
	global_load_dword v9, v[2:3], off
	s_waitcnt vmcnt(1)
	v_mul_f32_e32 v2, 0x3fb8aa3b, v4
	v_cmp_ngt_f32_e64 s1, 0xc2ce8ed0, v4
	v_fma_f32 v3, 0x3fb8aa3b, v4, -v2
	v_rndne_f32_e32 v5, v2
	v_fmamk_f32 v3, v4, 0x32a5705f, v3
	v_sub_f32_e32 v2, v2, v5
	v_add_f32_e32 v2, v2, v3
	v_cvt_i32_f32_e32 v3, v5
	v_exp_f32_e32 v2, v2
	v_ldexp_f32 v2, v2, v3
	v_cndmask_b32_e64 v2, 0, v2, s1
	v_cmp_nlt_f32_e64 s1, 0x42b17218, v4
	v_cndmask_b32_e64 v10, 0x7f800000, v2, s1
.LBB326_6:
	s_or_b32 exec_lo, exec_lo, s4
	v_mbcnt_lo_u32_b32 v2, -1, 0
	v_and_b32_e32 v3, 30, v2
	v_xor_b32_e32 v4, 1, v2
	v_add_nc_u32_e32 v3, 2, v3
	v_cmp_lt_i32_e64 s1, v4, v3
	v_cndmask_b32_e64 v2, v2, v4, s1
	s_waitcnt vmcnt(1)
	v_add_f32_e32 v4, 0, v8
	v_lshlrev_b32_e32 v3, 2, v2
	s_waitcnt vmcnt(0)
	v_add_f32_e32 v2, 0, v9
	ds_bpermute_b32 v5, v3, v4
	ds_bpermute_b32 v3, v3, v2
	s_and_saveexec_b32 s1, vcc_lo
	s_cbranch_execz .LBB326_11
; %bb.7:
	v_lshlrev_b64 v[0:1], 1, v[0:1]
	v_add_co_u32 v0, vcc_lo, s8, v0
	v_add_co_ci_u32_e64 v1, null, s9, v1, vcc_lo
	s_and_saveexec_b32 s1, s0
	s_cbranch_execz .LBB326_9
; %bb.8:
	v_mul_f32_e32 v11, 0x3fb8aa3b, v7
	v_cmp_ngt_f32_e32 vcc_lo, 0xc2ce8ed0, v7
	s_waitcnt lgkmcnt(1)
	v_add_f32_e32 v4, v4, v5
	v_rndne_f32_e32 v12, v11
	v_fma_f32 v13, 0x3fb8aa3b, v7, -v11
	v_sub_f32_e32 v11, v11, v12
	v_fmamk_f32 v13, v7, 0x32a5705f, v13
	v_cvt_i32_f32_e32 v12, v12
	v_add_f32_e32 v11, v11, v13
	v_exp_f32_e32 v11, v11
	v_ldexp_f32 v11, v11, v12
	v_cndmask_b32_e32 v11, 0, v11, vcc_lo
	v_cmp_nlt_f32_e32 vcc_lo, 0x42b17218, v7
	v_cndmask_b32_e32 v5, 0x7f800000, v11, vcc_lo
	v_fma_f32 v4, -v4, v5, v8
	v_bfe_u32 v5, v4, 16, 1
	v_cmp_o_f32_e32 vcc_lo, v4, v4
	v_add3_u32 v4, v4, v5, 0x7fff
	v_mov_b32_e32 v5, 0x7fc0
	v_cndmask_b32_sdwa v4, v5, v4, vcc_lo dst_sel:DWORD dst_unused:UNUSED_PAD src0_sel:DWORD src1_sel:WORD_1
	global_store_short v[0:1], v4, off
.LBB326_9:
	s_or_b32 exec_lo, exec_lo, s1
	v_cmp_ne_u32_e32 vcc_lo, 1, v6
	s_and_b32 s0, vcc_lo, s0
	s_and_b32 exec_lo, exec_lo, s0
	s_cbranch_execz .LBB326_11
; %bb.10:
	s_waitcnt lgkmcnt(0)
	v_add_f32_e32 v2, v2, v3
	s_mov_b32 s3, 0
	v_mov_b32_e32 v4, 0x7fc0
	s_lshl_b64 s[0:1], s[2:3], 1
	v_add_co_u32 v0, s0, v0, s0
	v_fma_f32 v2, -v2, v10, v9
	v_add_co_ci_u32_e64 v1, null, s1, v1, s0
	v_bfe_u32 v3, v2, 16, 1
	v_cmp_o_f32_e32 vcc_lo, v2, v2
	v_add3_u32 v2, v2, v3, 0x7fff
	v_cndmask_b32_sdwa v2, v4, v2, vcc_lo dst_sel:DWORD dst_unused:UNUSED_PAD src0_sel:DWORD src1_sel:WORD_1
	global_store_short v[0:1], v2, off
.LBB326_11:
	s_endpgm
	.section	.rodata,"a",@progbits
	.p2align	6, 0x0
	.amdhsa_kernel _ZN12_GLOBAL__N_121softmax_warp_backwardIfN3c108BFloat16EfLi1ELb1ELb0ELi64EEEvPT0_PKT_S7_iiiPKb
		.amdhsa_group_segment_fixed_size 0
		.amdhsa_private_segment_fixed_size 0
		.amdhsa_kernarg_size 304
		.amdhsa_user_sgpr_count 6
		.amdhsa_user_sgpr_private_segment_buffer 1
		.amdhsa_user_sgpr_dispatch_ptr 0
		.amdhsa_user_sgpr_queue_ptr 0
		.amdhsa_user_sgpr_kernarg_segment_ptr 1
		.amdhsa_user_sgpr_dispatch_id 0
		.amdhsa_user_sgpr_flat_scratch_init 0
		.amdhsa_user_sgpr_private_segment_size 0
		.amdhsa_wavefront_size32 1
		.amdhsa_uses_dynamic_stack 0
		.amdhsa_system_sgpr_private_segment_wavefront_offset 0
		.amdhsa_system_sgpr_workgroup_id_x 1
		.amdhsa_system_sgpr_workgroup_id_y 0
		.amdhsa_system_sgpr_workgroup_id_z 0
		.amdhsa_system_sgpr_workgroup_info 0
		.amdhsa_system_vgpr_workitem_id 1
		.amdhsa_next_free_vgpr 14
		.amdhsa_next_free_sgpr 12
		.amdhsa_reserve_vcc 1
		.amdhsa_reserve_flat_scratch 0
		.amdhsa_float_round_mode_32 0
		.amdhsa_float_round_mode_16_64 0
		.amdhsa_float_denorm_mode_32 3
		.amdhsa_float_denorm_mode_16_64 3
		.amdhsa_dx10_clamp 1
		.amdhsa_ieee_mode 1
		.amdhsa_fp16_overflow 0
		.amdhsa_workgroup_processor_mode 1
		.amdhsa_memory_ordered 1
		.amdhsa_forward_progress 1
		.amdhsa_shared_vgpr_count 0
		.amdhsa_exception_fp_ieee_invalid_op 0
		.amdhsa_exception_fp_denorm_src 0
		.amdhsa_exception_fp_ieee_div_zero 0
		.amdhsa_exception_fp_ieee_overflow 0
		.amdhsa_exception_fp_ieee_underflow 0
		.amdhsa_exception_fp_ieee_inexact 0
		.amdhsa_exception_int_div_zero 0
	.end_amdhsa_kernel
	.section	.text._ZN12_GLOBAL__N_121softmax_warp_backwardIfN3c108BFloat16EfLi1ELb1ELb0ELi64EEEvPT0_PKT_S7_iiiPKb,"axG",@progbits,_ZN12_GLOBAL__N_121softmax_warp_backwardIfN3c108BFloat16EfLi1ELb1ELb0ELi64EEEvPT0_PKT_S7_iiiPKb,comdat
.Lfunc_end326:
	.size	_ZN12_GLOBAL__N_121softmax_warp_backwardIfN3c108BFloat16EfLi1ELb1ELb0ELi64EEEvPT0_PKT_S7_iiiPKb, .Lfunc_end326-_ZN12_GLOBAL__N_121softmax_warp_backwardIfN3c108BFloat16EfLi1ELb1ELb0ELi64EEEvPT0_PKT_S7_iiiPKb
                                        ; -- End function
	.set _ZN12_GLOBAL__N_121softmax_warp_backwardIfN3c108BFloat16EfLi1ELb1ELb0ELi64EEEvPT0_PKT_S7_iiiPKb.num_vgpr, 14
	.set _ZN12_GLOBAL__N_121softmax_warp_backwardIfN3c108BFloat16EfLi1ELb1ELb0ELi64EEEvPT0_PKT_S7_iiiPKb.num_agpr, 0
	.set _ZN12_GLOBAL__N_121softmax_warp_backwardIfN3c108BFloat16EfLi1ELb1ELb0ELi64EEEvPT0_PKT_S7_iiiPKb.numbered_sgpr, 12
	.set _ZN12_GLOBAL__N_121softmax_warp_backwardIfN3c108BFloat16EfLi1ELb1ELb0ELi64EEEvPT0_PKT_S7_iiiPKb.num_named_barrier, 0
	.set _ZN12_GLOBAL__N_121softmax_warp_backwardIfN3c108BFloat16EfLi1ELb1ELb0ELi64EEEvPT0_PKT_S7_iiiPKb.private_seg_size, 0
	.set _ZN12_GLOBAL__N_121softmax_warp_backwardIfN3c108BFloat16EfLi1ELb1ELb0ELi64EEEvPT0_PKT_S7_iiiPKb.uses_vcc, 1
	.set _ZN12_GLOBAL__N_121softmax_warp_backwardIfN3c108BFloat16EfLi1ELb1ELb0ELi64EEEvPT0_PKT_S7_iiiPKb.uses_flat_scratch, 0
	.set _ZN12_GLOBAL__N_121softmax_warp_backwardIfN3c108BFloat16EfLi1ELb1ELb0ELi64EEEvPT0_PKT_S7_iiiPKb.has_dyn_sized_stack, 0
	.set _ZN12_GLOBAL__N_121softmax_warp_backwardIfN3c108BFloat16EfLi1ELb1ELb0ELi64EEEvPT0_PKT_S7_iiiPKb.has_recursion, 0
	.set _ZN12_GLOBAL__N_121softmax_warp_backwardIfN3c108BFloat16EfLi1ELb1ELb0ELi64EEEvPT0_PKT_S7_iiiPKb.has_indirect_call, 0
	.section	.AMDGPU.csdata,"",@progbits
; Kernel info:
; codeLenInByte = 764
; TotalNumSgprs: 14
; NumVgprs: 14
; ScratchSize: 0
; MemoryBound: 0
; FloatMode: 240
; IeeeMode: 1
; LDSByteSize: 0 bytes/workgroup (compile time only)
; SGPRBlocks: 0
; VGPRBlocks: 1
; NumSGPRsForWavesPerEU: 14
; NumVGPRsForWavesPerEU: 14
; Occupancy: 16
; WaveLimiterHint : 0
; COMPUTE_PGM_RSRC2:SCRATCH_EN: 0
; COMPUTE_PGM_RSRC2:USER_SGPR: 6
; COMPUTE_PGM_RSRC2:TRAP_HANDLER: 0
; COMPUTE_PGM_RSRC2:TGID_X_EN: 1
; COMPUTE_PGM_RSRC2:TGID_Y_EN: 0
; COMPUTE_PGM_RSRC2:TGID_Z_EN: 0
; COMPUTE_PGM_RSRC2:TIDIG_COMP_CNT: 1
	.section	.text._ZN12_GLOBAL__N_121softmax_warp_backwardIfN3c108BFloat16EfLi1ELb1ELb0ELi32EEEvPT0_PKT_S7_iiiPKb,"axG",@progbits,_ZN12_GLOBAL__N_121softmax_warp_backwardIfN3c108BFloat16EfLi1ELb1ELb0ELi32EEEvPT0_PKT_S7_iiiPKb,comdat
	.globl	_ZN12_GLOBAL__N_121softmax_warp_backwardIfN3c108BFloat16EfLi1ELb1ELb0ELi32EEEvPT0_PKT_S7_iiiPKb ; -- Begin function _ZN12_GLOBAL__N_121softmax_warp_backwardIfN3c108BFloat16EfLi1ELb1ELb0ELi32EEEvPT0_PKT_S7_iiiPKb
	.p2align	8
	.type	_ZN12_GLOBAL__N_121softmax_warp_backwardIfN3c108BFloat16EfLi1ELb1ELb0ELi32EEEvPT0_PKT_S7_iiiPKb,@function
_ZN12_GLOBAL__N_121softmax_warp_backwardIfN3c108BFloat16EfLi1ELb1ELb0ELi32EEEvPT0_PKT_S7_iiiPKb: ; @_ZN12_GLOBAL__N_121softmax_warp_backwardIfN3c108BFloat16EfLi1ELb1ELb0ELi32EEEvPT0_PKT_S7_iiiPKb
; %bb.0:
	s_clause 0x1
	s_load_dword s7, s[4:5], 0x3c
	s_load_dwordx4 s[0:3], s[4:5], 0x18
	v_and_b32_e32 v3, 1, v0
	s_clause 0x1
	s_load_dwordx4 s[8:11], s[4:5], 0x0
	s_load_dwordx2 s[4:5], s[4:5], 0x10
	v_mov_b32_e32 v7, 0
	v_mov_b32_e32 v8, 0
	s_waitcnt lgkmcnt(0)
	s_lshr_b32 s3, s7, 16
	s_and_b32 s3, s3, 0xffff
	s_mul_i32 s6, s6, s3
	v_add_lshl_u32 v2, s6, v1, 1
	v_mul_lo_u32 v1, v2, s1
	v_sub_nc_u32_e32 v6, s0, v2
	v_cmp_gt_i32_e64 s0, s2, v3
	v_cmp_lt_i32_e32 vcc_lo, 0, v6
	v_or_b32_e32 v0, v1, v3
	s_and_b32 s3, s0, vcc_lo
	v_ashrrev_i32_e32 v1, 31, v0
	v_lshlrev_b64 v[4:5], 2, v[0:1]
	v_add_co_u32 v2, s1, s10, v4
	v_add_co_ci_u32_e64 v3, null, s11, v5, s1
	v_add_co_u32 v4, s1, s4, v4
	v_add_co_ci_u32_e64 v5, null, s5, v5, s1
	s_and_saveexec_b32 s1, s3
	s_cbranch_execz .LBB327_2
; %bb.1:
	global_load_dword v8, v[2:3], off
	global_load_dword v7, v[4:5], off
.LBB327_2:
	s_or_b32 exec_lo, exec_lo, s1
	v_cmp_gt_i32_e64 s1, 2, v6
	s_xor_b32 s3, s0, -1
	s_or_b32 s1, s3, s1
	s_and_saveexec_b32 s3, s1
	s_xor_b32 s1, exec_lo, s3
                                        ; implicit-def: $vgpr9
; %bb.3:
	v_mov_b32_e32 v9, 0
                                        ; implicit-def: $vgpr4
                                        ; implicit-def: $vgpr2
; %bb.4:
	s_or_saveexec_b32 s4, s1
	v_mov_b32_e32 v10, 1.0
	s_xor_b32 exec_lo, exec_lo, s4
	s_cbranch_execz .LBB327_6
; %bb.5:
	s_mov_b32 s3, 0
	s_lshl_b64 s[6:7], s[2:3], 2
	v_add_co_u32 v4, s1, v4, s6
	v_add_co_ci_u32_e64 v5, null, s7, v5, s1
	v_add_co_u32 v2, s1, v2, s6
	v_add_co_ci_u32_e64 v3, null, s7, v3, s1
	global_load_dword v4, v[4:5], off
	global_load_dword v9, v[2:3], off
	s_waitcnt vmcnt(1)
	v_mul_f32_e32 v2, 0x3fb8aa3b, v4
	v_cmp_ngt_f32_e64 s1, 0xc2ce8ed0, v4
	v_fma_f32 v3, 0x3fb8aa3b, v4, -v2
	v_rndne_f32_e32 v5, v2
	v_fmamk_f32 v3, v4, 0x32a5705f, v3
	v_sub_f32_e32 v2, v2, v5
	v_add_f32_e32 v2, v2, v3
	v_cvt_i32_f32_e32 v3, v5
	v_exp_f32_e32 v2, v2
	v_ldexp_f32 v2, v2, v3
	v_cndmask_b32_e64 v2, 0, v2, s1
	v_cmp_nlt_f32_e64 s1, 0x42b17218, v4
	v_cndmask_b32_e64 v10, 0x7f800000, v2, s1
.LBB327_6:
	s_or_b32 exec_lo, exec_lo, s4
	v_mbcnt_lo_u32_b32 v2, -1, 0
	v_and_b32_e32 v3, 30, v2
	v_xor_b32_e32 v4, 1, v2
	v_add_nc_u32_e32 v3, 2, v3
	v_cmp_lt_i32_e64 s1, v4, v3
	v_cndmask_b32_e64 v2, v2, v4, s1
	s_waitcnt vmcnt(1)
	v_add_f32_e32 v4, 0, v8
	v_lshlrev_b32_e32 v3, 2, v2
	s_waitcnt vmcnt(0)
	v_add_f32_e32 v2, 0, v9
	ds_bpermute_b32 v5, v3, v4
	ds_bpermute_b32 v3, v3, v2
	s_and_saveexec_b32 s1, vcc_lo
	s_cbranch_execz .LBB327_11
; %bb.7:
	v_lshlrev_b64 v[0:1], 1, v[0:1]
	v_add_co_u32 v0, vcc_lo, s8, v0
	v_add_co_ci_u32_e64 v1, null, s9, v1, vcc_lo
	s_and_saveexec_b32 s1, s0
	s_cbranch_execz .LBB327_9
; %bb.8:
	v_mul_f32_e32 v11, 0x3fb8aa3b, v7
	v_cmp_ngt_f32_e32 vcc_lo, 0xc2ce8ed0, v7
	s_waitcnt lgkmcnt(1)
	v_add_f32_e32 v4, v4, v5
	v_rndne_f32_e32 v12, v11
	v_fma_f32 v13, 0x3fb8aa3b, v7, -v11
	v_sub_f32_e32 v11, v11, v12
	v_fmamk_f32 v13, v7, 0x32a5705f, v13
	v_cvt_i32_f32_e32 v12, v12
	v_add_f32_e32 v11, v11, v13
	v_exp_f32_e32 v11, v11
	v_ldexp_f32 v11, v11, v12
	v_cndmask_b32_e32 v11, 0, v11, vcc_lo
	v_cmp_nlt_f32_e32 vcc_lo, 0x42b17218, v7
	v_cndmask_b32_e32 v5, 0x7f800000, v11, vcc_lo
	v_fma_f32 v4, -v4, v5, v8
	v_bfe_u32 v5, v4, 16, 1
	v_cmp_o_f32_e32 vcc_lo, v4, v4
	v_add3_u32 v4, v4, v5, 0x7fff
	v_mov_b32_e32 v5, 0x7fc0
	v_cndmask_b32_sdwa v4, v5, v4, vcc_lo dst_sel:DWORD dst_unused:UNUSED_PAD src0_sel:DWORD src1_sel:WORD_1
	global_store_short v[0:1], v4, off
.LBB327_9:
	s_or_b32 exec_lo, exec_lo, s1
	v_cmp_ne_u32_e32 vcc_lo, 1, v6
	s_and_b32 s0, vcc_lo, s0
	s_and_b32 exec_lo, exec_lo, s0
	s_cbranch_execz .LBB327_11
; %bb.10:
	s_waitcnt lgkmcnt(0)
	v_add_f32_e32 v2, v2, v3
	s_mov_b32 s3, 0
	v_mov_b32_e32 v4, 0x7fc0
	s_lshl_b64 s[0:1], s[2:3], 1
	v_add_co_u32 v0, s0, v0, s0
	v_fma_f32 v2, -v2, v10, v9
	v_add_co_ci_u32_e64 v1, null, s1, v1, s0
	v_bfe_u32 v3, v2, 16, 1
	v_cmp_o_f32_e32 vcc_lo, v2, v2
	v_add3_u32 v2, v2, v3, 0x7fff
	v_cndmask_b32_sdwa v2, v4, v2, vcc_lo dst_sel:DWORD dst_unused:UNUSED_PAD src0_sel:DWORD src1_sel:WORD_1
	global_store_short v[0:1], v2, off
.LBB327_11:
	s_endpgm
	.section	.rodata,"a",@progbits
	.p2align	6, 0x0
	.amdhsa_kernel _ZN12_GLOBAL__N_121softmax_warp_backwardIfN3c108BFloat16EfLi1ELb1ELb0ELi32EEEvPT0_PKT_S7_iiiPKb
		.amdhsa_group_segment_fixed_size 0
		.amdhsa_private_segment_fixed_size 0
		.amdhsa_kernarg_size 304
		.amdhsa_user_sgpr_count 6
		.amdhsa_user_sgpr_private_segment_buffer 1
		.amdhsa_user_sgpr_dispatch_ptr 0
		.amdhsa_user_sgpr_queue_ptr 0
		.amdhsa_user_sgpr_kernarg_segment_ptr 1
		.amdhsa_user_sgpr_dispatch_id 0
		.amdhsa_user_sgpr_flat_scratch_init 0
		.amdhsa_user_sgpr_private_segment_size 0
		.amdhsa_wavefront_size32 1
		.amdhsa_uses_dynamic_stack 0
		.amdhsa_system_sgpr_private_segment_wavefront_offset 0
		.amdhsa_system_sgpr_workgroup_id_x 1
		.amdhsa_system_sgpr_workgroup_id_y 0
		.amdhsa_system_sgpr_workgroup_id_z 0
		.amdhsa_system_sgpr_workgroup_info 0
		.amdhsa_system_vgpr_workitem_id 1
		.amdhsa_next_free_vgpr 14
		.amdhsa_next_free_sgpr 12
		.amdhsa_reserve_vcc 1
		.amdhsa_reserve_flat_scratch 0
		.amdhsa_float_round_mode_32 0
		.amdhsa_float_round_mode_16_64 0
		.amdhsa_float_denorm_mode_32 3
		.amdhsa_float_denorm_mode_16_64 3
		.amdhsa_dx10_clamp 1
		.amdhsa_ieee_mode 1
		.amdhsa_fp16_overflow 0
		.amdhsa_workgroup_processor_mode 1
		.amdhsa_memory_ordered 1
		.amdhsa_forward_progress 1
		.amdhsa_shared_vgpr_count 0
		.amdhsa_exception_fp_ieee_invalid_op 0
		.amdhsa_exception_fp_denorm_src 0
		.amdhsa_exception_fp_ieee_div_zero 0
		.amdhsa_exception_fp_ieee_overflow 0
		.amdhsa_exception_fp_ieee_underflow 0
		.amdhsa_exception_fp_ieee_inexact 0
		.amdhsa_exception_int_div_zero 0
	.end_amdhsa_kernel
	.section	.text._ZN12_GLOBAL__N_121softmax_warp_backwardIfN3c108BFloat16EfLi1ELb1ELb0ELi32EEEvPT0_PKT_S7_iiiPKb,"axG",@progbits,_ZN12_GLOBAL__N_121softmax_warp_backwardIfN3c108BFloat16EfLi1ELb1ELb0ELi32EEEvPT0_PKT_S7_iiiPKb,comdat
.Lfunc_end327:
	.size	_ZN12_GLOBAL__N_121softmax_warp_backwardIfN3c108BFloat16EfLi1ELb1ELb0ELi32EEEvPT0_PKT_S7_iiiPKb, .Lfunc_end327-_ZN12_GLOBAL__N_121softmax_warp_backwardIfN3c108BFloat16EfLi1ELb1ELb0ELi32EEEvPT0_PKT_S7_iiiPKb
                                        ; -- End function
	.set _ZN12_GLOBAL__N_121softmax_warp_backwardIfN3c108BFloat16EfLi1ELb1ELb0ELi32EEEvPT0_PKT_S7_iiiPKb.num_vgpr, 14
	.set _ZN12_GLOBAL__N_121softmax_warp_backwardIfN3c108BFloat16EfLi1ELb1ELb0ELi32EEEvPT0_PKT_S7_iiiPKb.num_agpr, 0
	.set _ZN12_GLOBAL__N_121softmax_warp_backwardIfN3c108BFloat16EfLi1ELb1ELb0ELi32EEEvPT0_PKT_S7_iiiPKb.numbered_sgpr, 12
	.set _ZN12_GLOBAL__N_121softmax_warp_backwardIfN3c108BFloat16EfLi1ELb1ELb0ELi32EEEvPT0_PKT_S7_iiiPKb.num_named_barrier, 0
	.set _ZN12_GLOBAL__N_121softmax_warp_backwardIfN3c108BFloat16EfLi1ELb1ELb0ELi32EEEvPT0_PKT_S7_iiiPKb.private_seg_size, 0
	.set _ZN12_GLOBAL__N_121softmax_warp_backwardIfN3c108BFloat16EfLi1ELb1ELb0ELi32EEEvPT0_PKT_S7_iiiPKb.uses_vcc, 1
	.set _ZN12_GLOBAL__N_121softmax_warp_backwardIfN3c108BFloat16EfLi1ELb1ELb0ELi32EEEvPT0_PKT_S7_iiiPKb.uses_flat_scratch, 0
	.set _ZN12_GLOBAL__N_121softmax_warp_backwardIfN3c108BFloat16EfLi1ELb1ELb0ELi32EEEvPT0_PKT_S7_iiiPKb.has_dyn_sized_stack, 0
	.set _ZN12_GLOBAL__N_121softmax_warp_backwardIfN3c108BFloat16EfLi1ELb1ELb0ELi32EEEvPT0_PKT_S7_iiiPKb.has_recursion, 0
	.set _ZN12_GLOBAL__N_121softmax_warp_backwardIfN3c108BFloat16EfLi1ELb1ELb0ELi32EEEvPT0_PKT_S7_iiiPKb.has_indirect_call, 0
	.section	.AMDGPU.csdata,"",@progbits
; Kernel info:
; codeLenInByte = 764
; TotalNumSgprs: 14
; NumVgprs: 14
; ScratchSize: 0
; MemoryBound: 0
; FloatMode: 240
; IeeeMode: 1
; LDSByteSize: 0 bytes/workgroup (compile time only)
; SGPRBlocks: 0
; VGPRBlocks: 1
; NumSGPRsForWavesPerEU: 14
; NumVGPRsForWavesPerEU: 14
; Occupancy: 16
; WaveLimiterHint : 0
; COMPUTE_PGM_RSRC2:SCRATCH_EN: 0
; COMPUTE_PGM_RSRC2:USER_SGPR: 6
; COMPUTE_PGM_RSRC2:TRAP_HANDLER: 0
; COMPUTE_PGM_RSRC2:TGID_X_EN: 1
; COMPUTE_PGM_RSRC2:TGID_Y_EN: 0
; COMPUTE_PGM_RSRC2:TGID_Z_EN: 0
; COMPUTE_PGM_RSRC2:TIDIG_COMP_CNT: 1
	.section	.text._ZN12_GLOBAL__N_121softmax_warp_backwardIfN3c108BFloat16EfLi2ELb1ELb0ELi64EEEvPT0_PKT_S7_iiiPKb,"axG",@progbits,_ZN12_GLOBAL__N_121softmax_warp_backwardIfN3c108BFloat16EfLi2ELb1ELb0ELi64EEEvPT0_PKT_S7_iiiPKb,comdat
	.globl	_ZN12_GLOBAL__N_121softmax_warp_backwardIfN3c108BFloat16EfLi2ELb1ELb0ELi64EEEvPT0_PKT_S7_iiiPKb ; -- Begin function _ZN12_GLOBAL__N_121softmax_warp_backwardIfN3c108BFloat16EfLi2ELb1ELb0ELi64EEEvPT0_PKT_S7_iiiPKb
	.p2align	8
	.type	_ZN12_GLOBAL__N_121softmax_warp_backwardIfN3c108BFloat16EfLi2ELb1ELb0ELi64EEEvPT0_PKT_S7_iiiPKb,@function
_ZN12_GLOBAL__N_121softmax_warp_backwardIfN3c108BFloat16EfLi2ELb1ELb0ELi64EEEvPT0_PKT_S7_iiiPKb: ; @_ZN12_GLOBAL__N_121softmax_warp_backwardIfN3c108BFloat16EfLi2ELb1ELb0ELi64EEEvPT0_PKT_S7_iiiPKb
; %bb.0:
	s_clause 0x1
	s_load_dword s7, s[4:5], 0x3c
	s_load_dwordx4 s[0:3], s[4:5], 0x18
	v_and_b32_e32 v2, 3, v0
	s_clause 0x1
	s_load_dwordx4 s[8:11], s[4:5], 0x0
	s_load_dwordx2 s[4:5], s[4:5], 0x10
	v_mov_b32_e32 v7, 0
	v_mov_b32_e32 v8, 0
	s_waitcnt lgkmcnt(0)
	s_lshr_b32 s3, s7, 16
	s_and_b32 s3, s3, 0xffff
	s_mul_i32 s6, s6, s3
	v_add_lshl_u32 v3, s6, v1, 1
	v_mad_u64_u32 v[0:1], null, v3, s1, v[2:3]
	v_sub_nc_u32_e32 v6, s0, v3
	v_cmp_gt_i32_e64 s0, s2, v2
	v_cmp_lt_i32_e32 vcc_lo, 0, v6
	v_ashrrev_i32_e32 v1, 31, v0
	s_and_b32 s3, s0, vcc_lo
	v_lshlrev_b64 v[4:5], 2, v[0:1]
	v_add_co_u32 v2, s1, s10, v4
	v_add_co_ci_u32_e64 v3, null, s11, v5, s1
	v_add_co_u32 v4, s1, s4, v4
	v_add_co_ci_u32_e64 v5, null, s5, v5, s1
	s_and_saveexec_b32 s1, s3
	s_cbranch_execz .LBB328_2
; %bb.1:
	global_load_dword v8, v[2:3], off
	global_load_dword v7, v[4:5], off
.LBB328_2:
	s_or_b32 exec_lo, exec_lo, s1
	v_cmp_gt_i32_e64 s1, 2, v6
	s_xor_b32 s3, s0, -1
	s_or_b32 s1, s3, s1
	s_and_saveexec_b32 s3, s1
	s_xor_b32 s1, exec_lo, s3
                                        ; implicit-def: $vgpr9
; %bb.3:
	v_mov_b32_e32 v9, 0
                                        ; implicit-def: $vgpr4
                                        ; implicit-def: $vgpr2
; %bb.4:
	s_or_saveexec_b32 s4, s1
	v_mov_b32_e32 v10, 1.0
	s_xor_b32 exec_lo, exec_lo, s4
	s_cbranch_execz .LBB328_6
; %bb.5:
	s_mov_b32 s3, 0
	s_lshl_b64 s[6:7], s[2:3], 2
	v_add_co_u32 v4, s1, v4, s6
	v_add_co_ci_u32_e64 v5, null, s7, v5, s1
	v_add_co_u32 v2, s1, v2, s6
	v_add_co_ci_u32_e64 v3, null, s7, v3, s1
	global_load_dword v4, v[4:5], off
	global_load_dword v9, v[2:3], off
	s_waitcnt vmcnt(1)
	v_mul_f32_e32 v2, 0x3fb8aa3b, v4
	v_cmp_ngt_f32_e64 s1, 0xc2ce8ed0, v4
	v_fma_f32 v3, 0x3fb8aa3b, v4, -v2
	v_rndne_f32_e32 v5, v2
	v_fmamk_f32 v3, v4, 0x32a5705f, v3
	v_sub_f32_e32 v2, v2, v5
	v_add_f32_e32 v2, v2, v3
	v_cvt_i32_f32_e32 v3, v5
	v_exp_f32_e32 v2, v2
	v_ldexp_f32 v2, v2, v3
	v_cndmask_b32_e64 v2, 0, v2, s1
	v_cmp_nlt_f32_e64 s1, 0x42b17218, v4
	v_cndmask_b32_e64 v10, 0x7f800000, v2, s1
.LBB328_6:
	s_or_b32 exec_lo, exec_lo, s4
	v_mbcnt_lo_u32_b32 v2, -1, 0
	s_waitcnt vmcnt(1)
	v_add_f32_e32 v5, 0, v8
	s_waitcnt vmcnt(0)
	v_add_f32_e32 v11, 0, v9
	v_and_b32_e32 v3, 28, v2
	v_xor_b32_e32 v4, 2, v2
	v_add_nc_u32_e32 v3, 4, v3
	v_cmp_lt_i32_e64 s1, v4, v3
	v_cndmask_b32_e64 v4, v2, v4, s1
	v_lshlrev_b32_e32 v4, 2, v4
	ds_bpermute_b32 v12, v4, v5
	ds_bpermute_b32 v13, v4, v11
	v_xor_b32_e32 v4, 1, v2
	v_cmp_lt_i32_e64 s1, v4, v3
	v_cndmask_b32_e64 v2, v2, v4, s1
	v_lshlrev_b32_e32 v3, 2, v2
	s_waitcnt lgkmcnt(1)
	v_add_f32_e32 v4, v5, v12
	s_waitcnt lgkmcnt(0)
	v_add_f32_e32 v2, v11, v13
	ds_bpermute_b32 v5, v3, v4
	ds_bpermute_b32 v3, v3, v2
	s_and_saveexec_b32 s1, vcc_lo
	s_cbranch_execz .LBB328_11
; %bb.7:
	v_lshlrev_b64 v[0:1], 1, v[0:1]
	v_add_co_u32 v0, vcc_lo, s8, v0
	v_add_co_ci_u32_e64 v1, null, s9, v1, vcc_lo
	s_and_saveexec_b32 s1, s0
	s_cbranch_execz .LBB328_9
; %bb.8:
	v_mul_f32_e32 v11, 0x3fb8aa3b, v7
	v_cmp_ngt_f32_e32 vcc_lo, 0xc2ce8ed0, v7
	s_waitcnt lgkmcnt(1)
	v_add_f32_e32 v4, v4, v5
	v_rndne_f32_e32 v12, v11
	v_fma_f32 v13, 0x3fb8aa3b, v7, -v11
	v_sub_f32_e32 v11, v11, v12
	v_fmamk_f32 v13, v7, 0x32a5705f, v13
	v_cvt_i32_f32_e32 v12, v12
	v_add_f32_e32 v11, v11, v13
	v_exp_f32_e32 v11, v11
	v_ldexp_f32 v11, v11, v12
	v_cndmask_b32_e32 v11, 0, v11, vcc_lo
	v_cmp_nlt_f32_e32 vcc_lo, 0x42b17218, v7
	v_cndmask_b32_e32 v5, 0x7f800000, v11, vcc_lo
	v_fma_f32 v4, -v4, v5, v8
	v_bfe_u32 v5, v4, 16, 1
	v_cmp_o_f32_e32 vcc_lo, v4, v4
	v_add3_u32 v4, v4, v5, 0x7fff
	v_mov_b32_e32 v5, 0x7fc0
	v_cndmask_b32_sdwa v4, v5, v4, vcc_lo dst_sel:DWORD dst_unused:UNUSED_PAD src0_sel:DWORD src1_sel:WORD_1
	global_store_short v[0:1], v4, off
.LBB328_9:
	s_or_b32 exec_lo, exec_lo, s1
	v_cmp_ne_u32_e32 vcc_lo, 1, v6
	s_and_b32 s0, vcc_lo, s0
	s_and_b32 exec_lo, exec_lo, s0
	s_cbranch_execz .LBB328_11
; %bb.10:
	s_waitcnt lgkmcnt(0)
	v_add_f32_e32 v2, v2, v3
	s_mov_b32 s3, 0
	v_mov_b32_e32 v4, 0x7fc0
	s_lshl_b64 s[0:1], s[2:3], 1
	v_add_co_u32 v0, s0, v0, s0
	v_fma_f32 v2, -v2, v10, v9
	v_add_co_ci_u32_e64 v1, null, s1, v1, s0
	v_bfe_u32 v3, v2, 16, 1
	v_cmp_o_f32_e32 vcc_lo, v2, v2
	v_add3_u32 v2, v2, v3, 0x7fff
	v_cndmask_b32_sdwa v2, v4, v2, vcc_lo dst_sel:DWORD dst_unused:UNUSED_PAD src0_sel:DWORD src1_sel:WORD_1
	global_store_short v[0:1], v2, off
.LBB328_11:
	s_endpgm
	.section	.rodata,"a",@progbits
	.p2align	6, 0x0
	.amdhsa_kernel _ZN12_GLOBAL__N_121softmax_warp_backwardIfN3c108BFloat16EfLi2ELb1ELb0ELi64EEEvPT0_PKT_S7_iiiPKb
		.amdhsa_group_segment_fixed_size 0
		.amdhsa_private_segment_fixed_size 0
		.amdhsa_kernarg_size 304
		.amdhsa_user_sgpr_count 6
		.amdhsa_user_sgpr_private_segment_buffer 1
		.amdhsa_user_sgpr_dispatch_ptr 0
		.amdhsa_user_sgpr_queue_ptr 0
		.amdhsa_user_sgpr_kernarg_segment_ptr 1
		.amdhsa_user_sgpr_dispatch_id 0
		.amdhsa_user_sgpr_flat_scratch_init 0
		.amdhsa_user_sgpr_private_segment_size 0
		.amdhsa_wavefront_size32 1
		.amdhsa_uses_dynamic_stack 0
		.amdhsa_system_sgpr_private_segment_wavefront_offset 0
		.amdhsa_system_sgpr_workgroup_id_x 1
		.amdhsa_system_sgpr_workgroup_id_y 0
		.amdhsa_system_sgpr_workgroup_id_z 0
		.amdhsa_system_sgpr_workgroup_info 0
		.amdhsa_system_vgpr_workitem_id 1
		.amdhsa_next_free_vgpr 14
		.amdhsa_next_free_sgpr 12
		.amdhsa_reserve_vcc 1
		.amdhsa_reserve_flat_scratch 0
		.amdhsa_float_round_mode_32 0
		.amdhsa_float_round_mode_16_64 0
		.amdhsa_float_denorm_mode_32 3
		.amdhsa_float_denorm_mode_16_64 3
		.amdhsa_dx10_clamp 1
		.amdhsa_ieee_mode 1
		.amdhsa_fp16_overflow 0
		.amdhsa_workgroup_processor_mode 1
		.amdhsa_memory_ordered 1
		.amdhsa_forward_progress 1
		.amdhsa_shared_vgpr_count 0
		.amdhsa_exception_fp_ieee_invalid_op 0
		.amdhsa_exception_fp_denorm_src 0
		.amdhsa_exception_fp_ieee_div_zero 0
		.amdhsa_exception_fp_ieee_overflow 0
		.amdhsa_exception_fp_ieee_underflow 0
		.amdhsa_exception_fp_ieee_inexact 0
		.amdhsa_exception_int_div_zero 0
	.end_amdhsa_kernel
	.section	.text._ZN12_GLOBAL__N_121softmax_warp_backwardIfN3c108BFloat16EfLi2ELb1ELb0ELi64EEEvPT0_PKT_S7_iiiPKb,"axG",@progbits,_ZN12_GLOBAL__N_121softmax_warp_backwardIfN3c108BFloat16EfLi2ELb1ELb0ELi64EEEvPT0_PKT_S7_iiiPKb,comdat
.Lfunc_end328:
	.size	_ZN12_GLOBAL__N_121softmax_warp_backwardIfN3c108BFloat16EfLi2ELb1ELb0ELi64EEEvPT0_PKT_S7_iiiPKb, .Lfunc_end328-_ZN12_GLOBAL__N_121softmax_warp_backwardIfN3c108BFloat16EfLi2ELb1ELb0ELi64EEEvPT0_PKT_S7_iiiPKb
                                        ; -- End function
	.set _ZN12_GLOBAL__N_121softmax_warp_backwardIfN3c108BFloat16EfLi2ELb1ELb0ELi64EEEvPT0_PKT_S7_iiiPKb.num_vgpr, 14
	.set _ZN12_GLOBAL__N_121softmax_warp_backwardIfN3c108BFloat16EfLi2ELb1ELb0ELi64EEEvPT0_PKT_S7_iiiPKb.num_agpr, 0
	.set _ZN12_GLOBAL__N_121softmax_warp_backwardIfN3c108BFloat16EfLi2ELb1ELb0ELi64EEEvPT0_PKT_S7_iiiPKb.numbered_sgpr, 12
	.set _ZN12_GLOBAL__N_121softmax_warp_backwardIfN3c108BFloat16EfLi2ELb1ELb0ELi64EEEvPT0_PKT_S7_iiiPKb.num_named_barrier, 0
	.set _ZN12_GLOBAL__N_121softmax_warp_backwardIfN3c108BFloat16EfLi2ELb1ELb0ELi64EEEvPT0_PKT_S7_iiiPKb.private_seg_size, 0
	.set _ZN12_GLOBAL__N_121softmax_warp_backwardIfN3c108BFloat16EfLi2ELb1ELb0ELi64EEEvPT0_PKT_S7_iiiPKb.uses_vcc, 1
	.set _ZN12_GLOBAL__N_121softmax_warp_backwardIfN3c108BFloat16EfLi2ELb1ELb0ELi64EEEvPT0_PKT_S7_iiiPKb.uses_flat_scratch, 0
	.set _ZN12_GLOBAL__N_121softmax_warp_backwardIfN3c108BFloat16EfLi2ELb1ELb0ELi64EEEvPT0_PKT_S7_iiiPKb.has_dyn_sized_stack, 0
	.set _ZN12_GLOBAL__N_121softmax_warp_backwardIfN3c108BFloat16EfLi2ELb1ELb0ELi64EEEvPT0_PKT_S7_iiiPKb.has_recursion, 0
	.set _ZN12_GLOBAL__N_121softmax_warp_backwardIfN3c108BFloat16EfLi2ELb1ELb0ELi64EEEvPT0_PKT_S7_iiiPKb.has_indirect_call, 0
	.section	.AMDGPU.csdata,"",@progbits
; Kernel info:
; codeLenInByte = 816
; TotalNumSgprs: 14
; NumVgprs: 14
; ScratchSize: 0
; MemoryBound: 0
; FloatMode: 240
; IeeeMode: 1
; LDSByteSize: 0 bytes/workgroup (compile time only)
; SGPRBlocks: 0
; VGPRBlocks: 1
; NumSGPRsForWavesPerEU: 14
; NumVGPRsForWavesPerEU: 14
; Occupancy: 16
; WaveLimiterHint : 0
; COMPUTE_PGM_RSRC2:SCRATCH_EN: 0
; COMPUTE_PGM_RSRC2:USER_SGPR: 6
; COMPUTE_PGM_RSRC2:TRAP_HANDLER: 0
; COMPUTE_PGM_RSRC2:TGID_X_EN: 1
; COMPUTE_PGM_RSRC2:TGID_Y_EN: 0
; COMPUTE_PGM_RSRC2:TGID_Z_EN: 0
; COMPUTE_PGM_RSRC2:TIDIG_COMP_CNT: 1
	.section	.text._ZN12_GLOBAL__N_121softmax_warp_backwardIfN3c108BFloat16EfLi2ELb1ELb0ELi32EEEvPT0_PKT_S7_iiiPKb,"axG",@progbits,_ZN12_GLOBAL__N_121softmax_warp_backwardIfN3c108BFloat16EfLi2ELb1ELb0ELi32EEEvPT0_PKT_S7_iiiPKb,comdat
	.globl	_ZN12_GLOBAL__N_121softmax_warp_backwardIfN3c108BFloat16EfLi2ELb1ELb0ELi32EEEvPT0_PKT_S7_iiiPKb ; -- Begin function _ZN12_GLOBAL__N_121softmax_warp_backwardIfN3c108BFloat16EfLi2ELb1ELb0ELi32EEEvPT0_PKT_S7_iiiPKb
	.p2align	8
	.type	_ZN12_GLOBAL__N_121softmax_warp_backwardIfN3c108BFloat16EfLi2ELb1ELb0ELi32EEEvPT0_PKT_S7_iiiPKb,@function
_ZN12_GLOBAL__N_121softmax_warp_backwardIfN3c108BFloat16EfLi2ELb1ELb0ELi32EEEvPT0_PKT_S7_iiiPKb: ; @_ZN12_GLOBAL__N_121softmax_warp_backwardIfN3c108BFloat16EfLi2ELb1ELb0ELi32EEEvPT0_PKT_S7_iiiPKb
; %bb.0:
	s_clause 0x1
	s_load_dword s7, s[4:5], 0x3c
	s_load_dwordx4 s[0:3], s[4:5], 0x18
	v_and_b32_e32 v2, 3, v0
	s_clause 0x1
	s_load_dwordx4 s[8:11], s[4:5], 0x0
	s_load_dwordx2 s[4:5], s[4:5], 0x10
	v_mov_b32_e32 v7, 0
	v_mov_b32_e32 v8, 0
	s_waitcnt lgkmcnt(0)
	s_lshr_b32 s3, s7, 16
	s_and_b32 s3, s3, 0xffff
	s_mul_i32 s6, s6, s3
	v_add_lshl_u32 v3, s6, v1, 1
	v_mad_u64_u32 v[0:1], null, v3, s1, v[2:3]
	v_sub_nc_u32_e32 v6, s0, v3
	v_cmp_gt_i32_e64 s0, s2, v2
	v_cmp_lt_i32_e32 vcc_lo, 0, v6
	v_ashrrev_i32_e32 v1, 31, v0
	s_and_b32 s3, s0, vcc_lo
	v_lshlrev_b64 v[4:5], 2, v[0:1]
	v_add_co_u32 v2, s1, s10, v4
	v_add_co_ci_u32_e64 v3, null, s11, v5, s1
	v_add_co_u32 v4, s1, s4, v4
	v_add_co_ci_u32_e64 v5, null, s5, v5, s1
	s_and_saveexec_b32 s1, s3
	s_cbranch_execz .LBB329_2
; %bb.1:
	global_load_dword v8, v[2:3], off
	global_load_dword v7, v[4:5], off
.LBB329_2:
	s_or_b32 exec_lo, exec_lo, s1
	v_cmp_gt_i32_e64 s1, 2, v6
	s_xor_b32 s3, s0, -1
	s_or_b32 s1, s3, s1
	s_and_saveexec_b32 s3, s1
	s_xor_b32 s1, exec_lo, s3
                                        ; implicit-def: $vgpr9
; %bb.3:
	v_mov_b32_e32 v9, 0
                                        ; implicit-def: $vgpr4
                                        ; implicit-def: $vgpr2
; %bb.4:
	s_or_saveexec_b32 s4, s1
	v_mov_b32_e32 v10, 1.0
	s_xor_b32 exec_lo, exec_lo, s4
	s_cbranch_execz .LBB329_6
; %bb.5:
	s_mov_b32 s3, 0
	s_lshl_b64 s[6:7], s[2:3], 2
	v_add_co_u32 v4, s1, v4, s6
	v_add_co_ci_u32_e64 v5, null, s7, v5, s1
	v_add_co_u32 v2, s1, v2, s6
	v_add_co_ci_u32_e64 v3, null, s7, v3, s1
	global_load_dword v4, v[4:5], off
	global_load_dword v9, v[2:3], off
	s_waitcnt vmcnt(1)
	v_mul_f32_e32 v2, 0x3fb8aa3b, v4
	v_cmp_ngt_f32_e64 s1, 0xc2ce8ed0, v4
	v_fma_f32 v3, 0x3fb8aa3b, v4, -v2
	v_rndne_f32_e32 v5, v2
	v_fmamk_f32 v3, v4, 0x32a5705f, v3
	v_sub_f32_e32 v2, v2, v5
	v_add_f32_e32 v2, v2, v3
	v_cvt_i32_f32_e32 v3, v5
	v_exp_f32_e32 v2, v2
	v_ldexp_f32 v2, v2, v3
	v_cndmask_b32_e64 v2, 0, v2, s1
	v_cmp_nlt_f32_e64 s1, 0x42b17218, v4
	v_cndmask_b32_e64 v10, 0x7f800000, v2, s1
.LBB329_6:
	s_or_b32 exec_lo, exec_lo, s4
	v_mbcnt_lo_u32_b32 v2, -1, 0
	s_waitcnt vmcnt(1)
	v_add_f32_e32 v5, 0, v8
	s_waitcnt vmcnt(0)
	v_add_f32_e32 v11, 0, v9
	v_and_b32_e32 v3, 28, v2
	v_xor_b32_e32 v4, 2, v2
	v_add_nc_u32_e32 v3, 4, v3
	v_cmp_lt_i32_e64 s1, v4, v3
	v_cndmask_b32_e64 v4, v2, v4, s1
	v_lshlrev_b32_e32 v4, 2, v4
	ds_bpermute_b32 v12, v4, v5
	ds_bpermute_b32 v13, v4, v11
	v_xor_b32_e32 v4, 1, v2
	v_cmp_lt_i32_e64 s1, v4, v3
	v_cndmask_b32_e64 v2, v2, v4, s1
	v_lshlrev_b32_e32 v3, 2, v2
	s_waitcnt lgkmcnt(1)
	v_add_f32_e32 v4, v5, v12
	s_waitcnt lgkmcnt(0)
	v_add_f32_e32 v2, v11, v13
	ds_bpermute_b32 v5, v3, v4
	ds_bpermute_b32 v3, v3, v2
	s_and_saveexec_b32 s1, vcc_lo
	s_cbranch_execz .LBB329_11
; %bb.7:
	v_lshlrev_b64 v[0:1], 1, v[0:1]
	v_add_co_u32 v0, vcc_lo, s8, v0
	v_add_co_ci_u32_e64 v1, null, s9, v1, vcc_lo
	s_and_saveexec_b32 s1, s0
	s_cbranch_execz .LBB329_9
; %bb.8:
	v_mul_f32_e32 v11, 0x3fb8aa3b, v7
	v_cmp_ngt_f32_e32 vcc_lo, 0xc2ce8ed0, v7
	s_waitcnt lgkmcnt(1)
	v_add_f32_e32 v4, v4, v5
	v_rndne_f32_e32 v12, v11
	v_fma_f32 v13, 0x3fb8aa3b, v7, -v11
	v_sub_f32_e32 v11, v11, v12
	v_fmamk_f32 v13, v7, 0x32a5705f, v13
	v_cvt_i32_f32_e32 v12, v12
	v_add_f32_e32 v11, v11, v13
	v_exp_f32_e32 v11, v11
	v_ldexp_f32 v11, v11, v12
	v_cndmask_b32_e32 v11, 0, v11, vcc_lo
	v_cmp_nlt_f32_e32 vcc_lo, 0x42b17218, v7
	v_cndmask_b32_e32 v5, 0x7f800000, v11, vcc_lo
	v_fma_f32 v4, -v4, v5, v8
	v_bfe_u32 v5, v4, 16, 1
	v_cmp_o_f32_e32 vcc_lo, v4, v4
	v_add3_u32 v4, v4, v5, 0x7fff
	v_mov_b32_e32 v5, 0x7fc0
	v_cndmask_b32_sdwa v4, v5, v4, vcc_lo dst_sel:DWORD dst_unused:UNUSED_PAD src0_sel:DWORD src1_sel:WORD_1
	global_store_short v[0:1], v4, off
.LBB329_9:
	s_or_b32 exec_lo, exec_lo, s1
	v_cmp_ne_u32_e32 vcc_lo, 1, v6
	s_and_b32 s0, vcc_lo, s0
	s_and_b32 exec_lo, exec_lo, s0
	s_cbranch_execz .LBB329_11
; %bb.10:
	s_waitcnt lgkmcnt(0)
	v_add_f32_e32 v2, v2, v3
	s_mov_b32 s3, 0
	v_mov_b32_e32 v4, 0x7fc0
	s_lshl_b64 s[0:1], s[2:3], 1
	v_add_co_u32 v0, s0, v0, s0
	v_fma_f32 v2, -v2, v10, v9
	v_add_co_ci_u32_e64 v1, null, s1, v1, s0
	v_bfe_u32 v3, v2, 16, 1
	v_cmp_o_f32_e32 vcc_lo, v2, v2
	v_add3_u32 v2, v2, v3, 0x7fff
	v_cndmask_b32_sdwa v2, v4, v2, vcc_lo dst_sel:DWORD dst_unused:UNUSED_PAD src0_sel:DWORD src1_sel:WORD_1
	global_store_short v[0:1], v2, off
.LBB329_11:
	s_endpgm
	.section	.rodata,"a",@progbits
	.p2align	6, 0x0
	.amdhsa_kernel _ZN12_GLOBAL__N_121softmax_warp_backwardIfN3c108BFloat16EfLi2ELb1ELb0ELi32EEEvPT0_PKT_S7_iiiPKb
		.amdhsa_group_segment_fixed_size 0
		.amdhsa_private_segment_fixed_size 0
		.amdhsa_kernarg_size 304
		.amdhsa_user_sgpr_count 6
		.amdhsa_user_sgpr_private_segment_buffer 1
		.amdhsa_user_sgpr_dispatch_ptr 0
		.amdhsa_user_sgpr_queue_ptr 0
		.amdhsa_user_sgpr_kernarg_segment_ptr 1
		.amdhsa_user_sgpr_dispatch_id 0
		.amdhsa_user_sgpr_flat_scratch_init 0
		.amdhsa_user_sgpr_private_segment_size 0
		.amdhsa_wavefront_size32 1
		.amdhsa_uses_dynamic_stack 0
		.amdhsa_system_sgpr_private_segment_wavefront_offset 0
		.amdhsa_system_sgpr_workgroup_id_x 1
		.amdhsa_system_sgpr_workgroup_id_y 0
		.amdhsa_system_sgpr_workgroup_id_z 0
		.amdhsa_system_sgpr_workgroup_info 0
		.amdhsa_system_vgpr_workitem_id 1
		.amdhsa_next_free_vgpr 14
		.amdhsa_next_free_sgpr 12
		.amdhsa_reserve_vcc 1
		.amdhsa_reserve_flat_scratch 0
		.amdhsa_float_round_mode_32 0
		.amdhsa_float_round_mode_16_64 0
		.amdhsa_float_denorm_mode_32 3
		.amdhsa_float_denorm_mode_16_64 3
		.amdhsa_dx10_clamp 1
		.amdhsa_ieee_mode 1
		.amdhsa_fp16_overflow 0
		.amdhsa_workgroup_processor_mode 1
		.amdhsa_memory_ordered 1
		.amdhsa_forward_progress 1
		.amdhsa_shared_vgpr_count 0
		.amdhsa_exception_fp_ieee_invalid_op 0
		.amdhsa_exception_fp_denorm_src 0
		.amdhsa_exception_fp_ieee_div_zero 0
		.amdhsa_exception_fp_ieee_overflow 0
		.amdhsa_exception_fp_ieee_underflow 0
		.amdhsa_exception_fp_ieee_inexact 0
		.amdhsa_exception_int_div_zero 0
	.end_amdhsa_kernel
	.section	.text._ZN12_GLOBAL__N_121softmax_warp_backwardIfN3c108BFloat16EfLi2ELb1ELb0ELi32EEEvPT0_PKT_S7_iiiPKb,"axG",@progbits,_ZN12_GLOBAL__N_121softmax_warp_backwardIfN3c108BFloat16EfLi2ELb1ELb0ELi32EEEvPT0_PKT_S7_iiiPKb,comdat
.Lfunc_end329:
	.size	_ZN12_GLOBAL__N_121softmax_warp_backwardIfN3c108BFloat16EfLi2ELb1ELb0ELi32EEEvPT0_PKT_S7_iiiPKb, .Lfunc_end329-_ZN12_GLOBAL__N_121softmax_warp_backwardIfN3c108BFloat16EfLi2ELb1ELb0ELi32EEEvPT0_PKT_S7_iiiPKb
                                        ; -- End function
	.set _ZN12_GLOBAL__N_121softmax_warp_backwardIfN3c108BFloat16EfLi2ELb1ELb0ELi32EEEvPT0_PKT_S7_iiiPKb.num_vgpr, 14
	.set _ZN12_GLOBAL__N_121softmax_warp_backwardIfN3c108BFloat16EfLi2ELb1ELb0ELi32EEEvPT0_PKT_S7_iiiPKb.num_agpr, 0
	.set _ZN12_GLOBAL__N_121softmax_warp_backwardIfN3c108BFloat16EfLi2ELb1ELb0ELi32EEEvPT0_PKT_S7_iiiPKb.numbered_sgpr, 12
	.set _ZN12_GLOBAL__N_121softmax_warp_backwardIfN3c108BFloat16EfLi2ELb1ELb0ELi32EEEvPT0_PKT_S7_iiiPKb.num_named_barrier, 0
	.set _ZN12_GLOBAL__N_121softmax_warp_backwardIfN3c108BFloat16EfLi2ELb1ELb0ELi32EEEvPT0_PKT_S7_iiiPKb.private_seg_size, 0
	.set _ZN12_GLOBAL__N_121softmax_warp_backwardIfN3c108BFloat16EfLi2ELb1ELb0ELi32EEEvPT0_PKT_S7_iiiPKb.uses_vcc, 1
	.set _ZN12_GLOBAL__N_121softmax_warp_backwardIfN3c108BFloat16EfLi2ELb1ELb0ELi32EEEvPT0_PKT_S7_iiiPKb.uses_flat_scratch, 0
	.set _ZN12_GLOBAL__N_121softmax_warp_backwardIfN3c108BFloat16EfLi2ELb1ELb0ELi32EEEvPT0_PKT_S7_iiiPKb.has_dyn_sized_stack, 0
	.set _ZN12_GLOBAL__N_121softmax_warp_backwardIfN3c108BFloat16EfLi2ELb1ELb0ELi32EEEvPT0_PKT_S7_iiiPKb.has_recursion, 0
	.set _ZN12_GLOBAL__N_121softmax_warp_backwardIfN3c108BFloat16EfLi2ELb1ELb0ELi32EEEvPT0_PKT_S7_iiiPKb.has_indirect_call, 0
	.section	.AMDGPU.csdata,"",@progbits
; Kernel info:
; codeLenInByte = 816
; TotalNumSgprs: 14
; NumVgprs: 14
; ScratchSize: 0
; MemoryBound: 0
; FloatMode: 240
; IeeeMode: 1
; LDSByteSize: 0 bytes/workgroup (compile time only)
; SGPRBlocks: 0
; VGPRBlocks: 1
; NumSGPRsForWavesPerEU: 14
; NumVGPRsForWavesPerEU: 14
; Occupancy: 16
; WaveLimiterHint : 0
; COMPUTE_PGM_RSRC2:SCRATCH_EN: 0
; COMPUTE_PGM_RSRC2:USER_SGPR: 6
; COMPUTE_PGM_RSRC2:TRAP_HANDLER: 0
; COMPUTE_PGM_RSRC2:TGID_X_EN: 1
; COMPUTE_PGM_RSRC2:TGID_Y_EN: 0
; COMPUTE_PGM_RSRC2:TGID_Z_EN: 0
; COMPUTE_PGM_RSRC2:TIDIG_COMP_CNT: 1
	.section	.text._ZN12_GLOBAL__N_121softmax_warp_backwardIfN3c108BFloat16EfLi3ELb1ELb0ELi64EEEvPT0_PKT_S7_iiiPKb,"axG",@progbits,_ZN12_GLOBAL__N_121softmax_warp_backwardIfN3c108BFloat16EfLi3ELb1ELb0ELi64EEEvPT0_PKT_S7_iiiPKb,comdat
	.globl	_ZN12_GLOBAL__N_121softmax_warp_backwardIfN3c108BFloat16EfLi3ELb1ELb0ELi64EEEvPT0_PKT_S7_iiiPKb ; -- Begin function _ZN12_GLOBAL__N_121softmax_warp_backwardIfN3c108BFloat16EfLi3ELb1ELb0ELi64EEEvPT0_PKT_S7_iiiPKb
	.p2align	8
	.type	_ZN12_GLOBAL__N_121softmax_warp_backwardIfN3c108BFloat16EfLi3ELb1ELb0ELi64EEEvPT0_PKT_S7_iiiPKb,@function
_ZN12_GLOBAL__N_121softmax_warp_backwardIfN3c108BFloat16EfLi3ELb1ELb0ELi64EEEvPT0_PKT_S7_iiiPKb: ; @_ZN12_GLOBAL__N_121softmax_warp_backwardIfN3c108BFloat16EfLi3ELb1ELb0ELi64EEEvPT0_PKT_S7_iiiPKb
; %bb.0:
	s_clause 0x1
	s_load_dword s7, s[4:5], 0x3c
	s_load_dwordx4 s[0:3], s[4:5], 0x18
	v_and_b32_e32 v2, 7, v0
	s_clause 0x1
	s_load_dwordx4 s[8:11], s[4:5], 0x0
	s_load_dwordx2 s[4:5], s[4:5], 0x10
	v_mov_b32_e32 v7, 0
	v_mov_b32_e32 v8, 0
	s_waitcnt lgkmcnt(0)
	s_lshr_b32 s3, s7, 16
	s_and_b32 s3, s3, 0xffff
	s_mul_i32 s6, s6, s3
	v_add_lshl_u32 v3, s6, v1, 1
	v_mad_u64_u32 v[0:1], null, v3, s1, v[2:3]
	v_sub_nc_u32_e32 v6, s0, v3
	v_cmp_gt_i32_e64 s0, s2, v2
	v_cmp_lt_i32_e32 vcc_lo, 0, v6
	v_ashrrev_i32_e32 v1, 31, v0
	s_and_b32 s3, s0, vcc_lo
	v_lshlrev_b64 v[4:5], 2, v[0:1]
	v_add_co_u32 v2, s1, s10, v4
	v_add_co_ci_u32_e64 v3, null, s11, v5, s1
	v_add_co_u32 v4, s1, s4, v4
	v_add_co_ci_u32_e64 v5, null, s5, v5, s1
	s_and_saveexec_b32 s1, s3
	s_cbranch_execz .LBB330_2
; %bb.1:
	global_load_dword v8, v[2:3], off
	global_load_dword v7, v[4:5], off
.LBB330_2:
	s_or_b32 exec_lo, exec_lo, s1
	v_cmp_gt_i32_e64 s1, 2, v6
	s_xor_b32 s3, s0, -1
	s_or_b32 s1, s3, s1
	s_and_saveexec_b32 s3, s1
	s_xor_b32 s1, exec_lo, s3
                                        ; implicit-def: $vgpr9
; %bb.3:
	v_mov_b32_e32 v9, 0
                                        ; implicit-def: $vgpr4
                                        ; implicit-def: $vgpr2
; %bb.4:
	s_or_saveexec_b32 s4, s1
	v_mov_b32_e32 v10, 1.0
	s_xor_b32 exec_lo, exec_lo, s4
	s_cbranch_execz .LBB330_6
; %bb.5:
	s_mov_b32 s3, 0
	s_lshl_b64 s[6:7], s[2:3], 2
	v_add_co_u32 v4, s1, v4, s6
	v_add_co_ci_u32_e64 v5, null, s7, v5, s1
	v_add_co_u32 v2, s1, v2, s6
	v_add_co_ci_u32_e64 v3, null, s7, v3, s1
	global_load_dword v4, v[4:5], off
	global_load_dword v9, v[2:3], off
	s_waitcnt vmcnt(1)
	v_mul_f32_e32 v2, 0x3fb8aa3b, v4
	v_cmp_ngt_f32_e64 s1, 0xc2ce8ed0, v4
	v_fma_f32 v3, 0x3fb8aa3b, v4, -v2
	v_rndne_f32_e32 v5, v2
	v_fmamk_f32 v3, v4, 0x32a5705f, v3
	v_sub_f32_e32 v2, v2, v5
	v_add_f32_e32 v2, v2, v3
	v_cvt_i32_f32_e32 v3, v5
	v_exp_f32_e32 v2, v2
	v_ldexp_f32 v2, v2, v3
	v_cndmask_b32_e64 v2, 0, v2, s1
	v_cmp_nlt_f32_e64 s1, 0x42b17218, v4
	v_cndmask_b32_e64 v10, 0x7f800000, v2, s1
.LBB330_6:
	s_or_b32 exec_lo, exec_lo, s4
	v_mbcnt_lo_u32_b32 v2, -1, 0
	s_waitcnt vmcnt(1)
	v_add_f32_e32 v5, 0, v8
	s_waitcnt vmcnt(0)
	v_add_f32_e32 v11, 0, v9
	v_and_b32_e32 v3, 24, v2
	v_xor_b32_e32 v4, 4, v2
	v_xor_b32_e32 v13, 2, v2
	v_add_nc_u32_e32 v3, 8, v3
	v_cmp_lt_i32_e64 s1, v4, v3
	v_cndmask_b32_e64 v4, v2, v4, s1
	v_cmp_lt_i32_e64 s1, v13, v3
	v_lshlrev_b32_e32 v4, 2, v4
	v_cndmask_b32_e64 v13, v2, v13, s1
	ds_bpermute_b32 v12, v4, v5
	ds_bpermute_b32 v4, v4, v11
	v_lshlrev_b32_e32 v13, 2, v13
	s_waitcnt lgkmcnt(1)
	v_add_f32_e32 v5, v5, v12
	s_waitcnt lgkmcnt(0)
	v_add_f32_e32 v11, v11, v4
	ds_bpermute_b32 v4, v13, v5
	ds_bpermute_b32 v12, v13, v11
	v_xor_b32_e32 v13, 1, v2
	v_cmp_lt_i32_e64 s1, v13, v3
	v_cndmask_b32_e64 v2, v2, v13, s1
	v_lshlrev_b32_e32 v3, 2, v2
	s_waitcnt lgkmcnt(1)
	v_add_f32_e32 v4, v5, v4
	s_waitcnt lgkmcnt(0)
	v_add_f32_e32 v2, v11, v12
	ds_bpermute_b32 v5, v3, v4
	ds_bpermute_b32 v3, v3, v2
	s_and_saveexec_b32 s1, vcc_lo
	s_cbranch_execz .LBB330_11
; %bb.7:
	v_lshlrev_b64 v[0:1], 1, v[0:1]
	v_add_co_u32 v0, vcc_lo, s8, v0
	v_add_co_ci_u32_e64 v1, null, s9, v1, vcc_lo
	s_and_saveexec_b32 s1, s0
	s_cbranch_execz .LBB330_9
; %bb.8:
	v_mul_f32_e32 v11, 0x3fb8aa3b, v7
	v_cmp_ngt_f32_e32 vcc_lo, 0xc2ce8ed0, v7
	s_waitcnt lgkmcnt(1)
	v_add_f32_e32 v4, v4, v5
	v_rndne_f32_e32 v12, v11
	v_fma_f32 v13, 0x3fb8aa3b, v7, -v11
	v_sub_f32_e32 v11, v11, v12
	v_fmamk_f32 v13, v7, 0x32a5705f, v13
	v_cvt_i32_f32_e32 v12, v12
	v_add_f32_e32 v11, v11, v13
	v_exp_f32_e32 v11, v11
	v_ldexp_f32 v11, v11, v12
	v_cndmask_b32_e32 v11, 0, v11, vcc_lo
	v_cmp_nlt_f32_e32 vcc_lo, 0x42b17218, v7
	v_cndmask_b32_e32 v5, 0x7f800000, v11, vcc_lo
	v_fma_f32 v4, -v4, v5, v8
	v_bfe_u32 v5, v4, 16, 1
	v_cmp_o_f32_e32 vcc_lo, v4, v4
	v_add3_u32 v4, v4, v5, 0x7fff
	v_mov_b32_e32 v5, 0x7fc0
	v_cndmask_b32_sdwa v4, v5, v4, vcc_lo dst_sel:DWORD dst_unused:UNUSED_PAD src0_sel:DWORD src1_sel:WORD_1
	global_store_short v[0:1], v4, off
.LBB330_9:
	s_or_b32 exec_lo, exec_lo, s1
	v_cmp_ne_u32_e32 vcc_lo, 1, v6
	s_and_b32 s0, vcc_lo, s0
	s_and_b32 exec_lo, exec_lo, s0
	s_cbranch_execz .LBB330_11
; %bb.10:
	s_waitcnt lgkmcnt(0)
	v_add_f32_e32 v2, v2, v3
	s_mov_b32 s3, 0
	v_mov_b32_e32 v4, 0x7fc0
	s_lshl_b64 s[0:1], s[2:3], 1
	v_add_co_u32 v0, s0, v0, s0
	v_fma_f32 v2, -v2, v10, v9
	v_add_co_ci_u32_e64 v1, null, s1, v1, s0
	v_bfe_u32 v3, v2, 16, 1
	v_cmp_o_f32_e32 vcc_lo, v2, v2
	v_add3_u32 v2, v2, v3, 0x7fff
	v_cndmask_b32_sdwa v2, v4, v2, vcc_lo dst_sel:DWORD dst_unused:UNUSED_PAD src0_sel:DWORD src1_sel:WORD_1
	global_store_short v[0:1], v2, off
.LBB330_11:
	s_endpgm
	.section	.rodata,"a",@progbits
	.p2align	6, 0x0
	.amdhsa_kernel _ZN12_GLOBAL__N_121softmax_warp_backwardIfN3c108BFloat16EfLi3ELb1ELb0ELi64EEEvPT0_PKT_S7_iiiPKb
		.amdhsa_group_segment_fixed_size 0
		.amdhsa_private_segment_fixed_size 0
		.amdhsa_kernarg_size 304
		.amdhsa_user_sgpr_count 6
		.amdhsa_user_sgpr_private_segment_buffer 1
		.amdhsa_user_sgpr_dispatch_ptr 0
		.amdhsa_user_sgpr_queue_ptr 0
		.amdhsa_user_sgpr_kernarg_segment_ptr 1
		.amdhsa_user_sgpr_dispatch_id 0
		.amdhsa_user_sgpr_flat_scratch_init 0
		.amdhsa_user_sgpr_private_segment_size 0
		.amdhsa_wavefront_size32 1
		.amdhsa_uses_dynamic_stack 0
		.amdhsa_system_sgpr_private_segment_wavefront_offset 0
		.amdhsa_system_sgpr_workgroup_id_x 1
		.amdhsa_system_sgpr_workgroup_id_y 0
		.amdhsa_system_sgpr_workgroup_id_z 0
		.amdhsa_system_sgpr_workgroup_info 0
		.amdhsa_system_vgpr_workitem_id 1
		.amdhsa_next_free_vgpr 14
		.amdhsa_next_free_sgpr 12
		.amdhsa_reserve_vcc 1
		.amdhsa_reserve_flat_scratch 0
		.amdhsa_float_round_mode_32 0
		.amdhsa_float_round_mode_16_64 0
		.amdhsa_float_denorm_mode_32 3
		.amdhsa_float_denorm_mode_16_64 3
		.amdhsa_dx10_clamp 1
		.amdhsa_ieee_mode 1
		.amdhsa_fp16_overflow 0
		.amdhsa_workgroup_processor_mode 1
		.amdhsa_memory_ordered 1
		.amdhsa_forward_progress 1
		.amdhsa_shared_vgpr_count 0
		.amdhsa_exception_fp_ieee_invalid_op 0
		.amdhsa_exception_fp_denorm_src 0
		.amdhsa_exception_fp_ieee_div_zero 0
		.amdhsa_exception_fp_ieee_overflow 0
		.amdhsa_exception_fp_ieee_underflow 0
		.amdhsa_exception_fp_ieee_inexact 0
		.amdhsa_exception_int_div_zero 0
	.end_amdhsa_kernel
	.section	.text._ZN12_GLOBAL__N_121softmax_warp_backwardIfN3c108BFloat16EfLi3ELb1ELb0ELi64EEEvPT0_PKT_S7_iiiPKb,"axG",@progbits,_ZN12_GLOBAL__N_121softmax_warp_backwardIfN3c108BFloat16EfLi3ELb1ELb0ELi64EEEvPT0_PKT_S7_iiiPKb,comdat
.Lfunc_end330:
	.size	_ZN12_GLOBAL__N_121softmax_warp_backwardIfN3c108BFloat16EfLi3ELb1ELb0ELi64EEEvPT0_PKT_S7_iiiPKb, .Lfunc_end330-_ZN12_GLOBAL__N_121softmax_warp_backwardIfN3c108BFloat16EfLi3ELb1ELb0ELi64EEEvPT0_PKT_S7_iiiPKb
                                        ; -- End function
	.set _ZN12_GLOBAL__N_121softmax_warp_backwardIfN3c108BFloat16EfLi3ELb1ELb0ELi64EEEvPT0_PKT_S7_iiiPKb.num_vgpr, 14
	.set _ZN12_GLOBAL__N_121softmax_warp_backwardIfN3c108BFloat16EfLi3ELb1ELb0ELi64EEEvPT0_PKT_S7_iiiPKb.num_agpr, 0
	.set _ZN12_GLOBAL__N_121softmax_warp_backwardIfN3c108BFloat16EfLi3ELb1ELb0ELi64EEEvPT0_PKT_S7_iiiPKb.numbered_sgpr, 12
	.set _ZN12_GLOBAL__N_121softmax_warp_backwardIfN3c108BFloat16EfLi3ELb1ELb0ELi64EEEvPT0_PKT_S7_iiiPKb.num_named_barrier, 0
	.set _ZN12_GLOBAL__N_121softmax_warp_backwardIfN3c108BFloat16EfLi3ELb1ELb0ELi64EEEvPT0_PKT_S7_iiiPKb.private_seg_size, 0
	.set _ZN12_GLOBAL__N_121softmax_warp_backwardIfN3c108BFloat16EfLi3ELb1ELb0ELi64EEEvPT0_PKT_S7_iiiPKb.uses_vcc, 1
	.set _ZN12_GLOBAL__N_121softmax_warp_backwardIfN3c108BFloat16EfLi3ELb1ELb0ELi64EEEvPT0_PKT_S7_iiiPKb.uses_flat_scratch, 0
	.set _ZN12_GLOBAL__N_121softmax_warp_backwardIfN3c108BFloat16EfLi3ELb1ELb0ELi64EEEvPT0_PKT_S7_iiiPKb.has_dyn_sized_stack, 0
	.set _ZN12_GLOBAL__N_121softmax_warp_backwardIfN3c108BFloat16EfLi3ELb1ELb0ELi64EEEvPT0_PKT_S7_iiiPKb.has_recursion, 0
	.set _ZN12_GLOBAL__N_121softmax_warp_backwardIfN3c108BFloat16EfLi3ELb1ELb0ELi64EEEvPT0_PKT_S7_iiiPKb.has_indirect_call, 0
	.section	.AMDGPU.csdata,"",@progbits
; Kernel info:
; codeLenInByte = 872
; TotalNumSgprs: 14
; NumVgprs: 14
; ScratchSize: 0
; MemoryBound: 0
; FloatMode: 240
; IeeeMode: 1
; LDSByteSize: 0 bytes/workgroup (compile time only)
; SGPRBlocks: 0
; VGPRBlocks: 1
; NumSGPRsForWavesPerEU: 14
; NumVGPRsForWavesPerEU: 14
; Occupancy: 16
; WaveLimiterHint : 0
; COMPUTE_PGM_RSRC2:SCRATCH_EN: 0
; COMPUTE_PGM_RSRC2:USER_SGPR: 6
; COMPUTE_PGM_RSRC2:TRAP_HANDLER: 0
; COMPUTE_PGM_RSRC2:TGID_X_EN: 1
; COMPUTE_PGM_RSRC2:TGID_Y_EN: 0
; COMPUTE_PGM_RSRC2:TGID_Z_EN: 0
; COMPUTE_PGM_RSRC2:TIDIG_COMP_CNT: 1
	.section	.text._ZN12_GLOBAL__N_121softmax_warp_backwardIfN3c108BFloat16EfLi3ELb1ELb0ELi32EEEvPT0_PKT_S7_iiiPKb,"axG",@progbits,_ZN12_GLOBAL__N_121softmax_warp_backwardIfN3c108BFloat16EfLi3ELb1ELb0ELi32EEEvPT0_PKT_S7_iiiPKb,comdat
	.globl	_ZN12_GLOBAL__N_121softmax_warp_backwardIfN3c108BFloat16EfLi3ELb1ELb0ELi32EEEvPT0_PKT_S7_iiiPKb ; -- Begin function _ZN12_GLOBAL__N_121softmax_warp_backwardIfN3c108BFloat16EfLi3ELb1ELb0ELi32EEEvPT0_PKT_S7_iiiPKb
	.p2align	8
	.type	_ZN12_GLOBAL__N_121softmax_warp_backwardIfN3c108BFloat16EfLi3ELb1ELb0ELi32EEEvPT0_PKT_S7_iiiPKb,@function
_ZN12_GLOBAL__N_121softmax_warp_backwardIfN3c108BFloat16EfLi3ELb1ELb0ELi32EEEvPT0_PKT_S7_iiiPKb: ; @_ZN12_GLOBAL__N_121softmax_warp_backwardIfN3c108BFloat16EfLi3ELb1ELb0ELi32EEEvPT0_PKT_S7_iiiPKb
; %bb.0:
	s_clause 0x1
	s_load_dword s7, s[4:5], 0x3c
	s_load_dwordx4 s[0:3], s[4:5], 0x18
	v_and_b32_e32 v2, 7, v0
	s_clause 0x1
	s_load_dwordx4 s[8:11], s[4:5], 0x0
	s_load_dwordx2 s[4:5], s[4:5], 0x10
	v_mov_b32_e32 v7, 0
	v_mov_b32_e32 v8, 0
	s_waitcnt lgkmcnt(0)
	s_lshr_b32 s3, s7, 16
	s_and_b32 s3, s3, 0xffff
	s_mul_i32 s6, s6, s3
	v_add_lshl_u32 v3, s6, v1, 1
	v_mad_u64_u32 v[0:1], null, v3, s1, v[2:3]
	v_sub_nc_u32_e32 v6, s0, v3
	v_cmp_gt_i32_e64 s0, s2, v2
	v_cmp_lt_i32_e32 vcc_lo, 0, v6
	v_ashrrev_i32_e32 v1, 31, v0
	s_and_b32 s3, s0, vcc_lo
	v_lshlrev_b64 v[4:5], 2, v[0:1]
	v_add_co_u32 v2, s1, s10, v4
	v_add_co_ci_u32_e64 v3, null, s11, v5, s1
	v_add_co_u32 v4, s1, s4, v4
	v_add_co_ci_u32_e64 v5, null, s5, v5, s1
	s_and_saveexec_b32 s1, s3
	s_cbranch_execz .LBB331_2
; %bb.1:
	global_load_dword v8, v[2:3], off
	global_load_dword v7, v[4:5], off
.LBB331_2:
	s_or_b32 exec_lo, exec_lo, s1
	v_cmp_gt_i32_e64 s1, 2, v6
	s_xor_b32 s3, s0, -1
	s_or_b32 s1, s3, s1
	s_and_saveexec_b32 s3, s1
	s_xor_b32 s1, exec_lo, s3
                                        ; implicit-def: $vgpr9
; %bb.3:
	v_mov_b32_e32 v9, 0
                                        ; implicit-def: $vgpr4
                                        ; implicit-def: $vgpr2
; %bb.4:
	s_or_saveexec_b32 s4, s1
	v_mov_b32_e32 v10, 1.0
	s_xor_b32 exec_lo, exec_lo, s4
	s_cbranch_execz .LBB331_6
; %bb.5:
	s_mov_b32 s3, 0
	s_lshl_b64 s[6:7], s[2:3], 2
	v_add_co_u32 v4, s1, v4, s6
	v_add_co_ci_u32_e64 v5, null, s7, v5, s1
	v_add_co_u32 v2, s1, v2, s6
	v_add_co_ci_u32_e64 v3, null, s7, v3, s1
	global_load_dword v4, v[4:5], off
	global_load_dword v9, v[2:3], off
	s_waitcnt vmcnt(1)
	v_mul_f32_e32 v2, 0x3fb8aa3b, v4
	v_cmp_ngt_f32_e64 s1, 0xc2ce8ed0, v4
	v_fma_f32 v3, 0x3fb8aa3b, v4, -v2
	v_rndne_f32_e32 v5, v2
	v_fmamk_f32 v3, v4, 0x32a5705f, v3
	v_sub_f32_e32 v2, v2, v5
	v_add_f32_e32 v2, v2, v3
	v_cvt_i32_f32_e32 v3, v5
	v_exp_f32_e32 v2, v2
	v_ldexp_f32 v2, v2, v3
	v_cndmask_b32_e64 v2, 0, v2, s1
	v_cmp_nlt_f32_e64 s1, 0x42b17218, v4
	v_cndmask_b32_e64 v10, 0x7f800000, v2, s1
.LBB331_6:
	s_or_b32 exec_lo, exec_lo, s4
	v_mbcnt_lo_u32_b32 v2, -1, 0
	s_waitcnt vmcnt(1)
	v_add_f32_e32 v5, 0, v8
	s_waitcnt vmcnt(0)
	v_add_f32_e32 v11, 0, v9
	v_and_b32_e32 v3, 24, v2
	v_xor_b32_e32 v4, 4, v2
	v_xor_b32_e32 v13, 2, v2
	v_add_nc_u32_e32 v3, 8, v3
	v_cmp_lt_i32_e64 s1, v4, v3
	v_cndmask_b32_e64 v4, v2, v4, s1
	v_cmp_lt_i32_e64 s1, v13, v3
	v_lshlrev_b32_e32 v4, 2, v4
	v_cndmask_b32_e64 v13, v2, v13, s1
	ds_bpermute_b32 v12, v4, v5
	ds_bpermute_b32 v4, v4, v11
	v_lshlrev_b32_e32 v13, 2, v13
	s_waitcnt lgkmcnt(1)
	v_add_f32_e32 v5, v5, v12
	s_waitcnt lgkmcnt(0)
	v_add_f32_e32 v11, v11, v4
	ds_bpermute_b32 v4, v13, v5
	ds_bpermute_b32 v12, v13, v11
	v_xor_b32_e32 v13, 1, v2
	v_cmp_lt_i32_e64 s1, v13, v3
	v_cndmask_b32_e64 v2, v2, v13, s1
	v_lshlrev_b32_e32 v3, 2, v2
	s_waitcnt lgkmcnt(1)
	v_add_f32_e32 v4, v5, v4
	s_waitcnt lgkmcnt(0)
	v_add_f32_e32 v2, v11, v12
	ds_bpermute_b32 v5, v3, v4
	ds_bpermute_b32 v3, v3, v2
	s_and_saveexec_b32 s1, vcc_lo
	s_cbranch_execz .LBB331_11
; %bb.7:
	v_lshlrev_b64 v[0:1], 1, v[0:1]
	v_add_co_u32 v0, vcc_lo, s8, v0
	v_add_co_ci_u32_e64 v1, null, s9, v1, vcc_lo
	s_and_saveexec_b32 s1, s0
	s_cbranch_execz .LBB331_9
; %bb.8:
	v_mul_f32_e32 v11, 0x3fb8aa3b, v7
	v_cmp_ngt_f32_e32 vcc_lo, 0xc2ce8ed0, v7
	s_waitcnt lgkmcnt(1)
	v_add_f32_e32 v4, v4, v5
	v_rndne_f32_e32 v12, v11
	v_fma_f32 v13, 0x3fb8aa3b, v7, -v11
	v_sub_f32_e32 v11, v11, v12
	v_fmamk_f32 v13, v7, 0x32a5705f, v13
	v_cvt_i32_f32_e32 v12, v12
	v_add_f32_e32 v11, v11, v13
	v_exp_f32_e32 v11, v11
	v_ldexp_f32 v11, v11, v12
	v_cndmask_b32_e32 v11, 0, v11, vcc_lo
	v_cmp_nlt_f32_e32 vcc_lo, 0x42b17218, v7
	v_cndmask_b32_e32 v5, 0x7f800000, v11, vcc_lo
	v_fma_f32 v4, -v4, v5, v8
	v_bfe_u32 v5, v4, 16, 1
	v_cmp_o_f32_e32 vcc_lo, v4, v4
	v_add3_u32 v4, v4, v5, 0x7fff
	v_mov_b32_e32 v5, 0x7fc0
	v_cndmask_b32_sdwa v4, v5, v4, vcc_lo dst_sel:DWORD dst_unused:UNUSED_PAD src0_sel:DWORD src1_sel:WORD_1
	global_store_short v[0:1], v4, off
.LBB331_9:
	s_or_b32 exec_lo, exec_lo, s1
	v_cmp_ne_u32_e32 vcc_lo, 1, v6
	s_and_b32 s0, vcc_lo, s0
	s_and_b32 exec_lo, exec_lo, s0
	s_cbranch_execz .LBB331_11
; %bb.10:
	s_waitcnt lgkmcnt(0)
	v_add_f32_e32 v2, v2, v3
	s_mov_b32 s3, 0
	v_mov_b32_e32 v4, 0x7fc0
	s_lshl_b64 s[0:1], s[2:3], 1
	v_add_co_u32 v0, s0, v0, s0
	v_fma_f32 v2, -v2, v10, v9
	v_add_co_ci_u32_e64 v1, null, s1, v1, s0
	v_bfe_u32 v3, v2, 16, 1
	v_cmp_o_f32_e32 vcc_lo, v2, v2
	v_add3_u32 v2, v2, v3, 0x7fff
	v_cndmask_b32_sdwa v2, v4, v2, vcc_lo dst_sel:DWORD dst_unused:UNUSED_PAD src0_sel:DWORD src1_sel:WORD_1
	global_store_short v[0:1], v2, off
.LBB331_11:
	s_endpgm
	.section	.rodata,"a",@progbits
	.p2align	6, 0x0
	.amdhsa_kernel _ZN12_GLOBAL__N_121softmax_warp_backwardIfN3c108BFloat16EfLi3ELb1ELb0ELi32EEEvPT0_PKT_S7_iiiPKb
		.amdhsa_group_segment_fixed_size 0
		.amdhsa_private_segment_fixed_size 0
		.amdhsa_kernarg_size 304
		.amdhsa_user_sgpr_count 6
		.amdhsa_user_sgpr_private_segment_buffer 1
		.amdhsa_user_sgpr_dispatch_ptr 0
		.amdhsa_user_sgpr_queue_ptr 0
		.amdhsa_user_sgpr_kernarg_segment_ptr 1
		.amdhsa_user_sgpr_dispatch_id 0
		.amdhsa_user_sgpr_flat_scratch_init 0
		.amdhsa_user_sgpr_private_segment_size 0
		.amdhsa_wavefront_size32 1
		.amdhsa_uses_dynamic_stack 0
		.amdhsa_system_sgpr_private_segment_wavefront_offset 0
		.amdhsa_system_sgpr_workgroup_id_x 1
		.amdhsa_system_sgpr_workgroup_id_y 0
		.amdhsa_system_sgpr_workgroup_id_z 0
		.amdhsa_system_sgpr_workgroup_info 0
		.amdhsa_system_vgpr_workitem_id 1
		.amdhsa_next_free_vgpr 14
		.amdhsa_next_free_sgpr 12
		.amdhsa_reserve_vcc 1
		.amdhsa_reserve_flat_scratch 0
		.amdhsa_float_round_mode_32 0
		.amdhsa_float_round_mode_16_64 0
		.amdhsa_float_denorm_mode_32 3
		.amdhsa_float_denorm_mode_16_64 3
		.amdhsa_dx10_clamp 1
		.amdhsa_ieee_mode 1
		.amdhsa_fp16_overflow 0
		.amdhsa_workgroup_processor_mode 1
		.amdhsa_memory_ordered 1
		.amdhsa_forward_progress 1
		.amdhsa_shared_vgpr_count 0
		.amdhsa_exception_fp_ieee_invalid_op 0
		.amdhsa_exception_fp_denorm_src 0
		.amdhsa_exception_fp_ieee_div_zero 0
		.amdhsa_exception_fp_ieee_overflow 0
		.amdhsa_exception_fp_ieee_underflow 0
		.amdhsa_exception_fp_ieee_inexact 0
		.amdhsa_exception_int_div_zero 0
	.end_amdhsa_kernel
	.section	.text._ZN12_GLOBAL__N_121softmax_warp_backwardIfN3c108BFloat16EfLi3ELb1ELb0ELi32EEEvPT0_PKT_S7_iiiPKb,"axG",@progbits,_ZN12_GLOBAL__N_121softmax_warp_backwardIfN3c108BFloat16EfLi3ELb1ELb0ELi32EEEvPT0_PKT_S7_iiiPKb,comdat
.Lfunc_end331:
	.size	_ZN12_GLOBAL__N_121softmax_warp_backwardIfN3c108BFloat16EfLi3ELb1ELb0ELi32EEEvPT0_PKT_S7_iiiPKb, .Lfunc_end331-_ZN12_GLOBAL__N_121softmax_warp_backwardIfN3c108BFloat16EfLi3ELb1ELb0ELi32EEEvPT0_PKT_S7_iiiPKb
                                        ; -- End function
	.set _ZN12_GLOBAL__N_121softmax_warp_backwardIfN3c108BFloat16EfLi3ELb1ELb0ELi32EEEvPT0_PKT_S7_iiiPKb.num_vgpr, 14
	.set _ZN12_GLOBAL__N_121softmax_warp_backwardIfN3c108BFloat16EfLi3ELb1ELb0ELi32EEEvPT0_PKT_S7_iiiPKb.num_agpr, 0
	.set _ZN12_GLOBAL__N_121softmax_warp_backwardIfN3c108BFloat16EfLi3ELb1ELb0ELi32EEEvPT0_PKT_S7_iiiPKb.numbered_sgpr, 12
	.set _ZN12_GLOBAL__N_121softmax_warp_backwardIfN3c108BFloat16EfLi3ELb1ELb0ELi32EEEvPT0_PKT_S7_iiiPKb.num_named_barrier, 0
	.set _ZN12_GLOBAL__N_121softmax_warp_backwardIfN3c108BFloat16EfLi3ELb1ELb0ELi32EEEvPT0_PKT_S7_iiiPKb.private_seg_size, 0
	.set _ZN12_GLOBAL__N_121softmax_warp_backwardIfN3c108BFloat16EfLi3ELb1ELb0ELi32EEEvPT0_PKT_S7_iiiPKb.uses_vcc, 1
	.set _ZN12_GLOBAL__N_121softmax_warp_backwardIfN3c108BFloat16EfLi3ELb1ELb0ELi32EEEvPT0_PKT_S7_iiiPKb.uses_flat_scratch, 0
	.set _ZN12_GLOBAL__N_121softmax_warp_backwardIfN3c108BFloat16EfLi3ELb1ELb0ELi32EEEvPT0_PKT_S7_iiiPKb.has_dyn_sized_stack, 0
	.set _ZN12_GLOBAL__N_121softmax_warp_backwardIfN3c108BFloat16EfLi3ELb1ELb0ELi32EEEvPT0_PKT_S7_iiiPKb.has_recursion, 0
	.set _ZN12_GLOBAL__N_121softmax_warp_backwardIfN3c108BFloat16EfLi3ELb1ELb0ELi32EEEvPT0_PKT_S7_iiiPKb.has_indirect_call, 0
	.section	.AMDGPU.csdata,"",@progbits
; Kernel info:
; codeLenInByte = 872
; TotalNumSgprs: 14
; NumVgprs: 14
; ScratchSize: 0
; MemoryBound: 0
; FloatMode: 240
; IeeeMode: 1
; LDSByteSize: 0 bytes/workgroup (compile time only)
; SGPRBlocks: 0
; VGPRBlocks: 1
; NumSGPRsForWavesPerEU: 14
; NumVGPRsForWavesPerEU: 14
; Occupancy: 16
; WaveLimiterHint : 0
; COMPUTE_PGM_RSRC2:SCRATCH_EN: 0
; COMPUTE_PGM_RSRC2:USER_SGPR: 6
; COMPUTE_PGM_RSRC2:TRAP_HANDLER: 0
; COMPUTE_PGM_RSRC2:TGID_X_EN: 1
; COMPUTE_PGM_RSRC2:TGID_Y_EN: 0
; COMPUTE_PGM_RSRC2:TGID_Z_EN: 0
; COMPUTE_PGM_RSRC2:TIDIG_COMP_CNT: 1
	.section	.text._ZN12_GLOBAL__N_121softmax_warp_backwardIfN3c108BFloat16EfLi4ELb1ELb0ELi64EEEvPT0_PKT_S7_iiiPKb,"axG",@progbits,_ZN12_GLOBAL__N_121softmax_warp_backwardIfN3c108BFloat16EfLi4ELb1ELb0ELi64EEEvPT0_PKT_S7_iiiPKb,comdat
	.globl	_ZN12_GLOBAL__N_121softmax_warp_backwardIfN3c108BFloat16EfLi4ELb1ELb0ELi64EEEvPT0_PKT_S7_iiiPKb ; -- Begin function _ZN12_GLOBAL__N_121softmax_warp_backwardIfN3c108BFloat16EfLi4ELb1ELb0ELi64EEEvPT0_PKT_S7_iiiPKb
	.p2align	8
	.type	_ZN12_GLOBAL__N_121softmax_warp_backwardIfN3c108BFloat16EfLi4ELb1ELb0ELi64EEEvPT0_PKT_S7_iiiPKb,@function
_ZN12_GLOBAL__N_121softmax_warp_backwardIfN3c108BFloat16EfLi4ELb1ELb0ELi64EEEvPT0_PKT_S7_iiiPKb: ; @_ZN12_GLOBAL__N_121softmax_warp_backwardIfN3c108BFloat16EfLi4ELb1ELb0ELi64EEEvPT0_PKT_S7_iiiPKb
; %bb.0:
	s_clause 0x1
	s_load_dword s7, s[4:5], 0x3c
	s_load_dwordx4 s[0:3], s[4:5], 0x18
	v_and_b32_e32 v2, 15, v0
	s_clause 0x1
	s_load_dwordx4 s[8:11], s[4:5], 0x0
	s_load_dwordx2 s[4:5], s[4:5], 0x10
	v_mov_b32_e32 v7, 0
	v_mov_b32_e32 v8, 0
	s_waitcnt lgkmcnt(0)
	s_lshr_b32 s3, s7, 16
	s_and_b32 s3, s3, 0xffff
	s_mul_i32 s6, s6, s3
	v_add_lshl_u32 v3, s6, v1, 1
	v_mad_u64_u32 v[0:1], null, v3, s1, v[2:3]
	v_sub_nc_u32_e32 v6, s0, v3
	v_cmp_gt_i32_e64 s0, s2, v2
	v_cmp_lt_i32_e32 vcc_lo, 0, v6
	v_ashrrev_i32_e32 v1, 31, v0
	s_and_b32 s3, s0, vcc_lo
	v_lshlrev_b64 v[4:5], 2, v[0:1]
	v_add_co_u32 v2, s1, s10, v4
	v_add_co_ci_u32_e64 v3, null, s11, v5, s1
	v_add_co_u32 v4, s1, s4, v4
	v_add_co_ci_u32_e64 v5, null, s5, v5, s1
	s_and_saveexec_b32 s1, s3
	s_cbranch_execz .LBB332_2
; %bb.1:
	global_load_dword v8, v[2:3], off
	global_load_dword v7, v[4:5], off
.LBB332_2:
	s_or_b32 exec_lo, exec_lo, s1
	v_cmp_gt_i32_e64 s1, 2, v6
	s_xor_b32 s3, s0, -1
	s_or_b32 s1, s3, s1
	s_and_saveexec_b32 s3, s1
	s_xor_b32 s1, exec_lo, s3
                                        ; implicit-def: $vgpr9
; %bb.3:
	v_mov_b32_e32 v9, 0
                                        ; implicit-def: $vgpr4
                                        ; implicit-def: $vgpr2
; %bb.4:
	s_or_saveexec_b32 s4, s1
	v_mov_b32_e32 v10, 1.0
	s_xor_b32 exec_lo, exec_lo, s4
	s_cbranch_execz .LBB332_6
; %bb.5:
	s_mov_b32 s3, 0
	s_lshl_b64 s[6:7], s[2:3], 2
	v_add_co_u32 v4, s1, v4, s6
	v_add_co_ci_u32_e64 v5, null, s7, v5, s1
	v_add_co_u32 v2, s1, v2, s6
	v_add_co_ci_u32_e64 v3, null, s7, v3, s1
	global_load_dword v4, v[4:5], off
	global_load_dword v9, v[2:3], off
	s_waitcnt vmcnt(1)
	v_mul_f32_e32 v2, 0x3fb8aa3b, v4
	v_cmp_ngt_f32_e64 s1, 0xc2ce8ed0, v4
	v_fma_f32 v3, 0x3fb8aa3b, v4, -v2
	v_rndne_f32_e32 v5, v2
	v_fmamk_f32 v3, v4, 0x32a5705f, v3
	v_sub_f32_e32 v2, v2, v5
	v_add_f32_e32 v2, v2, v3
	v_cvt_i32_f32_e32 v3, v5
	v_exp_f32_e32 v2, v2
	v_ldexp_f32 v2, v2, v3
	v_cndmask_b32_e64 v2, 0, v2, s1
	v_cmp_nlt_f32_e64 s1, 0x42b17218, v4
	v_cndmask_b32_e64 v10, 0x7f800000, v2, s1
.LBB332_6:
	s_or_b32 exec_lo, exec_lo, s4
	v_mbcnt_lo_u32_b32 v2, -1, 0
	s_waitcnt vmcnt(1)
	v_add_f32_e32 v5, 0, v8
	s_waitcnt vmcnt(0)
	v_add_f32_e32 v11, 0, v9
	v_and_b32_e32 v3, 16, v2
	v_xor_b32_e32 v4, 8, v2
	v_xor_b32_e32 v13, 4, v2
	v_add_nc_u32_e32 v3, 16, v3
	v_cmp_lt_i32_e64 s1, v4, v3
	v_cndmask_b32_e64 v4, v2, v4, s1
	v_cmp_lt_i32_e64 s1, v13, v3
	v_lshlrev_b32_e32 v4, 2, v4
	v_cndmask_b32_e64 v13, v2, v13, s1
	ds_bpermute_b32 v12, v4, v5
	ds_bpermute_b32 v4, v4, v11
	v_lshlrev_b32_e32 v13, 2, v13
	s_waitcnt lgkmcnt(1)
	v_add_f32_e32 v5, v5, v12
	s_waitcnt lgkmcnt(0)
	v_add_f32_e32 v4, v11, v4
	ds_bpermute_b32 v11, v13, v5
	ds_bpermute_b32 v12, v13, v4
	v_xor_b32_e32 v13, 2, v2
	v_cmp_lt_i32_e64 s1, v13, v3
	v_cndmask_b32_e64 v13, v2, v13, s1
	v_lshlrev_b32_e32 v13, 2, v13
	s_waitcnt lgkmcnt(1)
	v_add_f32_e32 v5, v5, v11
	s_waitcnt lgkmcnt(0)
	v_add_f32_e32 v11, v4, v12
	ds_bpermute_b32 v4, v13, v5
	ds_bpermute_b32 v12, v13, v11
	v_xor_b32_e32 v13, 1, v2
	v_cmp_lt_i32_e64 s1, v13, v3
	v_cndmask_b32_e64 v2, v2, v13, s1
	v_lshlrev_b32_e32 v3, 2, v2
	s_waitcnt lgkmcnt(1)
	v_add_f32_e32 v4, v5, v4
	s_waitcnt lgkmcnt(0)
	v_add_f32_e32 v2, v11, v12
	ds_bpermute_b32 v5, v3, v4
	ds_bpermute_b32 v3, v3, v2
	s_and_saveexec_b32 s1, vcc_lo
	s_cbranch_execz .LBB332_11
; %bb.7:
	v_lshlrev_b64 v[0:1], 1, v[0:1]
	v_add_co_u32 v0, vcc_lo, s8, v0
	v_add_co_ci_u32_e64 v1, null, s9, v1, vcc_lo
	s_and_saveexec_b32 s1, s0
	s_cbranch_execz .LBB332_9
; %bb.8:
	v_mul_f32_e32 v11, 0x3fb8aa3b, v7
	v_cmp_ngt_f32_e32 vcc_lo, 0xc2ce8ed0, v7
	s_waitcnt lgkmcnt(1)
	v_add_f32_e32 v4, v4, v5
	v_rndne_f32_e32 v12, v11
	v_fma_f32 v13, 0x3fb8aa3b, v7, -v11
	v_sub_f32_e32 v11, v11, v12
	v_fmamk_f32 v13, v7, 0x32a5705f, v13
	v_cvt_i32_f32_e32 v12, v12
	v_add_f32_e32 v11, v11, v13
	v_exp_f32_e32 v11, v11
	v_ldexp_f32 v11, v11, v12
	v_cndmask_b32_e32 v11, 0, v11, vcc_lo
	v_cmp_nlt_f32_e32 vcc_lo, 0x42b17218, v7
	v_cndmask_b32_e32 v5, 0x7f800000, v11, vcc_lo
	v_fma_f32 v4, -v4, v5, v8
	v_bfe_u32 v5, v4, 16, 1
	v_cmp_o_f32_e32 vcc_lo, v4, v4
	v_add3_u32 v4, v4, v5, 0x7fff
	v_mov_b32_e32 v5, 0x7fc0
	v_cndmask_b32_sdwa v4, v5, v4, vcc_lo dst_sel:DWORD dst_unused:UNUSED_PAD src0_sel:DWORD src1_sel:WORD_1
	global_store_short v[0:1], v4, off
.LBB332_9:
	s_or_b32 exec_lo, exec_lo, s1
	v_cmp_ne_u32_e32 vcc_lo, 1, v6
	s_and_b32 s0, vcc_lo, s0
	s_and_b32 exec_lo, exec_lo, s0
	s_cbranch_execz .LBB332_11
; %bb.10:
	s_waitcnt lgkmcnt(0)
	v_add_f32_e32 v2, v2, v3
	s_mov_b32 s3, 0
	v_mov_b32_e32 v4, 0x7fc0
	s_lshl_b64 s[0:1], s[2:3], 1
	v_add_co_u32 v0, s0, v0, s0
	v_fma_f32 v2, -v2, v10, v9
	v_add_co_ci_u32_e64 v1, null, s1, v1, s0
	v_bfe_u32 v3, v2, 16, 1
	v_cmp_o_f32_e32 vcc_lo, v2, v2
	v_add3_u32 v2, v2, v3, 0x7fff
	v_cndmask_b32_sdwa v2, v4, v2, vcc_lo dst_sel:DWORD dst_unused:UNUSED_PAD src0_sel:DWORD src1_sel:WORD_1
	global_store_short v[0:1], v2, off
.LBB332_11:
	s_endpgm
	.section	.rodata,"a",@progbits
	.p2align	6, 0x0
	.amdhsa_kernel _ZN12_GLOBAL__N_121softmax_warp_backwardIfN3c108BFloat16EfLi4ELb1ELb0ELi64EEEvPT0_PKT_S7_iiiPKb
		.amdhsa_group_segment_fixed_size 0
		.amdhsa_private_segment_fixed_size 0
		.amdhsa_kernarg_size 304
		.amdhsa_user_sgpr_count 6
		.amdhsa_user_sgpr_private_segment_buffer 1
		.amdhsa_user_sgpr_dispatch_ptr 0
		.amdhsa_user_sgpr_queue_ptr 0
		.amdhsa_user_sgpr_kernarg_segment_ptr 1
		.amdhsa_user_sgpr_dispatch_id 0
		.amdhsa_user_sgpr_flat_scratch_init 0
		.amdhsa_user_sgpr_private_segment_size 0
		.amdhsa_wavefront_size32 1
		.amdhsa_uses_dynamic_stack 0
		.amdhsa_system_sgpr_private_segment_wavefront_offset 0
		.amdhsa_system_sgpr_workgroup_id_x 1
		.amdhsa_system_sgpr_workgroup_id_y 0
		.amdhsa_system_sgpr_workgroup_id_z 0
		.amdhsa_system_sgpr_workgroup_info 0
		.amdhsa_system_vgpr_workitem_id 1
		.amdhsa_next_free_vgpr 14
		.amdhsa_next_free_sgpr 12
		.amdhsa_reserve_vcc 1
		.amdhsa_reserve_flat_scratch 0
		.amdhsa_float_round_mode_32 0
		.amdhsa_float_round_mode_16_64 0
		.amdhsa_float_denorm_mode_32 3
		.amdhsa_float_denorm_mode_16_64 3
		.amdhsa_dx10_clamp 1
		.amdhsa_ieee_mode 1
		.amdhsa_fp16_overflow 0
		.amdhsa_workgroup_processor_mode 1
		.amdhsa_memory_ordered 1
		.amdhsa_forward_progress 1
		.amdhsa_shared_vgpr_count 0
		.amdhsa_exception_fp_ieee_invalid_op 0
		.amdhsa_exception_fp_denorm_src 0
		.amdhsa_exception_fp_ieee_div_zero 0
		.amdhsa_exception_fp_ieee_overflow 0
		.amdhsa_exception_fp_ieee_underflow 0
		.amdhsa_exception_fp_ieee_inexact 0
		.amdhsa_exception_int_div_zero 0
	.end_amdhsa_kernel
	.section	.text._ZN12_GLOBAL__N_121softmax_warp_backwardIfN3c108BFloat16EfLi4ELb1ELb0ELi64EEEvPT0_PKT_S7_iiiPKb,"axG",@progbits,_ZN12_GLOBAL__N_121softmax_warp_backwardIfN3c108BFloat16EfLi4ELb1ELb0ELi64EEEvPT0_PKT_S7_iiiPKb,comdat
.Lfunc_end332:
	.size	_ZN12_GLOBAL__N_121softmax_warp_backwardIfN3c108BFloat16EfLi4ELb1ELb0ELi64EEEvPT0_PKT_S7_iiiPKb, .Lfunc_end332-_ZN12_GLOBAL__N_121softmax_warp_backwardIfN3c108BFloat16EfLi4ELb1ELb0ELi64EEEvPT0_PKT_S7_iiiPKb
                                        ; -- End function
	.set _ZN12_GLOBAL__N_121softmax_warp_backwardIfN3c108BFloat16EfLi4ELb1ELb0ELi64EEEvPT0_PKT_S7_iiiPKb.num_vgpr, 14
	.set _ZN12_GLOBAL__N_121softmax_warp_backwardIfN3c108BFloat16EfLi4ELb1ELb0ELi64EEEvPT0_PKT_S7_iiiPKb.num_agpr, 0
	.set _ZN12_GLOBAL__N_121softmax_warp_backwardIfN3c108BFloat16EfLi4ELb1ELb0ELi64EEEvPT0_PKT_S7_iiiPKb.numbered_sgpr, 12
	.set _ZN12_GLOBAL__N_121softmax_warp_backwardIfN3c108BFloat16EfLi4ELb1ELb0ELi64EEEvPT0_PKT_S7_iiiPKb.num_named_barrier, 0
	.set _ZN12_GLOBAL__N_121softmax_warp_backwardIfN3c108BFloat16EfLi4ELb1ELb0ELi64EEEvPT0_PKT_S7_iiiPKb.private_seg_size, 0
	.set _ZN12_GLOBAL__N_121softmax_warp_backwardIfN3c108BFloat16EfLi4ELb1ELb0ELi64EEEvPT0_PKT_S7_iiiPKb.uses_vcc, 1
	.set _ZN12_GLOBAL__N_121softmax_warp_backwardIfN3c108BFloat16EfLi4ELb1ELb0ELi64EEEvPT0_PKT_S7_iiiPKb.uses_flat_scratch, 0
	.set _ZN12_GLOBAL__N_121softmax_warp_backwardIfN3c108BFloat16EfLi4ELb1ELb0ELi64EEEvPT0_PKT_S7_iiiPKb.has_dyn_sized_stack, 0
	.set _ZN12_GLOBAL__N_121softmax_warp_backwardIfN3c108BFloat16EfLi4ELb1ELb0ELi64EEEvPT0_PKT_S7_iiiPKb.has_recursion, 0
	.set _ZN12_GLOBAL__N_121softmax_warp_backwardIfN3c108BFloat16EfLi4ELb1ELb0ELi64EEEvPT0_PKT_S7_iiiPKb.has_indirect_call, 0
	.section	.AMDGPU.csdata,"",@progbits
; Kernel info:
; codeLenInByte = 928
; TotalNumSgprs: 14
; NumVgprs: 14
; ScratchSize: 0
; MemoryBound: 0
; FloatMode: 240
; IeeeMode: 1
; LDSByteSize: 0 bytes/workgroup (compile time only)
; SGPRBlocks: 0
; VGPRBlocks: 1
; NumSGPRsForWavesPerEU: 14
; NumVGPRsForWavesPerEU: 14
; Occupancy: 16
; WaveLimiterHint : 0
; COMPUTE_PGM_RSRC2:SCRATCH_EN: 0
; COMPUTE_PGM_RSRC2:USER_SGPR: 6
; COMPUTE_PGM_RSRC2:TRAP_HANDLER: 0
; COMPUTE_PGM_RSRC2:TGID_X_EN: 1
; COMPUTE_PGM_RSRC2:TGID_Y_EN: 0
; COMPUTE_PGM_RSRC2:TGID_Z_EN: 0
; COMPUTE_PGM_RSRC2:TIDIG_COMP_CNT: 1
	.section	.text._ZN12_GLOBAL__N_121softmax_warp_backwardIfN3c108BFloat16EfLi4ELb1ELb0ELi32EEEvPT0_PKT_S7_iiiPKb,"axG",@progbits,_ZN12_GLOBAL__N_121softmax_warp_backwardIfN3c108BFloat16EfLi4ELb1ELb0ELi32EEEvPT0_PKT_S7_iiiPKb,comdat
	.globl	_ZN12_GLOBAL__N_121softmax_warp_backwardIfN3c108BFloat16EfLi4ELb1ELb0ELi32EEEvPT0_PKT_S7_iiiPKb ; -- Begin function _ZN12_GLOBAL__N_121softmax_warp_backwardIfN3c108BFloat16EfLi4ELb1ELb0ELi32EEEvPT0_PKT_S7_iiiPKb
	.p2align	8
	.type	_ZN12_GLOBAL__N_121softmax_warp_backwardIfN3c108BFloat16EfLi4ELb1ELb0ELi32EEEvPT0_PKT_S7_iiiPKb,@function
_ZN12_GLOBAL__N_121softmax_warp_backwardIfN3c108BFloat16EfLi4ELb1ELb0ELi32EEEvPT0_PKT_S7_iiiPKb: ; @_ZN12_GLOBAL__N_121softmax_warp_backwardIfN3c108BFloat16EfLi4ELb1ELb0ELi32EEEvPT0_PKT_S7_iiiPKb
; %bb.0:
	s_clause 0x1
	s_load_dword s7, s[4:5], 0x3c
	s_load_dwordx4 s[0:3], s[4:5], 0x18
	v_and_b32_e32 v2, 15, v0
	s_clause 0x1
	s_load_dwordx4 s[8:11], s[4:5], 0x0
	s_load_dwordx2 s[4:5], s[4:5], 0x10
	v_mov_b32_e32 v7, 0
	v_mov_b32_e32 v8, 0
	s_waitcnt lgkmcnt(0)
	s_lshr_b32 s3, s7, 16
	s_and_b32 s3, s3, 0xffff
	s_mul_i32 s6, s6, s3
	v_add_lshl_u32 v3, s6, v1, 1
	v_mad_u64_u32 v[0:1], null, v3, s1, v[2:3]
	v_sub_nc_u32_e32 v6, s0, v3
	v_cmp_gt_i32_e64 s0, s2, v2
	v_cmp_lt_i32_e32 vcc_lo, 0, v6
	v_ashrrev_i32_e32 v1, 31, v0
	s_and_b32 s3, s0, vcc_lo
	v_lshlrev_b64 v[4:5], 2, v[0:1]
	v_add_co_u32 v2, s1, s10, v4
	v_add_co_ci_u32_e64 v3, null, s11, v5, s1
	v_add_co_u32 v4, s1, s4, v4
	v_add_co_ci_u32_e64 v5, null, s5, v5, s1
	s_and_saveexec_b32 s1, s3
	s_cbranch_execz .LBB333_2
; %bb.1:
	global_load_dword v8, v[2:3], off
	global_load_dword v7, v[4:5], off
.LBB333_2:
	s_or_b32 exec_lo, exec_lo, s1
	v_cmp_gt_i32_e64 s1, 2, v6
	s_xor_b32 s3, s0, -1
	s_or_b32 s1, s3, s1
	s_and_saveexec_b32 s3, s1
	s_xor_b32 s1, exec_lo, s3
                                        ; implicit-def: $vgpr9
; %bb.3:
	v_mov_b32_e32 v9, 0
                                        ; implicit-def: $vgpr4
                                        ; implicit-def: $vgpr2
; %bb.4:
	s_or_saveexec_b32 s4, s1
	v_mov_b32_e32 v10, 1.0
	s_xor_b32 exec_lo, exec_lo, s4
	s_cbranch_execz .LBB333_6
; %bb.5:
	s_mov_b32 s3, 0
	s_lshl_b64 s[6:7], s[2:3], 2
	v_add_co_u32 v4, s1, v4, s6
	v_add_co_ci_u32_e64 v5, null, s7, v5, s1
	v_add_co_u32 v2, s1, v2, s6
	v_add_co_ci_u32_e64 v3, null, s7, v3, s1
	global_load_dword v4, v[4:5], off
	global_load_dword v9, v[2:3], off
	s_waitcnt vmcnt(1)
	v_mul_f32_e32 v2, 0x3fb8aa3b, v4
	v_cmp_ngt_f32_e64 s1, 0xc2ce8ed0, v4
	v_fma_f32 v3, 0x3fb8aa3b, v4, -v2
	v_rndne_f32_e32 v5, v2
	v_fmamk_f32 v3, v4, 0x32a5705f, v3
	v_sub_f32_e32 v2, v2, v5
	v_add_f32_e32 v2, v2, v3
	v_cvt_i32_f32_e32 v3, v5
	v_exp_f32_e32 v2, v2
	v_ldexp_f32 v2, v2, v3
	v_cndmask_b32_e64 v2, 0, v2, s1
	v_cmp_nlt_f32_e64 s1, 0x42b17218, v4
	v_cndmask_b32_e64 v10, 0x7f800000, v2, s1
.LBB333_6:
	s_or_b32 exec_lo, exec_lo, s4
	v_mbcnt_lo_u32_b32 v2, -1, 0
	s_waitcnt vmcnt(1)
	v_add_f32_e32 v5, 0, v8
	s_waitcnt vmcnt(0)
	v_add_f32_e32 v11, 0, v9
	v_and_b32_e32 v3, 16, v2
	v_xor_b32_e32 v4, 8, v2
	v_xor_b32_e32 v13, 4, v2
	v_add_nc_u32_e32 v3, 16, v3
	v_cmp_lt_i32_e64 s1, v4, v3
	v_cndmask_b32_e64 v4, v2, v4, s1
	v_cmp_lt_i32_e64 s1, v13, v3
	v_lshlrev_b32_e32 v4, 2, v4
	v_cndmask_b32_e64 v13, v2, v13, s1
	ds_bpermute_b32 v12, v4, v5
	ds_bpermute_b32 v4, v4, v11
	v_lshlrev_b32_e32 v13, 2, v13
	s_waitcnt lgkmcnt(1)
	v_add_f32_e32 v5, v5, v12
	s_waitcnt lgkmcnt(0)
	v_add_f32_e32 v4, v11, v4
	ds_bpermute_b32 v11, v13, v5
	ds_bpermute_b32 v12, v13, v4
	v_xor_b32_e32 v13, 2, v2
	v_cmp_lt_i32_e64 s1, v13, v3
	v_cndmask_b32_e64 v13, v2, v13, s1
	v_lshlrev_b32_e32 v13, 2, v13
	s_waitcnt lgkmcnt(1)
	v_add_f32_e32 v5, v5, v11
	s_waitcnt lgkmcnt(0)
	v_add_f32_e32 v11, v4, v12
	ds_bpermute_b32 v4, v13, v5
	ds_bpermute_b32 v12, v13, v11
	v_xor_b32_e32 v13, 1, v2
	v_cmp_lt_i32_e64 s1, v13, v3
	v_cndmask_b32_e64 v2, v2, v13, s1
	v_lshlrev_b32_e32 v3, 2, v2
	s_waitcnt lgkmcnt(1)
	v_add_f32_e32 v4, v5, v4
	s_waitcnt lgkmcnt(0)
	v_add_f32_e32 v2, v11, v12
	ds_bpermute_b32 v5, v3, v4
	ds_bpermute_b32 v3, v3, v2
	s_and_saveexec_b32 s1, vcc_lo
	s_cbranch_execz .LBB333_11
; %bb.7:
	v_lshlrev_b64 v[0:1], 1, v[0:1]
	v_add_co_u32 v0, vcc_lo, s8, v0
	v_add_co_ci_u32_e64 v1, null, s9, v1, vcc_lo
	s_and_saveexec_b32 s1, s0
	s_cbranch_execz .LBB333_9
; %bb.8:
	v_mul_f32_e32 v11, 0x3fb8aa3b, v7
	v_cmp_ngt_f32_e32 vcc_lo, 0xc2ce8ed0, v7
	s_waitcnt lgkmcnt(1)
	v_add_f32_e32 v4, v4, v5
	v_rndne_f32_e32 v12, v11
	v_fma_f32 v13, 0x3fb8aa3b, v7, -v11
	v_sub_f32_e32 v11, v11, v12
	v_fmamk_f32 v13, v7, 0x32a5705f, v13
	v_cvt_i32_f32_e32 v12, v12
	v_add_f32_e32 v11, v11, v13
	v_exp_f32_e32 v11, v11
	v_ldexp_f32 v11, v11, v12
	v_cndmask_b32_e32 v11, 0, v11, vcc_lo
	v_cmp_nlt_f32_e32 vcc_lo, 0x42b17218, v7
	v_cndmask_b32_e32 v5, 0x7f800000, v11, vcc_lo
	v_fma_f32 v4, -v4, v5, v8
	v_bfe_u32 v5, v4, 16, 1
	v_cmp_o_f32_e32 vcc_lo, v4, v4
	v_add3_u32 v4, v4, v5, 0x7fff
	v_mov_b32_e32 v5, 0x7fc0
	v_cndmask_b32_sdwa v4, v5, v4, vcc_lo dst_sel:DWORD dst_unused:UNUSED_PAD src0_sel:DWORD src1_sel:WORD_1
	global_store_short v[0:1], v4, off
.LBB333_9:
	s_or_b32 exec_lo, exec_lo, s1
	v_cmp_ne_u32_e32 vcc_lo, 1, v6
	s_and_b32 s0, vcc_lo, s0
	s_and_b32 exec_lo, exec_lo, s0
	s_cbranch_execz .LBB333_11
; %bb.10:
	s_waitcnt lgkmcnt(0)
	v_add_f32_e32 v2, v2, v3
	s_mov_b32 s3, 0
	v_mov_b32_e32 v4, 0x7fc0
	s_lshl_b64 s[0:1], s[2:3], 1
	v_add_co_u32 v0, s0, v0, s0
	v_fma_f32 v2, -v2, v10, v9
	v_add_co_ci_u32_e64 v1, null, s1, v1, s0
	v_bfe_u32 v3, v2, 16, 1
	v_cmp_o_f32_e32 vcc_lo, v2, v2
	v_add3_u32 v2, v2, v3, 0x7fff
	v_cndmask_b32_sdwa v2, v4, v2, vcc_lo dst_sel:DWORD dst_unused:UNUSED_PAD src0_sel:DWORD src1_sel:WORD_1
	global_store_short v[0:1], v2, off
.LBB333_11:
	s_endpgm
	.section	.rodata,"a",@progbits
	.p2align	6, 0x0
	.amdhsa_kernel _ZN12_GLOBAL__N_121softmax_warp_backwardIfN3c108BFloat16EfLi4ELb1ELb0ELi32EEEvPT0_PKT_S7_iiiPKb
		.amdhsa_group_segment_fixed_size 0
		.amdhsa_private_segment_fixed_size 0
		.amdhsa_kernarg_size 304
		.amdhsa_user_sgpr_count 6
		.amdhsa_user_sgpr_private_segment_buffer 1
		.amdhsa_user_sgpr_dispatch_ptr 0
		.amdhsa_user_sgpr_queue_ptr 0
		.amdhsa_user_sgpr_kernarg_segment_ptr 1
		.amdhsa_user_sgpr_dispatch_id 0
		.amdhsa_user_sgpr_flat_scratch_init 0
		.amdhsa_user_sgpr_private_segment_size 0
		.amdhsa_wavefront_size32 1
		.amdhsa_uses_dynamic_stack 0
		.amdhsa_system_sgpr_private_segment_wavefront_offset 0
		.amdhsa_system_sgpr_workgroup_id_x 1
		.amdhsa_system_sgpr_workgroup_id_y 0
		.amdhsa_system_sgpr_workgroup_id_z 0
		.amdhsa_system_sgpr_workgroup_info 0
		.amdhsa_system_vgpr_workitem_id 1
		.amdhsa_next_free_vgpr 14
		.amdhsa_next_free_sgpr 12
		.amdhsa_reserve_vcc 1
		.amdhsa_reserve_flat_scratch 0
		.amdhsa_float_round_mode_32 0
		.amdhsa_float_round_mode_16_64 0
		.amdhsa_float_denorm_mode_32 3
		.amdhsa_float_denorm_mode_16_64 3
		.amdhsa_dx10_clamp 1
		.amdhsa_ieee_mode 1
		.amdhsa_fp16_overflow 0
		.amdhsa_workgroup_processor_mode 1
		.amdhsa_memory_ordered 1
		.amdhsa_forward_progress 1
		.amdhsa_shared_vgpr_count 0
		.amdhsa_exception_fp_ieee_invalid_op 0
		.amdhsa_exception_fp_denorm_src 0
		.amdhsa_exception_fp_ieee_div_zero 0
		.amdhsa_exception_fp_ieee_overflow 0
		.amdhsa_exception_fp_ieee_underflow 0
		.amdhsa_exception_fp_ieee_inexact 0
		.amdhsa_exception_int_div_zero 0
	.end_amdhsa_kernel
	.section	.text._ZN12_GLOBAL__N_121softmax_warp_backwardIfN3c108BFloat16EfLi4ELb1ELb0ELi32EEEvPT0_PKT_S7_iiiPKb,"axG",@progbits,_ZN12_GLOBAL__N_121softmax_warp_backwardIfN3c108BFloat16EfLi4ELb1ELb0ELi32EEEvPT0_PKT_S7_iiiPKb,comdat
.Lfunc_end333:
	.size	_ZN12_GLOBAL__N_121softmax_warp_backwardIfN3c108BFloat16EfLi4ELb1ELb0ELi32EEEvPT0_PKT_S7_iiiPKb, .Lfunc_end333-_ZN12_GLOBAL__N_121softmax_warp_backwardIfN3c108BFloat16EfLi4ELb1ELb0ELi32EEEvPT0_PKT_S7_iiiPKb
                                        ; -- End function
	.set _ZN12_GLOBAL__N_121softmax_warp_backwardIfN3c108BFloat16EfLi4ELb1ELb0ELi32EEEvPT0_PKT_S7_iiiPKb.num_vgpr, 14
	.set _ZN12_GLOBAL__N_121softmax_warp_backwardIfN3c108BFloat16EfLi4ELb1ELb0ELi32EEEvPT0_PKT_S7_iiiPKb.num_agpr, 0
	.set _ZN12_GLOBAL__N_121softmax_warp_backwardIfN3c108BFloat16EfLi4ELb1ELb0ELi32EEEvPT0_PKT_S7_iiiPKb.numbered_sgpr, 12
	.set _ZN12_GLOBAL__N_121softmax_warp_backwardIfN3c108BFloat16EfLi4ELb1ELb0ELi32EEEvPT0_PKT_S7_iiiPKb.num_named_barrier, 0
	.set _ZN12_GLOBAL__N_121softmax_warp_backwardIfN3c108BFloat16EfLi4ELb1ELb0ELi32EEEvPT0_PKT_S7_iiiPKb.private_seg_size, 0
	.set _ZN12_GLOBAL__N_121softmax_warp_backwardIfN3c108BFloat16EfLi4ELb1ELb0ELi32EEEvPT0_PKT_S7_iiiPKb.uses_vcc, 1
	.set _ZN12_GLOBAL__N_121softmax_warp_backwardIfN3c108BFloat16EfLi4ELb1ELb0ELi32EEEvPT0_PKT_S7_iiiPKb.uses_flat_scratch, 0
	.set _ZN12_GLOBAL__N_121softmax_warp_backwardIfN3c108BFloat16EfLi4ELb1ELb0ELi32EEEvPT0_PKT_S7_iiiPKb.has_dyn_sized_stack, 0
	.set _ZN12_GLOBAL__N_121softmax_warp_backwardIfN3c108BFloat16EfLi4ELb1ELb0ELi32EEEvPT0_PKT_S7_iiiPKb.has_recursion, 0
	.set _ZN12_GLOBAL__N_121softmax_warp_backwardIfN3c108BFloat16EfLi4ELb1ELb0ELi32EEEvPT0_PKT_S7_iiiPKb.has_indirect_call, 0
	.section	.AMDGPU.csdata,"",@progbits
; Kernel info:
; codeLenInByte = 928
; TotalNumSgprs: 14
; NumVgprs: 14
; ScratchSize: 0
; MemoryBound: 0
; FloatMode: 240
; IeeeMode: 1
; LDSByteSize: 0 bytes/workgroup (compile time only)
; SGPRBlocks: 0
; VGPRBlocks: 1
; NumSGPRsForWavesPerEU: 14
; NumVGPRsForWavesPerEU: 14
; Occupancy: 16
; WaveLimiterHint : 0
; COMPUTE_PGM_RSRC2:SCRATCH_EN: 0
; COMPUTE_PGM_RSRC2:USER_SGPR: 6
; COMPUTE_PGM_RSRC2:TRAP_HANDLER: 0
; COMPUTE_PGM_RSRC2:TGID_X_EN: 1
; COMPUTE_PGM_RSRC2:TGID_Y_EN: 0
; COMPUTE_PGM_RSRC2:TGID_Z_EN: 0
; COMPUTE_PGM_RSRC2:TIDIG_COMP_CNT: 1
	.section	.text._ZN12_GLOBAL__N_121softmax_warp_backwardIfN3c108BFloat16EfLi5ELb1ELb0ELi64EEEvPT0_PKT_S7_iiiPKb,"axG",@progbits,_ZN12_GLOBAL__N_121softmax_warp_backwardIfN3c108BFloat16EfLi5ELb1ELb0ELi64EEEvPT0_PKT_S7_iiiPKb,comdat
	.globl	_ZN12_GLOBAL__N_121softmax_warp_backwardIfN3c108BFloat16EfLi5ELb1ELb0ELi64EEEvPT0_PKT_S7_iiiPKb ; -- Begin function _ZN12_GLOBAL__N_121softmax_warp_backwardIfN3c108BFloat16EfLi5ELb1ELb0ELi64EEEvPT0_PKT_S7_iiiPKb
	.p2align	8
	.type	_ZN12_GLOBAL__N_121softmax_warp_backwardIfN3c108BFloat16EfLi5ELb1ELb0ELi64EEEvPT0_PKT_S7_iiiPKb,@function
_ZN12_GLOBAL__N_121softmax_warp_backwardIfN3c108BFloat16EfLi5ELb1ELb0ELi64EEEvPT0_PKT_S7_iiiPKb: ; @_ZN12_GLOBAL__N_121softmax_warp_backwardIfN3c108BFloat16EfLi5ELb1ELb0ELi64EEEvPT0_PKT_S7_iiiPKb
; %bb.0:
	s_clause 0x1
	s_load_dword s7, s[4:5], 0x3c
	s_load_dwordx4 s[0:3], s[4:5], 0x18
	v_and_b32_e32 v2, 31, v0
	s_clause 0x1
	s_load_dwordx4 s[8:11], s[4:5], 0x0
	s_load_dwordx2 s[4:5], s[4:5], 0x10
	v_mov_b32_e32 v7, 0
	v_mov_b32_e32 v8, 0
	s_waitcnt lgkmcnt(0)
	s_lshr_b32 s3, s7, 16
	s_and_b32 s3, s3, 0xffff
	s_mul_i32 s6, s6, s3
	v_add_lshl_u32 v3, s6, v1, 1
	v_mad_u64_u32 v[0:1], null, v3, s1, v[2:3]
	v_sub_nc_u32_e32 v6, s0, v3
	v_cmp_gt_i32_e64 s0, s2, v2
	v_cmp_lt_i32_e32 vcc_lo, 0, v6
	v_ashrrev_i32_e32 v1, 31, v0
	s_and_b32 s3, s0, vcc_lo
	v_lshlrev_b64 v[4:5], 2, v[0:1]
	v_add_co_u32 v2, s1, s10, v4
	v_add_co_ci_u32_e64 v3, null, s11, v5, s1
	v_add_co_u32 v4, s1, s4, v4
	v_add_co_ci_u32_e64 v5, null, s5, v5, s1
	s_and_saveexec_b32 s1, s3
	s_cbranch_execz .LBB334_2
; %bb.1:
	global_load_dword v8, v[2:3], off
	global_load_dword v7, v[4:5], off
.LBB334_2:
	s_or_b32 exec_lo, exec_lo, s1
	v_cmp_gt_i32_e64 s1, 2, v6
	s_xor_b32 s3, s0, -1
	s_or_b32 s1, s3, s1
	s_and_saveexec_b32 s3, s1
	s_xor_b32 s1, exec_lo, s3
                                        ; implicit-def: $vgpr9
; %bb.3:
	v_mov_b32_e32 v9, 0
                                        ; implicit-def: $vgpr4
                                        ; implicit-def: $vgpr2
; %bb.4:
	s_or_saveexec_b32 s4, s1
	v_mov_b32_e32 v10, 1.0
	s_xor_b32 exec_lo, exec_lo, s4
	s_cbranch_execz .LBB334_6
; %bb.5:
	s_mov_b32 s3, 0
	s_lshl_b64 s[6:7], s[2:3], 2
	v_add_co_u32 v4, s1, v4, s6
	v_add_co_ci_u32_e64 v5, null, s7, v5, s1
	v_add_co_u32 v2, s1, v2, s6
	v_add_co_ci_u32_e64 v3, null, s7, v3, s1
	global_load_dword v4, v[4:5], off
	global_load_dword v9, v[2:3], off
	s_waitcnt vmcnt(1)
	v_mul_f32_e32 v2, 0x3fb8aa3b, v4
	v_cmp_ngt_f32_e64 s1, 0xc2ce8ed0, v4
	v_fma_f32 v3, 0x3fb8aa3b, v4, -v2
	v_rndne_f32_e32 v5, v2
	v_fmamk_f32 v3, v4, 0x32a5705f, v3
	v_sub_f32_e32 v2, v2, v5
	v_add_f32_e32 v2, v2, v3
	v_cvt_i32_f32_e32 v3, v5
	v_exp_f32_e32 v2, v2
	v_ldexp_f32 v2, v2, v3
	v_cndmask_b32_e64 v2, 0, v2, s1
	v_cmp_nlt_f32_e64 s1, 0x42b17218, v4
	v_cndmask_b32_e64 v10, 0x7f800000, v2, s1
.LBB334_6:
	s_or_b32 exec_lo, exec_lo, s4
	v_mbcnt_lo_u32_b32 v2, -1, 0
	s_waitcnt vmcnt(1)
	v_add_f32_e32 v4, 0, v8
	s_waitcnt vmcnt(0)
	v_add_f32_e32 v5, 0, v9
	v_xor_b32_e32 v3, 16, v2
	v_xor_b32_e32 v12, 8, v2
	v_cmp_gt_i32_e64 s1, 32, v3
	v_cndmask_b32_e64 v3, v2, v3, s1
	v_cmp_gt_i32_e64 s1, 32, v12
	v_lshlrev_b32_e32 v3, 2, v3
	v_cndmask_b32_e64 v12, v2, v12, s1
	ds_bpermute_b32 v11, v3, v4
	ds_bpermute_b32 v3, v3, v5
	v_lshlrev_b32_e32 v12, 2, v12
	s_waitcnt lgkmcnt(1)
	v_add_f32_e32 v4, v4, v11
	s_waitcnt lgkmcnt(0)
	v_add_f32_e32 v3, v5, v3
	ds_bpermute_b32 v5, v12, v4
	ds_bpermute_b32 v11, v12, v3
	v_xor_b32_e32 v12, 4, v2
	v_cmp_gt_i32_e64 s1, 32, v12
	v_cndmask_b32_e64 v12, v2, v12, s1
	v_lshlrev_b32_e32 v12, 2, v12
	s_waitcnt lgkmcnt(1)
	v_add_f32_e32 v4, v4, v5
	s_waitcnt lgkmcnt(0)
	v_add_f32_e32 v3, v3, v11
	ds_bpermute_b32 v5, v12, v4
	ds_bpermute_b32 v11, v12, v3
	v_xor_b32_e32 v12, 2, v2
	v_cmp_gt_i32_e64 s1, 32, v12
	v_cndmask_b32_e64 v12, v2, v12, s1
	v_lshlrev_b32_e32 v12, 2, v12
	s_waitcnt lgkmcnt(1)
	v_add_f32_e32 v4, v4, v5
	s_waitcnt lgkmcnt(0)
	v_add_f32_e32 v3, v3, v11
	ds_bpermute_b32 v5, v12, v4
	ds_bpermute_b32 v11, v12, v3
	v_xor_b32_e32 v12, 1, v2
	v_cmp_gt_i32_e64 s1, 32, v12
	v_cndmask_b32_e64 v2, v2, v12, s1
	v_lshlrev_b32_e32 v12, 2, v2
	s_waitcnt lgkmcnt(1)
	v_add_f32_e32 v4, v4, v5
	s_waitcnt lgkmcnt(0)
	v_add_f32_e32 v2, v3, v11
	ds_bpermute_b32 v5, v12, v4
	ds_bpermute_b32 v3, v12, v2
	s_and_saveexec_b32 s1, vcc_lo
	s_cbranch_execz .LBB334_11
; %bb.7:
	v_lshlrev_b64 v[0:1], 1, v[0:1]
	v_add_co_u32 v0, vcc_lo, s8, v0
	v_add_co_ci_u32_e64 v1, null, s9, v1, vcc_lo
	s_and_saveexec_b32 s1, s0
	s_cbranch_execz .LBB334_9
; %bb.8:
	v_mul_f32_e32 v11, 0x3fb8aa3b, v7
	v_cmp_ngt_f32_e32 vcc_lo, 0xc2ce8ed0, v7
	s_waitcnt lgkmcnt(1)
	v_add_f32_e32 v4, v4, v5
	v_rndne_f32_e32 v12, v11
	v_fma_f32 v13, 0x3fb8aa3b, v7, -v11
	v_sub_f32_e32 v11, v11, v12
	v_fmamk_f32 v13, v7, 0x32a5705f, v13
	v_cvt_i32_f32_e32 v12, v12
	v_add_f32_e32 v11, v11, v13
	v_exp_f32_e32 v11, v11
	v_ldexp_f32 v11, v11, v12
	v_cndmask_b32_e32 v11, 0, v11, vcc_lo
	v_cmp_nlt_f32_e32 vcc_lo, 0x42b17218, v7
	v_cndmask_b32_e32 v5, 0x7f800000, v11, vcc_lo
	v_fma_f32 v4, -v4, v5, v8
	v_bfe_u32 v5, v4, 16, 1
	v_cmp_o_f32_e32 vcc_lo, v4, v4
	v_add3_u32 v4, v4, v5, 0x7fff
	v_mov_b32_e32 v5, 0x7fc0
	v_cndmask_b32_sdwa v4, v5, v4, vcc_lo dst_sel:DWORD dst_unused:UNUSED_PAD src0_sel:DWORD src1_sel:WORD_1
	global_store_short v[0:1], v4, off
.LBB334_9:
	s_or_b32 exec_lo, exec_lo, s1
	v_cmp_ne_u32_e32 vcc_lo, 1, v6
	s_and_b32 s0, vcc_lo, s0
	s_and_b32 exec_lo, exec_lo, s0
	s_cbranch_execz .LBB334_11
; %bb.10:
	s_waitcnt lgkmcnt(0)
	v_add_f32_e32 v2, v2, v3
	s_mov_b32 s3, 0
	v_mov_b32_e32 v4, 0x7fc0
	s_lshl_b64 s[0:1], s[2:3], 1
	v_add_co_u32 v0, s0, v0, s0
	v_fma_f32 v2, -v2, v10, v9
	v_add_co_ci_u32_e64 v1, null, s1, v1, s0
	v_bfe_u32 v3, v2, 16, 1
	v_cmp_o_f32_e32 vcc_lo, v2, v2
	v_add3_u32 v2, v2, v3, 0x7fff
	v_cndmask_b32_sdwa v2, v4, v2, vcc_lo dst_sel:DWORD dst_unused:UNUSED_PAD src0_sel:DWORD src1_sel:WORD_1
	global_store_short v[0:1], v2, off
.LBB334_11:
	s_endpgm
	.section	.rodata,"a",@progbits
	.p2align	6, 0x0
	.amdhsa_kernel _ZN12_GLOBAL__N_121softmax_warp_backwardIfN3c108BFloat16EfLi5ELb1ELb0ELi64EEEvPT0_PKT_S7_iiiPKb
		.amdhsa_group_segment_fixed_size 0
		.amdhsa_private_segment_fixed_size 0
		.amdhsa_kernarg_size 304
		.amdhsa_user_sgpr_count 6
		.amdhsa_user_sgpr_private_segment_buffer 1
		.amdhsa_user_sgpr_dispatch_ptr 0
		.amdhsa_user_sgpr_queue_ptr 0
		.amdhsa_user_sgpr_kernarg_segment_ptr 1
		.amdhsa_user_sgpr_dispatch_id 0
		.amdhsa_user_sgpr_flat_scratch_init 0
		.amdhsa_user_sgpr_private_segment_size 0
		.amdhsa_wavefront_size32 1
		.amdhsa_uses_dynamic_stack 0
		.amdhsa_system_sgpr_private_segment_wavefront_offset 0
		.amdhsa_system_sgpr_workgroup_id_x 1
		.amdhsa_system_sgpr_workgroup_id_y 0
		.amdhsa_system_sgpr_workgroup_id_z 0
		.amdhsa_system_sgpr_workgroup_info 0
		.amdhsa_system_vgpr_workitem_id 1
		.amdhsa_next_free_vgpr 14
		.amdhsa_next_free_sgpr 12
		.amdhsa_reserve_vcc 1
		.amdhsa_reserve_flat_scratch 0
		.amdhsa_float_round_mode_32 0
		.amdhsa_float_round_mode_16_64 0
		.amdhsa_float_denorm_mode_32 3
		.amdhsa_float_denorm_mode_16_64 3
		.amdhsa_dx10_clamp 1
		.amdhsa_ieee_mode 1
		.amdhsa_fp16_overflow 0
		.amdhsa_workgroup_processor_mode 1
		.amdhsa_memory_ordered 1
		.amdhsa_forward_progress 1
		.amdhsa_shared_vgpr_count 0
		.amdhsa_exception_fp_ieee_invalid_op 0
		.amdhsa_exception_fp_denorm_src 0
		.amdhsa_exception_fp_ieee_div_zero 0
		.amdhsa_exception_fp_ieee_overflow 0
		.amdhsa_exception_fp_ieee_underflow 0
		.amdhsa_exception_fp_ieee_inexact 0
		.amdhsa_exception_int_div_zero 0
	.end_amdhsa_kernel
	.section	.text._ZN12_GLOBAL__N_121softmax_warp_backwardIfN3c108BFloat16EfLi5ELb1ELb0ELi64EEEvPT0_PKT_S7_iiiPKb,"axG",@progbits,_ZN12_GLOBAL__N_121softmax_warp_backwardIfN3c108BFloat16EfLi5ELb1ELb0ELi64EEEvPT0_PKT_S7_iiiPKb,comdat
.Lfunc_end334:
	.size	_ZN12_GLOBAL__N_121softmax_warp_backwardIfN3c108BFloat16EfLi5ELb1ELb0ELi64EEEvPT0_PKT_S7_iiiPKb, .Lfunc_end334-_ZN12_GLOBAL__N_121softmax_warp_backwardIfN3c108BFloat16EfLi5ELb1ELb0ELi64EEEvPT0_PKT_S7_iiiPKb
                                        ; -- End function
	.set _ZN12_GLOBAL__N_121softmax_warp_backwardIfN3c108BFloat16EfLi5ELb1ELb0ELi64EEEvPT0_PKT_S7_iiiPKb.num_vgpr, 14
	.set _ZN12_GLOBAL__N_121softmax_warp_backwardIfN3c108BFloat16EfLi5ELb1ELb0ELi64EEEvPT0_PKT_S7_iiiPKb.num_agpr, 0
	.set _ZN12_GLOBAL__N_121softmax_warp_backwardIfN3c108BFloat16EfLi5ELb1ELb0ELi64EEEvPT0_PKT_S7_iiiPKb.numbered_sgpr, 12
	.set _ZN12_GLOBAL__N_121softmax_warp_backwardIfN3c108BFloat16EfLi5ELb1ELb0ELi64EEEvPT0_PKT_S7_iiiPKb.num_named_barrier, 0
	.set _ZN12_GLOBAL__N_121softmax_warp_backwardIfN3c108BFloat16EfLi5ELb1ELb0ELi64EEEvPT0_PKT_S7_iiiPKb.private_seg_size, 0
	.set _ZN12_GLOBAL__N_121softmax_warp_backwardIfN3c108BFloat16EfLi5ELb1ELb0ELi64EEEvPT0_PKT_S7_iiiPKb.uses_vcc, 1
	.set _ZN12_GLOBAL__N_121softmax_warp_backwardIfN3c108BFloat16EfLi5ELb1ELb0ELi64EEEvPT0_PKT_S7_iiiPKb.uses_flat_scratch, 0
	.set _ZN12_GLOBAL__N_121softmax_warp_backwardIfN3c108BFloat16EfLi5ELb1ELb0ELi64EEEvPT0_PKT_S7_iiiPKb.has_dyn_sized_stack, 0
	.set _ZN12_GLOBAL__N_121softmax_warp_backwardIfN3c108BFloat16EfLi5ELb1ELb0ELi64EEEvPT0_PKT_S7_iiiPKb.has_recursion, 0
	.set _ZN12_GLOBAL__N_121softmax_warp_backwardIfN3c108BFloat16EfLi5ELb1ELb0ELi64EEEvPT0_PKT_S7_iiiPKb.has_indirect_call, 0
	.section	.AMDGPU.csdata,"",@progbits
; Kernel info:
; codeLenInByte = 976
; TotalNumSgprs: 14
; NumVgprs: 14
; ScratchSize: 0
; MemoryBound: 0
; FloatMode: 240
; IeeeMode: 1
; LDSByteSize: 0 bytes/workgroup (compile time only)
; SGPRBlocks: 0
; VGPRBlocks: 1
; NumSGPRsForWavesPerEU: 14
; NumVGPRsForWavesPerEU: 14
; Occupancy: 16
; WaveLimiterHint : 0
; COMPUTE_PGM_RSRC2:SCRATCH_EN: 0
; COMPUTE_PGM_RSRC2:USER_SGPR: 6
; COMPUTE_PGM_RSRC2:TRAP_HANDLER: 0
; COMPUTE_PGM_RSRC2:TGID_X_EN: 1
; COMPUTE_PGM_RSRC2:TGID_Y_EN: 0
; COMPUTE_PGM_RSRC2:TGID_Z_EN: 0
; COMPUTE_PGM_RSRC2:TIDIG_COMP_CNT: 1
	.section	.text._ZN12_GLOBAL__N_121softmax_warp_backwardIfN3c108BFloat16EfLi5ELb1ELb0ELi32EEEvPT0_PKT_S7_iiiPKb,"axG",@progbits,_ZN12_GLOBAL__N_121softmax_warp_backwardIfN3c108BFloat16EfLi5ELb1ELb0ELi32EEEvPT0_PKT_S7_iiiPKb,comdat
	.globl	_ZN12_GLOBAL__N_121softmax_warp_backwardIfN3c108BFloat16EfLi5ELb1ELb0ELi32EEEvPT0_PKT_S7_iiiPKb ; -- Begin function _ZN12_GLOBAL__N_121softmax_warp_backwardIfN3c108BFloat16EfLi5ELb1ELb0ELi32EEEvPT0_PKT_S7_iiiPKb
	.p2align	8
	.type	_ZN12_GLOBAL__N_121softmax_warp_backwardIfN3c108BFloat16EfLi5ELb1ELb0ELi32EEEvPT0_PKT_S7_iiiPKb,@function
_ZN12_GLOBAL__N_121softmax_warp_backwardIfN3c108BFloat16EfLi5ELb1ELb0ELi32EEEvPT0_PKT_S7_iiiPKb: ; @_ZN12_GLOBAL__N_121softmax_warp_backwardIfN3c108BFloat16EfLi5ELb1ELb0ELi32EEEvPT0_PKT_S7_iiiPKb
; %bb.0:
	s_clause 0x1
	s_load_dword s7, s[4:5], 0x3c
	s_load_dwordx4 s[0:3], s[4:5], 0x18
	v_and_b32_e32 v2, 31, v0
	s_clause 0x1
	s_load_dwordx4 s[8:11], s[4:5], 0x0
	s_load_dwordx2 s[4:5], s[4:5], 0x10
	v_mov_b32_e32 v7, 0
	v_mov_b32_e32 v8, 0
	s_waitcnt lgkmcnt(0)
	s_lshr_b32 s3, s7, 16
	s_and_b32 s3, s3, 0xffff
	s_mul_i32 s6, s6, s3
	v_add_lshl_u32 v3, s6, v1, 1
	v_mad_u64_u32 v[0:1], null, v3, s1, v[2:3]
	v_sub_nc_u32_e32 v6, s0, v3
	v_cmp_gt_i32_e64 s0, s2, v2
	v_cmp_lt_i32_e32 vcc_lo, 0, v6
	v_ashrrev_i32_e32 v1, 31, v0
	s_and_b32 s3, s0, vcc_lo
	v_lshlrev_b64 v[4:5], 2, v[0:1]
	v_add_co_u32 v2, s1, s10, v4
	v_add_co_ci_u32_e64 v3, null, s11, v5, s1
	v_add_co_u32 v4, s1, s4, v4
	v_add_co_ci_u32_e64 v5, null, s5, v5, s1
	s_and_saveexec_b32 s1, s3
	s_cbranch_execz .LBB335_2
; %bb.1:
	global_load_dword v8, v[2:3], off
	global_load_dword v7, v[4:5], off
.LBB335_2:
	s_or_b32 exec_lo, exec_lo, s1
	v_cmp_gt_i32_e64 s1, 2, v6
	s_xor_b32 s3, s0, -1
	s_or_b32 s1, s3, s1
	s_and_saveexec_b32 s3, s1
	s_xor_b32 s1, exec_lo, s3
                                        ; implicit-def: $vgpr9
; %bb.3:
	v_mov_b32_e32 v9, 0
                                        ; implicit-def: $vgpr4
                                        ; implicit-def: $vgpr2
; %bb.4:
	s_or_saveexec_b32 s4, s1
	v_mov_b32_e32 v10, 1.0
	s_xor_b32 exec_lo, exec_lo, s4
	s_cbranch_execz .LBB335_6
; %bb.5:
	s_mov_b32 s3, 0
	s_lshl_b64 s[6:7], s[2:3], 2
	v_add_co_u32 v4, s1, v4, s6
	v_add_co_ci_u32_e64 v5, null, s7, v5, s1
	v_add_co_u32 v2, s1, v2, s6
	v_add_co_ci_u32_e64 v3, null, s7, v3, s1
	global_load_dword v4, v[4:5], off
	global_load_dword v9, v[2:3], off
	s_waitcnt vmcnt(1)
	v_mul_f32_e32 v2, 0x3fb8aa3b, v4
	v_cmp_ngt_f32_e64 s1, 0xc2ce8ed0, v4
	v_fma_f32 v3, 0x3fb8aa3b, v4, -v2
	v_rndne_f32_e32 v5, v2
	v_fmamk_f32 v3, v4, 0x32a5705f, v3
	v_sub_f32_e32 v2, v2, v5
	v_add_f32_e32 v2, v2, v3
	v_cvt_i32_f32_e32 v3, v5
	v_exp_f32_e32 v2, v2
	v_ldexp_f32 v2, v2, v3
	v_cndmask_b32_e64 v2, 0, v2, s1
	v_cmp_nlt_f32_e64 s1, 0x42b17218, v4
	v_cndmask_b32_e64 v10, 0x7f800000, v2, s1
.LBB335_6:
	s_or_b32 exec_lo, exec_lo, s4
	v_mbcnt_lo_u32_b32 v2, -1, 0
	s_waitcnt vmcnt(1)
	v_add_f32_e32 v4, 0, v8
	s_waitcnt vmcnt(0)
	v_add_f32_e32 v5, 0, v9
	v_xor_b32_e32 v3, 16, v2
	v_xor_b32_e32 v12, 8, v2
	v_cmp_gt_i32_e64 s1, 32, v3
	v_cndmask_b32_e64 v3, v2, v3, s1
	v_cmp_gt_i32_e64 s1, 32, v12
	v_lshlrev_b32_e32 v3, 2, v3
	v_cndmask_b32_e64 v12, v2, v12, s1
	ds_bpermute_b32 v11, v3, v4
	ds_bpermute_b32 v3, v3, v5
	v_lshlrev_b32_e32 v12, 2, v12
	s_waitcnt lgkmcnt(1)
	v_add_f32_e32 v4, v4, v11
	s_waitcnt lgkmcnt(0)
	v_add_f32_e32 v3, v5, v3
	ds_bpermute_b32 v5, v12, v4
	ds_bpermute_b32 v11, v12, v3
	v_xor_b32_e32 v12, 4, v2
	v_cmp_gt_i32_e64 s1, 32, v12
	v_cndmask_b32_e64 v12, v2, v12, s1
	v_lshlrev_b32_e32 v12, 2, v12
	s_waitcnt lgkmcnt(1)
	v_add_f32_e32 v4, v4, v5
	s_waitcnt lgkmcnt(0)
	v_add_f32_e32 v3, v3, v11
	ds_bpermute_b32 v5, v12, v4
	ds_bpermute_b32 v11, v12, v3
	v_xor_b32_e32 v12, 2, v2
	v_cmp_gt_i32_e64 s1, 32, v12
	v_cndmask_b32_e64 v12, v2, v12, s1
	;; [unrolled: 10-line block ×3, first 2 shown]
	v_lshlrev_b32_e32 v12, 2, v2
	s_waitcnt lgkmcnt(1)
	v_add_f32_e32 v4, v4, v5
	s_waitcnt lgkmcnt(0)
	v_add_f32_e32 v2, v3, v11
	ds_bpermute_b32 v5, v12, v4
	ds_bpermute_b32 v3, v12, v2
	s_and_saveexec_b32 s1, vcc_lo
	s_cbranch_execz .LBB335_11
; %bb.7:
	v_lshlrev_b64 v[0:1], 1, v[0:1]
	v_add_co_u32 v0, vcc_lo, s8, v0
	v_add_co_ci_u32_e64 v1, null, s9, v1, vcc_lo
	s_and_saveexec_b32 s1, s0
	s_cbranch_execz .LBB335_9
; %bb.8:
	v_mul_f32_e32 v11, 0x3fb8aa3b, v7
	v_cmp_ngt_f32_e32 vcc_lo, 0xc2ce8ed0, v7
	s_waitcnt lgkmcnt(1)
	v_add_f32_e32 v4, v4, v5
	v_rndne_f32_e32 v12, v11
	v_fma_f32 v13, 0x3fb8aa3b, v7, -v11
	v_sub_f32_e32 v11, v11, v12
	v_fmamk_f32 v13, v7, 0x32a5705f, v13
	v_cvt_i32_f32_e32 v12, v12
	v_add_f32_e32 v11, v11, v13
	v_exp_f32_e32 v11, v11
	v_ldexp_f32 v11, v11, v12
	v_cndmask_b32_e32 v11, 0, v11, vcc_lo
	v_cmp_nlt_f32_e32 vcc_lo, 0x42b17218, v7
	v_cndmask_b32_e32 v5, 0x7f800000, v11, vcc_lo
	v_fma_f32 v4, -v4, v5, v8
	v_bfe_u32 v5, v4, 16, 1
	v_cmp_o_f32_e32 vcc_lo, v4, v4
	v_add3_u32 v4, v4, v5, 0x7fff
	v_mov_b32_e32 v5, 0x7fc0
	v_cndmask_b32_sdwa v4, v5, v4, vcc_lo dst_sel:DWORD dst_unused:UNUSED_PAD src0_sel:DWORD src1_sel:WORD_1
	global_store_short v[0:1], v4, off
.LBB335_9:
	s_or_b32 exec_lo, exec_lo, s1
	v_cmp_ne_u32_e32 vcc_lo, 1, v6
	s_and_b32 s0, vcc_lo, s0
	s_and_b32 exec_lo, exec_lo, s0
	s_cbranch_execz .LBB335_11
; %bb.10:
	s_waitcnt lgkmcnt(0)
	v_add_f32_e32 v2, v2, v3
	s_mov_b32 s3, 0
	v_mov_b32_e32 v4, 0x7fc0
	s_lshl_b64 s[0:1], s[2:3], 1
	v_add_co_u32 v0, s0, v0, s0
	v_fma_f32 v2, -v2, v10, v9
	v_add_co_ci_u32_e64 v1, null, s1, v1, s0
	v_bfe_u32 v3, v2, 16, 1
	v_cmp_o_f32_e32 vcc_lo, v2, v2
	v_add3_u32 v2, v2, v3, 0x7fff
	v_cndmask_b32_sdwa v2, v4, v2, vcc_lo dst_sel:DWORD dst_unused:UNUSED_PAD src0_sel:DWORD src1_sel:WORD_1
	global_store_short v[0:1], v2, off
.LBB335_11:
	s_endpgm
	.section	.rodata,"a",@progbits
	.p2align	6, 0x0
	.amdhsa_kernel _ZN12_GLOBAL__N_121softmax_warp_backwardIfN3c108BFloat16EfLi5ELb1ELb0ELi32EEEvPT0_PKT_S7_iiiPKb
		.amdhsa_group_segment_fixed_size 0
		.amdhsa_private_segment_fixed_size 0
		.amdhsa_kernarg_size 304
		.amdhsa_user_sgpr_count 6
		.amdhsa_user_sgpr_private_segment_buffer 1
		.amdhsa_user_sgpr_dispatch_ptr 0
		.amdhsa_user_sgpr_queue_ptr 0
		.amdhsa_user_sgpr_kernarg_segment_ptr 1
		.amdhsa_user_sgpr_dispatch_id 0
		.amdhsa_user_sgpr_flat_scratch_init 0
		.amdhsa_user_sgpr_private_segment_size 0
		.amdhsa_wavefront_size32 1
		.amdhsa_uses_dynamic_stack 0
		.amdhsa_system_sgpr_private_segment_wavefront_offset 0
		.amdhsa_system_sgpr_workgroup_id_x 1
		.amdhsa_system_sgpr_workgroup_id_y 0
		.amdhsa_system_sgpr_workgroup_id_z 0
		.amdhsa_system_sgpr_workgroup_info 0
		.amdhsa_system_vgpr_workitem_id 1
		.amdhsa_next_free_vgpr 14
		.amdhsa_next_free_sgpr 12
		.amdhsa_reserve_vcc 1
		.amdhsa_reserve_flat_scratch 0
		.amdhsa_float_round_mode_32 0
		.amdhsa_float_round_mode_16_64 0
		.amdhsa_float_denorm_mode_32 3
		.amdhsa_float_denorm_mode_16_64 3
		.amdhsa_dx10_clamp 1
		.amdhsa_ieee_mode 1
		.amdhsa_fp16_overflow 0
		.amdhsa_workgroup_processor_mode 1
		.amdhsa_memory_ordered 1
		.amdhsa_forward_progress 1
		.amdhsa_shared_vgpr_count 0
		.amdhsa_exception_fp_ieee_invalid_op 0
		.amdhsa_exception_fp_denorm_src 0
		.amdhsa_exception_fp_ieee_div_zero 0
		.amdhsa_exception_fp_ieee_overflow 0
		.amdhsa_exception_fp_ieee_underflow 0
		.amdhsa_exception_fp_ieee_inexact 0
		.amdhsa_exception_int_div_zero 0
	.end_amdhsa_kernel
	.section	.text._ZN12_GLOBAL__N_121softmax_warp_backwardIfN3c108BFloat16EfLi5ELb1ELb0ELi32EEEvPT0_PKT_S7_iiiPKb,"axG",@progbits,_ZN12_GLOBAL__N_121softmax_warp_backwardIfN3c108BFloat16EfLi5ELb1ELb0ELi32EEEvPT0_PKT_S7_iiiPKb,comdat
.Lfunc_end335:
	.size	_ZN12_GLOBAL__N_121softmax_warp_backwardIfN3c108BFloat16EfLi5ELb1ELb0ELi32EEEvPT0_PKT_S7_iiiPKb, .Lfunc_end335-_ZN12_GLOBAL__N_121softmax_warp_backwardIfN3c108BFloat16EfLi5ELb1ELb0ELi32EEEvPT0_PKT_S7_iiiPKb
                                        ; -- End function
	.set _ZN12_GLOBAL__N_121softmax_warp_backwardIfN3c108BFloat16EfLi5ELb1ELb0ELi32EEEvPT0_PKT_S7_iiiPKb.num_vgpr, 14
	.set _ZN12_GLOBAL__N_121softmax_warp_backwardIfN3c108BFloat16EfLi5ELb1ELb0ELi32EEEvPT0_PKT_S7_iiiPKb.num_agpr, 0
	.set _ZN12_GLOBAL__N_121softmax_warp_backwardIfN3c108BFloat16EfLi5ELb1ELb0ELi32EEEvPT0_PKT_S7_iiiPKb.numbered_sgpr, 12
	.set _ZN12_GLOBAL__N_121softmax_warp_backwardIfN3c108BFloat16EfLi5ELb1ELb0ELi32EEEvPT0_PKT_S7_iiiPKb.num_named_barrier, 0
	.set _ZN12_GLOBAL__N_121softmax_warp_backwardIfN3c108BFloat16EfLi5ELb1ELb0ELi32EEEvPT0_PKT_S7_iiiPKb.private_seg_size, 0
	.set _ZN12_GLOBAL__N_121softmax_warp_backwardIfN3c108BFloat16EfLi5ELb1ELb0ELi32EEEvPT0_PKT_S7_iiiPKb.uses_vcc, 1
	.set _ZN12_GLOBAL__N_121softmax_warp_backwardIfN3c108BFloat16EfLi5ELb1ELb0ELi32EEEvPT0_PKT_S7_iiiPKb.uses_flat_scratch, 0
	.set _ZN12_GLOBAL__N_121softmax_warp_backwardIfN3c108BFloat16EfLi5ELb1ELb0ELi32EEEvPT0_PKT_S7_iiiPKb.has_dyn_sized_stack, 0
	.set _ZN12_GLOBAL__N_121softmax_warp_backwardIfN3c108BFloat16EfLi5ELb1ELb0ELi32EEEvPT0_PKT_S7_iiiPKb.has_recursion, 0
	.set _ZN12_GLOBAL__N_121softmax_warp_backwardIfN3c108BFloat16EfLi5ELb1ELb0ELi32EEEvPT0_PKT_S7_iiiPKb.has_indirect_call, 0
	.section	.AMDGPU.csdata,"",@progbits
; Kernel info:
; codeLenInByte = 976
; TotalNumSgprs: 14
; NumVgprs: 14
; ScratchSize: 0
; MemoryBound: 0
; FloatMode: 240
; IeeeMode: 1
; LDSByteSize: 0 bytes/workgroup (compile time only)
; SGPRBlocks: 0
; VGPRBlocks: 1
; NumSGPRsForWavesPerEU: 14
; NumVGPRsForWavesPerEU: 14
; Occupancy: 16
; WaveLimiterHint : 0
; COMPUTE_PGM_RSRC2:SCRATCH_EN: 0
; COMPUTE_PGM_RSRC2:USER_SGPR: 6
; COMPUTE_PGM_RSRC2:TRAP_HANDLER: 0
; COMPUTE_PGM_RSRC2:TGID_X_EN: 1
; COMPUTE_PGM_RSRC2:TGID_Y_EN: 0
; COMPUTE_PGM_RSRC2:TGID_Z_EN: 0
; COMPUTE_PGM_RSRC2:TIDIG_COMP_CNT: 1
	.section	.text._ZN12_GLOBAL__N_121softmax_warp_backwardIfN3c108BFloat16EfLi6ELb1ELb0ELi64EEEvPT0_PKT_S7_iiiPKb,"axG",@progbits,_ZN12_GLOBAL__N_121softmax_warp_backwardIfN3c108BFloat16EfLi6ELb1ELb0ELi64EEEvPT0_PKT_S7_iiiPKb,comdat
	.globl	_ZN12_GLOBAL__N_121softmax_warp_backwardIfN3c108BFloat16EfLi6ELb1ELb0ELi64EEEvPT0_PKT_S7_iiiPKb ; -- Begin function _ZN12_GLOBAL__N_121softmax_warp_backwardIfN3c108BFloat16EfLi6ELb1ELb0ELi64EEEvPT0_PKT_S7_iiiPKb
	.p2align	8
	.type	_ZN12_GLOBAL__N_121softmax_warp_backwardIfN3c108BFloat16EfLi6ELb1ELb0ELi64EEEvPT0_PKT_S7_iiiPKb,@function
_ZN12_GLOBAL__N_121softmax_warp_backwardIfN3c108BFloat16EfLi6ELb1ELb0ELi64EEEvPT0_PKT_S7_iiiPKb: ; @_ZN12_GLOBAL__N_121softmax_warp_backwardIfN3c108BFloat16EfLi6ELb1ELb0ELi64EEEvPT0_PKT_S7_iiiPKb
; %bb.0:
	s_clause 0x1
	s_load_dword s7, s[4:5], 0x3c
	s_load_dwordx4 s[0:3], s[4:5], 0x18
	v_and_b32_e32 v2, 63, v0
	s_clause 0x1
	s_load_dwordx4 s[8:11], s[4:5], 0x0
	s_load_dwordx2 s[4:5], s[4:5], 0x10
	v_mov_b32_e32 v7, 0
	v_mov_b32_e32 v8, 0
	s_waitcnt lgkmcnt(0)
	s_lshr_b32 s3, s7, 16
	s_and_b32 s3, s3, 0xffff
	s_mul_i32 s6, s6, s3
	v_add_lshl_u32 v3, s6, v1, 1
	v_mad_u64_u32 v[0:1], null, v3, s1, v[2:3]
	v_sub_nc_u32_e32 v6, s0, v3
	v_cmp_gt_i32_e64 s0, s2, v2
	v_cmp_lt_i32_e32 vcc_lo, 0, v6
	v_ashrrev_i32_e32 v1, 31, v0
	s_and_b32 s3, s0, vcc_lo
	v_lshlrev_b64 v[4:5], 2, v[0:1]
	v_add_co_u32 v2, s1, s10, v4
	v_add_co_ci_u32_e64 v3, null, s11, v5, s1
	v_add_co_u32 v4, s1, s4, v4
	v_add_co_ci_u32_e64 v5, null, s5, v5, s1
	s_and_saveexec_b32 s1, s3
	s_cbranch_execz .LBB336_2
; %bb.1:
	global_load_dword v8, v[2:3], off
	global_load_dword v7, v[4:5], off
.LBB336_2:
	s_or_b32 exec_lo, exec_lo, s1
	v_cmp_gt_i32_e64 s1, 2, v6
	s_xor_b32 s3, s0, -1
	s_or_b32 s1, s3, s1
	s_and_saveexec_b32 s3, s1
	s_xor_b32 s1, exec_lo, s3
                                        ; implicit-def: $vgpr9
; %bb.3:
	v_mov_b32_e32 v9, 0
                                        ; implicit-def: $vgpr4
                                        ; implicit-def: $vgpr2
; %bb.4:
	s_or_saveexec_b32 s4, s1
	v_mov_b32_e32 v10, 1.0
	s_xor_b32 exec_lo, exec_lo, s4
	s_cbranch_execz .LBB336_6
; %bb.5:
	s_mov_b32 s3, 0
	s_lshl_b64 s[6:7], s[2:3], 2
	v_add_co_u32 v4, s1, v4, s6
	v_add_co_ci_u32_e64 v5, null, s7, v5, s1
	v_add_co_u32 v2, s1, v2, s6
	v_add_co_ci_u32_e64 v3, null, s7, v3, s1
	global_load_dword v4, v[4:5], off
	global_load_dword v9, v[2:3], off
	s_waitcnt vmcnt(1)
	v_mul_f32_e32 v2, 0x3fb8aa3b, v4
	v_cmp_ngt_f32_e64 s1, 0xc2ce8ed0, v4
	v_fma_f32 v3, 0x3fb8aa3b, v4, -v2
	v_rndne_f32_e32 v5, v2
	v_fmamk_f32 v3, v4, 0x32a5705f, v3
	v_sub_f32_e32 v2, v2, v5
	v_add_f32_e32 v2, v2, v3
	v_cvt_i32_f32_e32 v3, v5
	v_exp_f32_e32 v2, v2
	v_ldexp_f32 v2, v2, v3
	v_cndmask_b32_e64 v2, 0, v2, s1
	v_cmp_nlt_f32_e64 s1, 0x42b17218, v4
	v_cndmask_b32_e64 v10, 0x7f800000, v2, s1
.LBB336_6:
	s_or_b32 exec_lo, exec_lo, s4
	v_mbcnt_lo_u32_b32 v2, -1, 0
	s_waitcnt vmcnt(1)
	v_add_f32_e32 v4, 0, v8
	s_waitcnt vmcnt(0)
	v_add_f32_e32 v5, 0, v9
	v_or_b32_e32 v3, 32, v2
	v_xor_b32_e32 v12, 16, v2
	v_cmp_gt_i32_e64 s1, 64, v3
	v_cndmask_b32_e64 v3, v2, v3, s1
	v_cmp_gt_i32_e64 s1, 64, v12
	v_lshlrev_b32_e32 v3, 2, v3
	v_cndmask_b32_e64 v12, v2, v12, s1
	ds_bpermute_b32 v11, v3, v4
	ds_bpermute_b32 v3, v3, v5
	v_lshlrev_b32_e32 v12, 2, v12
	s_waitcnt lgkmcnt(1)
	v_add_f32_e32 v4, v4, v11
	s_waitcnt lgkmcnt(0)
	v_add_f32_e32 v3, v5, v3
	ds_bpermute_b32 v5, v12, v4
	ds_bpermute_b32 v11, v12, v3
	v_xor_b32_e32 v12, 8, v2
	v_cmp_gt_i32_e64 s1, 64, v12
	v_cndmask_b32_e64 v12, v2, v12, s1
	v_lshlrev_b32_e32 v12, 2, v12
	s_waitcnt lgkmcnt(1)
	v_add_f32_e32 v4, v4, v5
	s_waitcnt lgkmcnt(0)
	v_add_f32_e32 v3, v3, v11
	ds_bpermute_b32 v5, v12, v4
	ds_bpermute_b32 v11, v12, v3
	v_xor_b32_e32 v12, 4, v2
	v_cmp_gt_i32_e64 s1, 64, v12
	v_cndmask_b32_e64 v12, v2, v12, s1
	;; [unrolled: 10-line block ×4, first 2 shown]
	v_lshlrev_b32_e32 v12, 2, v2
	s_waitcnt lgkmcnt(1)
	v_add_f32_e32 v4, v4, v5
	s_waitcnt lgkmcnt(0)
	v_add_f32_e32 v2, v3, v11
	ds_bpermute_b32 v5, v12, v4
	ds_bpermute_b32 v3, v12, v2
	s_and_saveexec_b32 s1, vcc_lo
	s_cbranch_execz .LBB336_11
; %bb.7:
	v_lshlrev_b64 v[0:1], 1, v[0:1]
	v_add_co_u32 v0, vcc_lo, s8, v0
	v_add_co_ci_u32_e64 v1, null, s9, v1, vcc_lo
	s_and_saveexec_b32 s1, s0
	s_cbranch_execz .LBB336_9
; %bb.8:
	v_mul_f32_e32 v11, 0x3fb8aa3b, v7
	v_cmp_ngt_f32_e32 vcc_lo, 0xc2ce8ed0, v7
	s_waitcnt lgkmcnt(1)
	v_add_f32_e32 v4, v4, v5
	v_rndne_f32_e32 v12, v11
	v_fma_f32 v13, 0x3fb8aa3b, v7, -v11
	v_sub_f32_e32 v11, v11, v12
	v_fmamk_f32 v13, v7, 0x32a5705f, v13
	v_cvt_i32_f32_e32 v12, v12
	v_add_f32_e32 v11, v11, v13
	v_exp_f32_e32 v11, v11
	v_ldexp_f32 v11, v11, v12
	v_cndmask_b32_e32 v11, 0, v11, vcc_lo
	v_cmp_nlt_f32_e32 vcc_lo, 0x42b17218, v7
	v_cndmask_b32_e32 v5, 0x7f800000, v11, vcc_lo
	v_fma_f32 v4, -v4, v5, v8
	v_bfe_u32 v5, v4, 16, 1
	v_cmp_o_f32_e32 vcc_lo, v4, v4
	v_add3_u32 v4, v4, v5, 0x7fff
	v_mov_b32_e32 v5, 0x7fc0
	v_cndmask_b32_sdwa v4, v5, v4, vcc_lo dst_sel:DWORD dst_unused:UNUSED_PAD src0_sel:DWORD src1_sel:WORD_1
	global_store_short v[0:1], v4, off
.LBB336_9:
	s_or_b32 exec_lo, exec_lo, s1
	v_cmp_ne_u32_e32 vcc_lo, 1, v6
	s_and_b32 s0, vcc_lo, s0
	s_and_b32 exec_lo, exec_lo, s0
	s_cbranch_execz .LBB336_11
; %bb.10:
	s_waitcnt lgkmcnt(0)
	v_add_f32_e32 v2, v2, v3
	s_mov_b32 s3, 0
	v_mov_b32_e32 v4, 0x7fc0
	s_lshl_b64 s[0:1], s[2:3], 1
	v_add_co_u32 v0, s0, v0, s0
	v_fma_f32 v2, -v2, v10, v9
	v_add_co_ci_u32_e64 v1, null, s1, v1, s0
	v_bfe_u32 v3, v2, 16, 1
	v_cmp_o_f32_e32 vcc_lo, v2, v2
	v_add3_u32 v2, v2, v3, 0x7fff
	v_cndmask_b32_sdwa v2, v4, v2, vcc_lo dst_sel:DWORD dst_unused:UNUSED_PAD src0_sel:DWORD src1_sel:WORD_1
	global_store_short v[0:1], v2, off
.LBB336_11:
	s_endpgm
	.section	.rodata,"a",@progbits
	.p2align	6, 0x0
	.amdhsa_kernel _ZN12_GLOBAL__N_121softmax_warp_backwardIfN3c108BFloat16EfLi6ELb1ELb0ELi64EEEvPT0_PKT_S7_iiiPKb
		.amdhsa_group_segment_fixed_size 0
		.amdhsa_private_segment_fixed_size 0
		.amdhsa_kernarg_size 304
		.amdhsa_user_sgpr_count 6
		.amdhsa_user_sgpr_private_segment_buffer 1
		.amdhsa_user_sgpr_dispatch_ptr 0
		.amdhsa_user_sgpr_queue_ptr 0
		.amdhsa_user_sgpr_kernarg_segment_ptr 1
		.amdhsa_user_sgpr_dispatch_id 0
		.amdhsa_user_sgpr_flat_scratch_init 0
		.amdhsa_user_sgpr_private_segment_size 0
		.amdhsa_wavefront_size32 1
		.amdhsa_uses_dynamic_stack 0
		.amdhsa_system_sgpr_private_segment_wavefront_offset 0
		.amdhsa_system_sgpr_workgroup_id_x 1
		.amdhsa_system_sgpr_workgroup_id_y 0
		.amdhsa_system_sgpr_workgroup_id_z 0
		.amdhsa_system_sgpr_workgroup_info 0
		.amdhsa_system_vgpr_workitem_id 1
		.amdhsa_next_free_vgpr 14
		.amdhsa_next_free_sgpr 12
		.amdhsa_reserve_vcc 1
		.amdhsa_reserve_flat_scratch 0
		.amdhsa_float_round_mode_32 0
		.amdhsa_float_round_mode_16_64 0
		.amdhsa_float_denorm_mode_32 3
		.amdhsa_float_denorm_mode_16_64 3
		.amdhsa_dx10_clamp 1
		.amdhsa_ieee_mode 1
		.amdhsa_fp16_overflow 0
		.amdhsa_workgroup_processor_mode 1
		.amdhsa_memory_ordered 1
		.amdhsa_forward_progress 1
		.amdhsa_shared_vgpr_count 0
		.amdhsa_exception_fp_ieee_invalid_op 0
		.amdhsa_exception_fp_denorm_src 0
		.amdhsa_exception_fp_ieee_div_zero 0
		.amdhsa_exception_fp_ieee_overflow 0
		.amdhsa_exception_fp_ieee_underflow 0
		.amdhsa_exception_fp_ieee_inexact 0
		.amdhsa_exception_int_div_zero 0
	.end_amdhsa_kernel
	.section	.text._ZN12_GLOBAL__N_121softmax_warp_backwardIfN3c108BFloat16EfLi6ELb1ELb0ELi64EEEvPT0_PKT_S7_iiiPKb,"axG",@progbits,_ZN12_GLOBAL__N_121softmax_warp_backwardIfN3c108BFloat16EfLi6ELb1ELb0ELi64EEEvPT0_PKT_S7_iiiPKb,comdat
.Lfunc_end336:
	.size	_ZN12_GLOBAL__N_121softmax_warp_backwardIfN3c108BFloat16EfLi6ELb1ELb0ELi64EEEvPT0_PKT_S7_iiiPKb, .Lfunc_end336-_ZN12_GLOBAL__N_121softmax_warp_backwardIfN3c108BFloat16EfLi6ELb1ELb0ELi64EEEvPT0_PKT_S7_iiiPKb
                                        ; -- End function
	.set _ZN12_GLOBAL__N_121softmax_warp_backwardIfN3c108BFloat16EfLi6ELb1ELb0ELi64EEEvPT0_PKT_S7_iiiPKb.num_vgpr, 14
	.set _ZN12_GLOBAL__N_121softmax_warp_backwardIfN3c108BFloat16EfLi6ELb1ELb0ELi64EEEvPT0_PKT_S7_iiiPKb.num_agpr, 0
	.set _ZN12_GLOBAL__N_121softmax_warp_backwardIfN3c108BFloat16EfLi6ELb1ELb0ELi64EEEvPT0_PKT_S7_iiiPKb.numbered_sgpr, 12
	.set _ZN12_GLOBAL__N_121softmax_warp_backwardIfN3c108BFloat16EfLi6ELb1ELb0ELi64EEEvPT0_PKT_S7_iiiPKb.num_named_barrier, 0
	.set _ZN12_GLOBAL__N_121softmax_warp_backwardIfN3c108BFloat16EfLi6ELb1ELb0ELi64EEEvPT0_PKT_S7_iiiPKb.private_seg_size, 0
	.set _ZN12_GLOBAL__N_121softmax_warp_backwardIfN3c108BFloat16EfLi6ELb1ELb0ELi64EEEvPT0_PKT_S7_iiiPKb.uses_vcc, 1
	.set _ZN12_GLOBAL__N_121softmax_warp_backwardIfN3c108BFloat16EfLi6ELb1ELb0ELi64EEEvPT0_PKT_S7_iiiPKb.uses_flat_scratch, 0
	.set _ZN12_GLOBAL__N_121softmax_warp_backwardIfN3c108BFloat16EfLi6ELb1ELb0ELi64EEEvPT0_PKT_S7_iiiPKb.has_dyn_sized_stack, 0
	.set _ZN12_GLOBAL__N_121softmax_warp_backwardIfN3c108BFloat16EfLi6ELb1ELb0ELi64EEEvPT0_PKT_S7_iiiPKb.has_recursion, 0
	.set _ZN12_GLOBAL__N_121softmax_warp_backwardIfN3c108BFloat16EfLi6ELb1ELb0ELi64EEEvPT0_PKT_S7_iiiPKb.has_indirect_call, 0
	.section	.AMDGPU.csdata,"",@progbits
; Kernel info:
; codeLenInByte = 1032
; TotalNumSgprs: 14
; NumVgprs: 14
; ScratchSize: 0
; MemoryBound: 0
; FloatMode: 240
; IeeeMode: 1
; LDSByteSize: 0 bytes/workgroup (compile time only)
; SGPRBlocks: 0
; VGPRBlocks: 1
; NumSGPRsForWavesPerEU: 14
; NumVGPRsForWavesPerEU: 14
; Occupancy: 16
; WaveLimiterHint : 0
; COMPUTE_PGM_RSRC2:SCRATCH_EN: 0
; COMPUTE_PGM_RSRC2:USER_SGPR: 6
; COMPUTE_PGM_RSRC2:TRAP_HANDLER: 0
; COMPUTE_PGM_RSRC2:TGID_X_EN: 1
; COMPUTE_PGM_RSRC2:TGID_Y_EN: 0
; COMPUTE_PGM_RSRC2:TGID_Z_EN: 0
; COMPUTE_PGM_RSRC2:TIDIG_COMP_CNT: 1
	.section	.text._ZN12_GLOBAL__N_121softmax_warp_backwardIfN3c108BFloat16EfLi6ELb1ELb0ELi32EEEvPT0_PKT_S7_iiiPKb,"axG",@progbits,_ZN12_GLOBAL__N_121softmax_warp_backwardIfN3c108BFloat16EfLi6ELb1ELb0ELi32EEEvPT0_PKT_S7_iiiPKb,comdat
	.globl	_ZN12_GLOBAL__N_121softmax_warp_backwardIfN3c108BFloat16EfLi6ELb1ELb0ELi32EEEvPT0_PKT_S7_iiiPKb ; -- Begin function _ZN12_GLOBAL__N_121softmax_warp_backwardIfN3c108BFloat16EfLi6ELb1ELb0ELi32EEEvPT0_PKT_S7_iiiPKb
	.p2align	8
	.type	_ZN12_GLOBAL__N_121softmax_warp_backwardIfN3c108BFloat16EfLi6ELb1ELb0ELi32EEEvPT0_PKT_S7_iiiPKb,@function
_ZN12_GLOBAL__N_121softmax_warp_backwardIfN3c108BFloat16EfLi6ELb1ELb0ELi32EEEvPT0_PKT_S7_iiiPKb: ; @_ZN12_GLOBAL__N_121softmax_warp_backwardIfN3c108BFloat16EfLi6ELb1ELb0ELi32EEEvPT0_PKT_S7_iiiPKb
; %bb.0:
	s_clause 0x1
	s_load_dword s0, s[4:5], 0x3c
	s_load_dwordx4 s[8:11], s[4:5], 0x18
	v_and_b32_e32 v6, 31, v0
	s_clause 0x1
	s_load_dwordx4 s[12:15], s[4:5], 0x0
	s_load_dwordx2 s[2:3], s[4:5], 0x10
	v_mov_b32_e32 v9, 1.0
	v_mov_b32_e32 v8, 0
	v_mov_b32_e32 v10, 0
	v_mov_b32_e32 v11, 1.0
	s_waitcnt lgkmcnt(0)
	s_lshr_b32 s0, s0, 16
	s_and_b32 s0, s0, 0xffff
	s_mul_i32 s6, s6, s0
	v_cmp_gt_i32_e64 s0, s10, v6
	v_add_lshl_u32 v2, s6, v1, 1
	v_mad_u64_u32 v[0:1], null, v2, s9, v[6:7]
	v_sub_nc_u32_e32 v7, s8, v2
	v_cmp_lt_i32_e32 vcc_lo, 0, v7
	v_ashrrev_i32_e32 v1, 31, v0
	v_lshlrev_b64 v[4:5], 2, v[0:1]
	v_add_co_u32 v2, s1, s14, v4
	v_add_co_ci_u32_e64 v3, null, s15, v5, s1
	v_add_co_u32 v4, s1, s2, v4
	v_add_co_ci_u32_e64 v5, null, s3, v5, s1
	s_and_b32 s1, vcc_lo, s0
	s_and_saveexec_b32 s2, s1
	s_cbranch_execz .LBB337_2
; %bb.1:
	global_load_dword v11, v[4:5], off
	global_load_dword v10, v[2:3], off
	s_waitcnt vmcnt(1)
	v_mul_f32_e32 v12, 0x3fb8aa3b, v11
	v_cmp_ngt_f32_e64 s1, 0xc2ce8ed0, v11
	v_rndne_f32_e32 v13, v12
	v_fma_f32 v14, 0x3fb8aa3b, v11, -v12
	v_sub_f32_e32 v12, v12, v13
	v_fmamk_f32 v14, v11, 0x32a5705f, v14
	v_cvt_i32_f32_e32 v13, v13
	v_add_f32_e32 v12, v12, v14
	v_exp_f32_e32 v12, v12
	v_ldexp_f32 v12, v12, v13
	v_cndmask_b32_e64 v12, 0, v12, s1
	v_cmp_nlt_f32_e64 s1, 0x42b17218, v11
	v_cndmask_b32_e64 v11, 0x7f800000, v12, s1
.LBB337_2:
	s_or_b32 exec_lo, exec_lo, s2
	v_or_b32_e32 v6, 32, v6
	v_cmp_gt_i32_e64 s1, s10, v6
	s_and_b32 s2, vcc_lo, s1
	s_and_saveexec_b32 s3, s2
	s_cbranch_execz .LBB337_4
; %bb.3:
	global_load_dword v6, v[4:5], off offset:128
	global_load_dword v8, v[2:3], off offset:128
	s_waitcnt vmcnt(1)
	v_mul_f32_e32 v9, 0x3fb8aa3b, v6
	v_cmp_ngt_f32_e64 s2, 0xc2ce8ed0, v6
	v_rndne_f32_e32 v12, v9
	v_fma_f32 v13, 0x3fb8aa3b, v6, -v9
	v_sub_f32_e32 v9, v9, v12
	v_fmamk_f32 v13, v6, 0x32a5705f, v13
	v_cvt_i32_f32_e32 v12, v12
	v_add_f32_e32 v9, v9, v13
	v_exp_f32_e32 v9, v9
	v_ldexp_f32 v9, v9, v12
	v_cndmask_b32_e64 v9, 0, v9, s2
	v_cmp_nlt_f32_e64 s2, 0x42b17218, v6
	v_cndmask_b32_e64 v9, 0x7f800000, v9, s2
.LBB337_4:
	s_or_b32 exec_lo, exec_lo, s3
	v_cmp_lt_i32_e64 s2, 1, v7
	v_mov_b32_e32 v12, 1.0
	v_mov_b32_e32 v6, 0
	v_mov_b32_e32 v13, 0
	v_mov_b32_e32 v14, 1.0
	s_and_b32 s3, s2, s0
	s_and_saveexec_b32 s4, s3
	s_cbranch_execz .LBB337_6
; %bb.5:
	s_mov_b32 s11, 0
	s_lshl_b64 s[6:7], s[10:11], 2
	v_add_co_u32 v13, s3, v4, s6
	v_add_co_ci_u32_e64 v14, null, s7, v5, s3
	global_load_dword v15, v[13:14], off
	v_add_co_u32 v13, s3, v2, s6
	v_add_co_ci_u32_e64 v14, null, s7, v3, s3
	global_load_dword v13, v[13:14], off
	s_waitcnt vmcnt(1)
	v_mul_f32_e32 v14, 0x3fb8aa3b, v15
	v_cmp_ngt_f32_e64 s3, 0xc2ce8ed0, v15
	v_fma_f32 v16, 0x3fb8aa3b, v15, -v14
	v_rndne_f32_e32 v17, v14
	v_fmamk_f32 v16, v15, 0x32a5705f, v16
	v_sub_f32_e32 v14, v14, v17
	v_add_f32_e32 v14, v14, v16
	v_cvt_i32_f32_e32 v16, v17
	v_exp_f32_e32 v14, v14
	v_ldexp_f32 v14, v14, v16
	v_cndmask_b32_e64 v14, 0, v14, s3
	v_cmp_nlt_f32_e64 s3, 0x42b17218, v15
	v_cndmask_b32_e64 v14, 0x7f800000, v14, s3
.LBB337_6:
	s_or_b32 exec_lo, exec_lo, s4
	s_and_b32 s2, s2, s1
	s_and_saveexec_b32 s3, s2
	s_cbranch_execz .LBB337_8
; %bb.7:
	s_mov_b32 s11, 0
	s_lshl_b64 s[4:5], s[10:11], 2
	v_add_co_u32 v4, s2, v4, s4
	v_add_co_ci_u32_e64 v5, null, s5, v5, s2
	v_add_co_u32 v2, s2, v2, s4
	v_add_co_ci_u32_e64 v3, null, s5, v3, s2
	global_load_dword v4, v[4:5], off offset:128
	global_load_dword v6, v[2:3], off offset:128
	s_waitcnt vmcnt(1)
	v_mul_f32_e32 v2, 0x3fb8aa3b, v4
	v_cmp_ngt_f32_e64 s2, 0xc2ce8ed0, v4
	v_fma_f32 v3, 0x3fb8aa3b, v4, -v2
	v_rndne_f32_e32 v5, v2
	v_fmamk_f32 v3, v4, 0x32a5705f, v3
	v_sub_f32_e32 v2, v2, v5
	v_add_f32_e32 v2, v2, v3
	v_cvt_i32_f32_e32 v3, v5
	v_exp_f32_e32 v2, v2
	v_ldexp_f32 v2, v2, v3
	v_cndmask_b32_e64 v2, 0, v2, s2
	v_cmp_nlt_f32_e64 s2, 0x42b17218, v4
	v_cndmask_b32_e64 v12, 0x7f800000, v2, s2
.LBB337_8:
	s_or_b32 exec_lo, exec_lo, s3
	v_mbcnt_lo_u32_b32 v2, -1, 0
	s_waitcnt vmcnt(0)
	v_add_f32_e32 v4, 0, v10
	v_add_f32_e32 v5, 0, v13
	v_xor_b32_e32 v3, 16, v2
	v_add_f32_e32 v4, v4, v8
	v_add_f32_e32 v5, v5, v6
	v_xor_b32_e32 v16, 8, v2
	v_cmp_gt_i32_e64 s2, 32, v3
	v_cndmask_b32_e64 v3, v2, v3, s2
	v_cmp_gt_i32_e64 s2, 32, v16
	v_lshlrev_b32_e32 v3, 2, v3
	v_cndmask_b32_e64 v16, v2, v16, s2
	ds_bpermute_b32 v15, v3, v4
	ds_bpermute_b32 v3, v3, v5
	v_lshlrev_b32_e32 v16, 2, v16
	s_waitcnt lgkmcnt(1)
	v_add_f32_e32 v4, v4, v15
	s_waitcnt lgkmcnt(0)
	v_add_f32_e32 v3, v5, v3
	ds_bpermute_b32 v5, v16, v4
	ds_bpermute_b32 v15, v16, v3
	v_xor_b32_e32 v16, 4, v2
	v_cmp_gt_i32_e64 s2, 32, v16
	v_cndmask_b32_e64 v16, v2, v16, s2
	v_lshlrev_b32_e32 v16, 2, v16
	s_waitcnt lgkmcnt(1)
	v_add_f32_e32 v4, v4, v5
	s_waitcnt lgkmcnt(0)
	v_add_f32_e32 v3, v3, v15
	ds_bpermute_b32 v5, v16, v4
	ds_bpermute_b32 v15, v16, v3
	v_xor_b32_e32 v16, 2, v2
	v_cmp_gt_i32_e64 s2, 32, v16
	v_cndmask_b32_e64 v16, v2, v16, s2
	;; [unrolled: 10-line block ×3, first 2 shown]
	v_lshlrev_b32_e32 v16, 2, v2
	s_waitcnt lgkmcnt(1)
	v_add_f32_e32 v4, v4, v5
	s_waitcnt lgkmcnt(0)
	v_add_f32_e32 v2, v3, v15
	ds_bpermute_b32 v5, v16, v4
	ds_bpermute_b32 v3, v16, v2
	s_and_saveexec_b32 s2, vcc_lo
	s_cbranch_execz .LBB337_12
; %bb.9:
	v_lshlrev_b64 v[0:1], 1, v[0:1]
	s_waitcnt lgkmcnt(1)
	v_add_f32_e32 v4, v4, v5
	v_add_co_u32 v0, vcc_lo, s12, v0
	v_add_co_ci_u32_e64 v1, null, s13, v1, vcc_lo
	s_and_saveexec_b32 s2, s0
	s_cbranch_execnz .LBB337_13
; %bb.10:
	s_or_b32 exec_lo, exec_lo, s2
	s_and_saveexec_b32 s2, s1
	s_cbranch_execnz .LBB337_14
.LBB337_11:
	s_or_b32 exec_lo, exec_lo, s2
	v_cmp_ne_u32_e32 vcc_lo, 1, v7
	s_and_b32 exec_lo, exec_lo, vcc_lo
	s_cbranch_execnz .LBB337_15
.LBB337_12:
	s_endpgm
.LBB337_13:
	v_fma_f32 v5, -v4, v11, v10
	v_bfe_u32 v10, v5, 16, 1
	v_cmp_o_f32_e32 vcc_lo, v5, v5
	v_add3_u32 v5, v5, v10, 0x7fff
	v_mov_b32_e32 v10, 0x7fc0
	v_cndmask_b32_sdwa v5, v10, v5, vcc_lo dst_sel:DWORD dst_unused:UNUSED_PAD src0_sel:DWORD src1_sel:WORD_1
	global_store_short v[0:1], v5, off
	s_or_b32 exec_lo, exec_lo, s2
	s_and_saveexec_b32 s2, s1
	s_cbranch_execz .LBB337_11
.LBB337_14:
	v_fma_f32 v4, -v4, v9, v8
	v_bfe_u32 v5, v4, 16, 1
	v_cmp_o_f32_e32 vcc_lo, v4, v4
	v_add3_u32 v4, v4, v5, 0x7fff
	v_mov_b32_e32 v5, 0x7fc0
	v_cndmask_b32_sdwa v4, v5, v4, vcc_lo dst_sel:DWORD dst_unused:UNUSED_PAD src0_sel:DWORD src1_sel:WORD_1
	global_store_short v[0:1], v4, off offset:64
	s_or_b32 exec_lo, exec_lo, s2
	v_cmp_ne_u32_e32 vcc_lo, 1, v7
	s_and_b32 exec_lo, exec_lo, vcc_lo
	s_cbranch_execz .LBB337_12
.LBB337_15:
	s_waitcnt lgkmcnt(0)
	v_add_f32_e32 v2, v2, v3
	s_and_saveexec_b32 s2, s0
	s_cbranch_execz .LBB337_17
; %bb.16:
	v_fma_f32 v3, -v2, v14, v13
	v_mov_b32_e32 v5, 0x7fc0
	s_mov_b32 s11, 0
	s_lshl_b64 s[4:5], s[10:11], 1
	v_bfe_u32 v4, v3, 16, 1
	v_cmp_o_f32_e32 vcc_lo, v3, v3
	v_add3_u32 v3, v3, v4, 0x7fff
	v_cndmask_b32_sdwa v5, v5, v3, vcc_lo dst_sel:DWORD dst_unused:UNUSED_PAD src0_sel:DWORD src1_sel:WORD_1
	v_add_co_u32 v3, vcc_lo, v0, s4
	v_add_co_ci_u32_e64 v4, null, s5, v1, vcc_lo
	global_store_short v[3:4], v5, off
.LBB337_17:
	s_or_b32 exec_lo, exec_lo, s2
	s_and_b32 exec_lo, exec_lo, s1
	s_cbranch_execz .LBB337_12
; %bb.18:
	v_fma_f32 v2, -v2, v12, v6
	v_mov_b32_e32 v4, 0x7fc0
	s_mov_b32 s11, 0
	s_lshl_b64 s[0:1], s[10:11], 1
	v_bfe_u32 v3, v2, 16, 1
	v_cmp_o_f32_e32 vcc_lo, v2, v2
	v_add3_u32 v2, v2, v3, 0x7fff
	v_cndmask_b32_sdwa v2, v4, v2, vcc_lo dst_sel:DWORD dst_unused:UNUSED_PAD src0_sel:DWORD src1_sel:WORD_1
	v_add_co_u32 v0, vcc_lo, v0, s0
	v_add_co_ci_u32_e64 v1, null, s1, v1, vcc_lo
	global_store_short v[0:1], v2, off offset:64
	s_endpgm
	.section	.rodata,"a",@progbits
	.p2align	6, 0x0
	.amdhsa_kernel _ZN12_GLOBAL__N_121softmax_warp_backwardIfN3c108BFloat16EfLi6ELb1ELb0ELi32EEEvPT0_PKT_S7_iiiPKb
		.amdhsa_group_segment_fixed_size 0
		.amdhsa_private_segment_fixed_size 0
		.amdhsa_kernarg_size 304
		.amdhsa_user_sgpr_count 6
		.amdhsa_user_sgpr_private_segment_buffer 1
		.amdhsa_user_sgpr_dispatch_ptr 0
		.amdhsa_user_sgpr_queue_ptr 0
		.amdhsa_user_sgpr_kernarg_segment_ptr 1
		.amdhsa_user_sgpr_dispatch_id 0
		.amdhsa_user_sgpr_flat_scratch_init 0
		.amdhsa_user_sgpr_private_segment_size 0
		.amdhsa_wavefront_size32 1
		.amdhsa_uses_dynamic_stack 0
		.amdhsa_system_sgpr_private_segment_wavefront_offset 0
		.amdhsa_system_sgpr_workgroup_id_x 1
		.amdhsa_system_sgpr_workgroup_id_y 0
		.amdhsa_system_sgpr_workgroup_id_z 0
		.amdhsa_system_sgpr_workgroup_info 0
		.amdhsa_system_vgpr_workitem_id 1
		.amdhsa_next_free_vgpr 18
		.amdhsa_next_free_sgpr 16
		.amdhsa_reserve_vcc 1
		.amdhsa_reserve_flat_scratch 0
		.amdhsa_float_round_mode_32 0
		.amdhsa_float_round_mode_16_64 0
		.amdhsa_float_denorm_mode_32 3
		.amdhsa_float_denorm_mode_16_64 3
		.amdhsa_dx10_clamp 1
		.amdhsa_ieee_mode 1
		.amdhsa_fp16_overflow 0
		.amdhsa_workgroup_processor_mode 1
		.amdhsa_memory_ordered 1
		.amdhsa_forward_progress 1
		.amdhsa_shared_vgpr_count 0
		.amdhsa_exception_fp_ieee_invalid_op 0
		.amdhsa_exception_fp_denorm_src 0
		.amdhsa_exception_fp_ieee_div_zero 0
		.amdhsa_exception_fp_ieee_overflow 0
		.amdhsa_exception_fp_ieee_underflow 0
		.amdhsa_exception_fp_ieee_inexact 0
		.amdhsa_exception_int_div_zero 0
	.end_amdhsa_kernel
	.section	.text._ZN12_GLOBAL__N_121softmax_warp_backwardIfN3c108BFloat16EfLi6ELb1ELb0ELi32EEEvPT0_PKT_S7_iiiPKb,"axG",@progbits,_ZN12_GLOBAL__N_121softmax_warp_backwardIfN3c108BFloat16EfLi6ELb1ELb0ELi32EEEvPT0_PKT_S7_iiiPKb,comdat
.Lfunc_end337:
	.size	_ZN12_GLOBAL__N_121softmax_warp_backwardIfN3c108BFloat16EfLi6ELb1ELb0ELi32EEEvPT0_PKT_S7_iiiPKb, .Lfunc_end337-_ZN12_GLOBAL__N_121softmax_warp_backwardIfN3c108BFloat16EfLi6ELb1ELb0ELi32EEEvPT0_PKT_S7_iiiPKb
                                        ; -- End function
	.set _ZN12_GLOBAL__N_121softmax_warp_backwardIfN3c108BFloat16EfLi6ELb1ELb0ELi32EEEvPT0_PKT_S7_iiiPKb.num_vgpr, 18
	.set _ZN12_GLOBAL__N_121softmax_warp_backwardIfN3c108BFloat16EfLi6ELb1ELb0ELi32EEEvPT0_PKT_S7_iiiPKb.num_agpr, 0
	.set _ZN12_GLOBAL__N_121softmax_warp_backwardIfN3c108BFloat16EfLi6ELb1ELb0ELi32EEEvPT0_PKT_S7_iiiPKb.numbered_sgpr, 16
	.set _ZN12_GLOBAL__N_121softmax_warp_backwardIfN3c108BFloat16EfLi6ELb1ELb0ELi32EEEvPT0_PKT_S7_iiiPKb.num_named_barrier, 0
	.set _ZN12_GLOBAL__N_121softmax_warp_backwardIfN3c108BFloat16EfLi6ELb1ELb0ELi32EEEvPT0_PKT_S7_iiiPKb.private_seg_size, 0
	.set _ZN12_GLOBAL__N_121softmax_warp_backwardIfN3c108BFloat16EfLi6ELb1ELb0ELi32EEEvPT0_PKT_S7_iiiPKb.uses_vcc, 1
	.set _ZN12_GLOBAL__N_121softmax_warp_backwardIfN3c108BFloat16EfLi6ELb1ELb0ELi32EEEvPT0_PKT_S7_iiiPKb.uses_flat_scratch, 0
	.set _ZN12_GLOBAL__N_121softmax_warp_backwardIfN3c108BFloat16EfLi6ELb1ELb0ELi32EEEvPT0_PKT_S7_iiiPKb.has_dyn_sized_stack, 0
	.set _ZN12_GLOBAL__N_121softmax_warp_backwardIfN3c108BFloat16EfLi6ELb1ELb0ELi32EEEvPT0_PKT_S7_iiiPKb.has_recursion, 0
	.set _ZN12_GLOBAL__N_121softmax_warp_backwardIfN3c108BFloat16EfLi6ELb1ELb0ELi32EEEvPT0_PKT_S7_iiiPKb.has_indirect_call, 0
	.section	.AMDGPU.csdata,"",@progbits
; Kernel info:
; codeLenInByte = 1520
; TotalNumSgprs: 18
; NumVgprs: 18
; ScratchSize: 0
; MemoryBound: 0
; FloatMode: 240
; IeeeMode: 1
; LDSByteSize: 0 bytes/workgroup (compile time only)
; SGPRBlocks: 0
; VGPRBlocks: 2
; NumSGPRsForWavesPerEU: 18
; NumVGPRsForWavesPerEU: 18
; Occupancy: 16
; WaveLimiterHint : 0
; COMPUTE_PGM_RSRC2:SCRATCH_EN: 0
; COMPUTE_PGM_RSRC2:USER_SGPR: 6
; COMPUTE_PGM_RSRC2:TRAP_HANDLER: 0
; COMPUTE_PGM_RSRC2:TGID_X_EN: 1
; COMPUTE_PGM_RSRC2:TGID_Y_EN: 0
; COMPUTE_PGM_RSRC2:TGID_Z_EN: 0
; COMPUTE_PGM_RSRC2:TIDIG_COMP_CNT: 1
	.section	.text._ZN12_GLOBAL__N_121softmax_warp_backwardIfN3c108BFloat16EfLi7ELb1ELb0ELi64EEEvPT0_PKT_S7_iiiPKb,"axG",@progbits,_ZN12_GLOBAL__N_121softmax_warp_backwardIfN3c108BFloat16EfLi7ELb1ELb0ELi64EEEvPT0_PKT_S7_iiiPKb,comdat
	.globl	_ZN12_GLOBAL__N_121softmax_warp_backwardIfN3c108BFloat16EfLi7ELb1ELb0ELi64EEEvPT0_PKT_S7_iiiPKb ; -- Begin function _ZN12_GLOBAL__N_121softmax_warp_backwardIfN3c108BFloat16EfLi7ELb1ELb0ELi64EEEvPT0_PKT_S7_iiiPKb
	.p2align	8
	.type	_ZN12_GLOBAL__N_121softmax_warp_backwardIfN3c108BFloat16EfLi7ELb1ELb0ELi64EEEvPT0_PKT_S7_iiiPKb,@function
_ZN12_GLOBAL__N_121softmax_warp_backwardIfN3c108BFloat16EfLi7ELb1ELb0ELi64EEEvPT0_PKT_S7_iiiPKb: ; @_ZN12_GLOBAL__N_121softmax_warp_backwardIfN3c108BFloat16EfLi7ELb1ELb0ELi64EEEvPT0_PKT_S7_iiiPKb
; %bb.0:
	s_clause 0x1
	s_load_dword s0, s[4:5], 0x3c
	s_load_dwordx4 s[8:11], s[4:5], 0x18
	v_and_b32_e32 v6, 63, v0
	s_clause 0x1
	s_load_dwordx4 s[12:15], s[4:5], 0x0
	s_load_dwordx2 s[2:3], s[4:5], 0x10
	v_mov_b32_e32 v9, 1.0
	v_mov_b32_e32 v8, 0
	v_mov_b32_e32 v10, 0
	v_mov_b32_e32 v11, 1.0
	s_waitcnt lgkmcnt(0)
	s_lshr_b32 s0, s0, 16
	s_and_b32 s0, s0, 0xffff
	s_mul_i32 s6, s6, s0
	v_cmp_gt_i32_e64 s0, s10, v6
	v_add_lshl_u32 v2, s6, v1, 1
	v_mad_u64_u32 v[0:1], null, v2, s9, v[6:7]
	v_sub_nc_u32_e32 v7, s8, v2
	v_cmp_lt_i32_e32 vcc_lo, 0, v7
	v_ashrrev_i32_e32 v1, 31, v0
	v_lshlrev_b64 v[4:5], 2, v[0:1]
	v_add_co_u32 v2, s1, s14, v4
	v_add_co_ci_u32_e64 v3, null, s15, v5, s1
	v_add_co_u32 v4, s1, s2, v4
	v_add_co_ci_u32_e64 v5, null, s3, v5, s1
	s_and_b32 s1, vcc_lo, s0
	s_and_saveexec_b32 s2, s1
	s_cbranch_execz .LBB338_2
; %bb.1:
	global_load_dword v11, v[4:5], off
	global_load_dword v10, v[2:3], off
	s_waitcnt vmcnt(1)
	v_mul_f32_e32 v12, 0x3fb8aa3b, v11
	v_cmp_ngt_f32_e64 s1, 0xc2ce8ed0, v11
	v_rndne_f32_e32 v13, v12
	v_fma_f32 v14, 0x3fb8aa3b, v11, -v12
	v_sub_f32_e32 v12, v12, v13
	v_fmamk_f32 v14, v11, 0x32a5705f, v14
	v_cvt_i32_f32_e32 v13, v13
	v_add_f32_e32 v12, v12, v14
	v_exp_f32_e32 v12, v12
	v_ldexp_f32 v12, v12, v13
	v_cndmask_b32_e64 v12, 0, v12, s1
	v_cmp_nlt_f32_e64 s1, 0x42b17218, v11
	v_cndmask_b32_e64 v11, 0x7f800000, v12, s1
.LBB338_2:
	s_or_b32 exec_lo, exec_lo, s2
	v_or_b32_e32 v6, 64, v6
	v_cmp_gt_i32_e64 s1, s10, v6
	s_and_b32 s2, vcc_lo, s1
	s_and_saveexec_b32 s3, s2
	s_cbranch_execz .LBB338_4
; %bb.3:
	global_load_dword v6, v[4:5], off offset:256
	global_load_dword v8, v[2:3], off offset:256
	s_waitcnt vmcnt(1)
	v_mul_f32_e32 v9, 0x3fb8aa3b, v6
	v_cmp_ngt_f32_e64 s2, 0xc2ce8ed0, v6
	v_rndne_f32_e32 v12, v9
	v_fma_f32 v13, 0x3fb8aa3b, v6, -v9
	v_sub_f32_e32 v9, v9, v12
	v_fmamk_f32 v13, v6, 0x32a5705f, v13
	v_cvt_i32_f32_e32 v12, v12
	v_add_f32_e32 v9, v9, v13
	v_exp_f32_e32 v9, v9
	v_ldexp_f32 v9, v9, v12
	v_cndmask_b32_e64 v9, 0, v9, s2
	v_cmp_nlt_f32_e64 s2, 0x42b17218, v6
	v_cndmask_b32_e64 v9, 0x7f800000, v9, s2
.LBB338_4:
	s_or_b32 exec_lo, exec_lo, s3
	v_cmp_lt_i32_e64 s2, 1, v7
	v_mov_b32_e32 v12, 1.0
	v_mov_b32_e32 v6, 0
	v_mov_b32_e32 v13, 0
	v_mov_b32_e32 v14, 1.0
	s_and_b32 s3, s2, s0
	s_and_saveexec_b32 s4, s3
	s_cbranch_execz .LBB338_6
; %bb.5:
	s_mov_b32 s11, 0
	s_lshl_b64 s[6:7], s[10:11], 2
	v_add_co_u32 v13, s3, v4, s6
	v_add_co_ci_u32_e64 v14, null, s7, v5, s3
	global_load_dword v15, v[13:14], off
	v_add_co_u32 v13, s3, v2, s6
	v_add_co_ci_u32_e64 v14, null, s7, v3, s3
	global_load_dword v13, v[13:14], off
	s_waitcnt vmcnt(1)
	v_mul_f32_e32 v14, 0x3fb8aa3b, v15
	v_cmp_ngt_f32_e64 s3, 0xc2ce8ed0, v15
	v_fma_f32 v16, 0x3fb8aa3b, v15, -v14
	v_rndne_f32_e32 v17, v14
	v_fmamk_f32 v16, v15, 0x32a5705f, v16
	v_sub_f32_e32 v14, v14, v17
	v_add_f32_e32 v14, v14, v16
	v_cvt_i32_f32_e32 v16, v17
	v_exp_f32_e32 v14, v14
	v_ldexp_f32 v14, v14, v16
	v_cndmask_b32_e64 v14, 0, v14, s3
	v_cmp_nlt_f32_e64 s3, 0x42b17218, v15
	v_cndmask_b32_e64 v14, 0x7f800000, v14, s3
.LBB338_6:
	s_or_b32 exec_lo, exec_lo, s4
	s_and_b32 s2, s2, s1
	s_and_saveexec_b32 s3, s2
	s_cbranch_execz .LBB338_8
; %bb.7:
	s_mov_b32 s11, 0
	s_lshl_b64 s[4:5], s[10:11], 2
	v_add_co_u32 v4, s2, v4, s4
	v_add_co_ci_u32_e64 v5, null, s5, v5, s2
	v_add_co_u32 v2, s2, v2, s4
	v_add_co_ci_u32_e64 v3, null, s5, v3, s2
	global_load_dword v4, v[4:5], off offset:256
	global_load_dword v6, v[2:3], off offset:256
	s_waitcnt vmcnt(1)
	v_mul_f32_e32 v2, 0x3fb8aa3b, v4
	v_cmp_ngt_f32_e64 s2, 0xc2ce8ed0, v4
	v_fma_f32 v3, 0x3fb8aa3b, v4, -v2
	v_rndne_f32_e32 v5, v2
	v_fmamk_f32 v3, v4, 0x32a5705f, v3
	v_sub_f32_e32 v2, v2, v5
	v_add_f32_e32 v2, v2, v3
	v_cvt_i32_f32_e32 v3, v5
	v_exp_f32_e32 v2, v2
	v_ldexp_f32 v2, v2, v3
	v_cndmask_b32_e64 v2, 0, v2, s2
	v_cmp_nlt_f32_e64 s2, 0x42b17218, v4
	v_cndmask_b32_e64 v12, 0x7f800000, v2, s2
.LBB338_8:
	s_or_b32 exec_lo, exec_lo, s3
	v_mbcnt_lo_u32_b32 v2, -1, 0
	s_waitcnt vmcnt(0)
	v_add_f32_e32 v4, 0, v10
	v_add_f32_e32 v5, 0, v13
	v_or_b32_e32 v3, 32, v2
	v_add_f32_e32 v4, v4, v8
	v_add_f32_e32 v5, v5, v6
	v_xor_b32_e32 v16, 16, v2
	v_cmp_gt_i32_e64 s2, 64, v3
	v_cndmask_b32_e64 v3, v2, v3, s2
	v_cmp_gt_i32_e64 s2, 64, v16
	v_lshlrev_b32_e32 v3, 2, v3
	v_cndmask_b32_e64 v16, v2, v16, s2
	ds_bpermute_b32 v15, v3, v4
	ds_bpermute_b32 v3, v3, v5
	v_lshlrev_b32_e32 v16, 2, v16
	s_waitcnt lgkmcnt(1)
	v_add_f32_e32 v4, v4, v15
	s_waitcnt lgkmcnt(0)
	v_add_f32_e32 v3, v5, v3
	ds_bpermute_b32 v5, v16, v4
	ds_bpermute_b32 v15, v16, v3
	v_xor_b32_e32 v16, 8, v2
	v_cmp_gt_i32_e64 s2, 64, v16
	v_cndmask_b32_e64 v16, v2, v16, s2
	v_lshlrev_b32_e32 v16, 2, v16
	s_waitcnt lgkmcnt(1)
	v_add_f32_e32 v4, v4, v5
	s_waitcnt lgkmcnt(0)
	v_add_f32_e32 v3, v3, v15
	ds_bpermute_b32 v5, v16, v4
	ds_bpermute_b32 v15, v16, v3
	v_xor_b32_e32 v16, 4, v2
	v_cmp_gt_i32_e64 s2, 64, v16
	v_cndmask_b32_e64 v16, v2, v16, s2
	;; [unrolled: 10-line block ×4, first 2 shown]
	v_lshlrev_b32_e32 v16, 2, v2
	s_waitcnt lgkmcnt(1)
	v_add_f32_e32 v4, v4, v5
	s_waitcnt lgkmcnt(0)
	v_add_f32_e32 v2, v3, v15
	ds_bpermute_b32 v5, v16, v4
	ds_bpermute_b32 v3, v16, v2
	s_and_saveexec_b32 s2, vcc_lo
	s_cbranch_execz .LBB338_12
; %bb.9:
	v_lshlrev_b64 v[0:1], 1, v[0:1]
	s_waitcnt lgkmcnt(1)
	v_add_f32_e32 v4, v4, v5
	v_add_co_u32 v0, vcc_lo, s12, v0
	v_add_co_ci_u32_e64 v1, null, s13, v1, vcc_lo
	s_and_saveexec_b32 s2, s0
	s_cbranch_execnz .LBB338_13
; %bb.10:
	s_or_b32 exec_lo, exec_lo, s2
	s_and_saveexec_b32 s2, s1
	s_cbranch_execnz .LBB338_14
.LBB338_11:
	s_or_b32 exec_lo, exec_lo, s2
	v_cmp_ne_u32_e32 vcc_lo, 1, v7
	s_and_b32 exec_lo, exec_lo, vcc_lo
	s_cbranch_execnz .LBB338_15
.LBB338_12:
	s_endpgm
.LBB338_13:
	v_fma_f32 v5, -v4, v11, v10
	v_bfe_u32 v10, v5, 16, 1
	v_cmp_o_f32_e32 vcc_lo, v5, v5
	v_add3_u32 v5, v5, v10, 0x7fff
	v_mov_b32_e32 v10, 0x7fc0
	v_cndmask_b32_sdwa v5, v10, v5, vcc_lo dst_sel:DWORD dst_unused:UNUSED_PAD src0_sel:DWORD src1_sel:WORD_1
	global_store_short v[0:1], v5, off
	s_or_b32 exec_lo, exec_lo, s2
	s_and_saveexec_b32 s2, s1
	s_cbranch_execz .LBB338_11
.LBB338_14:
	v_fma_f32 v4, -v4, v9, v8
	v_bfe_u32 v5, v4, 16, 1
	v_cmp_o_f32_e32 vcc_lo, v4, v4
	v_add3_u32 v4, v4, v5, 0x7fff
	v_mov_b32_e32 v5, 0x7fc0
	v_cndmask_b32_sdwa v4, v5, v4, vcc_lo dst_sel:DWORD dst_unused:UNUSED_PAD src0_sel:DWORD src1_sel:WORD_1
	global_store_short v[0:1], v4, off offset:128
	s_or_b32 exec_lo, exec_lo, s2
	v_cmp_ne_u32_e32 vcc_lo, 1, v7
	s_and_b32 exec_lo, exec_lo, vcc_lo
	s_cbranch_execz .LBB338_12
.LBB338_15:
	s_waitcnt lgkmcnt(0)
	v_add_f32_e32 v2, v2, v3
	s_and_saveexec_b32 s2, s0
	s_cbranch_execz .LBB338_17
; %bb.16:
	v_fma_f32 v3, -v2, v14, v13
	v_mov_b32_e32 v5, 0x7fc0
	s_mov_b32 s11, 0
	s_lshl_b64 s[4:5], s[10:11], 1
	v_bfe_u32 v4, v3, 16, 1
	v_cmp_o_f32_e32 vcc_lo, v3, v3
	v_add3_u32 v3, v3, v4, 0x7fff
	v_cndmask_b32_sdwa v5, v5, v3, vcc_lo dst_sel:DWORD dst_unused:UNUSED_PAD src0_sel:DWORD src1_sel:WORD_1
	v_add_co_u32 v3, vcc_lo, v0, s4
	v_add_co_ci_u32_e64 v4, null, s5, v1, vcc_lo
	global_store_short v[3:4], v5, off
.LBB338_17:
	s_or_b32 exec_lo, exec_lo, s2
	s_and_b32 exec_lo, exec_lo, s1
	s_cbranch_execz .LBB338_12
; %bb.18:
	v_fma_f32 v2, -v2, v12, v6
	v_mov_b32_e32 v4, 0x7fc0
	s_mov_b32 s11, 0
	s_lshl_b64 s[0:1], s[10:11], 1
	v_bfe_u32 v3, v2, 16, 1
	v_cmp_o_f32_e32 vcc_lo, v2, v2
	v_add3_u32 v2, v2, v3, 0x7fff
	v_cndmask_b32_sdwa v2, v4, v2, vcc_lo dst_sel:DWORD dst_unused:UNUSED_PAD src0_sel:DWORD src1_sel:WORD_1
	v_add_co_u32 v0, vcc_lo, v0, s0
	v_add_co_ci_u32_e64 v1, null, s1, v1, vcc_lo
	global_store_short v[0:1], v2, off offset:128
	s_endpgm
	.section	.rodata,"a",@progbits
	.p2align	6, 0x0
	.amdhsa_kernel _ZN12_GLOBAL__N_121softmax_warp_backwardIfN3c108BFloat16EfLi7ELb1ELb0ELi64EEEvPT0_PKT_S7_iiiPKb
		.amdhsa_group_segment_fixed_size 0
		.amdhsa_private_segment_fixed_size 0
		.amdhsa_kernarg_size 304
		.amdhsa_user_sgpr_count 6
		.amdhsa_user_sgpr_private_segment_buffer 1
		.amdhsa_user_sgpr_dispatch_ptr 0
		.amdhsa_user_sgpr_queue_ptr 0
		.amdhsa_user_sgpr_kernarg_segment_ptr 1
		.amdhsa_user_sgpr_dispatch_id 0
		.amdhsa_user_sgpr_flat_scratch_init 0
		.amdhsa_user_sgpr_private_segment_size 0
		.amdhsa_wavefront_size32 1
		.amdhsa_uses_dynamic_stack 0
		.amdhsa_system_sgpr_private_segment_wavefront_offset 0
		.amdhsa_system_sgpr_workgroup_id_x 1
		.amdhsa_system_sgpr_workgroup_id_y 0
		.amdhsa_system_sgpr_workgroup_id_z 0
		.amdhsa_system_sgpr_workgroup_info 0
		.amdhsa_system_vgpr_workitem_id 1
		.amdhsa_next_free_vgpr 18
		.amdhsa_next_free_sgpr 16
		.amdhsa_reserve_vcc 1
		.amdhsa_reserve_flat_scratch 0
		.amdhsa_float_round_mode_32 0
		.amdhsa_float_round_mode_16_64 0
		.amdhsa_float_denorm_mode_32 3
		.amdhsa_float_denorm_mode_16_64 3
		.amdhsa_dx10_clamp 1
		.amdhsa_ieee_mode 1
		.amdhsa_fp16_overflow 0
		.amdhsa_workgroup_processor_mode 1
		.amdhsa_memory_ordered 1
		.amdhsa_forward_progress 1
		.amdhsa_shared_vgpr_count 0
		.amdhsa_exception_fp_ieee_invalid_op 0
		.amdhsa_exception_fp_denorm_src 0
		.amdhsa_exception_fp_ieee_div_zero 0
		.amdhsa_exception_fp_ieee_overflow 0
		.amdhsa_exception_fp_ieee_underflow 0
		.amdhsa_exception_fp_ieee_inexact 0
		.amdhsa_exception_int_div_zero 0
	.end_amdhsa_kernel
	.section	.text._ZN12_GLOBAL__N_121softmax_warp_backwardIfN3c108BFloat16EfLi7ELb1ELb0ELi64EEEvPT0_PKT_S7_iiiPKb,"axG",@progbits,_ZN12_GLOBAL__N_121softmax_warp_backwardIfN3c108BFloat16EfLi7ELb1ELb0ELi64EEEvPT0_PKT_S7_iiiPKb,comdat
.Lfunc_end338:
	.size	_ZN12_GLOBAL__N_121softmax_warp_backwardIfN3c108BFloat16EfLi7ELb1ELb0ELi64EEEvPT0_PKT_S7_iiiPKb, .Lfunc_end338-_ZN12_GLOBAL__N_121softmax_warp_backwardIfN3c108BFloat16EfLi7ELb1ELb0ELi64EEEvPT0_PKT_S7_iiiPKb
                                        ; -- End function
	.set _ZN12_GLOBAL__N_121softmax_warp_backwardIfN3c108BFloat16EfLi7ELb1ELb0ELi64EEEvPT0_PKT_S7_iiiPKb.num_vgpr, 18
	.set _ZN12_GLOBAL__N_121softmax_warp_backwardIfN3c108BFloat16EfLi7ELb1ELb0ELi64EEEvPT0_PKT_S7_iiiPKb.num_agpr, 0
	.set _ZN12_GLOBAL__N_121softmax_warp_backwardIfN3c108BFloat16EfLi7ELb1ELb0ELi64EEEvPT0_PKT_S7_iiiPKb.numbered_sgpr, 16
	.set _ZN12_GLOBAL__N_121softmax_warp_backwardIfN3c108BFloat16EfLi7ELb1ELb0ELi64EEEvPT0_PKT_S7_iiiPKb.num_named_barrier, 0
	.set _ZN12_GLOBAL__N_121softmax_warp_backwardIfN3c108BFloat16EfLi7ELb1ELb0ELi64EEEvPT0_PKT_S7_iiiPKb.private_seg_size, 0
	.set _ZN12_GLOBAL__N_121softmax_warp_backwardIfN3c108BFloat16EfLi7ELb1ELb0ELi64EEEvPT0_PKT_S7_iiiPKb.uses_vcc, 1
	.set _ZN12_GLOBAL__N_121softmax_warp_backwardIfN3c108BFloat16EfLi7ELb1ELb0ELi64EEEvPT0_PKT_S7_iiiPKb.uses_flat_scratch, 0
	.set _ZN12_GLOBAL__N_121softmax_warp_backwardIfN3c108BFloat16EfLi7ELb1ELb0ELi64EEEvPT0_PKT_S7_iiiPKb.has_dyn_sized_stack, 0
	.set _ZN12_GLOBAL__N_121softmax_warp_backwardIfN3c108BFloat16EfLi7ELb1ELb0ELi64EEEvPT0_PKT_S7_iiiPKb.has_recursion, 0
	.set _ZN12_GLOBAL__N_121softmax_warp_backwardIfN3c108BFloat16EfLi7ELb1ELb0ELi64EEEvPT0_PKT_S7_iiiPKb.has_indirect_call, 0
	.section	.AMDGPU.csdata,"",@progbits
; Kernel info:
; codeLenInByte = 1576
; TotalNumSgprs: 18
; NumVgprs: 18
; ScratchSize: 0
; MemoryBound: 0
; FloatMode: 240
; IeeeMode: 1
; LDSByteSize: 0 bytes/workgroup (compile time only)
; SGPRBlocks: 0
; VGPRBlocks: 2
; NumSGPRsForWavesPerEU: 18
; NumVGPRsForWavesPerEU: 18
; Occupancy: 16
; WaveLimiterHint : 0
; COMPUTE_PGM_RSRC2:SCRATCH_EN: 0
; COMPUTE_PGM_RSRC2:USER_SGPR: 6
; COMPUTE_PGM_RSRC2:TRAP_HANDLER: 0
; COMPUTE_PGM_RSRC2:TGID_X_EN: 1
; COMPUTE_PGM_RSRC2:TGID_Y_EN: 0
; COMPUTE_PGM_RSRC2:TGID_Z_EN: 0
; COMPUTE_PGM_RSRC2:TIDIG_COMP_CNT: 1
	.section	.text._ZN12_GLOBAL__N_121softmax_warp_backwardIfN3c108BFloat16EfLi7ELb1ELb0ELi32EEEvPT0_PKT_S7_iiiPKb,"axG",@progbits,_ZN12_GLOBAL__N_121softmax_warp_backwardIfN3c108BFloat16EfLi7ELb1ELb0ELi32EEEvPT0_PKT_S7_iiiPKb,comdat
	.globl	_ZN12_GLOBAL__N_121softmax_warp_backwardIfN3c108BFloat16EfLi7ELb1ELb0ELi32EEEvPT0_PKT_S7_iiiPKb ; -- Begin function _ZN12_GLOBAL__N_121softmax_warp_backwardIfN3c108BFloat16EfLi7ELb1ELb0ELi32EEEvPT0_PKT_S7_iiiPKb
	.p2align	8
	.type	_ZN12_GLOBAL__N_121softmax_warp_backwardIfN3c108BFloat16EfLi7ELb1ELb0ELi32EEEvPT0_PKT_S7_iiiPKb,@function
_ZN12_GLOBAL__N_121softmax_warp_backwardIfN3c108BFloat16EfLi7ELb1ELb0ELi32EEEvPT0_PKT_S7_iiiPKb: ; @_ZN12_GLOBAL__N_121softmax_warp_backwardIfN3c108BFloat16EfLi7ELb1ELb0ELi32EEEvPT0_PKT_S7_iiiPKb
; %bb.0:
	s_clause 0x1
	s_load_dword s0, s[4:5], 0x3c
	s_load_dwordx4 s[8:11], s[4:5], 0x18
	v_and_b32_e32 v6, 31, v0
	s_clause 0x1
	s_load_dwordx4 s[12:15], s[4:5], 0x0
	s_load_dwordx2 s[2:3], s[4:5], 0x10
	v_mov_b32_e32 v9, 1.0
	v_mov_b32_e32 v8, 0
	v_mov_b32_e32 v10, 0
	v_mov_b32_e32 v11, 1.0
	s_waitcnt lgkmcnt(0)
	s_lshr_b32 s0, s0, 16
	s_and_b32 s0, s0, 0xffff
	s_mul_i32 s6, s6, s0
	v_cmp_gt_i32_e64 s0, s10, v6
	v_add_lshl_u32 v2, s6, v1, 1
	v_mad_u64_u32 v[0:1], null, v2, s9, v[6:7]
	v_sub_nc_u32_e32 v7, s8, v2
	v_cmp_lt_i32_e32 vcc_lo, 0, v7
	v_ashrrev_i32_e32 v1, 31, v0
	v_lshlrev_b64 v[4:5], 2, v[0:1]
	v_add_co_u32 v2, s1, s14, v4
	v_add_co_ci_u32_e64 v3, null, s15, v5, s1
	v_add_co_u32 v4, s1, s2, v4
	v_add_co_ci_u32_e64 v5, null, s3, v5, s1
	s_and_b32 s1, vcc_lo, s0
	s_and_saveexec_b32 s2, s1
	s_cbranch_execz .LBB339_2
; %bb.1:
	global_load_dword v11, v[4:5], off
	global_load_dword v10, v[2:3], off
	s_waitcnt vmcnt(1)
	v_mul_f32_e32 v12, 0x3fb8aa3b, v11
	v_cmp_ngt_f32_e64 s1, 0xc2ce8ed0, v11
	v_rndne_f32_e32 v13, v12
	v_fma_f32 v14, 0x3fb8aa3b, v11, -v12
	v_sub_f32_e32 v12, v12, v13
	v_fmamk_f32 v14, v11, 0x32a5705f, v14
	v_cvt_i32_f32_e32 v13, v13
	v_add_f32_e32 v12, v12, v14
	v_exp_f32_e32 v12, v12
	v_ldexp_f32 v12, v12, v13
	v_cndmask_b32_e64 v12, 0, v12, s1
	v_cmp_nlt_f32_e64 s1, 0x42b17218, v11
	v_cndmask_b32_e64 v11, 0x7f800000, v12, s1
.LBB339_2:
	s_or_b32 exec_lo, exec_lo, s2
	v_or_b32_e32 v12, 32, v6
	v_cmp_gt_i32_e64 s1, s10, v12
	s_and_b32 s2, vcc_lo, s1
	s_and_saveexec_b32 s3, s2
	s_cbranch_execz .LBB339_4
; %bb.3:
	global_load_dword v9, v[4:5], off offset:128
	global_load_dword v8, v[2:3], off offset:128
	s_waitcnt vmcnt(1)
	v_mul_f32_e32 v12, 0x3fb8aa3b, v9
	v_cmp_ngt_f32_e64 s2, 0xc2ce8ed0, v9
	v_rndne_f32_e32 v13, v12
	v_fma_f32 v14, 0x3fb8aa3b, v9, -v12
	v_sub_f32_e32 v12, v12, v13
	v_fmamk_f32 v14, v9, 0x32a5705f, v14
	v_cvt_i32_f32_e32 v13, v13
	v_add_f32_e32 v12, v12, v14
	v_exp_f32_e32 v12, v12
	v_ldexp_f32 v12, v12, v13
	v_cndmask_b32_e64 v12, 0, v12, s2
	v_cmp_nlt_f32_e64 s2, 0x42b17218, v9
	v_cndmask_b32_e64 v9, 0x7f800000, v12, s2
.LBB339_4:
	s_or_b32 exec_lo, exec_lo, s3
	v_or_b32_e32 v12, 64, v6
	v_mov_b32_e32 v13, 1.0
	v_mov_b32_e32 v14, 0
	v_mov_b32_e32 v15, 1.0
	v_cmp_gt_i32_e64 s2, s10, v12
	v_mov_b32_e32 v12, 0
	s_and_b32 s3, vcc_lo, s2
	s_and_saveexec_b32 s4, s3
	s_cbranch_execz .LBB339_6
; %bb.5:
	global_load_dword v15, v[4:5], off offset:256
	global_load_dword v14, v[2:3], off offset:256
	s_waitcnt vmcnt(1)
	v_mul_f32_e32 v16, 0x3fb8aa3b, v15
	v_cmp_ngt_f32_e64 s3, 0xc2ce8ed0, v15
	v_rndne_f32_e32 v17, v16
	v_fma_f32 v18, 0x3fb8aa3b, v15, -v16
	v_sub_f32_e32 v16, v16, v17
	v_fmamk_f32 v18, v15, 0x32a5705f, v18
	v_cvt_i32_f32_e32 v17, v17
	v_add_f32_e32 v16, v16, v18
	v_exp_f32_e32 v16, v16
	v_ldexp_f32 v16, v16, v17
	v_cndmask_b32_e64 v16, 0, v16, s3
	v_cmp_nlt_f32_e64 s3, 0x42b17218, v15
	v_cndmask_b32_e64 v15, 0x7f800000, v16, s3
.LBB339_6:
	s_or_b32 exec_lo, exec_lo, s4
	v_or_b32_e32 v6, 0x60, v6
	v_cmp_gt_i32_e64 s3, s10, v6
	s_and_b32 s4, vcc_lo, s3
	s_and_saveexec_b32 s5, s4
	s_cbranch_execz .LBB339_8
; %bb.7:
	global_load_dword v6, v[4:5], off offset:384
	global_load_dword v12, v[2:3], off offset:384
	s_waitcnt vmcnt(1)
	v_mul_f32_e32 v13, 0x3fb8aa3b, v6
	v_cmp_ngt_f32_e64 s4, 0xc2ce8ed0, v6
	v_rndne_f32_e32 v16, v13
	v_fma_f32 v17, 0x3fb8aa3b, v6, -v13
	v_sub_f32_e32 v13, v13, v16
	v_fmamk_f32 v17, v6, 0x32a5705f, v17
	v_cvt_i32_f32_e32 v16, v16
	v_add_f32_e32 v13, v13, v17
	v_exp_f32_e32 v13, v13
	v_ldexp_f32 v13, v13, v16
	v_cndmask_b32_e64 v13, 0, v13, s4
	v_cmp_nlt_f32_e64 s4, 0x42b17218, v6
	v_cndmask_b32_e64 v13, 0x7f800000, v13, s4
.LBB339_8:
	s_or_b32 exec_lo, exec_lo, s5
	v_cmp_lt_i32_e64 s4, 1, v7
	v_mov_b32_e32 v16, 1.0
	v_mov_b32_e32 v6, 0
	v_mov_b32_e32 v17, 0
	v_mov_b32_e32 v19, 1.0
	s_and_b32 s5, s4, s0
	s_and_saveexec_b32 s6, s5
	s_cbranch_execz .LBB339_10
; %bb.9:
	s_mov_b32 s11, 0
	s_lshl_b64 s[8:9], s[10:11], 2
	v_add_co_u32 v17, s5, v4, s8
	v_add_co_ci_u32_e64 v18, null, s9, v5, s5
	global_load_dword v19, v[17:18], off
	v_add_co_u32 v17, s5, v2, s8
	v_add_co_ci_u32_e64 v18, null, s9, v3, s5
	global_load_dword v17, v[17:18], off
	s_waitcnt vmcnt(1)
	v_mul_f32_e32 v18, 0x3fb8aa3b, v19
	v_cmp_ngt_f32_e64 s5, 0xc2ce8ed0, v19
	v_fma_f32 v20, 0x3fb8aa3b, v19, -v18
	v_rndne_f32_e32 v21, v18
	v_fmamk_f32 v20, v19, 0x32a5705f, v20
	v_sub_f32_e32 v18, v18, v21
	v_add_f32_e32 v18, v18, v20
	v_cvt_i32_f32_e32 v20, v21
	v_exp_f32_e32 v18, v18
	v_ldexp_f32 v18, v18, v20
	v_cndmask_b32_e64 v18, 0, v18, s5
	v_cmp_nlt_f32_e64 s5, 0x42b17218, v19
	v_cndmask_b32_e64 v19, 0x7f800000, v18, s5
.LBB339_10:
	s_or_b32 exec_lo, exec_lo, s6
	s_and_b32 s5, s4, s1
	s_and_saveexec_b32 s6, s5
	s_cbranch_execz .LBB339_12
; %bb.11:
	s_mov_b32 s11, 0
	s_lshl_b64 s[8:9], s[10:11], 2
	v_add_co_u32 v20, s5, v4, s8
	v_add_co_ci_u32_e64 v21, null, s9, v5, s5
	global_load_dword v16, v[20:21], off offset:128
	v_add_co_u32 v20, s5, v2, s8
	v_add_co_ci_u32_e64 v21, null, s9, v3, s5
	global_load_dword v6, v[20:21], off offset:128
	s_waitcnt vmcnt(1)
	v_mul_f32_e32 v18, 0x3fb8aa3b, v16
	v_cmp_ngt_f32_e64 s5, 0xc2ce8ed0, v16
	v_fma_f32 v20, 0x3fb8aa3b, v16, -v18
	v_rndne_f32_e32 v21, v18
	v_fmamk_f32 v20, v16, 0x32a5705f, v20
	v_sub_f32_e32 v18, v18, v21
	v_add_f32_e32 v18, v18, v20
	v_cvt_i32_f32_e32 v20, v21
	v_exp_f32_e32 v18, v18
	v_ldexp_f32 v18, v18, v20
	v_cndmask_b32_e64 v18, 0, v18, s5
	v_cmp_nlt_f32_e64 s5, 0x42b17218, v16
	v_cndmask_b32_e64 v16, 0x7f800000, v18, s5
.LBB339_12:
	s_or_b32 exec_lo, exec_lo, s6
	v_mov_b32_e32 v20, 1.0
	v_mov_b32_e32 v18, 0
	v_mov_b32_e32 v21, 0
	v_mov_b32_e32 v22, 1.0
	s_and_b32 s5, s4, s2
	s_and_saveexec_b32 s6, s5
	s_cbranch_execz .LBB339_14
; %bb.13:
	s_mov_b32 s11, 0
	s_lshl_b64 s[8:9], s[10:11], 2
	v_add_co_u32 v21, s5, v4, s8
	v_add_co_ci_u32_e64 v22, null, s9, v5, s5
	global_load_dword v23, v[21:22], off offset:256
	v_add_co_u32 v21, s5, v2, s8
	v_add_co_ci_u32_e64 v22, null, s9, v3, s5
	global_load_dword v21, v[21:22], off offset:256
	s_waitcnt vmcnt(1)
	v_mul_f32_e32 v22, 0x3fb8aa3b, v23
	v_cmp_ngt_f32_e64 s5, 0xc2ce8ed0, v23
	v_fma_f32 v24, 0x3fb8aa3b, v23, -v22
	v_rndne_f32_e32 v25, v22
	v_fmamk_f32 v24, v23, 0x32a5705f, v24
	v_sub_f32_e32 v22, v22, v25
	v_add_f32_e32 v22, v22, v24
	v_cvt_i32_f32_e32 v24, v25
	v_exp_f32_e32 v22, v22
	v_ldexp_f32 v22, v22, v24
	v_cndmask_b32_e64 v22, 0, v22, s5
	v_cmp_nlt_f32_e64 s5, 0x42b17218, v23
	v_cndmask_b32_e64 v22, 0x7f800000, v22, s5
.LBB339_14:
	s_or_b32 exec_lo, exec_lo, s6
	s_and_b32 s4, s4, s3
	s_and_saveexec_b32 s5, s4
	s_cbranch_execz .LBB339_16
; %bb.15:
	s_mov_b32 s11, 0
	s_lshl_b64 s[6:7], s[10:11], 2
	v_add_co_u32 v4, s4, v4, s6
	v_add_co_ci_u32_e64 v5, null, s7, v5, s4
	v_add_co_u32 v2, s4, v2, s6
	v_add_co_ci_u32_e64 v3, null, s7, v3, s4
	global_load_dword v4, v[4:5], off offset:384
	global_load_dword v18, v[2:3], off offset:384
	s_waitcnt vmcnt(1)
	v_mul_f32_e32 v2, 0x3fb8aa3b, v4
	v_cmp_ngt_f32_e64 s4, 0xc2ce8ed0, v4
	v_fma_f32 v3, 0x3fb8aa3b, v4, -v2
	v_rndne_f32_e32 v5, v2
	v_fmamk_f32 v3, v4, 0x32a5705f, v3
	v_sub_f32_e32 v2, v2, v5
	v_add_f32_e32 v2, v2, v3
	v_cvt_i32_f32_e32 v3, v5
	v_exp_f32_e32 v2, v2
	v_ldexp_f32 v2, v2, v3
	v_cndmask_b32_e64 v2, 0, v2, s4
	v_cmp_nlt_f32_e64 s4, 0x42b17218, v4
	v_cndmask_b32_e64 v20, 0x7f800000, v2, s4
.LBB339_16:
	s_or_b32 exec_lo, exec_lo, s5
	v_mbcnt_lo_u32_b32 v3, -1, 0
	s_waitcnt vmcnt(0)
	v_add_f32_e32 v2, 0, v10
	v_add_f32_e32 v4, 0, v17
	v_xor_b32_e32 v5, 16, v3
	v_add_f32_e32 v2, v2, v8
	v_add_f32_e32 v4, v4, v6
	v_xor_b32_e32 v24, 8, v3
	v_cmp_gt_i32_e64 s4, 32, v5
	v_add_f32_e32 v2, v2, v14
	v_add_f32_e32 v4, v4, v21
	v_cndmask_b32_e64 v5, v3, v5, s4
	v_add_f32_e32 v2, v2, v12
	v_add_f32_e32 v4, v4, v18
	v_cmp_gt_i32_e64 s4, 32, v24
	v_lshlrev_b32_e32 v5, 2, v5
	v_cndmask_b32_e64 v24, v3, v24, s4
	ds_bpermute_b32 v23, v5, v2
	ds_bpermute_b32 v5, v5, v4
	v_lshlrev_b32_e32 v24, 2, v24
	s_waitcnt lgkmcnt(1)
	v_add_f32_e32 v2, v2, v23
	s_waitcnt lgkmcnt(0)
	v_add_f32_e32 v4, v4, v5
	ds_bpermute_b32 v5, v24, v2
	ds_bpermute_b32 v23, v24, v4
	v_xor_b32_e32 v24, 4, v3
	v_cmp_gt_i32_e64 s4, 32, v24
	v_cndmask_b32_e64 v24, v3, v24, s4
	v_lshlrev_b32_e32 v24, 2, v24
	s_waitcnt lgkmcnt(1)
	v_add_f32_e32 v2, v2, v5
	s_waitcnt lgkmcnt(0)
	v_add_f32_e32 v4, v4, v23
	ds_bpermute_b32 v5, v24, v2
	ds_bpermute_b32 v23, v24, v4
	v_xor_b32_e32 v24, 2, v3
	v_cmp_gt_i32_e64 s4, 32, v24
	v_cndmask_b32_e64 v24, v3, v24, s4
	;; [unrolled: 10-line block ×3, first 2 shown]
	v_lshlrev_b32_e32 v3, 2, v3
	s_waitcnt lgkmcnt(1)
	v_add_f32_e32 v4, v2, v4
	s_waitcnt lgkmcnt(0)
	v_add_f32_e32 v2, v5, v23
	ds_bpermute_b32 v5, v3, v4
	ds_bpermute_b32 v3, v3, v2
	s_and_saveexec_b32 s4, vcc_lo
	s_cbranch_execz .LBB339_22
; %bb.17:
	v_lshlrev_b64 v[0:1], 1, v[0:1]
	s_waitcnt lgkmcnt(1)
	v_add_f32_e32 v4, v4, v5
	v_add_co_u32 v0, vcc_lo, s12, v0
	v_add_co_ci_u32_e64 v1, null, s13, v1, vcc_lo
	s_and_saveexec_b32 s4, s0
	s_cbranch_execnz .LBB339_23
; %bb.18:
	s_or_b32 exec_lo, exec_lo, s4
	s_and_saveexec_b32 s4, s1
	s_cbranch_execnz .LBB339_24
.LBB339_19:
	s_or_b32 exec_lo, exec_lo, s4
	s_and_saveexec_b32 s4, s2
	s_cbranch_execnz .LBB339_25
.LBB339_20:
	s_or_b32 exec_lo, exec_lo, s4
	s_and_saveexec_b32 s4, s3
	s_cbranch_execnz .LBB339_26
.LBB339_21:
	s_or_b32 exec_lo, exec_lo, s4
	v_cmp_ne_u32_e32 vcc_lo, 1, v7
	s_and_b32 exec_lo, exec_lo, vcc_lo
	s_cbranch_execnz .LBB339_27
.LBB339_22:
	s_endpgm
.LBB339_23:
	v_fma_f32 v5, -v4, v11, v10
	v_bfe_u32 v10, v5, 16, 1
	v_cmp_o_f32_e32 vcc_lo, v5, v5
	v_add3_u32 v5, v5, v10, 0x7fff
	v_mov_b32_e32 v10, 0x7fc0
	v_cndmask_b32_sdwa v5, v10, v5, vcc_lo dst_sel:DWORD dst_unused:UNUSED_PAD src0_sel:DWORD src1_sel:WORD_1
	global_store_short v[0:1], v5, off
	s_or_b32 exec_lo, exec_lo, s4
	s_and_saveexec_b32 s4, s1
	s_cbranch_execz .LBB339_19
.LBB339_24:
	v_fma_f32 v5, -v4, v9, v8
	v_bfe_u32 v8, v5, 16, 1
	v_cmp_o_f32_e32 vcc_lo, v5, v5
	v_add3_u32 v5, v5, v8, 0x7fff
	v_mov_b32_e32 v8, 0x7fc0
	v_cndmask_b32_sdwa v5, v8, v5, vcc_lo dst_sel:DWORD dst_unused:UNUSED_PAD src0_sel:DWORD src1_sel:WORD_1
	global_store_short v[0:1], v5, off offset:64
	s_or_b32 exec_lo, exec_lo, s4
	s_and_saveexec_b32 s4, s2
	s_cbranch_execz .LBB339_20
.LBB339_25:
	v_fma_f32 v5, -v4, v15, v14
	v_bfe_u32 v8, v5, 16, 1
	v_cmp_o_f32_e32 vcc_lo, v5, v5
	v_add3_u32 v5, v5, v8, 0x7fff
	v_mov_b32_e32 v8, 0x7fc0
	v_cndmask_b32_sdwa v5, v8, v5, vcc_lo dst_sel:DWORD dst_unused:UNUSED_PAD src0_sel:DWORD src1_sel:WORD_1
	global_store_short v[0:1], v5, off offset:128
	s_or_b32 exec_lo, exec_lo, s4
	s_and_saveexec_b32 s4, s3
	s_cbranch_execz .LBB339_21
.LBB339_26:
	v_fma_f32 v4, -v4, v13, v12
	v_bfe_u32 v5, v4, 16, 1
	v_cmp_o_f32_e32 vcc_lo, v4, v4
	v_add3_u32 v4, v4, v5, 0x7fff
	v_mov_b32_e32 v5, 0x7fc0
	v_cndmask_b32_sdwa v4, v5, v4, vcc_lo dst_sel:DWORD dst_unused:UNUSED_PAD src0_sel:DWORD src1_sel:WORD_1
	global_store_short v[0:1], v4, off offset:192
	s_or_b32 exec_lo, exec_lo, s4
	v_cmp_ne_u32_e32 vcc_lo, 1, v7
	s_and_b32 exec_lo, exec_lo, vcc_lo
	s_cbranch_execz .LBB339_22
.LBB339_27:
	s_waitcnt lgkmcnt(0)
	v_add_f32_e32 v2, v2, v3
	s_and_saveexec_b32 s4, s0
	s_cbranch_execnz .LBB339_31
; %bb.28:
	s_or_b32 exec_lo, exec_lo, s4
	s_and_saveexec_b32 s0, s1
	s_cbranch_execnz .LBB339_32
.LBB339_29:
	s_or_b32 exec_lo, exec_lo, s0
	s_and_saveexec_b32 s0, s2
	s_cbranch_execnz .LBB339_33
.LBB339_30:
	s_or_b32 exec_lo, exec_lo, s0
	s_and_b32 exec_lo, exec_lo, s3
	s_cbranch_execz .LBB339_22
	s_branch .LBB339_34
.LBB339_31:
	v_fma_f32 v3, -v2, v19, v17
	v_mov_b32_e32 v5, 0x7fc0
	s_mov_b32 s11, 0
	s_lshl_b64 s[6:7], s[10:11], 1
	v_bfe_u32 v4, v3, 16, 1
	v_cmp_o_f32_e32 vcc_lo, v3, v3
	v_add3_u32 v3, v3, v4, 0x7fff
	v_cndmask_b32_sdwa v5, v5, v3, vcc_lo dst_sel:DWORD dst_unused:UNUSED_PAD src0_sel:DWORD src1_sel:WORD_1
	v_add_co_u32 v3, vcc_lo, v0, s6
	v_add_co_ci_u32_e64 v4, null, s7, v1, vcc_lo
	global_store_short v[3:4], v5, off
	s_or_b32 exec_lo, exec_lo, s4
	s_and_saveexec_b32 s0, s1
	s_cbranch_execz .LBB339_29
.LBB339_32:
	v_fma_f32 v3, -v2, v16, v6
	v_mov_b32_e32 v5, 0x7fc0
	s_mov_b32 s11, 0
	s_lshl_b64 s[4:5], s[10:11], 1
	v_bfe_u32 v4, v3, 16, 1
	v_cmp_o_f32_e32 vcc_lo, v3, v3
	v_add3_u32 v3, v3, v4, 0x7fff
	v_cndmask_b32_sdwa v5, v5, v3, vcc_lo dst_sel:DWORD dst_unused:UNUSED_PAD src0_sel:DWORD src1_sel:WORD_1
	v_add_co_u32 v3, vcc_lo, v0, s4
	v_add_co_ci_u32_e64 v4, null, s5, v1, vcc_lo
	global_store_short v[3:4], v5, off offset:64
	s_or_b32 exec_lo, exec_lo, s0
	s_and_saveexec_b32 s0, s2
	s_cbranch_execz .LBB339_30
.LBB339_33:
	v_fma_f32 v3, -v2, v22, v21
	v_mov_b32_e32 v5, 0x7fc0
	s_mov_b32 s11, 0
	s_lshl_b64 s[4:5], s[10:11], 1
	v_bfe_u32 v4, v3, 16, 1
	v_cmp_o_f32_e32 vcc_lo, v3, v3
	v_add3_u32 v3, v3, v4, 0x7fff
	v_cndmask_b32_sdwa v5, v5, v3, vcc_lo dst_sel:DWORD dst_unused:UNUSED_PAD src0_sel:DWORD src1_sel:WORD_1
	v_add_co_u32 v3, vcc_lo, v0, s4
	v_add_co_ci_u32_e64 v4, null, s5, v1, vcc_lo
	global_store_short v[3:4], v5, off offset:128
	s_or_b32 exec_lo, exec_lo, s0
	s_and_b32 exec_lo, exec_lo, s3
	s_cbranch_execz .LBB339_22
.LBB339_34:
	v_fma_f32 v2, -v2, v20, v18
	v_mov_b32_e32 v4, 0x7fc0
	s_mov_b32 s11, 0
	s_lshl_b64 s[0:1], s[10:11], 1
	v_bfe_u32 v3, v2, 16, 1
	v_cmp_o_f32_e32 vcc_lo, v2, v2
	v_add3_u32 v2, v2, v3, 0x7fff
	v_cndmask_b32_sdwa v2, v4, v2, vcc_lo dst_sel:DWORD dst_unused:UNUSED_PAD src0_sel:DWORD src1_sel:WORD_1
	v_add_co_u32 v0, vcc_lo, v0, s0
	v_add_co_ci_u32_e64 v1, null, s1, v1, vcc_lo
	global_store_short v[0:1], v2, off offset:192
	s_endpgm
	.section	.rodata,"a",@progbits
	.p2align	6, 0x0
	.amdhsa_kernel _ZN12_GLOBAL__N_121softmax_warp_backwardIfN3c108BFloat16EfLi7ELb1ELb0ELi32EEEvPT0_PKT_S7_iiiPKb
		.amdhsa_group_segment_fixed_size 0
		.amdhsa_private_segment_fixed_size 0
		.amdhsa_kernarg_size 304
		.amdhsa_user_sgpr_count 6
		.amdhsa_user_sgpr_private_segment_buffer 1
		.amdhsa_user_sgpr_dispatch_ptr 0
		.amdhsa_user_sgpr_queue_ptr 0
		.amdhsa_user_sgpr_kernarg_segment_ptr 1
		.amdhsa_user_sgpr_dispatch_id 0
		.amdhsa_user_sgpr_flat_scratch_init 0
		.amdhsa_user_sgpr_private_segment_size 0
		.amdhsa_wavefront_size32 1
		.amdhsa_uses_dynamic_stack 0
		.amdhsa_system_sgpr_private_segment_wavefront_offset 0
		.amdhsa_system_sgpr_workgroup_id_x 1
		.amdhsa_system_sgpr_workgroup_id_y 0
		.amdhsa_system_sgpr_workgroup_id_z 0
		.amdhsa_system_sgpr_workgroup_info 0
		.amdhsa_system_vgpr_workitem_id 1
		.amdhsa_next_free_vgpr 26
		.amdhsa_next_free_sgpr 16
		.amdhsa_reserve_vcc 1
		.amdhsa_reserve_flat_scratch 0
		.amdhsa_float_round_mode_32 0
		.amdhsa_float_round_mode_16_64 0
		.amdhsa_float_denorm_mode_32 3
		.amdhsa_float_denorm_mode_16_64 3
		.amdhsa_dx10_clamp 1
		.amdhsa_ieee_mode 1
		.amdhsa_fp16_overflow 0
		.amdhsa_workgroup_processor_mode 1
		.amdhsa_memory_ordered 1
		.amdhsa_forward_progress 1
		.amdhsa_shared_vgpr_count 0
		.amdhsa_exception_fp_ieee_invalid_op 0
		.amdhsa_exception_fp_denorm_src 0
		.amdhsa_exception_fp_ieee_div_zero 0
		.amdhsa_exception_fp_ieee_overflow 0
		.amdhsa_exception_fp_ieee_underflow 0
		.amdhsa_exception_fp_ieee_inexact 0
		.amdhsa_exception_int_div_zero 0
	.end_amdhsa_kernel
	.section	.text._ZN12_GLOBAL__N_121softmax_warp_backwardIfN3c108BFloat16EfLi7ELb1ELb0ELi32EEEvPT0_PKT_S7_iiiPKb,"axG",@progbits,_ZN12_GLOBAL__N_121softmax_warp_backwardIfN3c108BFloat16EfLi7ELb1ELb0ELi32EEEvPT0_PKT_S7_iiiPKb,comdat
.Lfunc_end339:
	.size	_ZN12_GLOBAL__N_121softmax_warp_backwardIfN3c108BFloat16EfLi7ELb1ELb0ELi32EEEvPT0_PKT_S7_iiiPKb, .Lfunc_end339-_ZN12_GLOBAL__N_121softmax_warp_backwardIfN3c108BFloat16EfLi7ELb1ELb0ELi32EEEvPT0_PKT_S7_iiiPKb
                                        ; -- End function
	.set _ZN12_GLOBAL__N_121softmax_warp_backwardIfN3c108BFloat16EfLi7ELb1ELb0ELi32EEEvPT0_PKT_S7_iiiPKb.num_vgpr, 26
	.set _ZN12_GLOBAL__N_121softmax_warp_backwardIfN3c108BFloat16EfLi7ELb1ELb0ELi32EEEvPT0_PKT_S7_iiiPKb.num_agpr, 0
	.set _ZN12_GLOBAL__N_121softmax_warp_backwardIfN3c108BFloat16EfLi7ELb1ELb0ELi32EEEvPT0_PKT_S7_iiiPKb.numbered_sgpr, 16
	.set _ZN12_GLOBAL__N_121softmax_warp_backwardIfN3c108BFloat16EfLi7ELb1ELb0ELi32EEEvPT0_PKT_S7_iiiPKb.num_named_barrier, 0
	.set _ZN12_GLOBAL__N_121softmax_warp_backwardIfN3c108BFloat16EfLi7ELb1ELb0ELi32EEEvPT0_PKT_S7_iiiPKb.private_seg_size, 0
	.set _ZN12_GLOBAL__N_121softmax_warp_backwardIfN3c108BFloat16EfLi7ELb1ELb0ELi32EEEvPT0_PKT_S7_iiiPKb.uses_vcc, 1
	.set _ZN12_GLOBAL__N_121softmax_warp_backwardIfN3c108BFloat16EfLi7ELb1ELb0ELi32EEEvPT0_PKT_S7_iiiPKb.uses_flat_scratch, 0
	.set _ZN12_GLOBAL__N_121softmax_warp_backwardIfN3c108BFloat16EfLi7ELb1ELb0ELi32EEEvPT0_PKT_S7_iiiPKb.has_dyn_sized_stack, 0
	.set _ZN12_GLOBAL__N_121softmax_warp_backwardIfN3c108BFloat16EfLi7ELb1ELb0ELi32EEEvPT0_PKT_S7_iiiPKb.has_recursion, 0
	.set _ZN12_GLOBAL__N_121softmax_warp_backwardIfN3c108BFloat16EfLi7ELb1ELb0ELi32EEEvPT0_PKT_S7_iiiPKb.has_indirect_call, 0
	.section	.AMDGPU.csdata,"",@progbits
; Kernel info:
; codeLenInByte = 2604
; TotalNumSgprs: 18
; NumVgprs: 26
; ScratchSize: 0
; MemoryBound: 0
; FloatMode: 240
; IeeeMode: 1
; LDSByteSize: 0 bytes/workgroup (compile time only)
; SGPRBlocks: 0
; VGPRBlocks: 3
; NumSGPRsForWavesPerEU: 18
; NumVGPRsForWavesPerEU: 26
; Occupancy: 16
; WaveLimiterHint : 0
; COMPUTE_PGM_RSRC2:SCRATCH_EN: 0
; COMPUTE_PGM_RSRC2:USER_SGPR: 6
; COMPUTE_PGM_RSRC2:TRAP_HANDLER: 0
; COMPUTE_PGM_RSRC2:TGID_X_EN: 1
; COMPUTE_PGM_RSRC2:TGID_Y_EN: 0
; COMPUTE_PGM_RSRC2:TGID_Z_EN: 0
; COMPUTE_PGM_RSRC2:TIDIG_COMP_CNT: 1
	.section	.text._ZN12_GLOBAL__N_121softmax_warp_backwardIfN3c108BFloat16EfLi8ELb1ELb0ELi64EEEvPT0_PKT_S7_iiiPKb,"axG",@progbits,_ZN12_GLOBAL__N_121softmax_warp_backwardIfN3c108BFloat16EfLi8ELb1ELb0ELi64EEEvPT0_PKT_S7_iiiPKb,comdat
	.globl	_ZN12_GLOBAL__N_121softmax_warp_backwardIfN3c108BFloat16EfLi8ELb1ELb0ELi64EEEvPT0_PKT_S7_iiiPKb ; -- Begin function _ZN12_GLOBAL__N_121softmax_warp_backwardIfN3c108BFloat16EfLi8ELb1ELb0ELi64EEEvPT0_PKT_S7_iiiPKb
	.p2align	8
	.type	_ZN12_GLOBAL__N_121softmax_warp_backwardIfN3c108BFloat16EfLi8ELb1ELb0ELi64EEEvPT0_PKT_S7_iiiPKb,@function
_ZN12_GLOBAL__N_121softmax_warp_backwardIfN3c108BFloat16EfLi8ELb1ELb0ELi64EEEvPT0_PKT_S7_iiiPKb: ; @_ZN12_GLOBAL__N_121softmax_warp_backwardIfN3c108BFloat16EfLi8ELb1ELb0ELi64EEEvPT0_PKT_S7_iiiPKb
; %bb.0:
	s_clause 0x1
	s_load_dword s0, s[4:5], 0x3c
	s_load_dwordx4 s[12:15], s[4:5], 0x18
	v_and_b32_e32 v6, 63, v0
	s_clause 0x1
	s_load_dwordx4 s[8:11], s[4:5], 0x0
	s_load_dwordx2 s[4:5], s[4:5], 0x10
	v_mov_b32_e32 v8, 0
	v_mov_b32_e32 v9, 0
	s_waitcnt lgkmcnt(0)
	s_lshr_b32 s0, s0, 16
	v_cmp_gt_i32_e32 vcc_lo, s14, v6
	v_mad_u64_u32 v[2:3], null, s6, s0, v[1:2]
	v_mad_u64_u32 v[0:1], null, v2, s13, v[6:7]
	v_sub_nc_u32_e32 v11, s12, v2
	v_cmp_lt_i32_e64 s3, 0, v11
	v_ashrrev_i32_e32 v1, 31, v0
	s_and_b32 s1, s3, vcc_lo
	v_lshlrev_b64 v[4:5], 2, v[0:1]
	v_add_co_u32 v2, s0, s10, v4
	v_add_co_ci_u32_e64 v3, null, s11, v5, s0
	v_add_co_u32 v4, s0, s4, v4
	v_add_co_ci_u32_e64 v5, null, s5, v5, s0
	s_and_saveexec_b32 s0, s1
	s_cbranch_execz .LBB340_2
; %bb.1:
	global_load_dword v9, v[2:3], off
	global_load_dword v8, v[4:5], off
.LBB340_2:
	s_or_b32 exec_lo, exec_lo, s0
	v_or_b32_e32 v7, 64, v6
	v_cmp_gt_i32_e64 s0, s14, v7
	s_and_b32 s1, s3, s0
	s_xor_b32 s1, s1, -1
	s_and_saveexec_b32 s2, s1
	s_xor_b32 s1, exec_lo, s2
                                        ; implicit-def: $vgpr10
                                        ; implicit-def: $vgpr12
                                        ; implicit-def: $vgpr7
; %bb.3:
	s_mov_b32 s2, 0
                                        ; implicit-def: $vgpr10
                                        ; implicit-def: $vgpr7
	v_mov_b32_e32 v12, s2
; %bb.4:
	s_or_saveexec_b32 s2, s1
	v_mov_b32_e32 v13, 1.0
	s_xor_b32 exec_lo, exec_lo, s2
	s_cbranch_execz .LBB340_6
; %bb.5:
	global_load_dword v13, v[4:5], off offset:256
	global_load_dword v12, v[2:3], off offset:256
	s_waitcnt vmcnt(1)
	v_mul_f32_e32 v14, 0x3fb8aa3b, v13
	v_cmp_ngt_f32_e64 s1, 0xc2ce8ed0, v13
	v_rndne_f32_e32 v15, v14
	v_fma_f32 v16, 0x3fb8aa3b, v13, -v14
	v_sub_f32_e32 v14, v14, v15
	v_fmamk_f32 v16, v13, 0x32a5705f, v16
	v_cvt_i32_f32_e32 v15, v15
	v_add_f32_e32 v14, v14, v16
	v_exp_f32_e32 v14, v14
	v_ldexp_f32 v14, v14, v15
	v_cndmask_b32_e64 v14, 0, v14, s1
	v_cmp_nlt_f32_e64 s1, 0x42b17218, v13
	v_cndmask_b32_e64 v13, 0x7f800000, v14, s1
.LBB340_6:
	s_or_b32 exec_lo, exec_lo, s2
	v_or_b32_e32 v14, 0x80, v6
	v_cmp_gt_i32_e64 s1, s14, v14
	s_and_b32 s2, s3, s1
	s_xor_b32 s2, s2, -1
	s_and_saveexec_b32 s4, s2
	s_xor_b32 s2, exec_lo, s4
; %bb.7:
	s_mov_b32 s4, 0
	v_mov_b32_e32 v10, s4
; %bb.8:
	s_or_saveexec_b32 s4, s2
	v_mov_b32_e32 v14, 1.0
	s_xor_b32 exec_lo, exec_lo, s4
	s_cbranch_execz .LBB340_10
; %bb.9:
	global_load_dword v14, v[4:5], off offset:512
	global_load_dword v10, v[2:3], off offset:512
	s_waitcnt vmcnt(1)
	v_mul_f32_e32 v15, 0x3fb8aa3b, v14
	v_cmp_ngt_f32_e64 s2, 0xc2ce8ed0, v14
	v_rndne_f32_e32 v16, v15
	v_fma_f32 v17, 0x3fb8aa3b, v14, -v15
	v_sub_f32_e32 v15, v15, v16
	v_fmamk_f32 v17, v14, 0x32a5705f, v17
	v_cvt_i32_f32_e32 v16, v16
	v_add_f32_e32 v15, v15, v17
	v_exp_f32_e32 v15, v15
	v_ldexp_f32 v15, v15, v16
	v_cndmask_b32_e64 v15, 0, v15, s2
	v_cmp_nlt_f32_e64 s2, 0x42b17218, v14
	v_cndmask_b32_e64 v14, 0x7f800000, v15, s2
.LBB340_10:
	s_or_b32 exec_lo, exec_lo, s4
	v_or_b32_e32 v6, 0xc0, v6
	v_cmp_gt_i32_e64 s2, s14, v6
	s_and_b32 s3, s3, s2
	s_xor_b32 s3, s3, -1
	s_and_saveexec_b32 s4, s3
	s_xor_b32 s3, exec_lo, s4
; %bb.11:
	s_mov_b32 s4, 0
                                        ; implicit-def: $vgpr2_vgpr3
                                        ; implicit-def: $vgpr4_vgpr5
	v_mov_b32_e32 v7, s4
; %bb.12:
	s_or_saveexec_b32 s4, s3
	v_mov_b32_e32 v6, 1.0
	s_xor_b32 exec_lo, exec_lo, s4
	s_cbranch_execz .LBB340_14
; %bb.13:
	global_load_dword v4, v[4:5], off offset:768
	global_load_dword v7, v[2:3], off offset:768
	s_waitcnt vmcnt(1)
	v_mul_f32_e32 v2, 0x3fb8aa3b, v4
	v_cmp_ngt_f32_e64 s3, 0xc2ce8ed0, v4
	v_rndne_f32_e32 v3, v2
	v_fma_f32 v5, 0x3fb8aa3b, v4, -v2
	v_sub_f32_e32 v2, v2, v3
	v_fmamk_f32 v5, v4, 0x32a5705f, v5
	v_cvt_i32_f32_e32 v3, v3
	v_add_f32_e32 v2, v2, v5
	v_exp_f32_e32 v2, v2
	v_ldexp_f32 v2, v2, v3
	v_cndmask_b32_e64 v2, 0, v2, s3
	v_cmp_nlt_f32_e64 s3, 0x42b17218, v4
	v_cndmask_b32_e64 v6, 0x7f800000, v2, s3
.LBB340_14:
	s_or_b32 exec_lo, exec_lo, s4
	v_mbcnt_lo_u32_b32 v3, -1, 0
	s_waitcnt vmcnt(1)
	v_add_f32_e32 v2, 0, v9
	s_mov_b32 s4, exec_lo
	v_or_b32_e32 v4, 32, v3
	s_waitcnt vmcnt(0)
	v_add_f32_e32 v2, v2, v12
	v_xor_b32_e32 v5, 16, v3
	v_cmp_gt_i32_e64 s3, 64, v4
	v_add_f32_e32 v2, v2, v10
	v_cndmask_b32_e64 v4, v3, v4, s3
	v_add_f32_e32 v2, v2, v7
	v_cmp_gt_i32_e64 s3, 64, v5
	v_lshlrev_b32_e32 v4, 2, v4
	v_cndmask_b32_e64 v5, v3, v5, s3
	ds_bpermute_b32 v4, v4, v2
	v_lshlrev_b32_e32 v5, 2, v5
	s_waitcnt lgkmcnt(0)
	v_add_f32_e32 v2, v2, v4
	ds_bpermute_b32 v4, v5, v2
	v_xor_b32_e32 v5, 8, v3
	v_cmp_gt_i32_e64 s3, 64, v5
	v_cndmask_b32_e64 v5, v3, v5, s3
	v_lshlrev_b32_e32 v5, 2, v5
	s_waitcnt lgkmcnt(0)
	v_add_f32_e32 v2, v2, v4
	ds_bpermute_b32 v4, v5, v2
	v_xor_b32_e32 v5, 4, v3
	v_cmp_gt_i32_e64 s3, 64, v5
	v_cndmask_b32_e64 v5, v3, v5, s3
	;; [unrolled: 7-line block ×4, first 2 shown]
	v_lshlrev_b32_e32 v3, 2, v3
	s_waitcnt lgkmcnt(0)
	v_add_f32_e32 v2, v2, v4
	ds_bpermute_b32 v3, v3, v2
	v_cmpx_lt_i32_e32 0, v11
	s_cbranch_execz .LBB340_20
; %bb.15:
	v_lshlrev_b64 v[0:1], 1, v[0:1]
	s_waitcnt lgkmcnt(0)
	v_add_f32_e32 v2, v2, v3
	v_add_co_u32 v0, s3, s8, v0
	v_add_co_ci_u32_e64 v1, null, s9, v1, s3
	s_and_saveexec_b32 s3, vcc_lo
	s_cbranch_execnz .LBB340_21
; %bb.16:
	s_or_b32 exec_lo, exec_lo, s3
	s_and_saveexec_b32 s3, s0
	s_cbranch_execnz .LBB340_22
.LBB340_17:
	s_or_b32 exec_lo, exec_lo, s3
	s_and_saveexec_b32 s0, s1
	s_cbranch_execnz .LBB340_23
.LBB340_18:
	s_or_b32 exec_lo, exec_lo, s0
	s_and_b32 exec_lo, exec_lo, s2
	s_cbranch_execz .LBB340_20
.LBB340_19:
	v_fma_f32 v2, -v2, v6, v7
	v_bfe_u32 v3, v2, 16, 1
	v_cmp_o_f32_e32 vcc_lo, v2, v2
	v_add3_u32 v2, v2, v3, 0x7fff
	v_mov_b32_e32 v3, 0x7fc0
	v_cndmask_b32_sdwa v2, v3, v2, vcc_lo dst_sel:DWORD dst_unused:UNUSED_PAD src0_sel:DWORD src1_sel:WORD_1
	global_store_short v[0:1], v2, off offset:384
.LBB340_20:
	s_endpgm
.LBB340_21:
	v_mul_f32_e32 v3, 0x3fb8aa3b, v8
	v_cmp_ngt_f32_e32 vcc_lo, 0xc2ce8ed0, v8
	v_rndne_f32_e32 v4, v3
	v_fma_f32 v5, 0x3fb8aa3b, v8, -v3
	v_sub_f32_e32 v3, v3, v4
	v_fmamk_f32 v5, v8, 0x32a5705f, v5
	v_cvt_i32_f32_e32 v4, v4
	v_add_f32_e32 v3, v3, v5
	v_exp_f32_e32 v3, v3
	v_ldexp_f32 v3, v3, v4
	v_cndmask_b32_e32 v3, 0, v3, vcc_lo
	v_cmp_nlt_f32_e32 vcc_lo, 0x42b17218, v8
	v_cndmask_b32_e32 v3, 0x7f800000, v3, vcc_lo
	v_fma_f32 v3, -v2, v3, v9
	v_bfe_u32 v4, v3, 16, 1
	v_cmp_o_f32_e32 vcc_lo, v3, v3
	v_add3_u32 v3, v3, v4, 0x7fff
	v_mov_b32_e32 v4, 0x7fc0
	v_cndmask_b32_sdwa v3, v4, v3, vcc_lo dst_sel:DWORD dst_unused:UNUSED_PAD src0_sel:DWORD src1_sel:WORD_1
	global_store_short v[0:1], v3, off
	s_or_b32 exec_lo, exec_lo, s3
	s_and_saveexec_b32 s3, s0
	s_cbranch_execz .LBB340_17
.LBB340_22:
	v_fma_f32 v3, -v2, v13, v12
	v_bfe_u32 v4, v3, 16, 1
	v_cmp_o_f32_e32 vcc_lo, v3, v3
	v_add3_u32 v3, v3, v4, 0x7fff
	v_mov_b32_e32 v4, 0x7fc0
	v_cndmask_b32_sdwa v3, v4, v3, vcc_lo dst_sel:DWORD dst_unused:UNUSED_PAD src0_sel:DWORD src1_sel:WORD_1
	global_store_short v[0:1], v3, off offset:128
	s_or_b32 exec_lo, exec_lo, s3
	s_and_saveexec_b32 s0, s1
	s_cbranch_execz .LBB340_18
.LBB340_23:
	v_fma_f32 v3, -v2, v14, v10
	v_bfe_u32 v4, v3, 16, 1
	v_cmp_o_f32_e32 vcc_lo, v3, v3
	v_add3_u32 v3, v3, v4, 0x7fff
	v_mov_b32_e32 v4, 0x7fc0
	v_cndmask_b32_sdwa v3, v4, v3, vcc_lo dst_sel:DWORD dst_unused:UNUSED_PAD src0_sel:DWORD src1_sel:WORD_1
	global_store_short v[0:1], v3, off offset:256
	s_or_b32 exec_lo, exec_lo, s0
	s_and_b32 exec_lo, exec_lo, s2
	s_cbranch_execnz .LBB340_19
	s_branch .LBB340_20
	.section	.rodata,"a",@progbits
	.p2align	6, 0x0
	.amdhsa_kernel _ZN12_GLOBAL__N_121softmax_warp_backwardIfN3c108BFloat16EfLi8ELb1ELb0ELi64EEEvPT0_PKT_S7_iiiPKb
		.amdhsa_group_segment_fixed_size 0
		.amdhsa_private_segment_fixed_size 0
		.amdhsa_kernarg_size 304
		.amdhsa_user_sgpr_count 6
		.amdhsa_user_sgpr_private_segment_buffer 1
		.amdhsa_user_sgpr_dispatch_ptr 0
		.amdhsa_user_sgpr_queue_ptr 0
		.amdhsa_user_sgpr_kernarg_segment_ptr 1
		.amdhsa_user_sgpr_dispatch_id 0
		.amdhsa_user_sgpr_flat_scratch_init 0
		.amdhsa_user_sgpr_private_segment_size 0
		.amdhsa_wavefront_size32 1
		.amdhsa_uses_dynamic_stack 0
		.amdhsa_system_sgpr_private_segment_wavefront_offset 0
		.amdhsa_system_sgpr_workgroup_id_x 1
		.amdhsa_system_sgpr_workgroup_id_y 0
		.amdhsa_system_sgpr_workgroup_id_z 0
		.amdhsa_system_sgpr_workgroup_info 0
		.amdhsa_system_vgpr_workitem_id 1
		.amdhsa_next_free_vgpr 18
		.amdhsa_next_free_sgpr 16
		.amdhsa_reserve_vcc 1
		.amdhsa_reserve_flat_scratch 0
		.amdhsa_float_round_mode_32 0
		.amdhsa_float_round_mode_16_64 0
		.amdhsa_float_denorm_mode_32 3
		.amdhsa_float_denorm_mode_16_64 3
		.amdhsa_dx10_clamp 1
		.amdhsa_ieee_mode 1
		.amdhsa_fp16_overflow 0
		.amdhsa_workgroup_processor_mode 1
		.amdhsa_memory_ordered 1
		.amdhsa_forward_progress 1
		.amdhsa_shared_vgpr_count 0
		.amdhsa_exception_fp_ieee_invalid_op 0
		.amdhsa_exception_fp_denorm_src 0
		.amdhsa_exception_fp_ieee_div_zero 0
		.amdhsa_exception_fp_ieee_overflow 0
		.amdhsa_exception_fp_ieee_underflow 0
		.amdhsa_exception_fp_ieee_inexact 0
		.amdhsa_exception_int_div_zero 0
	.end_amdhsa_kernel
	.section	.text._ZN12_GLOBAL__N_121softmax_warp_backwardIfN3c108BFloat16EfLi8ELb1ELb0ELi64EEEvPT0_PKT_S7_iiiPKb,"axG",@progbits,_ZN12_GLOBAL__N_121softmax_warp_backwardIfN3c108BFloat16EfLi8ELb1ELb0ELi64EEEvPT0_PKT_S7_iiiPKb,comdat
.Lfunc_end340:
	.size	_ZN12_GLOBAL__N_121softmax_warp_backwardIfN3c108BFloat16EfLi8ELb1ELb0ELi64EEEvPT0_PKT_S7_iiiPKb, .Lfunc_end340-_ZN12_GLOBAL__N_121softmax_warp_backwardIfN3c108BFloat16EfLi8ELb1ELb0ELi64EEEvPT0_PKT_S7_iiiPKb
                                        ; -- End function
	.set _ZN12_GLOBAL__N_121softmax_warp_backwardIfN3c108BFloat16EfLi8ELb1ELb0ELi64EEEvPT0_PKT_S7_iiiPKb.num_vgpr, 18
	.set _ZN12_GLOBAL__N_121softmax_warp_backwardIfN3c108BFloat16EfLi8ELb1ELb0ELi64EEEvPT0_PKT_S7_iiiPKb.num_agpr, 0
	.set _ZN12_GLOBAL__N_121softmax_warp_backwardIfN3c108BFloat16EfLi8ELb1ELb0ELi64EEEvPT0_PKT_S7_iiiPKb.numbered_sgpr, 16
	.set _ZN12_GLOBAL__N_121softmax_warp_backwardIfN3c108BFloat16EfLi8ELb1ELb0ELi64EEEvPT0_PKT_S7_iiiPKb.num_named_barrier, 0
	.set _ZN12_GLOBAL__N_121softmax_warp_backwardIfN3c108BFloat16EfLi8ELb1ELb0ELi64EEEvPT0_PKT_S7_iiiPKb.private_seg_size, 0
	.set _ZN12_GLOBAL__N_121softmax_warp_backwardIfN3c108BFloat16EfLi8ELb1ELb0ELi64EEEvPT0_PKT_S7_iiiPKb.uses_vcc, 1
	.set _ZN12_GLOBAL__N_121softmax_warp_backwardIfN3c108BFloat16EfLi8ELb1ELb0ELi64EEEvPT0_PKT_S7_iiiPKb.uses_flat_scratch, 0
	.set _ZN12_GLOBAL__N_121softmax_warp_backwardIfN3c108BFloat16EfLi8ELb1ELb0ELi64EEEvPT0_PKT_S7_iiiPKb.has_dyn_sized_stack, 0
	.set _ZN12_GLOBAL__N_121softmax_warp_backwardIfN3c108BFloat16EfLi8ELb1ELb0ELi64EEEvPT0_PKT_S7_iiiPKb.has_recursion, 0
	.set _ZN12_GLOBAL__N_121softmax_warp_backwardIfN3c108BFloat16EfLi8ELb1ELb0ELi64EEEvPT0_PKT_S7_iiiPKb.has_indirect_call, 0
	.section	.AMDGPU.csdata,"",@progbits
; Kernel info:
; codeLenInByte = 1408
; TotalNumSgprs: 18
; NumVgprs: 18
; ScratchSize: 0
; MemoryBound: 0
; FloatMode: 240
; IeeeMode: 1
; LDSByteSize: 0 bytes/workgroup (compile time only)
; SGPRBlocks: 0
; VGPRBlocks: 2
; NumSGPRsForWavesPerEU: 18
; NumVGPRsForWavesPerEU: 18
; Occupancy: 16
; WaveLimiterHint : 0
; COMPUTE_PGM_RSRC2:SCRATCH_EN: 0
; COMPUTE_PGM_RSRC2:USER_SGPR: 6
; COMPUTE_PGM_RSRC2:TRAP_HANDLER: 0
; COMPUTE_PGM_RSRC2:TGID_X_EN: 1
; COMPUTE_PGM_RSRC2:TGID_Y_EN: 0
; COMPUTE_PGM_RSRC2:TGID_Z_EN: 0
; COMPUTE_PGM_RSRC2:TIDIG_COMP_CNT: 1
	.section	.text._ZN12_GLOBAL__N_121softmax_warp_backwardIfN3c108BFloat16EfLi8ELb1ELb0ELi32EEEvPT0_PKT_S7_iiiPKb,"axG",@progbits,_ZN12_GLOBAL__N_121softmax_warp_backwardIfN3c108BFloat16EfLi8ELb1ELb0ELi32EEEvPT0_PKT_S7_iiiPKb,comdat
	.globl	_ZN12_GLOBAL__N_121softmax_warp_backwardIfN3c108BFloat16EfLi8ELb1ELb0ELi32EEEvPT0_PKT_S7_iiiPKb ; -- Begin function _ZN12_GLOBAL__N_121softmax_warp_backwardIfN3c108BFloat16EfLi8ELb1ELb0ELi32EEEvPT0_PKT_S7_iiiPKb
	.p2align	8
	.type	_ZN12_GLOBAL__N_121softmax_warp_backwardIfN3c108BFloat16EfLi8ELb1ELb0ELi32EEEvPT0_PKT_S7_iiiPKb,@function
_ZN12_GLOBAL__N_121softmax_warp_backwardIfN3c108BFloat16EfLi8ELb1ELb0ELi32EEEvPT0_PKT_S7_iiiPKb: ; @_ZN12_GLOBAL__N_121softmax_warp_backwardIfN3c108BFloat16EfLi8ELb1ELb0ELi32EEEvPT0_PKT_S7_iiiPKb
; %bb.0:
	s_clause 0x1
	s_load_dword s0, s[4:5], 0x3c
	s_load_dwordx4 s[12:15], s[4:5], 0x18
	v_and_b32_e32 v6, 31, v0
	s_clause 0x1
	s_load_dwordx4 s[8:11], s[4:5], 0x0
	s_load_dwordx2 s[2:3], s[4:5], 0x10
	v_mov_b32_e32 v12, 0
	v_mov_b32_e32 v13, 0
	s_waitcnt lgkmcnt(0)
	s_lshr_b32 s0, s0, 16
	v_cmp_gt_i32_e32 vcc_lo, s14, v6
	v_mad_u64_u32 v[2:3], null, s6, s0, v[1:2]
	v_mad_u64_u32 v[0:1], null, v2, s13, v[6:7]
	v_sub_nc_u32_e32 v15, s12, v2
	v_cmp_lt_i32_e64 s4, 0, v15
	v_ashrrev_i32_e32 v1, 31, v0
	s_and_b32 s1, s4, vcc_lo
	v_lshlrev_b64 v[4:5], 2, v[0:1]
	v_add_co_u32 v2, s0, s10, v4
	v_add_co_ci_u32_e64 v3, null, s11, v5, s0
	v_add_co_u32 v4, s0, s2, v4
	v_add_co_ci_u32_e64 v5, null, s3, v5, s0
	s_and_saveexec_b32 s0, s1
	s_cbranch_execz .LBB341_2
; %bb.1:
	global_load_dword v13, v[2:3], off
	global_load_dword v12, v[4:5], off
.LBB341_2:
	s_or_b32 exec_lo, exec_lo, s0
	v_or_b32_e32 v7, 32, v6
	v_cmp_gt_i32_e64 s0, s14, v7
	s_and_b32 s1, s4, s0
	s_xor_b32 s1, s1, -1
	s_and_saveexec_b32 s2, s1
	s_xor_b32 s1, exec_lo, s2
                                        ; implicit-def: $vgpr8
                                        ; implicit-def: $vgpr9
                                        ; implicit-def: $vgpr10
                                        ; implicit-def: $vgpr11
                                        ; implicit-def: $vgpr14
                                        ; implicit-def: $vgpr16
                                        ; implicit-def: $vgpr7
; %bb.3:
	s_mov_b32 s2, 0
                                        ; implicit-def: $vgpr8
                                        ; implicit-def: $vgpr9
                                        ; implicit-def: $vgpr10
                                        ; implicit-def: $vgpr11
                                        ; implicit-def: $vgpr14
                                        ; implicit-def: $vgpr7
	v_mov_b32_e32 v16, s2
; %bb.4:
	s_or_saveexec_b32 s2, s1
	v_mov_b32_e32 v17, 1.0
	s_xor_b32 exec_lo, exec_lo, s2
	s_cbranch_execz .LBB341_6
; %bb.5:
	global_load_dword v17, v[4:5], off offset:128
	global_load_dword v16, v[2:3], off offset:128
	s_waitcnt vmcnt(1)
	v_mul_f32_e32 v18, 0x3fb8aa3b, v17
	v_cmp_ngt_f32_e64 s1, 0xc2ce8ed0, v17
	v_rndne_f32_e32 v19, v18
	v_fma_f32 v20, 0x3fb8aa3b, v17, -v18
	v_sub_f32_e32 v18, v18, v19
	v_fmamk_f32 v20, v17, 0x32a5705f, v20
	v_cvt_i32_f32_e32 v19, v19
	v_add_f32_e32 v18, v18, v20
	v_exp_f32_e32 v18, v18
	v_ldexp_f32 v18, v18, v19
	v_cndmask_b32_e64 v18, 0, v18, s1
	v_cmp_nlt_f32_e64 s1, 0x42b17218, v17
	v_cndmask_b32_e64 v17, 0x7f800000, v18, s1
.LBB341_6:
	s_or_b32 exec_lo, exec_lo, s2
	v_or_b32_e32 v18, 64, v6
	v_cmp_gt_i32_e64 s1, s14, v18
	s_and_b32 s2, s4, s1
	s_xor_b32 s2, s2, -1
	s_and_saveexec_b32 s3, s2
	s_xor_b32 s2, exec_lo, s3
; %bb.7:
	s_mov_b32 s3, 0
	v_mov_b32_e32 v14, s3
; %bb.8:
	s_or_saveexec_b32 s3, s2
	v_mov_b32_e32 v18, 1.0
	s_xor_b32 exec_lo, exec_lo, s3
	s_cbranch_execz .LBB341_10
; %bb.9:
	global_load_dword v18, v[4:5], off offset:256
	global_load_dword v14, v[2:3], off offset:256
	s_waitcnt vmcnt(1)
	v_mul_f32_e32 v19, 0x3fb8aa3b, v18
	v_cmp_ngt_f32_e64 s2, 0xc2ce8ed0, v18
	v_rndne_f32_e32 v20, v19
	v_fma_f32 v21, 0x3fb8aa3b, v18, -v19
	v_sub_f32_e32 v19, v19, v20
	v_fmamk_f32 v21, v18, 0x32a5705f, v21
	v_cvt_i32_f32_e32 v20, v20
	v_add_f32_e32 v19, v19, v21
	v_exp_f32_e32 v19, v19
	v_ldexp_f32 v19, v19, v20
	v_cndmask_b32_e64 v19, 0, v19, s2
	v_cmp_nlt_f32_e64 s2, 0x42b17218, v18
	v_cndmask_b32_e64 v18, 0x7f800000, v19, s2
.LBB341_10:
	s_or_b32 exec_lo, exec_lo, s3
	v_or_b32_e32 v19, 0x60, v6
	v_cmp_gt_i32_e64 s2, s14, v19
	s_and_b32 s3, s4, s2
	s_xor_b32 s3, s3, -1
	s_and_saveexec_b32 s5, s3
	s_xor_b32 s3, exec_lo, s5
; %bb.11:
	s_mov_b32 s5, 0
	;; [unrolled: 33-line block ×6, first 2 shown]
                                        ; implicit-def: $vgpr2_vgpr3
                                        ; implicit-def: $vgpr4_vgpr5
	v_mov_b32_e32 v7, s10
; %bb.28:
	s_or_saveexec_b32 s10, s4
	v_mov_b32_e32 v6, 1.0
	s_xor_b32 exec_lo, exec_lo, s10
	s_cbranch_execz .LBB341_30
; %bb.29:
	global_load_dword v4, v[4:5], off offset:896
	global_load_dword v7, v[2:3], off offset:896
	s_waitcnt vmcnt(1)
	v_mul_f32_e32 v2, 0x3fb8aa3b, v4
	v_cmp_ngt_f32_e64 s4, 0xc2ce8ed0, v4
	v_rndne_f32_e32 v3, v2
	v_fma_f32 v5, 0x3fb8aa3b, v4, -v2
	v_sub_f32_e32 v2, v2, v3
	v_fmamk_f32 v5, v4, 0x32a5705f, v5
	v_cvt_i32_f32_e32 v3, v3
	v_add_f32_e32 v2, v2, v5
	v_exp_f32_e32 v2, v2
	v_ldexp_f32 v2, v2, v3
	v_cndmask_b32_e64 v2, 0, v2, s4
	v_cmp_nlt_f32_e64 s4, 0x42b17218, v4
	v_cndmask_b32_e64 v6, 0x7f800000, v2, s4
.LBB341_30:
	s_or_b32 exec_lo, exec_lo, s10
	s_waitcnt vmcnt(1)
	v_add_f32_e32 v2, 0, v13
	v_mbcnt_lo_u32_b32 v3, -1, 0
	s_mov_b32 s10, exec_lo
	s_waitcnt vmcnt(0)
	v_add_f32_e32 v2, v2, v16
	v_xor_b32_e32 v4, 16, v3
	v_xor_b32_e32 v5, 8, v3
	v_add_f32_e32 v2, v2, v14
	v_cmp_gt_i32_e64 s4, 32, v4
	v_add_f32_e32 v2, v2, v11
	v_cndmask_b32_e64 v4, v3, v4, s4
	v_cmp_gt_i32_e64 s4, 32, v5
	v_add_f32_e32 v2, v2, v10
	v_lshlrev_b32_e32 v4, 2, v4
	v_cndmask_b32_e64 v5, v3, v5, s4
	v_add_f32_e32 v2, v2, v9
	v_lshlrev_b32_e32 v5, 2, v5
	v_add_f32_e32 v2, v2, v8
	v_add_f32_e32 v2, v2, v7
	ds_bpermute_b32 v4, v4, v2
	s_waitcnt lgkmcnt(0)
	v_add_f32_e32 v2, v2, v4
	ds_bpermute_b32 v4, v5, v2
	v_xor_b32_e32 v5, 4, v3
	v_cmp_gt_i32_e64 s4, 32, v5
	v_cndmask_b32_e64 v5, v3, v5, s4
	v_lshlrev_b32_e32 v5, 2, v5
	s_waitcnt lgkmcnt(0)
	v_add_f32_e32 v2, v2, v4
	ds_bpermute_b32 v4, v5, v2
	v_xor_b32_e32 v5, 2, v3
	v_cmp_gt_i32_e64 s4, 32, v5
	v_cndmask_b32_e64 v5, v3, v5, s4
	v_lshlrev_b32_e32 v5, 2, v5
	;; [unrolled: 7-line block ×3, first 2 shown]
	s_waitcnt lgkmcnt(0)
	v_add_f32_e32 v2, v2, v4
	ds_bpermute_b32 v3, v3, v2
	v_cmpx_lt_i32_e32 0, v15
	s_cbranch_execz .LBB341_40
; %bb.31:
	v_lshlrev_b64 v[0:1], 1, v[0:1]
	s_waitcnt lgkmcnt(0)
	v_add_f32_e32 v2, v2, v3
	v_add_co_u32 v0, s4, s8, v0
	v_add_co_ci_u32_e64 v1, null, s9, v1, s4
	s_and_saveexec_b32 s4, vcc_lo
	s_cbranch_execnz .LBB341_41
; %bb.32:
	s_or_b32 exec_lo, exec_lo, s4
	s_and_saveexec_b32 s4, s0
	s_cbranch_execnz .LBB341_42
.LBB341_33:
	s_or_b32 exec_lo, exec_lo, s4
	s_and_saveexec_b32 s0, s1
	s_cbranch_execnz .LBB341_43
.LBB341_34:
	s_or_b32 exec_lo, exec_lo, s0
	s_and_saveexec_b32 s0, s2
	s_cbranch_execnz .LBB341_44
.LBB341_35:
	s_or_b32 exec_lo, exec_lo, s0
	s_and_saveexec_b32 s0, s3
	s_cbranch_execnz .LBB341_45
.LBB341_36:
	s_or_b32 exec_lo, exec_lo, s0
	s_and_saveexec_b32 s0, s5
	s_cbranch_execnz .LBB341_46
.LBB341_37:
	s_or_b32 exec_lo, exec_lo, s0
	s_and_saveexec_b32 s0, s6
	s_cbranch_execnz .LBB341_47
.LBB341_38:
	s_or_b32 exec_lo, exec_lo, s0
	s_and_b32 exec_lo, exec_lo, s7
	s_cbranch_execz .LBB341_40
.LBB341_39:
	v_fma_f32 v2, -v2, v6, v7
	v_bfe_u32 v3, v2, 16, 1
	v_cmp_o_f32_e32 vcc_lo, v2, v2
	v_add3_u32 v2, v2, v3, 0x7fff
	v_mov_b32_e32 v3, 0x7fc0
	v_cndmask_b32_sdwa v2, v3, v2, vcc_lo dst_sel:DWORD dst_unused:UNUSED_PAD src0_sel:DWORD src1_sel:WORD_1
	global_store_short v[0:1], v2, off offset:448
.LBB341_40:
	s_endpgm
.LBB341_41:
	v_mul_f32_e32 v3, 0x3fb8aa3b, v12
	v_cmp_ngt_f32_e32 vcc_lo, 0xc2ce8ed0, v12
	v_rndne_f32_e32 v4, v3
	v_fma_f32 v5, 0x3fb8aa3b, v12, -v3
	v_sub_f32_e32 v3, v3, v4
	v_fmamk_f32 v5, v12, 0x32a5705f, v5
	v_cvt_i32_f32_e32 v4, v4
	v_add_f32_e32 v3, v3, v5
	v_exp_f32_e32 v3, v3
	v_ldexp_f32 v3, v3, v4
	v_cndmask_b32_e32 v3, 0, v3, vcc_lo
	v_cmp_nlt_f32_e32 vcc_lo, 0x42b17218, v12
	v_cndmask_b32_e32 v3, 0x7f800000, v3, vcc_lo
	v_fma_f32 v3, -v2, v3, v13
	v_bfe_u32 v4, v3, 16, 1
	v_cmp_o_f32_e32 vcc_lo, v3, v3
	v_add3_u32 v3, v3, v4, 0x7fff
	v_mov_b32_e32 v4, 0x7fc0
	v_cndmask_b32_sdwa v3, v4, v3, vcc_lo dst_sel:DWORD dst_unused:UNUSED_PAD src0_sel:DWORD src1_sel:WORD_1
	global_store_short v[0:1], v3, off
	s_or_b32 exec_lo, exec_lo, s4
	s_and_saveexec_b32 s4, s0
	s_cbranch_execz .LBB341_33
.LBB341_42:
	v_fma_f32 v3, -v2, v17, v16
	v_bfe_u32 v4, v3, 16, 1
	v_cmp_o_f32_e32 vcc_lo, v3, v3
	v_add3_u32 v3, v3, v4, 0x7fff
	v_mov_b32_e32 v4, 0x7fc0
	v_cndmask_b32_sdwa v3, v4, v3, vcc_lo dst_sel:DWORD dst_unused:UNUSED_PAD src0_sel:DWORD src1_sel:WORD_1
	global_store_short v[0:1], v3, off offset:64
	s_or_b32 exec_lo, exec_lo, s4
	s_and_saveexec_b32 s0, s1
	s_cbranch_execz .LBB341_34
.LBB341_43:
	v_fma_f32 v3, -v2, v18, v14
	v_bfe_u32 v4, v3, 16, 1
	v_cmp_o_f32_e32 vcc_lo, v3, v3
	v_add3_u32 v3, v3, v4, 0x7fff
	v_mov_b32_e32 v4, 0x7fc0
	v_cndmask_b32_sdwa v3, v4, v3, vcc_lo dst_sel:DWORD dst_unused:UNUSED_PAD src0_sel:DWORD src1_sel:WORD_1
	global_store_short v[0:1], v3, off offset:128
	s_or_b32 exec_lo, exec_lo, s0
	s_and_saveexec_b32 s0, s2
	s_cbranch_execz .LBB341_35
.LBB341_44:
	v_fma_f32 v3, -v2, v19, v11
	v_bfe_u32 v4, v3, 16, 1
	v_cmp_o_f32_e32 vcc_lo, v3, v3
	v_add3_u32 v3, v3, v4, 0x7fff
	v_mov_b32_e32 v4, 0x7fc0
	v_cndmask_b32_sdwa v3, v4, v3, vcc_lo dst_sel:DWORD dst_unused:UNUSED_PAD src0_sel:DWORD src1_sel:WORD_1
	global_store_short v[0:1], v3, off offset:192
	s_or_b32 exec_lo, exec_lo, s0
	s_and_saveexec_b32 s0, s3
	s_cbranch_execz .LBB341_36
.LBB341_45:
	v_fma_f32 v3, -v2, v20, v10
	v_bfe_u32 v4, v3, 16, 1
	v_cmp_o_f32_e32 vcc_lo, v3, v3
	v_add3_u32 v3, v3, v4, 0x7fff
	v_mov_b32_e32 v4, 0x7fc0
	v_cndmask_b32_sdwa v3, v4, v3, vcc_lo dst_sel:DWORD dst_unused:UNUSED_PAD src0_sel:DWORD src1_sel:WORD_1
	global_store_short v[0:1], v3, off offset:256
	s_or_b32 exec_lo, exec_lo, s0
	s_and_saveexec_b32 s0, s5
	s_cbranch_execz .LBB341_37
.LBB341_46:
	v_fma_f32 v3, -v2, v21, v9
	v_bfe_u32 v4, v3, 16, 1
	v_cmp_o_f32_e32 vcc_lo, v3, v3
	v_add3_u32 v3, v3, v4, 0x7fff
	v_mov_b32_e32 v4, 0x7fc0
	v_cndmask_b32_sdwa v3, v4, v3, vcc_lo dst_sel:DWORD dst_unused:UNUSED_PAD src0_sel:DWORD src1_sel:WORD_1
	global_store_short v[0:1], v3, off offset:320
	s_or_b32 exec_lo, exec_lo, s0
	s_and_saveexec_b32 s0, s6
	s_cbranch_execz .LBB341_38
.LBB341_47:
	v_fma_f32 v3, -v2, v22, v8
	v_bfe_u32 v4, v3, 16, 1
	v_cmp_o_f32_e32 vcc_lo, v3, v3
	v_add3_u32 v3, v3, v4, 0x7fff
	v_mov_b32_e32 v4, 0x7fc0
	v_cndmask_b32_sdwa v3, v4, v3, vcc_lo dst_sel:DWORD dst_unused:UNUSED_PAD src0_sel:DWORD src1_sel:WORD_1
	global_store_short v[0:1], v3, off offset:384
	s_or_b32 exec_lo, exec_lo, s0
	s_and_b32 exec_lo, exec_lo, s7
	s_cbranch_execnz .LBB341_39
	s_branch .LBB341_40
	.section	.rodata,"a",@progbits
	.p2align	6, 0x0
	.amdhsa_kernel _ZN12_GLOBAL__N_121softmax_warp_backwardIfN3c108BFloat16EfLi8ELb1ELb0ELi32EEEvPT0_PKT_S7_iiiPKb
		.amdhsa_group_segment_fixed_size 0
		.amdhsa_private_segment_fixed_size 0
		.amdhsa_kernarg_size 304
		.amdhsa_user_sgpr_count 6
		.amdhsa_user_sgpr_private_segment_buffer 1
		.amdhsa_user_sgpr_dispatch_ptr 0
		.amdhsa_user_sgpr_queue_ptr 0
		.amdhsa_user_sgpr_kernarg_segment_ptr 1
		.amdhsa_user_sgpr_dispatch_id 0
		.amdhsa_user_sgpr_flat_scratch_init 0
		.amdhsa_user_sgpr_private_segment_size 0
		.amdhsa_wavefront_size32 1
		.amdhsa_uses_dynamic_stack 0
		.amdhsa_system_sgpr_private_segment_wavefront_offset 0
		.amdhsa_system_sgpr_workgroup_id_x 1
		.amdhsa_system_sgpr_workgroup_id_y 0
		.amdhsa_system_sgpr_workgroup_id_z 0
		.amdhsa_system_sgpr_workgroup_info 0
		.amdhsa_system_vgpr_workitem_id 1
		.amdhsa_next_free_vgpr 26
		.amdhsa_next_free_sgpr 16
		.amdhsa_reserve_vcc 1
		.amdhsa_reserve_flat_scratch 0
		.amdhsa_float_round_mode_32 0
		.amdhsa_float_round_mode_16_64 0
		.amdhsa_float_denorm_mode_32 3
		.amdhsa_float_denorm_mode_16_64 3
		.amdhsa_dx10_clamp 1
		.amdhsa_ieee_mode 1
		.amdhsa_fp16_overflow 0
		.amdhsa_workgroup_processor_mode 1
		.amdhsa_memory_ordered 1
		.amdhsa_forward_progress 1
		.amdhsa_shared_vgpr_count 0
		.amdhsa_exception_fp_ieee_invalid_op 0
		.amdhsa_exception_fp_denorm_src 0
		.amdhsa_exception_fp_ieee_div_zero 0
		.amdhsa_exception_fp_ieee_overflow 0
		.amdhsa_exception_fp_ieee_underflow 0
		.amdhsa_exception_fp_ieee_inexact 0
		.amdhsa_exception_int_div_zero 0
	.end_amdhsa_kernel
	.section	.text._ZN12_GLOBAL__N_121softmax_warp_backwardIfN3c108BFloat16EfLi8ELb1ELb0ELi32EEEvPT0_PKT_S7_iiiPKb,"axG",@progbits,_ZN12_GLOBAL__N_121softmax_warp_backwardIfN3c108BFloat16EfLi8ELb1ELb0ELi32EEEvPT0_PKT_S7_iiiPKb,comdat
.Lfunc_end341:
	.size	_ZN12_GLOBAL__N_121softmax_warp_backwardIfN3c108BFloat16EfLi8ELb1ELb0ELi32EEEvPT0_PKT_S7_iiiPKb, .Lfunc_end341-_ZN12_GLOBAL__N_121softmax_warp_backwardIfN3c108BFloat16EfLi8ELb1ELb0ELi32EEEvPT0_PKT_S7_iiiPKb
                                        ; -- End function
	.set _ZN12_GLOBAL__N_121softmax_warp_backwardIfN3c108BFloat16EfLi8ELb1ELb0ELi32EEEvPT0_PKT_S7_iiiPKb.num_vgpr, 26
	.set _ZN12_GLOBAL__N_121softmax_warp_backwardIfN3c108BFloat16EfLi8ELb1ELb0ELi32EEEvPT0_PKT_S7_iiiPKb.num_agpr, 0
	.set _ZN12_GLOBAL__N_121softmax_warp_backwardIfN3c108BFloat16EfLi8ELb1ELb0ELi32EEEvPT0_PKT_S7_iiiPKb.numbered_sgpr, 16
	.set _ZN12_GLOBAL__N_121softmax_warp_backwardIfN3c108BFloat16EfLi8ELb1ELb0ELi32EEEvPT0_PKT_S7_iiiPKb.num_named_barrier, 0
	.set _ZN12_GLOBAL__N_121softmax_warp_backwardIfN3c108BFloat16EfLi8ELb1ELb0ELi32EEEvPT0_PKT_S7_iiiPKb.private_seg_size, 0
	.set _ZN12_GLOBAL__N_121softmax_warp_backwardIfN3c108BFloat16EfLi8ELb1ELb0ELi32EEEvPT0_PKT_S7_iiiPKb.uses_vcc, 1
	.set _ZN12_GLOBAL__N_121softmax_warp_backwardIfN3c108BFloat16EfLi8ELb1ELb0ELi32EEEvPT0_PKT_S7_iiiPKb.uses_flat_scratch, 0
	.set _ZN12_GLOBAL__N_121softmax_warp_backwardIfN3c108BFloat16EfLi8ELb1ELb0ELi32EEEvPT0_PKT_S7_iiiPKb.has_dyn_sized_stack, 0
	.set _ZN12_GLOBAL__N_121softmax_warp_backwardIfN3c108BFloat16EfLi8ELb1ELb0ELi32EEEvPT0_PKT_S7_iiiPKb.has_recursion, 0
	.set _ZN12_GLOBAL__N_121softmax_warp_backwardIfN3c108BFloat16EfLi8ELb1ELb0ELi32EEEvPT0_PKT_S7_iiiPKb.has_indirect_call, 0
	.section	.AMDGPU.csdata,"",@progbits
; Kernel info:
; codeLenInByte = 2420
; TotalNumSgprs: 18
; NumVgprs: 26
; ScratchSize: 0
; MemoryBound: 0
; FloatMode: 240
; IeeeMode: 1
; LDSByteSize: 0 bytes/workgroup (compile time only)
; SGPRBlocks: 0
; VGPRBlocks: 3
; NumSGPRsForWavesPerEU: 18
; NumVGPRsForWavesPerEU: 26
; Occupancy: 16
; WaveLimiterHint : 0
; COMPUTE_PGM_RSRC2:SCRATCH_EN: 0
; COMPUTE_PGM_RSRC2:USER_SGPR: 6
; COMPUTE_PGM_RSRC2:TRAP_HANDLER: 0
; COMPUTE_PGM_RSRC2:TGID_X_EN: 1
; COMPUTE_PGM_RSRC2:TGID_Y_EN: 0
; COMPUTE_PGM_RSRC2:TGID_Z_EN: 0
; COMPUTE_PGM_RSRC2:TIDIG_COMP_CNT: 1
	.section	.text._ZN12_GLOBAL__N_121softmax_warp_backwardIfN3c108BFloat16EfLi9ELb1ELb0ELi64EEEvPT0_PKT_S7_iiiPKb,"axG",@progbits,_ZN12_GLOBAL__N_121softmax_warp_backwardIfN3c108BFloat16EfLi9ELb1ELb0ELi64EEEvPT0_PKT_S7_iiiPKb,comdat
	.globl	_ZN12_GLOBAL__N_121softmax_warp_backwardIfN3c108BFloat16EfLi9ELb1ELb0ELi64EEEvPT0_PKT_S7_iiiPKb ; -- Begin function _ZN12_GLOBAL__N_121softmax_warp_backwardIfN3c108BFloat16EfLi9ELb1ELb0ELi64EEEvPT0_PKT_S7_iiiPKb
	.p2align	8
	.type	_ZN12_GLOBAL__N_121softmax_warp_backwardIfN3c108BFloat16EfLi9ELb1ELb0ELi64EEEvPT0_PKT_S7_iiiPKb,@function
_ZN12_GLOBAL__N_121softmax_warp_backwardIfN3c108BFloat16EfLi9ELb1ELb0ELi64EEEvPT0_PKT_S7_iiiPKb: ; @_ZN12_GLOBAL__N_121softmax_warp_backwardIfN3c108BFloat16EfLi9ELb1ELb0ELi64EEEvPT0_PKT_S7_iiiPKb
; %bb.0:
	s_clause 0x1
	s_load_dword s0, s[4:5], 0x3c
	s_load_dwordx4 s[12:15], s[4:5], 0x18
	v_and_b32_e32 v6, 63, v0
	s_clause 0x1
	s_load_dwordx4 s[8:11], s[4:5], 0x0
	s_load_dwordx2 s[2:3], s[4:5], 0x10
	v_mov_b32_e32 v12, 0
	v_mov_b32_e32 v13, 0
	s_waitcnt lgkmcnt(0)
	s_lshr_b32 s0, s0, 16
	v_cmp_gt_i32_e32 vcc_lo, s14, v6
	v_mad_u64_u32 v[2:3], null, s6, s0, v[1:2]
	v_mad_u64_u32 v[0:1], null, v2, s13, v[6:7]
	v_sub_nc_u32_e32 v15, s12, v2
	v_cmp_lt_i32_e64 s4, 0, v15
	v_ashrrev_i32_e32 v1, 31, v0
	s_and_b32 s1, s4, vcc_lo
	v_lshlrev_b64 v[4:5], 2, v[0:1]
	v_add_co_u32 v2, s0, s10, v4
	v_add_co_ci_u32_e64 v3, null, s11, v5, s0
	v_add_co_u32 v4, s0, s2, v4
	v_add_co_ci_u32_e64 v5, null, s3, v5, s0
	s_and_saveexec_b32 s0, s1
	s_cbranch_execz .LBB342_2
; %bb.1:
	global_load_dword v13, v[2:3], off
	global_load_dword v12, v[4:5], off
.LBB342_2:
	s_or_b32 exec_lo, exec_lo, s0
	v_or_b32_e32 v7, 64, v6
	v_cmp_gt_i32_e64 s0, s14, v7
	s_and_b32 s1, s4, s0
	s_xor_b32 s1, s1, -1
	s_and_saveexec_b32 s2, s1
	s_xor_b32 s1, exec_lo, s2
                                        ; implicit-def: $vgpr8
                                        ; implicit-def: $vgpr9
                                        ; implicit-def: $vgpr10
                                        ; implicit-def: $vgpr11
                                        ; implicit-def: $vgpr14
                                        ; implicit-def: $vgpr16
                                        ; implicit-def: $vgpr7
; %bb.3:
	s_mov_b32 s2, 0
                                        ; implicit-def: $vgpr8
                                        ; implicit-def: $vgpr9
                                        ; implicit-def: $vgpr10
                                        ; implicit-def: $vgpr11
                                        ; implicit-def: $vgpr14
                                        ; implicit-def: $vgpr7
	v_mov_b32_e32 v16, s2
; %bb.4:
	s_or_saveexec_b32 s2, s1
	v_mov_b32_e32 v17, 1.0
	s_xor_b32 exec_lo, exec_lo, s2
	s_cbranch_execz .LBB342_6
; %bb.5:
	global_load_dword v17, v[4:5], off offset:256
	global_load_dword v16, v[2:3], off offset:256
	s_waitcnt vmcnt(1)
	v_mul_f32_e32 v18, 0x3fb8aa3b, v17
	v_cmp_ngt_f32_e64 s1, 0xc2ce8ed0, v17
	v_rndne_f32_e32 v19, v18
	v_fma_f32 v20, 0x3fb8aa3b, v17, -v18
	v_sub_f32_e32 v18, v18, v19
	v_fmamk_f32 v20, v17, 0x32a5705f, v20
	v_cvt_i32_f32_e32 v19, v19
	v_add_f32_e32 v18, v18, v20
	v_exp_f32_e32 v18, v18
	v_ldexp_f32 v18, v18, v19
	v_cndmask_b32_e64 v18, 0, v18, s1
	v_cmp_nlt_f32_e64 s1, 0x42b17218, v17
	v_cndmask_b32_e64 v17, 0x7f800000, v18, s1
.LBB342_6:
	s_or_b32 exec_lo, exec_lo, s2
	v_or_b32_e32 v18, 0x80, v6
	v_cmp_gt_i32_e64 s1, s14, v18
	s_and_b32 s2, s4, s1
	s_xor_b32 s2, s2, -1
	s_and_saveexec_b32 s3, s2
	s_xor_b32 s2, exec_lo, s3
; %bb.7:
	s_mov_b32 s3, 0
	v_mov_b32_e32 v14, s3
; %bb.8:
	s_or_saveexec_b32 s3, s2
	v_mov_b32_e32 v18, 1.0
	s_xor_b32 exec_lo, exec_lo, s3
	s_cbranch_execz .LBB342_10
; %bb.9:
	global_load_dword v18, v[4:5], off offset:512
	global_load_dword v14, v[2:3], off offset:512
	s_waitcnt vmcnt(1)
	v_mul_f32_e32 v19, 0x3fb8aa3b, v18
	v_cmp_ngt_f32_e64 s2, 0xc2ce8ed0, v18
	v_rndne_f32_e32 v20, v19
	v_fma_f32 v21, 0x3fb8aa3b, v18, -v19
	v_sub_f32_e32 v19, v19, v20
	v_fmamk_f32 v21, v18, 0x32a5705f, v21
	v_cvt_i32_f32_e32 v20, v20
	v_add_f32_e32 v19, v19, v21
	v_exp_f32_e32 v19, v19
	v_ldexp_f32 v19, v19, v20
	v_cndmask_b32_e64 v19, 0, v19, s2
	v_cmp_nlt_f32_e64 s2, 0x42b17218, v18
	v_cndmask_b32_e64 v18, 0x7f800000, v19, s2
.LBB342_10:
	s_or_b32 exec_lo, exec_lo, s3
	v_or_b32_e32 v19, 0xc0, v6
	v_cmp_gt_i32_e64 s2, s14, v19
	s_and_b32 s3, s4, s2
	s_xor_b32 s3, s3, -1
	s_and_saveexec_b32 s5, s3
	s_xor_b32 s3, exec_lo, s5
; %bb.11:
	s_mov_b32 s5, 0
	v_mov_b32_e32 v11, s5
; %bb.12:
	s_or_saveexec_b32 s5, s3
	v_mov_b32_e32 v19, 1.0
	s_xor_b32 exec_lo, exec_lo, s5
	s_cbranch_execz .LBB342_14
; %bb.13:
	global_load_dword v19, v[4:5], off offset:768
	global_load_dword v11, v[2:3], off offset:768
	s_waitcnt vmcnt(1)
	v_mul_f32_e32 v20, 0x3fb8aa3b, v19
	v_cmp_ngt_f32_e64 s3, 0xc2ce8ed0, v19
	v_rndne_f32_e32 v21, v20
	v_fma_f32 v22, 0x3fb8aa3b, v19, -v20
	v_sub_f32_e32 v20, v20, v21
	v_fmamk_f32 v22, v19, 0x32a5705f, v22
	v_cvt_i32_f32_e32 v21, v21
	v_add_f32_e32 v20, v20, v22
	v_exp_f32_e32 v20, v20
	v_ldexp_f32 v20, v20, v21
	v_cndmask_b32_e64 v20, 0, v20, s3
	v_cmp_nlt_f32_e64 s3, 0x42b17218, v19
	v_cndmask_b32_e64 v19, 0x7f800000, v20, s3
.LBB342_14:
	s_or_b32 exec_lo, exec_lo, s5
	v_or_b32_e32 v20, 0x100, v6
	v_cmp_gt_i32_e64 s3, s14, v20
	s_and_b32 s5, s4, s3
	s_xor_b32 s5, s5, -1
	s_and_saveexec_b32 s6, s5
	s_xor_b32 s5, exec_lo, s6
; %bb.15:
	s_mov_b32 s6, 0
	v_mov_b32_e32 v10, s6
; %bb.16:
	s_or_saveexec_b32 s6, s5
	v_mov_b32_e32 v20, 1.0
	s_xor_b32 exec_lo, exec_lo, s6
	s_cbranch_execz .LBB342_18
; %bb.17:
	global_load_dword v20, v[4:5], off offset:1024
	global_load_dword v10, v[2:3], off offset:1024
	s_waitcnt vmcnt(1)
	v_mul_f32_e32 v21, 0x3fb8aa3b, v20
	v_cmp_ngt_f32_e64 s5, 0xc2ce8ed0, v20
	v_rndne_f32_e32 v22, v21
	v_fma_f32 v23, 0x3fb8aa3b, v20, -v21
	v_sub_f32_e32 v21, v21, v22
	v_fmamk_f32 v23, v20, 0x32a5705f, v23
	v_cvt_i32_f32_e32 v22, v22
	v_add_f32_e32 v21, v21, v23
	v_exp_f32_e32 v21, v21
	v_ldexp_f32 v21, v21, v22
	v_cndmask_b32_e64 v21, 0, v21, s5
	v_cmp_nlt_f32_e64 s5, 0x42b17218, v20
	v_cndmask_b32_e64 v20, 0x7f800000, v21, s5
.LBB342_18:
	s_or_b32 exec_lo, exec_lo, s6
	v_or_b32_e32 v21, 0x140, v6
	v_cmp_gt_i32_e64 s5, s14, v21
	s_and_b32 s6, s4, s5
	s_xor_b32 s6, s6, -1
	s_and_saveexec_b32 s7, s6
	s_xor_b32 s6, exec_lo, s7
; %bb.19:
	s_mov_b32 s7, 0
	v_mov_b32_e32 v9, s7
; %bb.20:
	s_or_saveexec_b32 s7, s6
	v_mov_b32_e32 v21, 1.0
	s_xor_b32 exec_lo, exec_lo, s7
	s_cbranch_execz .LBB342_22
; %bb.21:
	global_load_dword v21, v[4:5], off offset:1280
	global_load_dword v9, v[2:3], off offset:1280
	s_waitcnt vmcnt(1)
	v_mul_f32_e32 v22, 0x3fb8aa3b, v21
	v_cmp_ngt_f32_e64 s6, 0xc2ce8ed0, v21
	v_rndne_f32_e32 v23, v22
	v_fma_f32 v24, 0x3fb8aa3b, v21, -v22
	v_sub_f32_e32 v22, v22, v23
	v_fmamk_f32 v24, v21, 0x32a5705f, v24
	v_cvt_i32_f32_e32 v23, v23
	v_add_f32_e32 v22, v22, v24
	v_exp_f32_e32 v22, v22
	v_ldexp_f32 v22, v22, v23
	v_cndmask_b32_e64 v22, 0, v22, s6
	v_cmp_nlt_f32_e64 s6, 0x42b17218, v21
	v_cndmask_b32_e64 v21, 0x7f800000, v22, s6
.LBB342_22:
	s_or_b32 exec_lo, exec_lo, s7
	v_or_b32_e32 v22, 0x180, v6
	v_cmp_gt_i32_e64 s6, s14, v22
	s_and_b32 s7, s4, s6
	s_xor_b32 s7, s7, -1
	s_and_saveexec_b32 s10, s7
	s_xor_b32 s7, exec_lo, s10
; %bb.23:
	s_mov_b32 s10, 0
	v_mov_b32_e32 v8, s10
; %bb.24:
	s_or_saveexec_b32 s10, s7
	v_mov_b32_e32 v22, 1.0
	s_xor_b32 exec_lo, exec_lo, s10
	s_cbranch_execz .LBB342_26
; %bb.25:
	global_load_dword v22, v[4:5], off offset:1536
	global_load_dword v8, v[2:3], off offset:1536
	s_waitcnt vmcnt(1)
	v_mul_f32_e32 v23, 0x3fb8aa3b, v22
	v_cmp_ngt_f32_e64 s7, 0xc2ce8ed0, v22
	v_rndne_f32_e32 v24, v23
	v_fma_f32 v25, 0x3fb8aa3b, v22, -v23
	v_sub_f32_e32 v23, v23, v24
	v_fmamk_f32 v25, v22, 0x32a5705f, v25
	v_cvt_i32_f32_e32 v24, v24
	v_add_f32_e32 v23, v23, v25
	v_exp_f32_e32 v23, v23
	v_ldexp_f32 v23, v23, v24
	v_cndmask_b32_e64 v23, 0, v23, s7
	v_cmp_nlt_f32_e64 s7, 0x42b17218, v22
	v_cndmask_b32_e64 v22, 0x7f800000, v23, s7
.LBB342_26:
	s_or_b32 exec_lo, exec_lo, s10
	v_or_b32_e32 v6, 0x1c0, v6
	v_cmp_gt_i32_e64 s7, s14, v6
	s_and_b32 s4, s4, s7
	s_xor_b32 s4, s4, -1
	s_and_saveexec_b32 s10, s4
	s_xor_b32 s4, exec_lo, s10
; %bb.27:
	s_mov_b32 s10, 0
                                        ; implicit-def: $vgpr2_vgpr3
                                        ; implicit-def: $vgpr4_vgpr5
	v_mov_b32_e32 v7, s10
; %bb.28:
	s_or_saveexec_b32 s10, s4
	v_mov_b32_e32 v6, 1.0
	s_xor_b32 exec_lo, exec_lo, s10
	s_cbranch_execz .LBB342_30
; %bb.29:
	global_load_dword v4, v[4:5], off offset:1792
	global_load_dword v7, v[2:3], off offset:1792
	s_waitcnt vmcnt(1)
	v_mul_f32_e32 v2, 0x3fb8aa3b, v4
	v_cmp_ngt_f32_e64 s4, 0xc2ce8ed0, v4
	v_rndne_f32_e32 v3, v2
	v_fma_f32 v5, 0x3fb8aa3b, v4, -v2
	v_sub_f32_e32 v2, v2, v3
	v_fmamk_f32 v5, v4, 0x32a5705f, v5
	v_cvt_i32_f32_e32 v3, v3
	v_add_f32_e32 v2, v2, v5
	v_exp_f32_e32 v2, v2
	v_ldexp_f32 v2, v2, v3
	v_cndmask_b32_e64 v2, 0, v2, s4
	v_cmp_nlt_f32_e64 s4, 0x42b17218, v4
	v_cndmask_b32_e64 v6, 0x7f800000, v2, s4
.LBB342_30:
	s_or_b32 exec_lo, exec_lo, s10
	s_waitcnt vmcnt(1)
	v_add_f32_e32 v2, 0, v13
	v_mbcnt_lo_u32_b32 v3, -1, 0
	s_mov_b32 s10, exec_lo
	s_waitcnt vmcnt(0)
	v_add_f32_e32 v2, v2, v16
	v_or_b32_e32 v4, 32, v3
	v_xor_b32_e32 v5, 16, v3
	v_add_f32_e32 v2, v2, v14
	v_cmp_gt_i32_e64 s4, 64, v4
	v_add_f32_e32 v2, v2, v11
	v_cndmask_b32_e64 v4, v3, v4, s4
	v_cmp_gt_i32_e64 s4, 64, v5
	v_add_f32_e32 v2, v2, v10
	v_lshlrev_b32_e32 v4, 2, v4
	v_cndmask_b32_e64 v5, v3, v5, s4
	v_add_f32_e32 v2, v2, v9
	v_lshlrev_b32_e32 v5, 2, v5
	v_add_f32_e32 v2, v2, v8
	v_add_f32_e32 v2, v2, v7
	ds_bpermute_b32 v4, v4, v2
	s_waitcnt lgkmcnt(0)
	v_add_f32_e32 v2, v2, v4
	ds_bpermute_b32 v4, v5, v2
	v_xor_b32_e32 v5, 8, v3
	v_cmp_gt_i32_e64 s4, 64, v5
	v_cndmask_b32_e64 v5, v3, v5, s4
	v_lshlrev_b32_e32 v5, 2, v5
	s_waitcnt lgkmcnt(0)
	v_add_f32_e32 v2, v2, v4
	ds_bpermute_b32 v4, v5, v2
	v_xor_b32_e32 v5, 4, v3
	v_cmp_gt_i32_e64 s4, 64, v5
	v_cndmask_b32_e64 v5, v3, v5, s4
	v_lshlrev_b32_e32 v5, 2, v5
	;; [unrolled: 7-line block ×4, first 2 shown]
	s_waitcnt lgkmcnt(0)
	v_add_f32_e32 v2, v2, v4
	ds_bpermute_b32 v3, v3, v2
	v_cmpx_lt_i32_e32 0, v15
	s_cbranch_execz .LBB342_40
; %bb.31:
	v_lshlrev_b64 v[0:1], 1, v[0:1]
	s_waitcnt lgkmcnt(0)
	v_add_f32_e32 v2, v2, v3
	v_add_co_u32 v0, s4, s8, v0
	v_add_co_ci_u32_e64 v1, null, s9, v1, s4
	s_and_saveexec_b32 s4, vcc_lo
	s_cbranch_execnz .LBB342_41
; %bb.32:
	s_or_b32 exec_lo, exec_lo, s4
	s_and_saveexec_b32 s4, s0
	s_cbranch_execnz .LBB342_42
.LBB342_33:
	s_or_b32 exec_lo, exec_lo, s4
	s_and_saveexec_b32 s0, s1
	s_cbranch_execnz .LBB342_43
.LBB342_34:
	s_or_b32 exec_lo, exec_lo, s0
	s_and_saveexec_b32 s0, s2
	s_cbranch_execnz .LBB342_44
.LBB342_35:
	s_or_b32 exec_lo, exec_lo, s0
	s_and_saveexec_b32 s0, s3
	s_cbranch_execnz .LBB342_45
.LBB342_36:
	s_or_b32 exec_lo, exec_lo, s0
	s_and_saveexec_b32 s0, s5
	s_cbranch_execnz .LBB342_46
.LBB342_37:
	s_or_b32 exec_lo, exec_lo, s0
	s_and_saveexec_b32 s0, s6
	s_cbranch_execnz .LBB342_47
.LBB342_38:
	s_or_b32 exec_lo, exec_lo, s0
	s_and_b32 exec_lo, exec_lo, s7
	s_cbranch_execz .LBB342_40
.LBB342_39:
	v_fma_f32 v2, -v2, v6, v7
	v_bfe_u32 v3, v2, 16, 1
	v_cmp_o_f32_e32 vcc_lo, v2, v2
	v_add3_u32 v2, v2, v3, 0x7fff
	v_mov_b32_e32 v3, 0x7fc0
	v_cndmask_b32_sdwa v2, v3, v2, vcc_lo dst_sel:DWORD dst_unused:UNUSED_PAD src0_sel:DWORD src1_sel:WORD_1
	global_store_short v[0:1], v2, off offset:896
.LBB342_40:
	s_endpgm
.LBB342_41:
	v_mul_f32_e32 v3, 0x3fb8aa3b, v12
	v_cmp_ngt_f32_e32 vcc_lo, 0xc2ce8ed0, v12
	v_rndne_f32_e32 v4, v3
	v_fma_f32 v5, 0x3fb8aa3b, v12, -v3
	v_sub_f32_e32 v3, v3, v4
	v_fmamk_f32 v5, v12, 0x32a5705f, v5
	v_cvt_i32_f32_e32 v4, v4
	v_add_f32_e32 v3, v3, v5
	v_exp_f32_e32 v3, v3
	v_ldexp_f32 v3, v3, v4
	v_cndmask_b32_e32 v3, 0, v3, vcc_lo
	v_cmp_nlt_f32_e32 vcc_lo, 0x42b17218, v12
	v_cndmask_b32_e32 v3, 0x7f800000, v3, vcc_lo
	v_fma_f32 v3, -v2, v3, v13
	v_bfe_u32 v4, v3, 16, 1
	v_cmp_o_f32_e32 vcc_lo, v3, v3
	v_add3_u32 v3, v3, v4, 0x7fff
	v_mov_b32_e32 v4, 0x7fc0
	v_cndmask_b32_sdwa v3, v4, v3, vcc_lo dst_sel:DWORD dst_unused:UNUSED_PAD src0_sel:DWORD src1_sel:WORD_1
	global_store_short v[0:1], v3, off
	s_or_b32 exec_lo, exec_lo, s4
	s_and_saveexec_b32 s4, s0
	s_cbranch_execz .LBB342_33
.LBB342_42:
	v_fma_f32 v3, -v2, v17, v16
	v_bfe_u32 v4, v3, 16, 1
	v_cmp_o_f32_e32 vcc_lo, v3, v3
	v_add3_u32 v3, v3, v4, 0x7fff
	v_mov_b32_e32 v4, 0x7fc0
	v_cndmask_b32_sdwa v3, v4, v3, vcc_lo dst_sel:DWORD dst_unused:UNUSED_PAD src0_sel:DWORD src1_sel:WORD_1
	global_store_short v[0:1], v3, off offset:128
	s_or_b32 exec_lo, exec_lo, s4
	s_and_saveexec_b32 s0, s1
	s_cbranch_execz .LBB342_34
.LBB342_43:
	v_fma_f32 v3, -v2, v18, v14
	v_bfe_u32 v4, v3, 16, 1
	v_cmp_o_f32_e32 vcc_lo, v3, v3
	v_add3_u32 v3, v3, v4, 0x7fff
	v_mov_b32_e32 v4, 0x7fc0
	v_cndmask_b32_sdwa v3, v4, v3, vcc_lo dst_sel:DWORD dst_unused:UNUSED_PAD src0_sel:DWORD src1_sel:WORD_1
	global_store_short v[0:1], v3, off offset:256
	s_or_b32 exec_lo, exec_lo, s0
	s_and_saveexec_b32 s0, s2
	s_cbranch_execz .LBB342_35
.LBB342_44:
	v_fma_f32 v3, -v2, v19, v11
	v_bfe_u32 v4, v3, 16, 1
	v_cmp_o_f32_e32 vcc_lo, v3, v3
	v_add3_u32 v3, v3, v4, 0x7fff
	v_mov_b32_e32 v4, 0x7fc0
	v_cndmask_b32_sdwa v3, v4, v3, vcc_lo dst_sel:DWORD dst_unused:UNUSED_PAD src0_sel:DWORD src1_sel:WORD_1
	global_store_short v[0:1], v3, off offset:384
	s_or_b32 exec_lo, exec_lo, s0
	s_and_saveexec_b32 s0, s3
	s_cbranch_execz .LBB342_36
.LBB342_45:
	v_fma_f32 v3, -v2, v20, v10
	v_bfe_u32 v4, v3, 16, 1
	v_cmp_o_f32_e32 vcc_lo, v3, v3
	v_add3_u32 v3, v3, v4, 0x7fff
	v_mov_b32_e32 v4, 0x7fc0
	v_cndmask_b32_sdwa v3, v4, v3, vcc_lo dst_sel:DWORD dst_unused:UNUSED_PAD src0_sel:DWORD src1_sel:WORD_1
	global_store_short v[0:1], v3, off offset:512
	s_or_b32 exec_lo, exec_lo, s0
	s_and_saveexec_b32 s0, s5
	s_cbranch_execz .LBB342_37
.LBB342_46:
	v_fma_f32 v3, -v2, v21, v9
	v_bfe_u32 v4, v3, 16, 1
	v_cmp_o_f32_e32 vcc_lo, v3, v3
	v_add3_u32 v3, v3, v4, 0x7fff
	v_mov_b32_e32 v4, 0x7fc0
	v_cndmask_b32_sdwa v3, v4, v3, vcc_lo dst_sel:DWORD dst_unused:UNUSED_PAD src0_sel:DWORD src1_sel:WORD_1
	global_store_short v[0:1], v3, off offset:640
	s_or_b32 exec_lo, exec_lo, s0
	s_and_saveexec_b32 s0, s6
	s_cbranch_execz .LBB342_38
.LBB342_47:
	v_fma_f32 v3, -v2, v22, v8
	v_bfe_u32 v4, v3, 16, 1
	v_cmp_o_f32_e32 vcc_lo, v3, v3
	v_add3_u32 v3, v3, v4, 0x7fff
	v_mov_b32_e32 v4, 0x7fc0
	v_cndmask_b32_sdwa v3, v4, v3, vcc_lo dst_sel:DWORD dst_unused:UNUSED_PAD src0_sel:DWORD src1_sel:WORD_1
	global_store_short v[0:1], v3, off offset:768
	s_or_b32 exec_lo, exec_lo, s0
	s_and_b32 exec_lo, exec_lo, s7
	s_cbranch_execnz .LBB342_39
	s_branch .LBB342_40
	.section	.rodata,"a",@progbits
	.p2align	6, 0x0
	.amdhsa_kernel _ZN12_GLOBAL__N_121softmax_warp_backwardIfN3c108BFloat16EfLi9ELb1ELb0ELi64EEEvPT0_PKT_S7_iiiPKb
		.amdhsa_group_segment_fixed_size 0
		.amdhsa_private_segment_fixed_size 0
		.amdhsa_kernarg_size 304
		.amdhsa_user_sgpr_count 6
		.amdhsa_user_sgpr_private_segment_buffer 1
		.amdhsa_user_sgpr_dispatch_ptr 0
		.amdhsa_user_sgpr_queue_ptr 0
		.amdhsa_user_sgpr_kernarg_segment_ptr 1
		.amdhsa_user_sgpr_dispatch_id 0
		.amdhsa_user_sgpr_flat_scratch_init 0
		.amdhsa_user_sgpr_private_segment_size 0
		.amdhsa_wavefront_size32 1
		.amdhsa_uses_dynamic_stack 0
		.amdhsa_system_sgpr_private_segment_wavefront_offset 0
		.amdhsa_system_sgpr_workgroup_id_x 1
		.amdhsa_system_sgpr_workgroup_id_y 0
		.amdhsa_system_sgpr_workgroup_id_z 0
		.amdhsa_system_sgpr_workgroup_info 0
		.amdhsa_system_vgpr_workitem_id 1
		.amdhsa_next_free_vgpr 26
		.amdhsa_next_free_sgpr 16
		.amdhsa_reserve_vcc 1
		.amdhsa_reserve_flat_scratch 0
		.amdhsa_float_round_mode_32 0
		.amdhsa_float_round_mode_16_64 0
		.amdhsa_float_denorm_mode_32 3
		.amdhsa_float_denorm_mode_16_64 3
		.amdhsa_dx10_clamp 1
		.amdhsa_ieee_mode 1
		.amdhsa_fp16_overflow 0
		.amdhsa_workgroup_processor_mode 1
		.amdhsa_memory_ordered 1
		.amdhsa_forward_progress 1
		.amdhsa_shared_vgpr_count 0
		.amdhsa_exception_fp_ieee_invalid_op 0
		.amdhsa_exception_fp_denorm_src 0
		.amdhsa_exception_fp_ieee_div_zero 0
		.amdhsa_exception_fp_ieee_overflow 0
		.amdhsa_exception_fp_ieee_underflow 0
		.amdhsa_exception_fp_ieee_inexact 0
		.amdhsa_exception_int_div_zero 0
	.end_amdhsa_kernel
	.section	.text._ZN12_GLOBAL__N_121softmax_warp_backwardIfN3c108BFloat16EfLi9ELb1ELb0ELi64EEEvPT0_PKT_S7_iiiPKb,"axG",@progbits,_ZN12_GLOBAL__N_121softmax_warp_backwardIfN3c108BFloat16EfLi9ELb1ELb0ELi64EEEvPT0_PKT_S7_iiiPKb,comdat
.Lfunc_end342:
	.size	_ZN12_GLOBAL__N_121softmax_warp_backwardIfN3c108BFloat16EfLi9ELb1ELb0ELi64EEEvPT0_PKT_S7_iiiPKb, .Lfunc_end342-_ZN12_GLOBAL__N_121softmax_warp_backwardIfN3c108BFloat16EfLi9ELb1ELb0ELi64EEEvPT0_PKT_S7_iiiPKb
                                        ; -- End function
	.set _ZN12_GLOBAL__N_121softmax_warp_backwardIfN3c108BFloat16EfLi9ELb1ELb0ELi64EEEvPT0_PKT_S7_iiiPKb.num_vgpr, 26
	.set _ZN12_GLOBAL__N_121softmax_warp_backwardIfN3c108BFloat16EfLi9ELb1ELb0ELi64EEEvPT0_PKT_S7_iiiPKb.num_agpr, 0
	.set _ZN12_GLOBAL__N_121softmax_warp_backwardIfN3c108BFloat16EfLi9ELb1ELb0ELi64EEEvPT0_PKT_S7_iiiPKb.numbered_sgpr, 16
	.set _ZN12_GLOBAL__N_121softmax_warp_backwardIfN3c108BFloat16EfLi9ELb1ELb0ELi64EEEvPT0_PKT_S7_iiiPKb.num_named_barrier, 0
	.set _ZN12_GLOBAL__N_121softmax_warp_backwardIfN3c108BFloat16EfLi9ELb1ELb0ELi64EEEvPT0_PKT_S7_iiiPKb.private_seg_size, 0
	.set _ZN12_GLOBAL__N_121softmax_warp_backwardIfN3c108BFloat16EfLi9ELb1ELb0ELi64EEEvPT0_PKT_S7_iiiPKb.uses_vcc, 1
	.set _ZN12_GLOBAL__N_121softmax_warp_backwardIfN3c108BFloat16EfLi9ELb1ELb0ELi64EEEvPT0_PKT_S7_iiiPKb.uses_flat_scratch, 0
	.set _ZN12_GLOBAL__N_121softmax_warp_backwardIfN3c108BFloat16EfLi9ELb1ELb0ELi64EEEvPT0_PKT_S7_iiiPKb.has_dyn_sized_stack, 0
	.set _ZN12_GLOBAL__N_121softmax_warp_backwardIfN3c108BFloat16EfLi9ELb1ELb0ELi64EEEvPT0_PKT_S7_iiiPKb.has_recursion, 0
	.set _ZN12_GLOBAL__N_121softmax_warp_backwardIfN3c108BFloat16EfLi9ELb1ELb0ELi64EEEvPT0_PKT_S7_iiiPKb.has_indirect_call, 0
	.section	.AMDGPU.csdata,"",@progbits
; Kernel info:
; codeLenInByte = 2464
; TotalNumSgprs: 18
; NumVgprs: 26
; ScratchSize: 0
; MemoryBound: 0
; FloatMode: 240
; IeeeMode: 1
; LDSByteSize: 0 bytes/workgroup (compile time only)
; SGPRBlocks: 0
; VGPRBlocks: 3
; NumSGPRsForWavesPerEU: 18
; NumVGPRsForWavesPerEU: 26
; Occupancy: 16
; WaveLimiterHint : 0
; COMPUTE_PGM_RSRC2:SCRATCH_EN: 0
; COMPUTE_PGM_RSRC2:USER_SGPR: 6
; COMPUTE_PGM_RSRC2:TRAP_HANDLER: 0
; COMPUTE_PGM_RSRC2:TGID_X_EN: 1
; COMPUTE_PGM_RSRC2:TGID_Y_EN: 0
; COMPUTE_PGM_RSRC2:TGID_Z_EN: 0
; COMPUTE_PGM_RSRC2:TIDIG_COMP_CNT: 1
	.section	.text._ZN12_GLOBAL__N_121softmax_warp_backwardIfN3c108BFloat16EfLi9ELb1ELb0ELi32EEEvPT0_PKT_S7_iiiPKb,"axG",@progbits,_ZN12_GLOBAL__N_121softmax_warp_backwardIfN3c108BFloat16EfLi9ELb1ELb0ELi32EEEvPT0_PKT_S7_iiiPKb,comdat
	.globl	_ZN12_GLOBAL__N_121softmax_warp_backwardIfN3c108BFloat16EfLi9ELb1ELb0ELi32EEEvPT0_PKT_S7_iiiPKb ; -- Begin function _ZN12_GLOBAL__N_121softmax_warp_backwardIfN3c108BFloat16EfLi9ELb1ELb0ELi32EEEvPT0_PKT_S7_iiiPKb
	.p2align	8
	.type	_ZN12_GLOBAL__N_121softmax_warp_backwardIfN3c108BFloat16EfLi9ELb1ELb0ELi32EEEvPT0_PKT_S7_iiiPKb,@function
_ZN12_GLOBAL__N_121softmax_warp_backwardIfN3c108BFloat16EfLi9ELb1ELb0ELi32EEEvPT0_PKT_S7_iiiPKb: ; @_ZN12_GLOBAL__N_121softmax_warp_backwardIfN3c108BFloat16EfLi9ELb1ELb0ELi32EEEvPT0_PKT_S7_iiiPKb
; %bb.0:
	s_clause 0x1
	s_load_dword s0, s[4:5], 0x3c
	s_load_dwordx4 s[20:23], s[4:5], 0x18
	v_and_b32_e32 v6, 31, v0
	s_clause 0x1
	s_load_dwordx4 s[16:19], s[4:5], 0x0
	s_load_dwordx2 s[4:5], s[4:5], 0x10
	v_mov_b32_e32 v19, 0
	v_mov_b32_e32 v20, 0
	s_waitcnt lgkmcnt(0)
	s_lshr_b32 s0, s0, 16
	v_cmp_gt_i32_e32 vcc_lo, s22, v6
	v_mad_u64_u32 v[2:3], null, s6, s0, v[1:2]
	v_mad_u64_u32 v[0:1], null, v2, s21, v[6:7]
	v_sub_nc_u32_e32 v22, s20, v2
	v_cmp_lt_i32_e64 s3, 0, v22
	v_ashrrev_i32_e32 v1, 31, v0
	s_and_b32 s1, s3, vcc_lo
	v_lshlrev_b64 v[4:5], 2, v[0:1]
	v_add_co_u32 v2, s0, s18, v4
	v_add_co_ci_u32_e64 v3, null, s19, v5, s0
	v_add_co_u32 v4, s0, s4, v4
	v_add_co_ci_u32_e64 v5, null, s5, v5, s0
	s_and_saveexec_b32 s0, s1
	s_cbranch_execz .LBB343_2
; %bb.1:
	global_load_dword v20, v[2:3], off
	global_load_dword v19, v[4:5], off
.LBB343_2:
	s_or_b32 exec_lo, exec_lo, s0
	v_or_b32_e32 v7, 32, v6
	v_cmp_gt_i32_e64 s0, s22, v7
	s_and_b32 s1, s3, s0
	s_xor_b32 s1, s1, -1
	s_and_saveexec_b32 s2, s1
	s_xor_b32 s1, exec_lo, s2
                                        ; implicit-def: $vgpr7
                                        ; implicit-def: $vgpr9
                                        ; implicit-def: $vgpr10
                                        ; implicit-def: $vgpr11
                                        ; implicit-def: $vgpr12
                                        ; implicit-def: $vgpr13
                                        ; implicit-def: $vgpr14
                                        ; implicit-def: $vgpr15
                                        ; implicit-def: $vgpr16
                                        ; implicit-def: $vgpr17
                                        ; implicit-def: $vgpr18
                                        ; implicit-def: $vgpr21
                                        ; implicit-def: $vgpr23
                                        ; implicit-def: $vgpr24
                                        ; implicit-def: $vgpr8
; %bb.3:
	s_mov_b32 s2, 0
                                        ; implicit-def: $vgpr7
                                        ; implicit-def: $vgpr9
                                        ; implicit-def: $vgpr10
                                        ; implicit-def: $vgpr11
                                        ; implicit-def: $vgpr12
                                        ; implicit-def: $vgpr13
                                        ; implicit-def: $vgpr14
                                        ; implicit-def: $vgpr15
                                        ; implicit-def: $vgpr16
                                        ; implicit-def: $vgpr17
                                        ; implicit-def: $vgpr18
                                        ; implicit-def: $vgpr21
                                        ; implicit-def: $vgpr23
                                        ; implicit-def: $vgpr8
	v_mov_b32_e32 v24, s2
; %bb.4:
	s_or_saveexec_b32 s2, s1
	v_mov_b32_e32 v25, 1.0
	s_xor_b32 exec_lo, exec_lo, s2
	s_cbranch_execz .LBB343_6
; %bb.5:
	global_load_dword v25, v[4:5], off offset:128
	global_load_dword v24, v[2:3], off offset:128
	s_waitcnt vmcnt(1)
	v_mul_f32_e32 v26, 0x3fb8aa3b, v25
	v_cmp_ngt_f32_e64 s1, 0xc2ce8ed0, v25
	v_rndne_f32_e32 v27, v26
	v_fma_f32 v28, 0x3fb8aa3b, v25, -v26
	v_sub_f32_e32 v26, v26, v27
	v_fmamk_f32 v28, v25, 0x32a5705f, v28
	v_cvt_i32_f32_e32 v27, v27
	v_add_f32_e32 v26, v26, v28
	v_exp_f32_e32 v26, v26
	v_ldexp_f32 v26, v26, v27
	v_cndmask_b32_e64 v26, 0, v26, s1
	v_cmp_nlt_f32_e64 s1, 0x42b17218, v25
	v_cndmask_b32_e64 v25, 0x7f800000, v26, s1
.LBB343_6:
	s_or_b32 exec_lo, exec_lo, s2
	v_or_b32_e32 v26, 64, v6
	v_cmp_gt_i32_e64 s1, s22, v26
	s_and_b32 s2, s3, s1
	s_xor_b32 s2, s2, -1
	s_and_saveexec_b32 s4, s2
	s_xor_b32 s2, exec_lo, s4
; %bb.7:
	s_mov_b32 s4, 0
	v_mov_b32_e32 v23, s4
; %bb.8:
	s_or_saveexec_b32 s4, s2
	v_mov_b32_e32 v26, 1.0
	s_xor_b32 exec_lo, exec_lo, s4
	s_cbranch_execz .LBB343_10
; %bb.9:
	global_load_dword v26, v[4:5], off offset:256
	global_load_dword v23, v[2:3], off offset:256
	s_waitcnt vmcnt(1)
	v_mul_f32_e32 v27, 0x3fb8aa3b, v26
	v_cmp_ngt_f32_e64 s2, 0xc2ce8ed0, v26
	v_rndne_f32_e32 v28, v27
	v_fma_f32 v29, 0x3fb8aa3b, v26, -v27
	v_sub_f32_e32 v27, v27, v28
	v_fmamk_f32 v29, v26, 0x32a5705f, v29
	v_cvt_i32_f32_e32 v28, v28
	v_add_f32_e32 v27, v27, v29
	v_exp_f32_e32 v27, v27
	v_ldexp_f32 v27, v27, v28
	v_cndmask_b32_e64 v27, 0, v27, s2
	v_cmp_nlt_f32_e64 s2, 0x42b17218, v26
	v_cndmask_b32_e64 v26, 0x7f800000, v27, s2
.LBB343_10:
	s_or_b32 exec_lo, exec_lo, s4
	v_or_b32_e32 v27, 0x60, v6
	v_cmp_gt_i32_e64 s2, s22, v27
	s_and_b32 s4, s3, s2
	s_xor_b32 s4, s4, -1
	s_and_saveexec_b32 s5, s4
	s_xor_b32 s4, exec_lo, s5
; %bb.11:
	s_mov_b32 s5, 0
	;; [unrolled: 33-line block ×14, first 2 shown]
                                        ; implicit-def: $vgpr2_vgpr3
                                        ; implicit-def: $vgpr4_vgpr5
	v_mov_b32_e32 v8, s18
; %bb.60:
	s_or_saveexec_b32 s18, s3
	v_mov_b32_e32 v6, 1.0
	s_xor_b32 exec_lo, exec_lo, s18
	s_cbranch_execz .LBB343_62
; %bb.61:
	global_load_dword v4, v[4:5], off offset:1920
	global_load_dword v8, v[2:3], off offset:1920
	s_waitcnt vmcnt(1)
	v_mul_f32_e32 v2, 0x3fb8aa3b, v4
	v_cmp_ngt_f32_e64 s3, 0xc2ce8ed0, v4
	v_rndne_f32_e32 v3, v2
	v_fma_f32 v5, 0x3fb8aa3b, v4, -v2
	v_sub_f32_e32 v2, v2, v3
	v_fmamk_f32 v5, v4, 0x32a5705f, v5
	v_cvt_i32_f32_e32 v3, v3
	v_add_f32_e32 v2, v2, v5
	v_exp_f32_e32 v2, v2
	v_ldexp_f32 v2, v2, v3
	v_cndmask_b32_e64 v2, 0, v2, s3
	v_cmp_nlt_f32_e64 s3, 0x42b17218, v4
	v_cndmask_b32_e64 v6, 0x7f800000, v2, s3
.LBB343_62:
	s_or_b32 exec_lo, exec_lo, s18
	s_waitcnt vmcnt(1)
	v_add_f32_e32 v2, 0, v20
	v_mbcnt_lo_u32_b32 v3, -1, 0
	s_mov_b32 s18, exec_lo
	s_waitcnt vmcnt(0)
	v_add_f32_e32 v2, v2, v24
	v_xor_b32_e32 v4, 16, v3
	v_xor_b32_e32 v5, 8, v3
	v_add_f32_e32 v2, v2, v23
	v_cmp_gt_i32_e64 s3, 32, v4
	v_add_f32_e32 v2, v2, v21
	v_cndmask_b32_e64 v4, v3, v4, s3
	v_cmp_gt_i32_e64 s3, 32, v5
	v_add_f32_e32 v2, v2, v18
	v_lshlrev_b32_e32 v4, 2, v4
	v_cndmask_b32_e64 v5, v3, v5, s3
	v_add_f32_e32 v2, v2, v17
	v_lshlrev_b32_e32 v5, 2, v5
	v_add_f32_e32 v2, v2, v16
	v_add_f32_e32 v2, v2, v15
	v_add_f32_e32 v2, v2, v14
	v_add_f32_e32 v2, v2, v13
	v_add_f32_e32 v2, v2, v12
	v_add_f32_e32 v2, v2, v11
	v_add_f32_e32 v2, v2, v10
	v_add_f32_e32 v2, v2, v9
	v_add_f32_e32 v2, v2, v7
	v_add_f32_e32 v2, v2, v8
	ds_bpermute_b32 v4, v4, v2
	s_waitcnt lgkmcnt(0)
	v_add_f32_e32 v2, v2, v4
	ds_bpermute_b32 v4, v5, v2
	v_xor_b32_e32 v5, 4, v3
	v_cmp_gt_i32_e64 s3, 32, v5
	v_cndmask_b32_e64 v5, v3, v5, s3
	v_lshlrev_b32_e32 v5, 2, v5
	s_waitcnt lgkmcnt(0)
	v_add_f32_e32 v2, v2, v4
	ds_bpermute_b32 v4, v5, v2
	v_xor_b32_e32 v5, 2, v3
	v_cmp_gt_i32_e64 s3, 32, v5
	v_cndmask_b32_e64 v5, v3, v5, s3
	v_lshlrev_b32_e32 v5, 2, v5
	;; [unrolled: 7-line block ×3, first 2 shown]
	s_waitcnt lgkmcnt(0)
	v_add_f32_e32 v2, v2, v4
	ds_bpermute_b32 v3, v3, v2
	v_cmpx_lt_i32_e32 0, v22
	s_cbranch_execz .LBB343_80
; %bb.63:
	v_lshlrev_b64 v[0:1], 1, v[0:1]
	s_waitcnt lgkmcnt(0)
	v_add_f32_e32 v2, v2, v3
	v_add_co_u32 v0, s3, s16, v0
	v_add_co_ci_u32_e64 v1, null, s17, v1, s3
	s_and_saveexec_b32 s3, vcc_lo
	s_cbranch_execnz .LBB343_81
; %bb.64:
	s_or_b32 exec_lo, exec_lo, s3
	s_and_saveexec_b32 s3, s0
	s_cbranch_execnz .LBB343_82
.LBB343_65:
	s_or_b32 exec_lo, exec_lo, s3
	s_and_saveexec_b32 s0, s1
	s_cbranch_execnz .LBB343_83
.LBB343_66:
	s_or_b32 exec_lo, exec_lo, s0
	s_and_saveexec_b32 s0, s2
	s_cbranch_execnz .LBB343_84
.LBB343_67:
	s_or_b32 exec_lo, exec_lo, s0
	s_and_saveexec_b32 s0, s4
	s_cbranch_execnz .LBB343_85
.LBB343_68:
	s_or_b32 exec_lo, exec_lo, s0
	s_and_saveexec_b32 s0, s5
	s_cbranch_execnz .LBB343_86
.LBB343_69:
	s_or_b32 exec_lo, exec_lo, s0
	s_and_saveexec_b32 s0, s6
	s_cbranch_execnz .LBB343_87
.LBB343_70:
	s_or_b32 exec_lo, exec_lo, s0
	s_and_saveexec_b32 s0, s7
	s_cbranch_execnz .LBB343_88
.LBB343_71:
	s_or_b32 exec_lo, exec_lo, s0
	s_and_saveexec_b32 s0, s8
	s_cbranch_execnz .LBB343_89
.LBB343_72:
	s_or_b32 exec_lo, exec_lo, s0
	s_and_saveexec_b32 s0, s9
	s_cbranch_execnz .LBB343_90
.LBB343_73:
	s_or_b32 exec_lo, exec_lo, s0
	s_and_saveexec_b32 s0, s10
	s_cbranch_execnz .LBB343_91
.LBB343_74:
	s_or_b32 exec_lo, exec_lo, s0
	s_and_saveexec_b32 s0, s11
	s_cbranch_execnz .LBB343_92
.LBB343_75:
	s_or_b32 exec_lo, exec_lo, s0
	s_and_saveexec_b32 s0, s12
	s_cbranch_execnz .LBB343_93
.LBB343_76:
	s_or_b32 exec_lo, exec_lo, s0
	s_and_saveexec_b32 s0, s13
	s_cbranch_execnz .LBB343_94
.LBB343_77:
	s_or_b32 exec_lo, exec_lo, s0
	s_and_saveexec_b32 s0, s14
	s_cbranch_execnz .LBB343_95
.LBB343_78:
	s_or_b32 exec_lo, exec_lo, s0
	s_and_b32 exec_lo, exec_lo, s15
	s_cbranch_execz .LBB343_80
.LBB343_79:
	v_fma_f32 v2, -v2, v6, v8
	v_bfe_u32 v3, v2, 16, 1
	v_cmp_o_f32_e32 vcc_lo, v2, v2
	v_add3_u32 v2, v2, v3, 0x7fff
	v_mov_b32_e32 v3, 0x7fc0
	v_cndmask_b32_sdwa v2, v3, v2, vcc_lo dst_sel:DWORD dst_unused:UNUSED_PAD src0_sel:DWORD src1_sel:WORD_1
	global_store_short v[0:1], v2, off offset:960
.LBB343_80:
	s_endpgm
.LBB343_81:
	v_mul_f32_e32 v3, 0x3fb8aa3b, v19
	v_cmp_ngt_f32_e32 vcc_lo, 0xc2ce8ed0, v19
	v_rndne_f32_e32 v4, v3
	v_fma_f32 v5, 0x3fb8aa3b, v19, -v3
	v_sub_f32_e32 v3, v3, v4
	v_fmamk_f32 v5, v19, 0x32a5705f, v5
	v_cvt_i32_f32_e32 v4, v4
	v_add_f32_e32 v3, v3, v5
	v_exp_f32_e32 v3, v3
	v_ldexp_f32 v3, v3, v4
	v_cndmask_b32_e32 v3, 0, v3, vcc_lo
	v_cmp_nlt_f32_e32 vcc_lo, 0x42b17218, v19
	v_cndmask_b32_e32 v3, 0x7f800000, v3, vcc_lo
	v_fma_f32 v3, -v2, v3, v20
	v_bfe_u32 v4, v3, 16, 1
	v_cmp_o_f32_e32 vcc_lo, v3, v3
	v_add3_u32 v3, v3, v4, 0x7fff
	v_mov_b32_e32 v4, 0x7fc0
	v_cndmask_b32_sdwa v3, v4, v3, vcc_lo dst_sel:DWORD dst_unused:UNUSED_PAD src0_sel:DWORD src1_sel:WORD_1
	global_store_short v[0:1], v3, off
	s_or_b32 exec_lo, exec_lo, s3
	s_and_saveexec_b32 s3, s0
	s_cbranch_execz .LBB343_65
.LBB343_82:
	v_fma_f32 v3, -v2, v25, v24
	v_bfe_u32 v4, v3, 16, 1
	v_cmp_o_f32_e32 vcc_lo, v3, v3
	v_add3_u32 v3, v3, v4, 0x7fff
	v_mov_b32_e32 v4, 0x7fc0
	v_cndmask_b32_sdwa v3, v4, v3, vcc_lo dst_sel:DWORD dst_unused:UNUSED_PAD src0_sel:DWORD src1_sel:WORD_1
	global_store_short v[0:1], v3, off offset:64
	s_or_b32 exec_lo, exec_lo, s3
	s_and_saveexec_b32 s0, s1
	s_cbranch_execz .LBB343_66
.LBB343_83:
	v_fma_f32 v3, -v2, v26, v23
	v_bfe_u32 v4, v3, 16, 1
	v_cmp_o_f32_e32 vcc_lo, v3, v3
	v_add3_u32 v3, v3, v4, 0x7fff
	v_mov_b32_e32 v4, 0x7fc0
	v_cndmask_b32_sdwa v3, v4, v3, vcc_lo dst_sel:DWORD dst_unused:UNUSED_PAD src0_sel:DWORD src1_sel:WORD_1
	global_store_short v[0:1], v3, off offset:128
	s_or_b32 exec_lo, exec_lo, s0
	s_and_saveexec_b32 s0, s2
	s_cbranch_execz .LBB343_67
.LBB343_84:
	v_fma_f32 v3, -v2, v27, v21
	v_bfe_u32 v4, v3, 16, 1
	v_cmp_o_f32_e32 vcc_lo, v3, v3
	v_add3_u32 v3, v3, v4, 0x7fff
	v_mov_b32_e32 v4, 0x7fc0
	v_cndmask_b32_sdwa v3, v4, v3, vcc_lo dst_sel:DWORD dst_unused:UNUSED_PAD src0_sel:DWORD src1_sel:WORD_1
	global_store_short v[0:1], v3, off offset:192
	s_or_b32 exec_lo, exec_lo, s0
	s_and_saveexec_b32 s0, s4
	s_cbranch_execz .LBB343_68
.LBB343_85:
	v_fma_f32 v3, -v2, v28, v18
	v_bfe_u32 v4, v3, 16, 1
	v_cmp_o_f32_e32 vcc_lo, v3, v3
	v_add3_u32 v3, v3, v4, 0x7fff
	v_mov_b32_e32 v4, 0x7fc0
	v_cndmask_b32_sdwa v3, v4, v3, vcc_lo dst_sel:DWORD dst_unused:UNUSED_PAD src0_sel:DWORD src1_sel:WORD_1
	global_store_short v[0:1], v3, off offset:256
	s_or_b32 exec_lo, exec_lo, s0
	s_and_saveexec_b32 s0, s5
	s_cbranch_execz .LBB343_69
.LBB343_86:
	v_fma_f32 v3, -v2, v29, v17
	v_bfe_u32 v4, v3, 16, 1
	v_cmp_o_f32_e32 vcc_lo, v3, v3
	v_add3_u32 v3, v3, v4, 0x7fff
	v_mov_b32_e32 v4, 0x7fc0
	v_cndmask_b32_sdwa v3, v4, v3, vcc_lo dst_sel:DWORD dst_unused:UNUSED_PAD src0_sel:DWORD src1_sel:WORD_1
	global_store_short v[0:1], v3, off offset:320
	s_or_b32 exec_lo, exec_lo, s0
	s_and_saveexec_b32 s0, s6
	s_cbranch_execz .LBB343_70
.LBB343_87:
	v_fma_f32 v3, -v2, v30, v16
	v_bfe_u32 v4, v3, 16, 1
	v_cmp_o_f32_e32 vcc_lo, v3, v3
	v_add3_u32 v3, v3, v4, 0x7fff
	v_mov_b32_e32 v4, 0x7fc0
	v_cndmask_b32_sdwa v3, v4, v3, vcc_lo dst_sel:DWORD dst_unused:UNUSED_PAD src0_sel:DWORD src1_sel:WORD_1
	global_store_short v[0:1], v3, off offset:384
	s_or_b32 exec_lo, exec_lo, s0
	s_and_saveexec_b32 s0, s7
	s_cbranch_execz .LBB343_71
.LBB343_88:
	v_fma_f32 v3, -v2, v31, v15
	v_bfe_u32 v4, v3, 16, 1
	v_cmp_o_f32_e32 vcc_lo, v3, v3
	v_add3_u32 v3, v3, v4, 0x7fff
	v_mov_b32_e32 v4, 0x7fc0
	v_cndmask_b32_sdwa v3, v4, v3, vcc_lo dst_sel:DWORD dst_unused:UNUSED_PAD src0_sel:DWORD src1_sel:WORD_1
	global_store_short v[0:1], v3, off offset:448
	s_or_b32 exec_lo, exec_lo, s0
	s_and_saveexec_b32 s0, s8
	s_cbranch_execz .LBB343_72
.LBB343_89:
	v_fma_f32 v3, -v2, v32, v14
	v_bfe_u32 v4, v3, 16, 1
	v_cmp_o_f32_e32 vcc_lo, v3, v3
	v_add3_u32 v3, v3, v4, 0x7fff
	v_mov_b32_e32 v4, 0x7fc0
	v_cndmask_b32_sdwa v3, v4, v3, vcc_lo dst_sel:DWORD dst_unused:UNUSED_PAD src0_sel:DWORD src1_sel:WORD_1
	global_store_short v[0:1], v3, off offset:512
	s_or_b32 exec_lo, exec_lo, s0
	s_and_saveexec_b32 s0, s9
	s_cbranch_execz .LBB343_73
.LBB343_90:
	v_fma_f32 v3, -v2, v33, v13
	v_bfe_u32 v4, v3, 16, 1
	v_cmp_o_f32_e32 vcc_lo, v3, v3
	v_add3_u32 v3, v3, v4, 0x7fff
	v_mov_b32_e32 v4, 0x7fc0
	v_cndmask_b32_sdwa v3, v4, v3, vcc_lo dst_sel:DWORD dst_unused:UNUSED_PAD src0_sel:DWORD src1_sel:WORD_1
	global_store_short v[0:1], v3, off offset:576
	s_or_b32 exec_lo, exec_lo, s0
	s_and_saveexec_b32 s0, s10
	s_cbranch_execz .LBB343_74
.LBB343_91:
	v_fma_f32 v3, -v2, v34, v12
	v_bfe_u32 v4, v3, 16, 1
	v_cmp_o_f32_e32 vcc_lo, v3, v3
	v_add3_u32 v3, v3, v4, 0x7fff
	v_mov_b32_e32 v4, 0x7fc0
	v_cndmask_b32_sdwa v3, v4, v3, vcc_lo dst_sel:DWORD dst_unused:UNUSED_PAD src0_sel:DWORD src1_sel:WORD_1
	global_store_short v[0:1], v3, off offset:640
	s_or_b32 exec_lo, exec_lo, s0
	s_and_saveexec_b32 s0, s11
	s_cbranch_execz .LBB343_75
.LBB343_92:
	v_fma_f32 v3, -v2, v35, v11
	v_bfe_u32 v4, v3, 16, 1
	v_cmp_o_f32_e32 vcc_lo, v3, v3
	v_add3_u32 v3, v3, v4, 0x7fff
	v_mov_b32_e32 v4, 0x7fc0
	v_cndmask_b32_sdwa v3, v4, v3, vcc_lo dst_sel:DWORD dst_unused:UNUSED_PAD src0_sel:DWORD src1_sel:WORD_1
	global_store_short v[0:1], v3, off offset:704
	s_or_b32 exec_lo, exec_lo, s0
	s_and_saveexec_b32 s0, s12
	s_cbranch_execz .LBB343_76
.LBB343_93:
	v_fma_f32 v3, -v2, v36, v10
	v_bfe_u32 v4, v3, 16, 1
	v_cmp_o_f32_e32 vcc_lo, v3, v3
	v_add3_u32 v3, v3, v4, 0x7fff
	v_mov_b32_e32 v4, 0x7fc0
	v_cndmask_b32_sdwa v3, v4, v3, vcc_lo dst_sel:DWORD dst_unused:UNUSED_PAD src0_sel:DWORD src1_sel:WORD_1
	global_store_short v[0:1], v3, off offset:768
	s_or_b32 exec_lo, exec_lo, s0
	s_and_saveexec_b32 s0, s13
	s_cbranch_execz .LBB343_77
.LBB343_94:
	v_fma_f32 v3, -v2, v37, v9
	v_bfe_u32 v4, v3, 16, 1
	v_cmp_o_f32_e32 vcc_lo, v3, v3
	v_add3_u32 v3, v3, v4, 0x7fff
	v_mov_b32_e32 v4, 0x7fc0
	v_cndmask_b32_sdwa v3, v4, v3, vcc_lo dst_sel:DWORD dst_unused:UNUSED_PAD src0_sel:DWORD src1_sel:WORD_1
	global_store_short v[0:1], v3, off offset:832
	s_or_b32 exec_lo, exec_lo, s0
	s_and_saveexec_b32 s0, s14
	s_cbranch_execz .LBB343_78
.LBB343_95:
	v_fma_f32 v3, -v2, v38, v7
	v_bfe_u32 v4, v3, 16, 1
	v_cmp_o_f32_e32 vcc_lo, v3, v3
	v_add3_u32 v3, v3, v4, 0x7fff
	v_mov_b32_e32 v4, 0x7fc0
	v_cndmask_b32_sdwa v3, v4, v3, vcc_lo dst_sel:DWORD dst_unused:UNUSED_PAD src0_sel:DWORD src1_sel:WORD_1
	global_store_short v[0:1], v3, off offset:896
	s_or_b32 exec_lo, exec_lo, s0
	s_and_b32 exec_lo, exec_lo, s15
	s_cbranch_execnz .LBB343_79
	s_branch .LBB343_80
	.section	.rodata,"a",@progbits
	.p2align	6, 0x0
	.amdhsa_kernel _ZN12_GLOBAL__N_121softmax_warp_backwardIfN3c108BFloat16EfLi9ELb1ELb0ELi32EEEvPT0_PKT_S7_iiiPKb
		.amdhsa_group_segment_fixed_size 0
		.amdhsa_private_segment_fixed_size 0
		.amdhsa_kernarg_size 304
		.amdhsa_user_sgpr_count 6
		.amdhsa_user_sgpr_private_segment_buffer 1
		.amdhsa_user_sgpr_dispatch_ptr 0
		.amdhsa_user_sgpr_queue_ptr 0
		.amdhsa_user_sgpr_kernarg_segment_ptr 1
		.amdhsa_user_sgpr_dispatch_id 0
		.amdhsa_user_sgpr_flat_scratch_init 0
		.amdhsa_user_sgpr_private_segment_size 0
		.amdhsa_wavefront_size32 1
		.amdhsa_uses_dynamic_stack 0
		.amdhsa_system_sgpr_private_segment_wavefront_offset 0
		.amdhsa_system_sgpr_workgroup_id_x 1
		.amdhsa_system_sgpr_workgroup_id_y 0
		.amdhsa_system_sgpr_workgroup_id_z 0
		.amdhsa_system_sgpr_workgroup_info 0
		.amdhsa_system_vgpr_workitem_id 1
		.amdhsa_next_free_vgpr 42
		.amdhsa_next_free_sgpr 24
		.amdhsa_reserve_vcc 1
		.amdhsa_reserve_flat_scratch 0
		.amdhsa_float_round_mode_32 0
		.amdhsa_float_round_mode_16_64 0
		.amdhsa_float_denorm_mode_32 3
		.amdhsa_float_denorm_mode_16_64 3
		.amdhsa_dx10_clamp 1
		.amdhsa_ieee_mode 1
		.amdhsa_fp16_overflow 0
		.amdhsa_workgroup_processor_mode 1
		.amdhsa_memory_ordered 1
		.amdhsa_forward_progress 1
		.amdhsa_shared_vgpr_count 0
		.amdhsa_exception_fp_ieee_invalid_op 0
		.amdhsa_exception_fp_denorm_src 0
		.amdhsa_exception_fp_ieee_div_zero 0
		.amdhsa_exception_fp_ieee_overflow 0
		.amdhsa_exception_fp_ieee_underflow 0
		.amdhsa_exception_fp_ieee_inexact 0
		.amdhsa_exception_int_div_zero 0
	.end_amdhsa_kernel
	.section	.text._ZN12_GLOBAL__N_121softmax_warp_backwardIfN3c108BFloat16EfLi9ELb1ELb0ELi32EEEvPT0_PKT_S7_iiiPKb,"axG",@progbits,_ZN12_GLOBAL__N_121softmax_warp_backwardIfN3c108BFloat16EfLi9ELb1ELb0ELi32EEEvPT0_PKT_S7_iiiPKb,comdat
.Lfunc_end343:
	.size	_ZN12_GLOBAL__N_121softmax_warp_backwardIfN3c108BFloat16EfLi9ELb1ELb0ELi32EEEvPT0_PKT_S7_iiiPKb, .Lfunc_end343-_ZN12_GLOBAL__N_121softmax_warp_backwardIfN3c108BFloat16EfLi9ELb1ELb0ELi32EEEvPT0_PKT_S7_iiiPKb
                                        ; -- End function
	.set _ZN12_GLOBAL__N_121softmax_warp_backwardIfN3c108BFloat16EfLi9ELb1ELb0ELi32EEEvPT0_PKT_S7_iiiPKb.num_vgpr, 42
	.set _ZN12_GLOBAL__N_121softmax_warp_backwardIfN3c108BFloat16EfLi9ELb1ELb0ELi32EEEvPT0_PKT_S7_iiiPKb.num_agpr, 0
	.set _ZN12_GLOBAL__N_121softmax_warp_backwardIfN3c108BFloat16EfLi9ELb1ELb0ELi32EEEvPT0_PKT_S7_iiiPKb.numbered_sgpr, 24
	.set _ZN12_GLOBAL__N_121softmax_warp_backwardIfN3c108BFloat16EfLi9ELb1ELb0ELi32EEEvPT0_PKT_S7_iiiPKb.num_named_barrier, 0
	.set _ZN12_GLOBAL__N_121softmax_warp_backwardIfN3c108BFloat16EfLi9ELb1ELb0ELi32EEEvPT0_PKT_S7_iiiPKb.private_seg_size, 0
	.set _ZN12_GLOBAL__N_121softmax_warp_backwardIfN3c108BFloat16EfLi9ELb1ELb0ELi32EEEvPT0_PKT_S7_iiiPKb.uses_vcc, 1
	.set _ZN12_GLOBAL__N_121softmax_warp_backwardIfN3c108BFloat16EfLi9ELb1ELb0ELi32EEEvPT0_PKT_S7_iiiPKb.uses_flat_scratch, 0
	.set _ZN12_GLOBAL__N_121softmax_warp_backwardIfN3c108BFloat16EfLi9ELb1ELb0ELi32EEEvPT0_PKT_S7_iiiPKb.has_dyn_sized_stack, 0
	.set _ZN12_GLOBAL__N_121softmax_warp_backwardIfN3c108BFloat16EfLi9ELb1ELb0ELi32EEEvPT0_PKT_S7_iiiPKb.has_recursion, 0
	.set _ZN12_GLOBAL__N_121softmax_warp_backwardIfN3c108BFloat16EfLi9ELb1ELb0ELi32EEEvPT0_PKT_S7_iiiPKb.has_indirect_call, 0
	.section	.AMDGPU.csdata,"",@progbits
; Kernel info:
; codeLenInByte = 4532
; TotalNumSgprs: 26
; NumVgprs: 42
; ScratchSize: 0
; MemoryBound: 0
; FloatMode: 240
; IeeeMode: 1
; LDSByteSize: 0 bytes/workgroup (compile time only)
; SGPRBlocks: 0
; VGPRBlocks: 5
; NumSGPRsForWavesPerEU: 26
; NumVGPRsForWavesPerEU: 42
; Occupancy: 16
; WaveLimiterHint : 0
; COMPUTE_PGM_RSRC2:SCRATCH_EN: 0
; COMPUTE_PGM_RSRC2:USER_SGPR: 6
; COMPUTE_PGM_RSRC2:TRAP_HANDLER: 0
; COMPUTE_PGM_RSRC2:TGID_X_EN: 1
; COMPUTE_PGM_RSRC2:TGID_Y_EN: 0
; COMPUTE_PGM_RSRC2:TGID_Z_EN: 0
; COMPUTE_PGM_RSRC2:TIDIG_COMP_CNT: 1
	.section	.text._ZN12_GLOBAL__N_121softmax_warp_backwardIfN3c108BFloat16EfLi10ELb1ELb0ELi64EEEvPT0_PKT_S7_iiiPKb,"axG",@progbits,_ZN12_GLOBAL__N_121softmax_warp_backwardIfN3c108BFloat16EfLi10ELb1ELb0ELi64EEEvPT0_PKT_S7_iiiPKb,comdat
	.globl	_ZN12_GLOBAL__N_121softmax_warp_backwardIfN3c108BFloat16EfLi10ELb1ELb0ELi64EEEvPT0_PKT_S7_iiiPKb ; -- Begin function _ZN12_GLOBAL__N_121softmax_warp_backwardIfN3c108BFloat16EfLi10ELb1ELb0ELi64EEEvPT0_PKT_S7_iiiPKb
	.p2align	8
	.type	_ZN12_GLOBAL__N_121softmax_warp_backwardIfN3c108BFloat16EfLi10ELb1ELb0ELi64EEEvPT0_PKT_S7_iiiPKb,@function
_ZN12_GLOBAL__N_121softmax_warp_backwardIfN3c108BFloat16EfLi10ELb1ELb0ELi64EEEvPT0_PKT_S7_iiiPKb: ; @_ZN12_GLOBAL__N_121softmax_warp_backwardIfN3c108BFloat16EfLi10ELb1ELb0ELi64EEEvPT0_PKT_S7_iiiPKb
; %bb.0:
	s_clause 0x1
	s_load_dword s0, s[4:5], 0x3c
	s_load_dwordx4 s[20:23], s[4:5], 0x18
	v_and_b32_e32 v7, 63, v0
	s_clause 0x1
	s_load_dwordx4 s[16:19], s[4:5], 0x0
	s_load_dwordx2 s[2:3], s[4:5], 0x10
	v_mov_b32_e32 v20, 0
	v_mov_b32_e32 v21, 0
	s_waitcnt lgkmcnt(0)
	s_lshr_b32 s0, s0, 16
	v_cmp_gt_i32_e32 vcc_lo, s22, v7
	v_mad_u64_u32 v[3:4], null, s6, s0, v[1:2]
	v_mad_u64_u32 v[1:2], null, v3, s21, v[7:8]
	v_sub_nc_u32_e32 v23, s20, v3
	v_cmp_lt_i32_e64 s4, 0, v23
	v_ashrrev_i32_e32 v2, 31, v1
	s_and_b32 s1, s4, vcc_lo
	v_lshlrev_b64 v[5:6], 2, v[1:2]
	v_add_co_u32 v3, s0, s18, v5
	v_add_co_ci_u32_e64 v4, null, s19, v6, s0
	v_add_co_u32 v5, s0, s2, v5
	v_add_co_ci_u32_e64 v6, null, s3, v6, s0
	s_and_saveexec_b32 s0, s1
	s_cbranch_execz .LBB344_2
; %bb.1:
	global_load_dword v21, v[3:4], off
	global_load_dword v20, v[5:6], off
.LBB344_2:
	s_or_b32 exec_lo, exec_lo, s0
	v_or_b32_e32 v8, 64, v7
	v_cmp_gt_i32_e64 s0, s22, v8
	s_and_b32 s1, s4, s0
	s_xor_b32 s1, s1, -1
	s_and_saveexec_b32 s2, s1
	s_xor_b32 s1, exec_lo, s2
                                        ; implicit-def: $vgpr8
                                        ; implicit-def: $vgpr10
                                        ; implicit-def: $vgpr11
                                        ; implicit-def: $vgpr12
                                        ; implicit-def: $vgpr13
                                        ; implicit-def: $vgpr14
                                        ; implicit-def: $vgpr15
                                        ; implicit-def: $vgpr16
                                        ; implicit-def: $vgpr17
                                        ; implicit-def: $vgpr18
                                        ; implicit-def: $vgpr19
                                        ; implicit-def: $vgpr22
                                        ; implicit-def: $vgpr24
                                        ; implicit-def: $vgpr25
                                        ; implicit-def: $vgpr9
; %bb.3:
	s_mov_b32 s2, 0
                                        ; implicit-def: $vgpr8
                                        ; implicit-def: $vgpr10
                                        ; implicit-def: $vgpr11
                                        ; implicit-def: $vgpr12
                                        ; implicit-def: $vgpr13
                                        ; implicit-def: $vgpr14
                                        ; implicit-def: $vgpr15
                                        ; implicit-def: $vgpr16
                                        ; implicit-def: $vgpr17
                                        ; implicit-def: $vgpr18
                                        ; implicit-def: $vgpr19
                                        ; implicit-def: $vgpr22
                                        ; implicit-def: $vgpr24
                                        ; implicit-def: $vgpr9
	v_mov_b32_e32 v25, s2
; %bb.4:
	s_or_saveexec_b32 s2, s1
	v_mov_b32_e32 v26, 1.0
	s_xor_b32 exec_lo, exec_lo, s2
	s_cbranch_execz .LBB344_6
; %bb.5:
	global_load_dword v26, v[5:6], off offset:256
	global_load_dword v25, v[3:4], off offset:256
	s_waitcnt vmcnt(1)
	v_mul_f32_e32 v27, 0x3fb8aa3b, v26
	v_cmp_ngt_f32_e64 s1, 0xc2ce8ed0, v26
	v_rndne_f32_e32 v28, v27
	v_fma_f32 v29, 0x3fb8aa3b, v26, -v27
	v_sub_f32_e32 v27, v27, v28
	v_fmamk_f32 v29, v26, 0x32a5705f, v29
	v_cvt_i32_f32_e32 v28, v28
	v_add_f32_e32 v27, v27, v29
	v_exp_f32_e32 v27, v27
	v_ldexp_f32 v27, v27, v28
	v_cndmask_b32_e64 v27, 0, v27, s1
	v_cmp_nlt_f32_e64 s1, 0x42b17218, v26
	v_cndmask_b32_e64 v26, 0x7f800000, v27, s1
.LBB344_6:
	s_or_b32 exec_lo, exec_lo, s2
	v_or_b32_e32 v27, 0x80, v7
	v_cmp_gt_i32_e64 s1, s22, v27
	s_and_b32 s2, s4, s1
	s_xor_b32 s2, s2, -1
	s_and_saveexec_b32 s3, s2
	s_xor_b32 s2, exec_lo, s3
; %bb.7:
	s_mov_b32 s3, 0
	v_mov_b32_e32 v24, s3
; %bb.8:
	s_or_saveexec_b32 s3, s2
	v_mov_b32_e32 v27, 1.0
	s_xor_b32 exec_lo, exec_lo, s3
	s_cbranch_execz .LBB344_10
; %bb.9:
	global_load_dword v27, v[5:6], off offset:512
	global_load_dword v24, v[3:4], off offset:512
	s_waitcnt vmcnt(1)
	v_mul_f32_e32 v28, 0x3fb8aa3b, v27
	v_cmp_ngt_f32_e64 s2, 0xc2ce8ed0, v27
	v_rndne_f32_e32 v29, v28
	v_fma_f32 v30, 0x3fb8aa3b, v27, -v28
	v_sub_f32_e32 v28, v28, v29
	v_fmamk_f32 v30, v27, 0x32a5705f, v30
	v_cvt_i32_f32_e32 v29, v29
	v_add_f32_e32 v28, v28, v30
	v_exp_f32_e32 v28, v28
	v_ldexp_f32 v28, v28, v29
	v_cndmask_b32_e64 v28, 0, v28, s2
	v_cmp_nlt_f32_e64 s2, 0x42b17218, v27
	v_cndmask_b32_e64 v27, 0x7f800000, v28, s2
.LBB344_10:
	s_or_b32 exec_lo, exec_lo, s3
	v_or_b32_e32 v28, 0xc0, v7
	v_cmp_gt_i32_e64 s2, s22, v28
	s_and_b32 s3, s4, s2
	s_xor_b32 s3, s3, -1
	s_and_saveexec_b32 s5, s3
	s_xor_b32 s3, exec_lo, s5
; %bb.11:
	s_mov_b32 s5, 0
	;; [unrolled: 33-line block ×7, first 2 shown]
	v_mov_b32_e32 v15, s10
; %bb.32:
	s_or_saveexec_b32 s10, s9
	v_mov_b32_e32 v33, 1.0
	s_xor_b32 exec_lo, exec_lo, s10
	s_cbranch_execz .LBB344_34
; %bb.33:
	v_add_co_u32 v33, s9, 0x800, v5
	v_add_co_ci_u32_e64 v34, null, 0, v6, s9
	global_load_dword v35, v[33:34], off
	v_add_co_u32 v33, s9, 0x800, v3
	v_add_co_ci_u32_e64 v34, null, 0, v4, s9
	global_load_dword v15, v[33:34], off
	s_waitcnt vmcnt(1)
	v_mul_f32_e32 v33, 0x3fb8aa3b, v35
	v_cmp_ngt_f32_e64 s9, 0xc2ce8ed0, v35
	v_fma_f32 v34, 0x3fb8aa3b, v35, -v33
	v_rndne_f32_e32 v36, v33
	v_fmamk_f32 v34, v35, 0x32a5705f, v34
	v_sub_f32_e32 v33, v33, v36
	v_add_f32_e32 v33, v33, v34
	v_cvt_i32_f32_e32 v34, v36
	v_exp_f32_e32 v33, v33
	v_ldexp_f32 v33, v33, v34
	v_cndmask_b32_e64 v33, 0, v33, s9
	v_cmp_nlt_f32_e64 s9, 0x42b17218, v35
	v_cndmask_b32_e64 v33, 0x7f800000, v33, s9
.LBB344_34:
	s_or_b32 exec_lo, exec_lo, s10
	v_or_b32_e32 v34, 0x240, v7
	v_cmp_gt_i32_e64 s9, s22, v34
	s_and_b32 s10, s4, s9
	s_xor_b32 s10, s10, -1
	s_and_saveexec_b32 s11, s10
	s_xor_b32 s10, exec_lo, s11
; %bb.35:
	s_mov_b32 s11, 0
	v_mov_b32_e32 v14, s11
; %bb.36:
	s_or_saveexec_b32 s11, s10
	v_mov_b32_e32 v34, 1.0
	s_xor_b32 exec_lo, exec_lo, s11
	s_cbranch_execz .LBB344_38
; %bb.37:
	v_add_co_u32 v34, s10, 0x800, v5
	v_add_co_ci_u32_e64 v35, null, 0, v6, s10
	global_load_dword v36, v[34:35], off offset:256
	v_add_co_u32 v34, s10, 0x800, v3
	v_add_co_ci_u32_e64 v35, null, 0, v4, s10
	global_load_dword v14, v[34:35], off offset:256
	s_waitcnt vmcnt(1)
	v_mul_f32_e32 v34, 0x3fb8aa3b, v36
	v_cmp_ngt_f32_e64 s10, 0xc2ce8ed0, v36
	v_fma_f32 v35, 0x3fb8aa3b, v36, -v34
	v_rndne_f32_e32 v37, v34
	v_fmamk_f32 v35, v36, 0x32a5705f, v35
	v_sub_f32_e32 v34, v34, v37
	v_add_f32_e32 v34, v34, v35
	v_cvt_i32_f32_e32 v35, v37
	v_exp_f32_e32 v34, v34
	v_ldexp_f32 v34, v34, v35
	v_cndmask_b32_e64 v34, 0, v34, s10
	v_cmp_nlt_f32_e64 s10, 0x42b17218, v36
	v_cndmask_b32_e64 v34, 0x7f800000, v34, s10
.LBB344_38:
	s_or_b32 exec_lo, exec_lo, s11
	v_or_b32_e32 v35, 0x280, v7
	v_cmp_gt_i32_e64 s10, s22, v35
	s_and_b32 s11, s4, s10
	s_xor_b32 s11, s11, -1
	s_and_saveexec_b32 s12, s11
	s_xor_b32 s11, exec_lo, s12
; %bb.39:
	s_mov_b32 s12, 0
	v_mov_b32_e32 v13, s12
; %bb.40:
	s_or_saveexec_b32 s12, s11
	v_mov_b32_e32 v35, 1.0
	s_xor_b32 exec_lo, exec_lo, s12
	s_cbranch_execz .LBB344_42
; %bb.41:
	v_add_co_u32 v35, s11, 0x800, v5
	v_add_co_ci_u32_e64 v36, null, 0, v6, s11
	global_load_dword v37, v[35:36], off offset:512
	v_add_co_u32 v35, s11, 0x800, v3
	v_add_co_ci_u32_e64 v36, null, 0, v4, s11
	global_load_dword v13, v[35:36], off offset:512
	s_waitcnt vmcnt(1)
	v_mul_f32_e32 v35, 0x3fb8aa3b, v37
	v_cmp_ngt_f32_e64 s11, 0xc2ce8ed0, v37
	v_fma_f32 v36, 0x3fb8aa3b, v37, -v35
	v_rndne_f32_e32 v38, v35
	v_fmamk_f32 v36, v37, 0x32a5705f, v36
	v_sub_f32_e32 v35, v35, v38
	v_add_f32_e32 v35, v35, v36
	v_cvt_i32_f32_e32 v36, v38
	v_exp_f32_e32 v35, v35
	v_ldexp_f32 v35, v35, v36
	v_cndmask_b32_e64 v35, 0, v35, s11
	v_cmp_nlt_f32_e64 s11, 0x42b17218, v37
	v_cndmask_b32_e64 v35, 0x7f800000, v35, s11
.LBB344_42:
	;; [unrolled: 37-line block ×6, first 2 shown]
	s_or_b32 exec_lo, exec_lo, s18
	v_or_b32_e32 v0, 0x3c0, v0
	v_cmp_gt_i32_e64 s15, s22, v0
	s_and_b32 s4, s4, s15
	s_xor_b32 s4, s4, -1
	s_and_saveexec_b32 s18, s4
	s_xor_b32 s4, exec_lo, s18
; %bb.59:
	s_mov_b32 s18, 0
                                        ; implicit-def: $vgpr3
                                        ; implicit-def: $vgpr5
	v_mov_b32_e32 v9, s18
; %bb.60:
	s_or_saveexec_b32 s18, s4
	v_mov_b32_e32 v39, 1.0
	s_xor_b32 exec_lo, exec_lo, s18
	s_cbranch_execz .LBB344_62
; %bb.61:
	v_add_co_u32 v5, s4, 0x800, v5
	v_add_co_ci_u32_e64 v6, null, 0, v6, s4
	v_add_co_u32 v3, s4, 0x800, v3
	v_add_co_ci_u32_e64 v4, null, 0, v4, s4
	global_load_dword v0, v[5:6], off offset:1792
	global_load_dword v9, v[3:4], off offset:1792
	s_waitcnt vmcnt(1)
	v_mul_f32_e32 v3, 0x3fb8aa3b, v0
	v_cmp_ngt_f32_e64 s4, 0xc2ce8ed0, v0
	v_fma_f32 v4, 0x3fb8aa3b, v0, -v3
	v_rndne_f32_e32 v5, v3
	v_fmamk_f32 v4, v0, 0x32a5705f, v4
	v_sub_f32_e32 v3, v3, v5
	v_add_f32_e32 v3, v3, v4
	v_cvt_i32_f32_e32 v4, v5
	v_exp_f32_e32 v3, v3
	v_ldexp_f32 v3, v3, v4
	v_cndmask_b32_e64 v3, 0, v3, s4
	v_cmp_nlt_f32_e64 s4, 0x42b17218, v0
	v_cndmask_b32_e64 v39, 0x7f800000, v3, s4
.LBB344_62:
	s_or_b32 exec_lo, exec_lo, s18
	s_waitcnt vmcnt(1)
	v_add_f32_e32 v0, 0, v21
	v_mbcnt_lo_u32_b32 v3, -1, 0
	s_mov_b32 s18, exec_lo
	s_waitcnt vmcnt(0)
	v_add_f32_e32 v0, v0, v25
	v_or_b32_e32 v4, 32, v3
	v_xor_b32_e32 v5, 16, v3
	v_add_f32_e32 v0, v0, v24
	v_cmp_gt_i32_e64 s4, 64, v4
	v_add_f32_e32 v0, v0, v22
	v_cndmask_b32_e64 v4, v3, v4, s4
	v_cmp_gt_i32_e64 s4, 64, v5
	v_add_f32_e32 v0, v0, v19
	v_lshlrev_b32_e32 v4, 2, v4
	v_cndmask_b32_e64 v5, v3, v5, s4
	v_add_f32_e32 v0, v0, v18
	v_lshlrev_b32_e32 v5, 2, v5
	v_add_f32_e32 v0, v0, v17
	v_add_f32_e32 v0, v0, v16
	;; [unrolled: 1-line block ×10, first 2 shown]
	ds_bpermute_b32 v4, v4, v0
	s_waitcnt lgkmcnt(0)
	v_add_f32_e32 v0, v0, v4
	ds_bpermute_b32 v4, v5, v0
	v_xor_b32_e32 v5, 8, v3
	v_cmp_gt_i32_e64 s4, 64, v5
	v_cndmask_b32_e64 v5, v3, v5, s4
	v_lshlrev_b32_e32 v5, 2, v5
	s_waitcnt lgkmcnt(0)
	v_add_f32_e32 v0, v0, v4
	ds_bpermute_b32 v4, v5, v0
	v_xor_b32_e32 v5, 4, v3
	v_cmp_gt_i32_e64 s4, 64, v5
	v_cndmask_b32_e64 v5, v3, v5, s4
	v_lshlrev_b32_e32 v5, 2, v5
	;; [unrolled: 7-line block ×3, first 2 shown]
	s_waitcnt lgkmcnt(0)
	v_add_f32_e32 v0, v0, v4
	ds_bpermute_b32 v4, v5, v0
	v_xor_b32_e32 v5, 1, v3
	v_cmp_gt_i32_e64 s4, 64, v5
	v_cndmask_b32_e64 v5, v3, v5, s4
	s_waitcnt lgkmcnt(0)
	v_add_f32_e32 v3, v0, v4
	v_lshlrev_b32_e32 v0, 2, v5
	ds_bpermute_b32 v4, v0, v3
	v_cmpx_lt_i32_e32 0, v23
	s_cbranch_execz .LBB344_80
; %bb.63:
	v_lshlrev_b64 v[0:1], 1, v[1:2]
	s_waitcnt lgkmcnt(0)
	v_add_f32_e32 v2, v3, v4
	v_add_co_u32 v0, s4, s16, v0
	v_add_co_ci_u32_e64 v1, null, s17, v1, s4
	s_and_saveexec_b32 s4, vcc_lo
	s_cbranch_execnz .LBB344_81
; %bb.64:
	s_or_b32 exec_lo, exec_lo, s4
	s_and_saveexec_b32 s4, s0
	s_cbranch_execnz .LBB344_82
.LBB344_65:
	s_or_b32 exec_lo, exec_lo, s4
	s_and_saveexec_b32 s0, s1
	s_cbranch_execnz .LBB344_83
.LBB344_66:
	s_or_b32 exec_lo, exec_lo, s0
	s_and_saveexec_b32 s0, s2
	s_cbranch_execnz .LBB344_84
.LBB344_67:
	s_or_b32 exec_lo, exec_lo, s0
	s_and_saveexec_b32 s0, s3
	s_cbranch_execnz .LBB344_85
.LBB344_68:
	s_or_b32 exec_lo, exec_lo, s0
	s_and_saveexec_b32 s0, s5
	s_cbranch_execnz .LBB344_86
.LBB344_69:
	s_or_b32 exec_lo, exec_lo, s0
	s_and_saveexec_b32 s0, s6
	s_cbranch_execnz .LBB344_87
.LBB344_70:
	s_or_b32 exec_lo, exec_lo, s0
	s_and_saveexec_b32 s0, s7
	s_cbranch_execnz .LBB344_88
.LBB344_71:
	s_or_b32 exec_lo, exec_lo, s0
	s_and_saveexec_b32 s0, s8
	s_cbranch_execnz .LBB344_89
.LBB344_72:
	s_or_b32 exec_lo, exec_lo, s0
	s_and_saveexec_b32 s0, s9
	s_cbranch_execnz .LBB344_90
.LBB344_73:
	s_or_b32 exec_lo, exec_lo, s0
	s_and_saveexec_b32 s0, s10
	s_cbranch_execnz .LBB344_91
.LBB344_74:
	s_or_b32 exec_lo, exec_lo, s0
	s_and_saveexec_b32 s0, s11
	s_cbranch_execnz .LBB344_92
.LBB344_75:
	s_or_b32 exec_lo, exec_lo, s0
	s_and_saveexec_b32 s0, s12
	s_cbranch_execnz .LBB344_93
.LBB344_76:
	s_or_b32 exec_lo, exec_lo, s0
	s_and_saveexec_b32 s0, s13
	s_cbranch_execnz .LBB344_94
.LBB344_77:
	s_or_b32 exec_lo, exec_lo, s0
	s_and_saveexec_b32 s0, s14
	s_cbranch_execnz .LBB344_95
.LBB344_78:
	s_or_b32 exec_lo, exec_lo, s0
	s_and_b32 exec_lo, exec_lo, s15
	s_cbranch_execz .LBB344_80
.LBB344_79:
	v_fma_f32 v2, -v2, v39, v9
	v_bfe_u32 v3, v2, 16, 1
	v_cmp_o_f32_e32 vcc_lo, v2, v2
	v_add3_u32 v2, v2, v3, 0x7fff
	v_mov_b32_e32 v3, 0x7fc0
	v_cndmask_b32_sdwa v2, v3, v2, vcc_lo dst_sel:DWORD dst_unused:UNUSED_PAD src0_sel:DWORD src1_sel:WORD_1
	global_store_short v[0:1], v2, off offset:1920
.LBB344_80:
	s_endpgm
.LBB344_81:
	v_mul_f32_e32 v3, 0x3fb8aa3b, v20
	v_cmp_ngt_f32_e32 vcc_lo, 0xc2ce8ed0, v20
	v_rndne_f32_e32 v4, v3
	v_fma_f32 v5, 0x3fb8aa3b, v20, -v3
	v_sub_f32_e32 v3, v3, v4
	v_fmamk_f32 v5, v20, 0x32a5705f, v5
	v_cvt_i32_f32_e32 v4, v4
	v_add_f32_e32 v3, v3, v5
	v_exp_f32_e32 v3, v3
	v_ldexp_f32 v3, v3, v4
	v_cndmask_b32_e32 v3, 0, v3, vcc_lo
	v_cmp_nlt_f32_e32 vcc_lo, 0x42b17218, v20
	v_cndmask_b32_e32 v3, 0x7f800000, v3, vcc_lo
	v_fma_f32 v3, -v2, v3, v21
	v_bfe_u32 v4, v3, 16, 1
	v_cmp_o_f32_e32 vcc_lo, v3, v3
	v_add3_u32 v3, v3, v4, 0x7fff
	v_mov_b32_e32 v4, 0x7fc0
	v_cndmask_b32_sdwa v3, v4, v3, vcc_lo dst_sel:DWORD dst_unused:UNUSED_PAD src0_sel:DWORD src1_sel:WORD_1
	global_store_short v[0:1], v3, off
	s_or_b32 exec_lo, exec_lo, s4
	s_and_saveexec_b32 s4, s0
	s_cbranch_execz .LBB344_65
.LBB344_82:
	v_fma_f32 v3, -v2, v26, v25
	v_bfe_u32 v4, v3, 16, 1
	v_cmp_o_f32_e32 vcc_lo, v3, v3
	v_add3_u32 v3, v3, v4, 0x7fff
	v_mov_b32_e32 v4, 0x7fc0
	v_cndmask_b32_sdwa v3, v4, v3, vcc_lo dst_sel:DWORD dst_unused:UNUSED_PAD src0_sel:DWORD src1_sel:WORD_1
	global_store_short v[0:1], v3, off offset:128
	s_or_b32 exec_lo, exec_lo, s4
	s_and_saveexec_b32 s0, s1
	s_cbranch_execz .LBB344_66
.LBB344_83:
	v_fma_f32 v3, -v2, v27, v24
	v_bfe_u32 v4, v3, 16, 1
	v_cmp_o_f32_e32 vcc_lo, v3, v3
	v_add3_u32 v3, v3, v4, 0x7fff
	v_mov_b32_e32 v4, 0x7fc0
	v_cndmask_b32_sdwa v3, v4, v3, vcc_lo dst_sel:DWORD dst_unused:UNUSED_PAD src0_sel:DWORD src1_sel:WORD_1
	global_store_short v[0:1], v3, off offset:256
	s_or_b32 exec_lo, exec_lo, s0
	s_and_saveexec_b32 s0, s2
	s_cbranch_execz .LBB344_67
.LBB344_84:
	v_fma_f32 v3, -v2, v28, v22
	v_bfe_u32 v4, v3, 16, 1
	v_cmp_o_f32_e32 vcc_lo, v3, v3
	v_add3_u32 v3, v3, v4, 0x7fff
	v_mov_b32_e32 v4, 0x7fc0
	v_cndmask_b32_sdwa v3, v4, v3, vcc_lo dst_sel:DWORD dst_unused:UNUSED_PAD src0_sel:DWORD src1_sel:WORD_1
	global_store_short v[0:1], v3, off offset:384
	s_or_b32 exec_lo, exec_lo, s0
	s_and_saveexec_b32 s0, s3
	s_cbranch_execz .LBB344_68
.LBB344_85:
	v_fma_f32 v3, -v2, v29, v19
	v_bfe_u32 v4, v3, 16, 1
	v_cmp_o_f32_e32 vcc_lo, v3, v3
	v_add3_u32 v3, v3, v4, 0x7fff
	v_mov_b32_e32 v4, 0x7fc0
	v_cndmask_b32_sdwa v3, v4, v3, vcc_lo dst_sel:DWORD dst_unused:UNUSED_PAD src0_sel:DWORD src1_sel:WORD_1
	global_store_short v[0:1], v3, off offset:512
	s_or_b32 exec_lo, exec_lo, s0
	s_and_saveexec_b32 s0, s5
	s_cbranch_execz .LBB344_69
.LBB344_86:
	v_fma_f32 v3, -v2, v30, v18
	v_bfe_u32 v4, v3, 16, 1
	v_cmp_o_f32_e32 vcc_lo, v3, v3
	v_add3_u32 v3, v3, v4, 0x7fff
	v_mov_b32_e32 v4, 0x7fc0
	v_cndmask_b32_sdwa v3, v4, v3, vcc_lo dst_sel:DWORD dst_unused:UNUSED_PAD src0_sel:DWORD src1_sel:WORD_1
	global_store_short v[0:1], v3, off offset:640
	s_or_b32 exec_lo, exec_lo, s0
	s_and_saveexec_b32 s0, s6
	s_cbranch_execz .LBB344_70
.LBB344_87:
	v_fma_f32 v3, -v2, v31, v17
	v_bfe_u32 v4, v3, 16, 1
	v_cmp_o_f32_e32 vcc_lo, v3, v3
	v_add3_u32 v3, v3, v4, 0x7fff
	v_mov_b32_e32 v4, 0x7fc0
	v_cndmask_b32_sdwa v3, v4, v3, vcc_lo dst_sel:DWORD dst_unused:UNUSED_PAD src0_sel:DWORD src1_sel:WORD_1
	global_store_short v[0:1], v3, off offset:768
	s_or_b32 exec_lo, exec_lo, s0
	s_and_saveexec_b32 s0, s7
	s_cbranch_execz .LBB344_71
.LBB344_88:
	v_fma_f32 v3, -v2, v32, v16
	v_bfe_u32 v4, v3, 16, 1
	v_cmp_o_f32_e32 vcc_lo, v3, v3
	v_add3_u32 v3, v3, v4, 0x7fff
	v_mov_b32_e32 v4, 0x7fc0
	v_cndmask_b32_sdwa v3, v4, v3, vcc_lo dst_sel:DWORD dst_unused:UNUSED_PAD src0_sel:DWORD src1_sel:WORD_1
	global_store_short v[0:1], v3, off offset:896
	s_or_b32 exec_lo, exec_lo, s0
	s_and_saveexec_b32 s0, s8
	s_cbranch_execz .LBB344_72
.LBB344_89:
	v_fma_f32 v3, -v2, v33, v15
	v_bfe_u32 v4, v3, 16, 1
	v_cmp_o_f32_e32 vcc_lo, v3, v3
	v_add3_u32 v3, v3, v4, 0x7fff
	v_mov_b32_e32 v4, 0x7fc0
	v_cndmask_b32_sdwa v3, v4, v3, vcc_lo dst_sel:DWORD dst_unused:UNUSED_PAD src0_sel:DWORD src1_sel:WORD_1
	global_store_short v[0:1], v3, off offset:1024
	s_or_b32 exec_lo, exec_lo, s0
	s_and_saveexec_b32 s0, s9
	s_cbranch_execz .LBB344_73
.LBB344_90:
	v_fma_f32 v3, -v2, v34, v14
	v_bfe_u32 v4, v3, 16, 1
	v_cmp_o_f32_e32 vcc_lo, v3, v3
	v_add3_u32 v3, v3, v4, 0x7fff
	v_mov_b32_e32 v4, 0x7fc0
	v_cndmask_b32_sdwa v3, v4, v3, vcc_lo dst_sel:DWORD dst_unused:UNUSED_PAD src0_sel:DWORD src1_sel:WORD_1
	global_store_short v[0:1], v3, off offset:1152
	s_or_b32 exec_lo, exec_lo, s0
	s_and_saveexec_b32 s0, s10
	s_cbranch_execz .LBB344_74
.LBB344_91:
	v_fma_f32 v3, -v2, v35, v13
	v_bfe_u32 v4, v3, 16, 1
	v_cmp_o_f32_e32 vcc_lo, v3, v3
	v_add3_u32 v3, v3, v4, 0x7fff
	v_mov_b32_e32 v4, 0x7fc0
	v_cndmask_b32_sdwa v3, v4, v3, vcc_lo dst_sel:DWORD dst_unused:UNUSED_PAD src0_sel:DWORD src1_sel:WORD_1
	global_store_short v[0:1], v3, off offset:1280
	s_or_b32 exec_lo, exec_lo, s0
	s_and_saveexec_b32 s0, s11
	s_cbranch_execz .LBB344_75
.LBB344_92:
	v_fma_f32 v3, -v2, v36, v12
	v_bfe_u32 v4, v3, 16, 1
	v_cmp_o_f32_e32 vcc_lo, v3, v3
	v_add3_u32 v3, v3, v4, 0x7fff
	v_mov_b32_e32 v4, 0x7fc0
	v_cndmask_b32_sdwa v3, v4, v3, vcc_lo dst_sel:DWORD dst_unused:UNUSED_PAD src0_sel:DWORD src1_sel:WORD_1
	global_store_short v[0:1], v3, off offset:1408
	s_or_b32 exec_lo, exec_lo, s0
	s_and_saveexec_b32 s0, s12
	s_cbranch_execz .LBB344_76
.LBB344_93:
	v_fma_f32 v3, -v2, v37, v11
	v_bfe_u32 v4, v3, 16, 1
	v_cmp_o_f32_e32 vcc_lo, v3, v3
	v_add3_u32 v3, v3, v4, 0x7fff
	v_mov_b32_e32 v4, 0x7fc0
	v_cndmask_b32_sdwa v3, v4, v3, vcc_lo dst_sel:DWORD dst_unused:UNUSED_PAD src0_sel:DWORD src1_sel:WORD_1
	global_store_short v[0:1], v3, off offset:1536
	s_or_b32 exec_lo, exec_lo, s0
	s_and_saveexec_b32 s0, s13
	s_cbranch_execz .LBB344_77
.LBB344_94:
	v_fma_f32 v3, -v2, v38, v10
	v_bfe_u32 v4, v3, 16, 1
	v_cmp_o_f32_e32 vcc_lo, v3, v3
	v_add3_u32 v3, v3, v4, 0x7fff
	v_mov_b32_e32 v4, 0x7fc0
	v_cndmask_b32_sdwa v3, v4, v3, vcc_lo dst_sel:DWORD dst_unused:UNUSED_PAD src0_sel:DWORD src1_sel:WORD_1
	global_store_short v[0:1], v3, off offset:1664
	s_or_b32 exec_lo, exec_lo, s0
	s_and_saveexec_b32 s0, s14
	s_cbranch_execz .LBB344_78
.LBB344_95:
	v_fma_f32 v3, -v2, v7, v8
	v_bfe_u32 v4, v3, 16, 1
	v_cmp_o_f32_e32 vcc_lo, v3, v3
	v_add3_u32 v3, v3, v4, 0x7fff
	v_mov_b32_e32 v4, 0x7fc0
	v_cndmask_b32_sdwa v3, v4, v3, vcc_lo dst_sel:DWORD dst_unused:UNUSED_PAD src0_sel:DWORD src1_sel:WORD_1
	global_store_short v[0:1], v3, off offset:1792
	s_or_b32 exec_lo, exec_lo, s0
	s_and_b32 exec_lo, exec_lo, s15
	s_cbranch_execnz .LBB344_79
	s_branch .LBB344_80
	.section	.rodata,"a",@progbits
	.p2align	6, 0x0
	.amdhsa_kernel _ZN12_GLOBAL__N_121softmax_warp_backwardIfN3c108BFloat16EfLi10ELb1ELb0ELi64EEEvPT0_PKT_S7_iiiPKb
		.amdhsa_group_segment_fixed_size 0
		.amdhsa_private_segment_fixed_size 0
		.amdhsa_kernarg_size 304
		.amdhsa_user_sgpr_count 6
		.amdhsa_user_sgpr_private_segment_buffer 1
		.amdhsa_user_sgpr_dispatch_ptr 0
		.amdhsa_user_sgpr_queue_ptr 0
		.amdhsa_user_sgpr_kernarg_segment_ptr 1
		.amdhsa_user_sgpr_dispatch_id 0
		.amdhsa_user_sgpr_flat_scratch_init 0
		.amdhsa_user_sgpr_private_segment_size 0
		.amdhsa_wavefront_size32 1
		.amdhsa_uses_dynamic_stack 0
		.amdhsa_system_sgpr_private_segment_wavefront_offset 0
		.amdhsa_system_sgpr_workgroup_id_x 1
		.amdhsa_system_sgpr_workgroup_id_y 0
		.amdhsa_system_sgpr_workgroup_id_z 0
		.amdhsa_system_sgpr_workgroup_info 0
		.amdhsa_system_vgpr_workitem_id 1
		.amdhsa_next_free_vgpr 42
		.amdhsa_next_free_sgpr 24
		.amdhsa_reserve_vcc 1
		.amdhsa_reserve_flat_scratch 0
		.amdhsa_float_round_mode_32 0
		.amdhsa_float_round_mode_16_64 0
		.amdhsa_float_denorm_mode_32 3
		.amdhsa_float_denorm_mode_16_64 3
		.amdhsa_dx10_clamp 1
		.amdhsa_ieee_mode 1
		.amdhsa_fp16_overflow 0
		.amdhsa_workgroup_processor_mode 1
		.amdhsa_memory_ordered 1
		.amdhsa_forward_progress 1
		.amdhsa_shared_vgpr_count 0
		.amdhsa_exception_fp_ieee_invalid_op 0
		.amdhsa_exception_fp_denorm_src 0
		.amdhsa_exception_fp_ieee_div_zero 0
		.amdhsa_exception_fp_ieee_overflow 0
		.amdhsa_exception_fp_ieee_underflow 0
		.amdhsa_exception_fp_ieee_inexact 0
		.amdhsa_exception_int_div_zero 0
	.end_amdhsa_kernel
	.section	.text._ZN12_GLOBAL__N_121softmax_warp_backwardIfN3c108BFloat16EfLi10ELb1ELb0ELi64EEEvPT0_PKT_S7_iiiPKb,"axG",@progbits,_ZN12_GLOBAL__N_121softmax_warp_backwardIfN3c108BFloat16EfLi10ELb1ELb0ELi64EEEvPT0_PKT_S7_iiiPKb,comdat
.Lfunc_end344:
	.size	_ZN12_GLOBAL__N_121softmax_warp_backwardIfN3c108BFloat16EfLi10ELb1ELb0ELi64EEEvPT0_PKT_S7_iiiPKb, .Lfunc_end344-_ZN12_GLOBAL__N_121softmax_warp_backwardIfN3c108BFloat16EfLi10ELb1ELb0ELi64EEEvPT0_PKT_S7_iiiPKb
                                        ; -- End function
	.set _ZN12_GLOBAL__N_121softmax_warp_backwardIfN3c108BFloat16EfLi10ELb1ELb0ELi64EEEvPT0_PKT_S7_iiiPKb.num_vgpr, 42
	.set _ZN12_GLOBAL__N_121softmax_warp_backwardIfN3c108BFloat16EfLi10ELb1ELb0ELi64EEEvPT0_PKT_S7_iiiPKb.num_agpr, 0
	.set _ZN12_GLOBAL__N_121softmax_warp_backwardIfN3c108BFloat16EfLi10ELb1ELb0ELi64EEEvPT0_PKT_S7_iiiPKb.numbered_sgpr, 24
	.set _ZN12_GLOBAL__N_121softmax_warp_backwardIfN3c108BFloat16EfLi10ELb1ELb0ELi64EEEvPT0_PKT_S7_iiiPKb.num_named_barrier, 0
	.set _ZN12_GLOBAL__N_121softmax_warp_backwardIfN3c108BFloat16EfLi10ELb1ELb0ELi64EEEvPT0_PKT_S7_iiiPKb.private_seg_size, 0
	.set _ZN12_GLOBAL__N_121softmax_warp_backwardIfN3c108BFloat16EfLi10ELb1ELb0ELi64EEEvPT0_PKT_S7_iiiPKb.uses_vcc, 1
	.set _ZN12_GLOBAL__N_121softmax_warp_backwardIfN3c108BFloat16EfLi10ELb1ELb0ELi64EEEvPT0_PKT_S7_iiiPKb.uses_flat_scratch, 0
	.set _ZN12_GLOBAL__N_121softmax_warp_backwardIfN3c108BFloat16EfLi10ELb1ELb0ELi64EEEvPT0_PKT_S7_iiiPKb.has_dyn_sized_stack, 0
	.set _ZN12_GLOBAL__N_121softmax_warp_backwardIfN3c108BFloat16EfLi10ELb1ELb0ELi64EEEvPT0_PKT_S7_iiiPKb.has_recursion, 0
	.set _ZN12_GLOBAL__N_121softmax_warp_backwardIfN3c108BFloat16EfLi10ELb1ELb0ELi64EEEvPT0_PKT_S7_iiiPKb.has_indirect_call, 0
	.section	.AMDGPU.csdata,"",@progbits
; Kernel info:
; codeLenInByte = 4896
; TotalNumSgprs: 26
; NumVgprs: 42
; ScratchSize: 0
; MemoryBound: 0
; FloatMode: 240
; IeeeMode: 1
; LDSByteSize: 0 bytes/workgroup (compile time only)
; SGPRBlocks: 0
; VGPRBlocks: 5
; NumSGPRsForWavesPerEU: 26
; NumVGPRsForWavesPerEU: 42
; Occupancy: 16
; WaveLimiterHint : 0
; COMPUTE_PGM_RSRC2:SCRATCH_EN: 0
; COMPUTE_PGM_RSRC2:USER_SGPR: 6
; COMPUTE_PGM_RSRC2:TRAP_HANDLER: 0
; COMPUTE_PGM_RSRC2:TGID_X_EN: 1
; COMPUTE_PGM_RSRC2:TGID_Y_EN: 0
; COMPUTE_PGM_RSRC2:TGID_Z_EN: 0
; COMPUTE_PGM_RSRC2:TIDIG_COMP_CNT: 1
	.section	.text._ZN12_GLOBAL__N_121softmax_warp_backwardIfN3c108BFloat16EfLi10ELb1ELb0ELi32EEEvPT0_PKT_S7_iiiPKb,"axG",@progbits,_ZN12_GLOBAL__N_121softmax_warp_backwardIfN3c108BFloat16EfLi10ELb1ELb0ELi32EEEvPT0_PKT_S7_iiiPKb,comdat
	.globl	_ZN12_GLOBAL__N_121softmax_warp_backwardIfN3c108BFloat16EfLi10ELb1ELb0ELi32EEEvPT0_PKT_S7_iiiPKb ; -- Begin function _ZN12_GLOBAL__N_121softmax_warp_backwardIfN3c108BFloat16EfLi10ELb1ELb0ELi32EEEvPT0_PKT_S7_iiiPKb
	.p2align	8
	.type	_ZN12_GLOBAL__N_121softmax_warp_backwardIfN3c108BFloat16EfLi10ELb1ELb0ELi32EEEvPT0_PKT_S7_iiiPKb,@function
_ZN12_GLOBAL__N_121softmax_warp_backwardIfN3c108BFloat16EfLi10ELb1ELb0ELi32EEEvPT0_PKT_S7_iiiPKb: ; @_ZN12_GLOBAL__N_121softmax_warp_backwardIfN3c108BFloat16EfLi10ELb1ELb0ELi32EEEvPT0_PKT_S7_iiiPKb
; %bb.0:
	s_clause 0x1
	s_load_dword s0, s[4:5], 0x3c
	s_load_dwordx4 s[40:43], s[4:5], 0x18
	v_and_b32_e32 v7, 31, v0
	s_clause 0x1
	s_load_dwordx4 s[36:39], s[4:5], 0x0
	s_load_dwordx2 s[4:5], s[4:5], 0x10
	v_mov_b32_e32 v34, 0
	v_mov_b32_e32 v37, 1.0
	s_waitcnt lgkmcnt(0)
	s_lshr_b32 s0, s0, 16
	v_cmp_gt_i32_e32 vcc_lo, s42, v7
	v_mad_u64_u32 v[3:4], null, s6, s0, v[1:2]
	v_mad_u64_u32 v[1:2], null, v3, s41, v[7:8]
	v_sub_nc_u32_e32 v35, s40, v3
	v_cmp_lt_i32_e64 s3, 0, v35
	v_ashrrev_i32_e32 v2, 31, v1
	v_lshlrev_b64 v[5:6], 2, v[1:2]
	v_add_co_u32 v3, s0, s38, v5
	v_add_co_ci_u32_e64 v4, null, s39, v6, s0
	v_add_co_u32 v5, s0, s4, v5
	v_add_co_ci_u32_e64 v6, null, s5, v6, s0
	s_and_b32 s0, s3, vcc_lo
	s_and_saveexec_b32 s1, s0
	s_cbranch_execz .LBB345_2
; %bb.1:
	global_load_dword v8, v[5:6], off
	global_load_dword v34, v[3:4], off
	s_waitcnt vmcnt(1)
	v_mul_f32_e32 v9, 0x3fb8aa3b, v8
	v_cmp_ngt_f32_e64 s0, 0xc2ce8ed0, v8
	v_rndne_f32_e32 v10, v9
	v_fma_f32 v11, 0x3fb8aa3b, v8, -v9
	v_sub_f32_e32 v9, v9, v10
	v_fmamk_f32 v11, v8, 0x32a5705f, v11
	v_cvt_i32_f32_e32 v10, v10
	v_add_f32_e32 v9, v9, v11
	v_exp_f32_e32 v9, v9
	v_ldexp_f32 v9, v9, v10
	v_cndmask_b32_e64 v9, 0, v9, s0
	v_cmp_nlt_f32_e64 s0, 0x42b17218, v8
	v_cndmask_b32_e64 v37, 0x7f800000, v9, s0
.LBB345_2:
	s_or_b32 exec_lo, exec_lo, s1
	v_or_b32_e32 v8, 32, v7
	v_cmp_gt_i32_e64 s0, s42, v8
	s_and_b32 s1, s3, s0
	s_xor_b32 s1, s1, -1
	s_mov_b32 s2, exec_lo
	s_and_b32 s4, s2, s1
                                        ; implicit-def: $vgpr8
                                        ; implicit-def: $vgpr9
                                        ; implicit-def: $vgpr10
                                        ; implicit-def: $vgpr12
                                        ; implicit-def: $vgpr13
                                        ; implicit-def: $vgpr14
                                        ; implicit-def: $vgpr15
                                        ; implicit-def: $vgpr16
                                        ; implicit-def: $vgpr17
                                        ; implicit-def: $vgpr18
                                        ; implicit-def: $vgpr19
                                        ; implicit-def: $vgpr20
                                        ; implicit-def: $vgpr21
                                        ; implicit-def: $vgpr22
                                        ; implicit-def: $vgpr23
                                        ; implicit-def: $vgpr24
                                        ; implicit-def: $vgpr25
                                        ; implicit-def: $vgpr26
                                        ; implicit-def: $vgpr27
                                        ; implicit-def: $vgpr28
                                        ; implicit-def: $vgpr29
                                        ; implicit-def: $vgpr30
                                        ; implicit-def: $vgpr31
                                        ; implicit-def: $vgpr32
                                        ; implicit-def: $vgpr33
                                        ; implicit-def: $vgpr36
                                        ; implicit-def: $vgpr38
                                        ; implicit-def: $vgpr39
                                        ; implicit-def: $vgpr41
                                        ; implicit-def: $vgpr40
                                        ; implicit-def: $vgpr11
	s_xor_b32 s1, s4, s2
	s_mov_b32 exec_lo, s4
; %bb.3:
	s_mov_b32 s2, 0
                                        ; implicit-def: $vgpr8
                                        ; implicit-def: $vgpr9
                                        ; implicit-def: $vgpr10
                                        ; implicit-def: $vgpr12
                                        ; implicit-def: $vgpr13
                                        ; implicit-def: $vgpr14
                                        ; implicit-def: $vgpr15
                                        ; implicit-def: $vgpr16
                                        ; implicit-def: $vgpr17
                                        ; implicit-def: $vgpr18
                                        ; implicit-def: $vgpr19
                                        ; implicit-def: $vgpr20
                                        ; implicit-def: $vgpr21
                                        ; implicit-def: $vgpr22
                                        ; implicit-def: $vgpr23
                                        ; implicit-def: $vgpr24
                                        ; implicit-def: $vgpr25
                                        ; implicit-def: $vgpr26
                                        ; implicit-def: $vgpr27
                                        ; implicit-def: $vgpr28
                                        ; implicit-def: $vgpr29
                                        ; implicit-def: $vgpr30
                                        ; implicit-def: $vgpr31
                                        ; implicit-def: $vgpr32
                                        ; implicit-def: $vgpr33
                                        ; implicit-def: $vgpr36
                                        ; implicit-def: $vgpr38
                                        ; implicit-def: $vgpr39
                                        ; implicit-def: $vgpr41
                                        ; implicit-def: $vgpr11
	v_mov_b32_e32 v40, s2
; %bb.4:
	s_or_saveexec_b32 s2, s1
	v_mov_b32_e32 v42, 1.0
	s_xor_b32 exec_lo, exec_lo, s2
	s_cbranch_execz .LBB345_6
; %bb.5:
	global_load_dword v42, v[5:6], off offset:128
	global_load_dword v40, v[3:4], off offset:128
	s_waitcnt vmcnt(1)
	v_mul_f32_e32 v43, 0x3fb8aa3b, v42
	v_cmp_ngt_f32_e64 s1, 0xc2ce8ed0, v42
	v_rndne_f32_e32 v44, v43
	v_fma_f32 v45, 0x3fb8aa3b, v42, -v43
	v_sub_f32_e32 v43, v43, v44
	v_fmamk_f32 v45, v42, 0x32a5705f, v45
	v_cvt_i32_f32_e32 v44, v44
	v_add_f32_e32 v43, v43, v45
	v_exp_f32_e32 v43, v43
	v_ldexp_f32 v43, v43, v44
	v_cndmask_b32_e64 v43, 0, v43, s1
	v_cmp_nlt_f32_e64 s1, 0x42b17218, v42
	v_cndmask_b32_e64 v42, 0x7f800000, v43, s1
.LBB345_6:
	s_or_b32 exec_lo, exec_lo, s2
	v_or_b32_e32 v43, 64, v7
	v_cmp_gt_i32_e64 s1, s42, v43
	s_and_b32 s2, s3, s1
	s_xor_b32 s2, s2, -1
	s_and_saveexec_b32 s4, s2
	s_xor_b32 s2, exec_lo, s4
; %bb.7:
	s_mov_b32 s4, 0
	v_mov_b32_e32 v41, s4
; %bb.8:
	s_or_saveexec_b32 s4, s2
	v_mov_b32_e32 v43, 1.0
	s_xor_b32 exec_lo, exec_lo, s4
	s_cbranch_execz .LBB345_10
; %bb.9:
	global_load_dword v43, v[5:6], off offset:256
	global_load_dword v41, v[3:4], off offset:256
	s_waitcnt vmcnt(1)
	v_mul_f32_e32 v44, 0x3fb8aa3b, v43
	v_cmp_ngt_f32_e64 s2, 0xc2ce8ed0, v43
	v_rndne_f32_e32 v45, v44
	v_fma_f32 v46, 0x3fb8aa3b, v43, -v44
	v_sub_f32_e32 v44, v44, v45
	v_fmamk_f32 v46, v43, 0x32a5705f, v46
	v_cvt_i32_f32_e32 v45, v45
	v_add_f32_e32 v44, v44, v46
	v_exp_f32_e32 v44, v44
	v_ldexp_f32 v44, v44, v45
	v_cndmask_b32_e64 v44, 0, v44, s2
	v_cmp_nlt_f32_e64 s2, 0x42b17218, v43
	v_cndmask_b32_e64 v43, 0x7f800000, v44, s2
.LBB345_10:
	s_or_b32 exec_lo, exec_lo, s4
	v_or_b32_e32 v44, 0x60, v7
	v_cmp_gt_i32_e64 s2, s42, v44
	s_and_b32 s4, s3, s2
	s_xor_b32 s4, s4, -1
	s_and_saveexec_b32 s5, s4
	s_xor_b32 s4, exec_lo, s5
; %bb.11:
	s_mov_b32 s5, 0
	v_mov_b32_e32 v39, s5
; %bb.12:
	s_or_saveexec_b32 s5, s4
	v_mov_b32_e32 v44, 1.0
	s_xor_b32 exec_lo, exec_lo, s5
	s_cbranch_execz .LBB345_14
; %bb.13:
	global_load_dword v44, v[5:6], off offset:384
	global_load_dword v39, v[3:4], off offset:384
	s_waitcnt vmcnt(1)
	v_mul_f32_e32 v45, 0x3fb8aa3b, v44
	v_cmp_ngt_f32_e64 s4, 0xc2ce8ed0, v44
	v_rndne_f32_e32 v46, v45
	v_fma_f32 v47, 0x3fb8aa3b, v44, -v45
	v_sub_f32_e32 v45, v45, v46
	v_fmamk_f32 v47, v44, 0x32a5705f, v47
	v_cvt_i32_f32_e32 v46, v46
	v_add_f32_e32 v45, v45, v47
	v_exp_f32_e32 v45, v45
	v_ldexp_f32 v45, v45, v46
	v_cndmask_b32_e64 v45, 0, v45, s4
	v_cmp_nlt_f32_e64 s4, 0x42b17218, v44
	v_cndmask_b32_e64 v44, 0x7f800000, v45, s4
.LBB345_14:
	s_or_b32 exec_lo, exec_lo, s5
	v_or_b32_e32 v45, 0x80, v7
	v_cmp_gt_i32_e64 s4, s42, v45
	s_and_b32 s5, s3, s4
	s_xor_b32 s5, s5, -1
	s_and_saveexec_b32 s6, s5
	s_xor_b32 s5, exec_lo, s6
; %bb.15:
	s_mov_b32 s6, 0
	v_mov_b32_e32 v38, s6
; %bb.16:
	s_or_saveexec_b32 s6, s5
	v_mov_b32_e32 v45, 1.0
	s_xor_b32 exec_lo, exec_lo, s6
	s_cbranch_execz .LBB345_18
; %bb.17:
	global_load_dword v45, v[5:6], off offset:512
	global_load_dword v38, v[3:4], off offset:512
	s_waitcnt vmcnt(1)
	v_mul_f32_e32 v46, 0x3fb8aa3b, v45
	v_cmp_ngt_f32_e64 s5, 0xc2ce8ed0, v45
	v_rndne_f32_e32 v47, v46
	v_fma_f32 v48, 0x3fb8aa3b, v45, -v46
	v_sub_f32_e32 v46, v46, v47
	v_fmamk_f32 v48, v45, 0x32a5705f, v48
	v_cvt_i32_f32_e32 v47, v47
	v_add_f32_e32 v46, v46, v48
	v_exp_f32_e32 v46, v46
	v_ldexp_f32 v46, v46, v47
	v_cndmask_b32_e64 v46, 0, v46, s5
	v_cmp_nlt_f32_e64 s5, 0x42b17218, v45
	v_cndmask_b32_e64 v45, 0x7f800000, v46, s5
.LBB345_18:
	s_or_b32 exec_lo, exec_lo, s6
	v_or_b32_e32 v46, 0xa0, v7
	v_cmp_gt_i32_e64 s5, s42, v46
	s_and_b32 s6, s3, s5
	s_xor_b32 s6, s6, -1
	s_and_saveexec_b32 s7, s6
	s_xor_b32 s6, exec_lo, s7
; %bb.19:
	s_mov_b32 s7, 0
	v_mov_b32_e32 v36, s7
; %bb.20:
	s_or_saveexec_b32 s7, s6
	v_mov_b32_e32 v46, 1.0
	s_xor_b32 exec_lo, exec_lo, s7
	s_cbranch_execz .LBB345_22
; %bb.21:
	global_load_dword v46, v[5:6], off offset:640
	global_load_dword v36, v[3:4], off offset:640
	s_waitcnt vmcnt(1)
	v_mul_f32_e32 v47, 0x3fb8aa3b, v46
	v_cmp_ngt_f32_e64 s6, 0xc2ce8ed0, v46
	v_rndne_f32_e32 v48, v47
	v_fma_f32 v49, 0x3fb8aa3b, v46, -v47
	v_sub_f32_e32 v47, v47, v48
	v_fmamk_f32 v49, v46, 0x32a5705f, v49
	v_cvt_i32_f32_e32 v48, v48
	v_add_f32_e32 v47, v47, v49
	v_exp_f32_e32 v47, v47
	v_ldexp_f32 v47, v47, v48
	v_cndmask_b32_e64 v47, 0, v47, s6
	v_cmp_nlt_f32_e64 s6, 0x42b17218, v46
	v_cndmask_b32_e64 v46, 0x7f800000, v47, s6
.LBB345_22:
	s_or_b32 exec_lo, exec_lo, s7
	v_or_b32_e32 v47, 0xc0, v7
	v_cmp_gt_i32_e64 s6, s42, v47
	s_and_b32 s7, s3, s6
	s_xor_b32 s7, s7, -1
	s_and_saveexec_b32 s8, s7
	s_xor_b32 s7, exec_lo, s8
; %bb.23:
	s_mov_b32 s8, 0
	v_mov_b32_e32 v33, s8
; %bb.24:
	s_or_saveexec_b32 s8, s7
	v_mov_b32_e32 v47, 1.0
	s_xor_b32 exec_lo, exec_lo, s8
	s_cbranch_execz .LBB345_26
; %bb.25:
	global_load_dword v47, v[5:6], off offset:768
	global_load_dword v33, v[3:4], off offset:768
	s_waitcnt vmcnt(1)
	v_mul_f32_e32 v48, 0x3fb8aa3b, v47
	v_cmp_ngt_f32_e64 s7, 0xc2ce8ed0, v47
	v_rndne_f32_e32 v49, v48
	v_fma_f32 v50, 0x3fb8aa3b, v47, -v48
	v_sub_f32_e32 v48, v48, v49
	v_fmamk_f32 v50, v47, 0x32a5705f, v50
	v_cvt_i32_f32_e32 v49, v49
	v_add_f32_e32 v48, v48, v50
	v_exp_f32_e32 v48, v48
	v_ldexp_f32 v48, v48, v49
	v_cndmask_b32_e64 v48, 0, v48, s7
	v_cmp_nlt_f32_e64 s7, 0x42b17218, v47
	v_cndmask_b32_e64 v47, 0x7f800000, v48, s7
.LBB345_26:
	s_or_b32 exec_lo, exec_lo, s8
	v_or_b32_e32 v48, 0xe0, v7
	v_cmp_gt_i32_e64 s7, s42, v48
	s_and_b32 s8, s3, s7
	s_xor_b32 s8, s8, -1
	s_and_saveexec_b32 s9, s8
	s_xor_b32 s8, exec_lo, s9
; %bb.27:
	s_mov_b32 s9, 0
	v_mov_b32_e32 v32, s9
; %bb.28:
	s_or_saveexec_b32 s9, s8
	v_mov_b32_e32 v48, 1.0
	s_xor_b32 exec_lo, exec_lo, s9
	s_cbranch_execz .LBB345_30
; %bb.29:
	global_load_dword v48, v[5:6], off offset:896
	global_load_dword v32, v[3:4], off offset:896
	s_waitcnt vmcnt(1)
	v_mul_f32_e32 v49, 0x3fb8aa3b, v48
	v_cmp_ngt_f32_e64 s8, 0xc2ce8ed0, v48
	v_rndne_f32_e32 v50, v49
	v_fma_f32 v51, 0x3fb8aa3b, v48, -v49
	v_sub_f32_e32 v49, v49, v50
	v_fmamk_f32 v51, v48, 0x32a5705f, v51
	v_cvt_i32_f32_e32 v50, v50
	v_add_f32_e32 v49, v49, v51
	v_exp_f32_e32 v49, v49
	v_ldexp_f32 v49, v49, v50
	v_cndmask_b32_e64 v49, 0, v49, s8
	v_cmp_nlt_f32_e64 s8, 0x42b17218, v48
	v_cndmask_b32_e64 v48, 0x7f800000, v49, s8
.LBB345_30:
	s_or_b32 exec_lo, exec_lo, s9
	v_or_b32_e32 v49, 0x100, v7
	v_cmp_gt_i32_e64 s8, s42, v49
	s_and_b32 s9, s3, s8
	s_xor_b32 s9, s9, -1
	s_and_saveexec_b32 s10, s9
	s_xor_b32 s9, exec_lo, s10
; %bb.31:
	s_mov_b32 s10, 0
	v_mov_b32_e32 v31, s10
; %bb.32:
	s_or_saveexec_b32 s10, s9
	v_mov_b32_e32 v49, 1.0
	s_xor_b32 exec_lo, exec_lo, s10
	s_cbranch_execz .LBB345_34
; %bb.33:
	global_load_dword v49, v[5:6], off offset:1024
	global_load_dword v31, v[3:4], off offset:1024
	s_waitcnt vmcnt(1)
	v_mul_f32_e32 v50, 0x3fb8aa3b, v49
	v_cmp_ngt_f32_e64 s9, 0xc2ce8ed0, v49
	v_rndne_f32_e32 v51, v50
	v_fma_f32 v52, 0x3fb8aa3b, v49, -v50
	v_sub_f32_e32 v50, v50, v51
	v_fmamk_f32 v52, v49, 0x32a5705f, v52
	v_cvt_i32_f32_e32 v51, v51
	v_add_f32_e32 v50, v50, v52
	v_exp_f32_e32 v50, v50
	v_ldexp_f32 v50, v50, v51
	v_cndmask_b32_e64 v50, 0, v50, s9
	v_cmp_nlt_f32_e64 s9, 0x42b17218, v49
	v_cndmask_b32_e64 v49, 0x7f800000, v50, s9
.LBB345_34:
	s_or_b32 exec_lo, exec_lo, s10
	v_or_b32_e32 v50, 0x120, v7
	v_cmp_gt_i32_e64 s9, s42, v50
	s_and_b32 s10, s3, s9
	s_xor_b32 s10, s10, -1
	s_and_saveexec_b32 s11, s10
	s_xor_b32 s10, exec_lo, s11
; %bb.35:
	s_mov_b32 s11, 0
	v_mov_b32_e32 v30, s11
; %bb.36:
	s_or_saveexec_b32 s11, s10
	v_mov_b32_e32 v50, 1.0
	s_xor_b32 exec_lo, exec_lo, s11
	s_cbranch_execz .LBB345_38
; %bb.37:
	global_load_dword v50, v[5:6], off offset:1152
	global_load_dword v30, v[3:4], off offset:1152
	s_waitcnt vmcnt(1)
	v_mul_f32_e32 v51, 0x3fb8aa3b, v50
	v_cmp_ngt_f32_e64 s10, 0xc2ce8ed0, v50
	v_rndne_f32_e32 v52, v51
	v_fma_f32 v53, 0x3fb8aa3b, v50, -v51
	v_sub_f32_e32 v51, v51, v52
	v_fmamk_f32 v53, v50, 0x32a5705f, v53
	v_cvt_i32_f32_e32 v52, v52
	v_add_f32_e32 v51, v51, v53
	v_exp_f32_e32 v51, v51
	v_ldexp_f32 v51, v51, v52
	v_cndmask_b32_e64 v51, 0, v51, s10
	v_cmp_nlt_f32_e64 s10, 0x42b17218, v50
	v_cndmask_b32_e64 v50, 0x7f800000, v51, s10
.LBB345_38:
	s_or_b32 exec_lo, exec_lo, s11
	v_or_b32_e32 v51, 0x140, v7
	v_cmp_gt_i32_e64 s10, s42, v51
	s_and_b32 s11, s3, s10
	s_xor_b32 s11, s11, -1
	s_and_saveexec_b32 s12, s11
	s_xor_b32 s11, exec_lo, s12
; %bb.39:
	s_mov_b32 s12, 0
	v_mov_b32_e32 v29, s12
; %bb.40:
	s_or_saveexec_b32 s12, s11
	v_mov_b32_e32 v51, 1.0
	s_xor_b32 exec_lo, exec_lo, s12
	s_cbranch_execz .LBB345_42
; %bb.41:
	global_load_dword v51, v[5:6], off offset:1280
	global_load_dword v29, v[3:4], off offset:1280
	s_waitcnt vmcnt(1)
	v_mul_f32_e32 v52, 0x3fb8aa3b, v51
	v_cmp_ngt_f32_e64 s11, 0xc2ce8ed0, v51
	v_rndne_f32_e32 v53, v52
	v_fma_f32 v54, 0x3fb8aa3b, v51, -v52
	v_sub_f32_e32 v52, v52, v53
	v_fmamk_f32 v54, v51, 0x32a5705f, v54
	v_cvt_i32_f32_e32 v53, v53
	v_add_f32_e32 v52, v52, v54
	v_exp_f32_e32 v52, v52
	v_ldexp_f32 v52, v52, v53
	v_cndmask_b32_e64 v52, 0, v52, s11
	v_cmp_nlt_f32_e64 s11, 0x42b17218, v51
	v_cndmask_b32_e64 v51, 0x7f800000, v52, s11
.LBB345_42:
	s_or_b32 exec_lo, exec_lo, s12
	v_or_b32_e32 v52, 0x160, v7
	v_cmp_gt_i32_e64 s11, s42, v52
	s_and_b32 s12, s3, s11
	s_xor_b32 s12, s12, -1
	s_and_saveexec_b32 s13, s12
	s_xor_b32 s12, exec_lo, s13
; %bb.43:
	s_mov_b32 s13, 0
	v_mov_b32_e32 v28, s13
; %bb.44:
	s_or_saveexec_b32 s13, s12
	v_mov_b32_e32 v52, 1.0
	s_xor_b32 exec_lo, exec_lo, s13
	s_cbranch_execz .LBB345_46
; %bb.45:
	global_load_dword v52, v[5:6], off offset:1408
	global_load_dword v28, v[3:4], off offset:1408
	s_waitcnt vmcnt(1)
	v_mul_f32_e32 v53, 0x3fb8aa3b, v52
	v_cmp_ngt_f32_e64 s12, 0xc2ce8ed0, v52
	v_rndne_f32_e32 v54, v53
	v_fma_f32 v55, 0x3fb8aa3b, v52, -v53
	v_sub_f32_e32 v53, v53, v54
	v_fmamk_f32 v55, v52, 0x32a5705f, v55
	v_cvt_i32_f32_e32 v54, v54
	v_add_f32_e32 v53, v53, v55
	v_exp_f32_e32 v53, v53
	v_ldexp_f32 v53, v53, v54
	v_cndmask_b32_e64 v53, 0, v53, s12
	v_cmp_nlt_f32_e64 s12, 0x42b17218, v52
	v_cndmask_b32_e64 v52, 0x7f800000, v53, s12
.LBB345_46:
	s_or_b32 exec_lo, exec_lo, s13
	v_or_b32_e32 v53, 0x180, v7
	v_cmp_gt_i32_e64 s12, s42, v53
	s_and_b32 s13, s3, s12
	s_xor_b32 s13, s13, -1
	s_and_saveexec_b32 s14, s13
	s_xor_b32 s13, exec_lo, s14
; %bb.47:
	s_mov_b32 s14, 0
	v_mov_b32_e32 v27, s14
; %bb.48:
	s_or_saveexec_b32 s14, s13
	v_mov_b32_e32 v53, 1.0
	s_xor_b32 exec_lo, exec_lo, s14
	s_cbranch_execz .LBB345_50
; %bb.49:
	global_load_dword v53, v[5:6], off offset:1536
	global_load_dword v27, v[3:4], off offset:1536
	s_waitcnt vmcnt(1)
	v_mul_f32_e32 v54, 0x3fb8aa3b, v53
	v_cmp_ngt_f32_e64 s13, 0xc2ce8ed0, v53
	v_rndne_f32_e32 v55, v54
	v_fma_f32 v56, 0x3fb8aa3b, v53, -v54
	v_sub_f32_e32 v54, v54, v55
	v_fmamk_f32 v56, v53, 0x32a5705f, v56
	v_cvt_i32_f32_e32 v55, v55
	v_add_f32_e32 v54, v54, v56
	v_exp_f32_e32 v54, v54
	v_ldexp_f32 v54, v54, v55
	v_cndmask_b32_e64 v54, 0, v54, s13
	v_cmp_nlt_f32_e64 s13, 0x42b17218, v53
	v_cndmask_b32_e64 v53, 0x7f800000, v54, s13
.LBB345_50:
	s_or_b32 exec_lo, exec_lo, s14
	v_or_b32_e32 v54, 0x1a0, v7
	v_cmp_gt_i32_e64 s13, s42, v54
	s_and_b32 s14, s3, s13
	s_xor_b32 s14, s14, -1
	s_and_saveexec_b32 s15, s14
	s_xor_b32 s14, exec_lo, s15
; %bb.51:
	s_mov_b32 s15, 0
	v_mov_b32_e32 v26, s15
; %bb.52:
	s_or_saveexec_b32 s15, s14
	v_mov_b32_e32 v54, 1.0
	s_xor_b32 exec_lo, exec_lo, s15
	s_cbranch_execz .LBB345_54
; %bb.53:
	global_load_dword v54, v[5:6], off offset:1664
	global_load_dword v26, v[3:4], off offset:1664
	s_waitcnt vmcnt(1)
	v_mul_f32_e32 v55, 0x3fb8aa3b, v54
	v_cmp_ngt_f32_e64 s14, 0xc2ce8ed0, v54
	v_rndne_f32_e32 v56, v55
	v_fma_f32 v57, 0x3fb8aa3b, v54, -v55
	v_sub_f32_e32 v55, v55, v56
	v_fmamk_f32 v57, v54, 0x32a5705f, v57
	v_cvt_i32_f32_e32 v56, v56
	v_add_f32_e32 v55, v55, v57
	v_exp_f32_e32 v55, v55
	v_ldexp_f32 v55, v55, v56
	v_cndmask_b32_e64 v55, 0, v55, s14
	v_cmp_nlt_f32_e64 s14, 0x42b17218, v54
	v_cndmask_b32_e64 v54, 0x7f800000, v55, s14
.LBB345_54:
	s_or_b32 exec_lo, exec_lo, s15
	v_or_b32_e32 v55, 0x1c0, v7
	v_cmp_gt_i32_e64 s14, s42, v55
	s_and_b32 s15, s3, s14
	s_xor_b32 s15, s15, -1
	s_and_saveexec_b32 s16, s15
	s_xor_b32 s15, exec_lo, s16
; %bb.55:
	s_mov_b32 s16, 0
	v_mov_b32_e32 v25, s16
; %bb.56:
	s_or_saveexec_b32 s16, s15
	v_mov_b32_e32 v55, 1.0
	s_xor_b32 exec_lo, exec_lo, s16
	s_cbranch_execz .LBB345_58
; %bb.57:
	global_load_dword v55, v[5:6], off offset:1792
	global_load_dword v25, v[3:4], off offset:1792
	s_waitcnt vmcnt(1)
	v_mul_f32_e32 v56, 0x3fb8aa3b, v55
	v_cmp_ngt_f32_e64 s15, 0xc2ce8ed0, v55
	v_rndne_f32_e32 v57, v56
	v_fma_f32 v58, 0x3fb8aa3b, v55, -v56
	v_sub_f32_e32 v56, v56, v57
	v_fmamk_f32 v58, v55, 0x32a5705f, v58
	v_cvt_i32_f32_e32 v57, v57
	v_add_f32_e32 v56, v56, v58
	v_exp_f32_e32 v56, v56
	v_ldexp_f32 v56, v56, v57
	v_cndmask_b32_e64 v56, 0, v56, s15
	v_cmp_nlt_f32_e64 s15, 0x42b17218, v55
	v_cndmask_b32_e64 v55, 0x7f800000, v56, s15
.LBB345_58:
	s_or_b32 exec_lo, exec_lo, s16
	v_or_b32_e32 v56, 0x1e0, v7
	v_cmp_gt_i32_e64 s15, s42, v56
	s_and_b32 s16, s3, s15
	s_xor_b32 s16, s16, -1
	s_and_saveexec_b32 s17, s16
	s_xor_b32 s16, exec_lo, s17
; %bb.59:
	s_mov_b32 s17, 0
	v_mov_b32_e32 v24, s17
; %bb.60:
	s_or_saveexec_b32 s17, s16
	v_mov_b32_e32 v56, 1.0
	s_xor_b32 exec_lo, exec_lo, s17
	s_cbranch_execz .LBB345_62
; %bb.61:
	global_load_dword v56, v[5:6], off offset:1920
	global_load_dword v24, v[3:4], off offset:1920
	s_waitcnt vmcnt(1)
	v_mul_f32_e32 v57, 0x3fb8aa3b, v56
	v_cmp_ngt_f32_e64 s16, 0xc2ce8ed0, v56
	v_rndne_f32_e32 v58, v57
	v_fma_f32 v59, 0x3fb8aa3b, v56, -v57
	v_sub_f32_e32 v57, v57, v58
	v_fmamk_f32 v59, v56, 0x32a5705f, v59
	v_cvt_i32_f32_e32 v58, v58
	v_add_f32_e32 v57, v57, v59
	v_exp_f32_e32 v57, v57
	v_ldexp_f32 v57, v57, v58
	v_cndmask_b32_e64 v57, 0, v57, s16
	v_cmp_nlt_f32_e64 s16, 0x42b17218, v56
	v_cndmask_b32_e64 v56, 0x7f800000, v57, s16
.LBB345_62:
	s_or_b32 exec_lo, exec_lo, s17
	v_or_b32_e32 v57, 0x200, v7
	v_cmp_gt_i32_e64 s16, s42, v57
	s_and_b32 s17, s3, s16
	s_xor_b32 s17, s17, -1
	s_and_saveexec_b32 s18, s17
	s_xor_b32 s17, exec_lo, s18
; %bb.63:
	s_mov_b32 s18, 0
	v_mov_b32_e32 v23, s18
; %bb.64:
	s_or_saveexec_b32 s18, s17
	v_mov_b32_e32 v57, 1.0
	s_xor_b32 exec_lo, exec_lo, s18
	s_cbranch_execz .LBB345_66
; %bb.65:
	v_add_co_u32 v57, s17, 0x800, v5
	v_add_co_ci_u32_e64 v58, null, 0, v6, s17
	global_load_dword v59, v[57:58], off
	v_add_co_u32 v57, s17, 0x800, v3
	v_add_co_ci_u32_e64 v58, null, 0, v4, s17
	global_load_dword v23, v[57:58], off
	s_waitcnt vmcnt(1)
	v_mul_f32_e32 v57, 0x3fb8aa3b, v59
	v_cmp_ngt_f32_e64 s17, 0xc2ce8ed0, v59
	v_fma_f32 v58, 0x3fb8aa3b, v59, -v57
	v_rndne_f32_e32 v60, v57
	v_fmamk_f32 v58, v59, 0x32a5705f, v58
	v_sub_f32_e32 v57, v57, v60
	v_add_f32_e32 v57, v57, v58
	v_cvt_i32_f32_e32 v58, v60
	v_exp_f32_e32 v57, v57
	v_ldexp_f32 v57, v57, v58
	v_cndmask_b32_e64 v57, 0, v57, s17
	v_cmp_nlt_f32_e64 s17, 0x42b17218, v59
	v_cndmask_b32_e64 v57, 0x7f800000, v57, s17
.LBB345_66:
	s_or_b32 exec_lo, exec_lo, s18
	v_or_b32_e32 v58, 0x220, v7
	v_cmp_gt_i32_e64 s17, s42, v58
	s_and_b32 s18, s3, s17
	s_xor_b32 s18, s18, -1
	s_and_saveexec_b32 s19, s18
	s_xor_b32 s18, exec_lo, s19
; %bb.67:
	s_mov_b32 s19, 0
	v_mov_b32_e32 v22, s19
; %bb.68:
	s_or_saveexec_b32 s19, s18
	v_mov_b32_e32 v58, 1.0
	s_xor_b32 exec_lo, exec_lo, s19
	s_cbranch_execz .LBB345_70
; %bb.69:
	v_add_co_u32 v58, s18, 0x800, v5
	v_add_co_ci_u32_e64 v59, null, 0, v6, s18
	global_load_dword v60, v[58:59], off offset:128
	v_add_co_u32 v58, s18, 0x800, v3
	v_add_co_ci_u32_e64 v59, null, 0, v4, s18
	global_load_dword v22, v[58:59], off offset:128
	s_waitcnt vmcnt(1)
	v_mul_f32_e32 v58, 0x3fb8aa3b, v60
	v_cmp_ngt_f32_e64 s18, 0xc2ce8ed0, v60
	v_fma_f32 v59, 0x3fb8aa3b, v60, -v58
	v_rndne_f32_e32 v61, v58
	v_fmamk_f32 v59, v60, 0x32a5705f, v59
	v_sub_f32_e32 v58, v58, v61
	v_add_f32_e32 v58, v58, v59
	v_cvt_i32_f32_e32 v59, v61
	v_exp_f32_e32 v58, v58
	v_ldexp_f32 v58, v58, v59
	v_cndmask_b32_e64 v58, 0, v58, s18
	v_cmp_nlt_f32_e64 s18, 0x42b17218, v60
	v_cndmask_b32_e64 v58, 0x7f800000, v58, s18
.LBB345_70:
	s_or_b32 exec_lo, exec_lo, s19
	v_or_b32_e32 v59, 0x240, v7
	v_cmp_gt_i32_e64 s18, s42, v59
	s_and_b32 s19, s3, s18
	s_xor_b32 s19, s19, -1
	s_and_saveexec_b32 s20, s19
	s_xor_b32 s19, exec_lo, s20
; %bb.71:
	s_mov_b32 s20, 0
	v_mov_b32_e32 v21, s20
; %bb.72:
	s_or_saveexec_b32 s20, s19
	v_mov_b32_e32 v59, 1.0
	s_xor_b32 exec_lo, exec_lo, s20
	s_cbranch_execz .LBB345_74
; %bb.73:
	v_add_co_u32 v59, s19, 0x800, v5
	v_add_co_ci_u32_e64 v60, null, 0, v6, s19
	global_load_dword v61, v[59:60], off offset:256
	v_add_co_u32 v59, s19, 0x800, v3
	v_add_co_ci_u32_e64 v60, null, 0, v4, s19
	global_load_dword v21, v[59:60], off offset:256
	s_waitcnt vmcnt(1)
	v_mul_f32_e32 v59, 0x3fb8aa3b, v61
	v_cmp_ngt_f32_e64 s19, 0xc2ce8ed0, v61
	v_fma_f32 v60, 0x3fb8aa3b, v61, -v59
	v_rndne_f32_e32 v62, v59
	v_fmamk_f32 v60, v61, 0x32a5705f, v60
	v_sub_f32_e32 v59, v59, v62
	v_add_f32_e32 v59, v59, v60
	v_cvt_i32_f32_e32 v60, v62
	v_exp_f32_e32 v59, v59
	v_ldexp_f32 v59, v59, v60
	v_cndmask_b32_e64 v59, 0, v59, s19
	v_cmp_nlt_f32_e64 s19, 0x42b17218, v61
	v_cndmask_b32_e64 v59, 0x7f800000, v59, s19
.LBB345_74:
	;; [unrolled: 37-line block ×14, first 2 shown]
	s_or_b32 exec_lo, exec_lo, s33
	v_or_b32_e32 v0, 0x3e0, v0
	v_cmp_gt_i32_e64 s31, s42, v0
	s_and_b32 s3, s3, s31
	s_xor_b32 s3, s3, -1
	s_and_saveexec_b32 s33, s3
	s_xor_b32 s3, exec_lo, s33
; %bb.123:
	s_mov_b32 s33, 0
                                        ; implicit-def: $vgpr3
                                        ; implicit-def: $vgpr5
	v_mov_b32_e32 v11, s33
; %bb.124:
	s_or_saveexec_b32 s33, s3
	v_mov_b32_e32 v71, 1.0
	s_xor_b32 exec_lo, exec_lo, s33
	s_cbranch_execz .LBB345_126
; %bb.125:
	v_add_co_u32 v5, s3, 0x800, v5
	v_add_co_ci_u32_e64 v6, null, 0, v6, s3
	v_add_co_u32 v3, s3, 0x800, v3
	v_add_co_ci_u32_e64 v4, null, 0, v4, s3
	global_load_dword v0, v[5:6], off offset:1920
	global_load_dword v11, v[3:4], off offset:1920
	s_waitcnt vmcnt(1)
	v_mul_f32_e32 v3, 0x3fb8aa3b, v0
	v_cmp_ngt_f32_e64 s3, 0xc2ce8ed0, v0
	v_fma_f32 v4, 0x3fb8aa3b, v0, -v3
	v_rndne_f32_e32 v5, v3
	v_fmamk_f32 v4, v0, 0x32a5705f, v4
	v_sub_f32_e32 v3, v3, v5
	v_add_f32_e32 v3, v3, v4
	v_cvt_i32_f32_e32 v4, v5
	v_exp_f32_e32 v3, v3
	v_ldexp_f32 v3, v3, v4
	v_cndmask_b32_e64 v3, 0, v3, s3
	v_cmp_nlt_f32_e64 s3, 0x42b17218, v0
	v_cndmask_b32_e64 v71, 0x7f800000, v3, s3
.LBB345_126:
	s_or_b32 exec_lo, exec_lo, s33
	s_waitcnt vmcnt(0)
	v_add_f32_e32 v0, 0, v34
	v_mbcnt_lo_u32_b32 v3, -1, 0
	s_mov_b32 s33, exec_lo
	v_add_f32_e32 v0, v0, v40
	v_xor_b32_e32 v4, 16, v3
	v_xor_b32_e32 v5, 8, v3
	v_add_f32_e32 v0, v0, v41
	v_cmp_gt_i32_e64 s3, 32, v4
	v_add_f32_e32 v0, v0, v39
	v_cndmask_b32_e64 v4, v3, v4, s3
	v_cmp_gt_i32_e64 s3, 32, v5
	v_add_f32_e32 v0, v0, v38
	v_lshlrev_b32_e32 v4, 2, v4
	v_cndmask_b32_e64 v5, v3, v5, s3
	v_add_f32_e32 v0, v0, v36
	v_lshlrev_b32_e32 v5, 2, v5
	v_add_f32_e32 v0, v0, v33
	v_add_f32_e32 v0, v0, v32
	;; [unrolled: 1-line block ×26, first 2 shown]
	ds_bpermute_b32 v4, v4, v0
	s_waitcnt lgkmcnt(0)
	v_add_f32_e32 v0, v0, v4
	ds_bpermute_b32 v4, v5, v0
	v_xor_b32_e32 v5, 4, v3
	v_cmp_gt_i32_e64 s3, 32, v5
	v_cndmask_b32_e64 v5, v3, v5, s3
	v_lshlrev_b32_e32 v5, 2, v5
	s_waitcnt lgkmcnt(0)
	v_add_f32_e32 v0, v0, v4
	ds_bpermute_b32 v4, v5, v0
	v_xor_b32_e32 v5, 2, v3
	v_cmp_gt_i32_e64 s3, 32, v5
	v_cndmask_b32_e64 v5, v3, v5, s3
	v_lshlrev_b32_e32 v5, 2, v5
	s_waitcnt lgkmcnt(0)
	v_add_f32_e32 v0, v0, v4
	ds_bpermute_b32 v4, v5, v0
	v_xor_b32_e32 v5, 1, v3
	v_cmp_gt_i32_e64 s3, 32, v5
	v_cndmask_b32_e64 v5, v3, v5, s3
	s_waitcnt lgkmcnt(0)
	v_add_f32_e32 v3, v0, v4
	v_lshlrev_b32_e32 v0, 2, v5
	ds_bpermute_b32 v4, v0, v3
	v_cmpx_lt_i32_e32 0, v35
	s_cbranch_execz .LBB345_160
; %bb.127:
	v_lshlrev_b64 v[0:1], 1, v[1:2]
	s_waitcnt lgkmcnt(0)
	v_add_f32_e32 v2, v3, v4
	v_add_co_u32 v0, s3, s36, v0
	v_add_co_ci_u32_e64 v1, null, s37, v1, s3
	s_and_saveexec_b32 s3, vcc_lo
	s_cbranch_execnz .LBB345_161
; %bb.128:
	s_or_b32 exec_lo, exec_lo, s3
	s_and_saveexec_b32 s3, s0
	s_cbranch_execnz .LBB345_162
.LBB345_129:
	s_or_b32 exec_lo, exec_lo, s3
	s_and_saveexec_b32 s0, s1
	s_cbranch_execnz .LBB345_163
.LBB345_130:
	s_or_b32 exec_lo, exec_lo, s0
	s_and_saveexec_b32 s0, s2
	s_cbranch_execnz .LBB345_164
.LBB345_131:
	s_or_b32 exec_lo, exec_lo, s0
	s_and_saveexec_b32 s0, s4
	s_cbranch_execnz .LBB345_165
.LBB345_132:
	s_or_b32 exec_lo, exec_lo, s0
	s_and_saveexec_b32 s0, s5
	s_cbranch_execnz .LBB345_166
.LBB345_133:
	s_or_b32 exec_lo, exec_lo, s0
	s_and_saveexec_b32 s0, s6
	s_cbranch_execnz .LBB345_167
.LBB345_134:
	s_or_b32 exec_lo, exec_lo, s0
	s_and_saveexec_b32 s0, s7
	s_cbranch_execnz .LBB345_168
.LBB345_135:
	s_or_b32 exec_lo, exec_lo, s0
	s_and_saveexec_b32 s0, s8
	s_cbranch_execnz .LBB345_169
.LBB345_136:
	s_or_b32 exec_lo, exec_lo, s0
	s_and_saveexec_b32 s0, s9
	s_cbranch_execnz .LBB345_170
.LBB345_137:
	s_or_b32 exec_lo, exec_lo, s0
	s_and_saveexec_b32 s0, s10
	s_cbranch_execnz .LBB345_171
.LBB345_138:
	s_or_b32 exec_lo, exec_lo, s0
	s_and_saveexec_b32 s0, s11
	s_cbranch_execnz .LBB345_172
.LBB345_139:
	s_or_b32 exec_lo, exec_lo, s0
	s_and_saveexec_b32 s0, s12
	s_cbranch_execnz .LBB345_173
.LBB345_140:
	s_or_b32 exec_lo, exec_lo, s0
	s_and_saveexec_b32 s0, s13
	s_cbranch_execnz .LBB345_174
.LBB345_141:
	s_or_b32 exec_lo, exec_lo, s0
	s_and_saveexec_b32 s0, s14
	s_cbranch_execnz .LBB345_175
.LBB345_142:
	s_or_b32 exec_lo, exec_lo, s0
	s_and_saveexec_b32 s0, s15
	s_cbranch_execnz .LBB345_176
.LBB345_143:
	s_or_b32 exec_lo, exec_lo, s0
	s_and_saveexec_b32 s0, s16
	s_cbranch_execnz .LBB345_177
.LBB345_144:
	s_or_b32 exec_lo, exec_lo, s0
	s_and_saveexec_b32 s0, s17
	s_cbranch_execnz .LBB345_178
.LBB345_145:
	s_or_b32 exec_lo, exec_lo, s0
	s_and_saveexec_b32 s0, s18
	s_cbranch_execnz .LBB345_179
.LBB345_146:
	s_or_b32 exec_lo, exec_lo, s0
	s_and_saveexec_b32 s0, s19
	s_cbranch_execnz .LBB345_180
.LBB345_147:
	s_or_b32 exec_lo, exec_lo, s0
	s_and_saveexec_b32 s0, s20
	s_cbranch_execnz .LBB345_181
.LBB345_148:
	s_or_b32 exec_lo, exec_lo, s0
	s_and_saveexec_b32 s0, s21
	s_cbranch_execnz .LBB345_182
.LBB345_149:
	s_or_b32 exec_lo, exec_lo, s0
	s_and_saveexec_b32 s0, s22
	s_cbranch_execnz .LBB345_183
.LBB345_150:
	s_or_b32 exec_lo, exec_lo, s0
	s_and_saveexec_b32 s0, s23
	s_cbranch_execnz .LBB345_184
.LBB345_151:
	s_or_b32 exec_lo, exec_lo, s0
	s_and_saveexec_b32 s0, s24
	s_cbranch_execnz .LBB345_185
.LBB345_152:
	s_or_b32 exec_lo, exec_lo, s0
	s_and_saveexec_b32 s0, s25
	s_cbranch_execnz .LBB345_186
.LBB345_153:
	s_or_b32 exec_lo, exec_lo, s0
	s_and_saveexec_b32 s0, s26
	s_cbranch_execnz .LBB345_187
.LBB345_154:
	s_or_b32 exec_lo, exec_lo, s0
	s_and_saveexec_b32 s0, s27
	s_cbranch_execnz .LBB345_188
.LBB345_155:
	s_or_b32 exec_lo, exec_lo, s0
	s_and_saveexec_b32 s0, s28
	s_cbranch_execnz .LBB345_189
.LBB345_156:
	s_or_b32 exec_lo, exec_lo, s0
	s_and_saveexec_b32 s0, s29
	s_cbranch_execnz .LBB345_190
.LBB345_157:
	s_or_b32 exec_lo, exec_lo, s0
	s_and_saveexec_b32 s0, s30
	s_cbranch_execnz .LBB345_191
.LBB345_158:
	s_or_b32 exec_lo, exec_lo, s0
	s_and_b32 exec_lo, exec_lo, s31
	s_cbranch_execz .LBB345_160
.LBB345_159:
	v_fma_f32 v2, -v2, v71, v11
	v_bfe_u32 v3, v2, 16, 1
	v_cmp_o_f32_e32 vcc_lo, v2, v2
	v_add3_u32 v2, v2, v3, 0x7fff
	v_mov_b32_e32 v3, 0x7fc0
	v_cndmask_b32_sdwa v2, v3, v2, vcc_lo dst_sel:DWORD dst_unused:UNUSED_PAD src0_sel:DWORD src1_sel:WORD_1
	global_store_short v[0:1], v2, off offset:1984
.LBB345_160:
	s_endpgm
.LBB345_161:
	v_fma_f32 v3, -v2, v37, v34
	v_bfe_u32 v4, v3, 16, 1
	v_cmp_o_f32_e32 vcc_lo, v3, v3
	v_add3_u32 v3, v3, v4, 0x7fff
	v_mov_b32_e32 v4, 0x7fc0
	v_cndmask_b32_sdwa v3, v4, v3, vcc_lo dst_sel:DWORD dst_unused:UNUSED_PAD src0_sel:DWORD src1_sel:WORD_1
	global_store_short v[0:1], v3, off
	s_or_b32 exec_lo, exec_lo, s3
	s_and_saveexec_b32 s3, s0
	s_cbranch_execz .LBB345_129
.LBB345_162:
	v_fma_f32 v3, -v2, v42, v40
	v_bfe_u32 v4, v3, 16, 1
	v_cmp_o_f32_e32 vcc_lo, v3, v3
	v_add3_u32 v3, v3, v4, 0x7fff
	v_mov_b32_e32 v4, 0x7fc0
	v_cndmask_b32_sdwa v3, v4, v3, vcc_lo dst_sel:DWORD dst_unused:UNUSED_PAD src0_sel:DWORD src1_sel:WORD_1
	global_store_short v[0:1], v3, off offset:64
	s_or_b32 exec_lo, exec_lo, s3
	s_and_saveexec_b32 s0, s1
	s_cbranch_execz .LBB345_130
.LBB345_163:
	v_fma_f32 v3, -v2, v43, v41
	v_bfe_u32 v4, v3, 16, 1
	v_cmp_o_f32_e32 vcc_lo, v3, v3
	v_add3_u32 v3, v3, v4, 0x7fff
	v_mov_b32_e32 v4, 0x7fc0
	v_cndmask_b32_sdwa v3, v4, v3, vcc_lo dst_sel:DWORD dst_unused:UNUSED_PAD src0_sel:DWORD src1_sel:WORD_1
	global_store_short v[0:1], v3, off offset:128
	s_or_b32 exec_lo, exec_lo, s0
	s_and_saveexec_b32 s0, s2
	s_cbranch_execz .LBB345_131
.LBB345_164:
	v_fma_f32 v3, -v2, v44, v39
	v_bfe_u32 v4, v3, 16, 1
	v_cmp_o_f32_e32 vcc_lo, v3, v3
	v_add3_u32 v3, v3, v4, 0x7fff
	v_mov_b32_e32 v4, 0x7fc0
	v_cndmask_b32_sdwa v3, v4, v3, vcc_lo dst_sel:DWORD dst_unused:UNUSED_PAD src0_sel:DWORD src1_sel:WORD_1
	global_store_short v[0:1], v3, off offset:192
	s_or_b32 exec_lo, exec_lo, s0
	s_and_saveexec_b32 s0, s4
	s_cbranch_execz .LBB345_132
.LBB345_165:
	v_fma_f32 v3, -v2, v45, v38
	v_bfe_u32 v4, v3, 16, 1
	v_cmp_o_f32_e32 vcc_lo, v3, v3
	v_add3_u32 v3, v3, v4, 0x7fff
	v_mov_b32_e32 v4, 0x7fc0
	v_cndmask_b32_sdwa v3, v4, v3, vcc_lo dst_sel:DWORD dst_unused:UNUSED_PAD src0_sel:DWORD src1_sel:WORD_1
	global_store_short v[0:1], v3, off offset:256
	s_or_b32 exec_lo, exec_lo, s0
	s_and_saveexec_b32 s0, s5
	s_cbranch_execz .LBB345_133
.LBB345_166:
	v_fma_f32 v3, -v2, v46, v36
	v_bfe_u32 v4, v3, 16, 1
	v_cmp_o_f32_e32 vcc_lo, v3, v3
	v_add3_u32 v3, v3, v4, 0x7fff
	v_mov_b32_e32 v4, 0x7fc0
	v_cndmask_b32_sdwa v3, v4, v3, vcc_lo dst_sel:DWORD dst_unused:UNUSED_PAD src0_sel:DWORD src1_sel:WORD_1
	global_store_short v[0:1], v3, off offset:320
	s_or_b32 exec_lo, exec_lo, s0
	s_and_saveexec_b32 s0, s6
	s_cbranch_execz .LBB345_134
.LBB345_167:
	v_fma_f32 v3, -v2, v47, v33
	v_bfe_u32 v4, v3, 16, 1
	v_cmp_o_f32_e32 vcc_lo, v3, v3
	v_add3_u32 v3, v3, v4, 0x7fff
	v_mov_b32_e32 v4, 0x7fc0
	v_cndmask_b32_sdwa v3, v4, v3, vcc_lo dst_sel:DWORD dst_unused:UNUSED_PAD src0_sel:DWORD src1_sel:WORD_1
	global_store_short v[0:1], v3, off offset:384
	s_or_b32 exec_lo, exec_lo, s0
	s_and_saveexec_b32 s0, s7
	s_cbranch_execz .LBB345_135
.LBB345_168:
	v_fma_f32 v3, -v2, v48, v32
	v_bfe_u32 v4, v3, 16, 1
	v_cmp_o_f32_e32 vcc_lo, v3, v3
	v_add3_u32 v3, v3, v4, 0x7fff
	v_mov_b32_e32 v4, 0x7fc0
	v_cndmask_b32_sdwa v3, v4, v3, vcc_lo dst_sel:DWORD dst_unused:UNUSED_PAD src0_sel:DWORD src1_sel:WORD_1
	global_store_short v[0:1], v3, off offset:448
	s_or_b32 exec_lo, exec_lo, s0
	s_and_saveexec_b32 s0, s8
	s_cbranch_execz .LBB345_136
.LBB345_169:
	v_fma_f32 v3, -v2, v49, v31
	v_bfe_u32 v4, v3, 16, 1
	v_cmp_o_f32_e32 vcc_lo, v3, v3
	v_add3_u32 v3, v3, v4, 0x7fff
	v_mov_b32_e32 v4, 0x7fc0
	v_cndmask_b32_sdwa v3, v4, v3, vcc_lo dst_sel:DWORD dst_unused:UNUSED_PAD src0_sel:DWORD src1_sel:WORD_1
	global_store_short v[0:1], v3, off offset:512
	s_or_b32 exec_lo, exec_lo, s0
	s_and_saveexec_b32 s0, s9
	s_cbranch_execz .LBB345_137
.LBB345_170:
	v_fma_f32 v3, -v2, v50, v30
	v_bfe_u32 v4, v3, 16, 1
	v_cmp_o_f32_e32 vcc_lo, v3, v3
	v_add3_u32 v3, v3, v4, 0x7fff
	v_mov_b32_e32 v4, 0x7fc0
	v_cndmask_b32_sdwa v3, v4, v3, vcc_lo dst_sel:DWORD dst_unused:UNUSED_PAD src0_sel:DWORD src1_sel:WORD_1
	global_store_short v[0:1], v3, off offset:576
	s_or_b32 exec_lo, exec_lo, s0
	s_and_saveexec_b32 s0, s10
	s_cbranch_execz .LBB345_138
.LBB345_171:
	v_fma_f32 v3, -v2, v51, v29
	v_bfe_u32 v4, v3, 16, 1
	v_cmp_o_f32_e32 vcc_lo, v3, v3
	v_add3_u32 v3, v3, v4, 0x7fff
	v_mov_b32_e32 v4, 0x7fc0
	v_cndmask_b32_sdwa v3, v4, v3, vcc_lo dst_sel:DWORD dst_unused:UNUSED_PAD src0_sel:DWORD src1_sel:WORD_1
	global_store_short v[0:1], v3, off offset:640
	s_or_b32 exec_lo, exec_lo, s0
	s_and_saveexec_b32 s0, s11
	s_cbranch_execz .LBB345_139
.LBB345_172:
	v_fma_f32 v3, -v2, v52, v28
	v_bfe_u32 v4, v3, 16, 1
	v_cmp_o_f32_e32 vcc_lo, v3, v3
	v_add3_u32 v3, v3, v4, 0x7fff
	v_mov_b32_e32 v4, 0x7fc0
	v_cndmask_b32_sdwa v3, v4, v3, vcc_lo dst_sel:DWORD dst_unused:UNUSED_PAD src0_sel:DWORD src1_sel:WORD_1
	global_store_short v[0:1], v3, off offset:704
	s_or_b32 exec_lo, exec_lo, s0
	s_and_saveexec_b32 s0, s12
	s_cbranch_execz .LBB345_140
.LBB345_173:
	v_fma_f32 v3, -v2, v53, v27
	v_bfe_u32 v4, v3, 16, 1
	v_cmp_o_f32_e32 vcc_lo, v3, v3
	v_add3_u32 v3, v3, v4, 0x7fff
	v_mov_b32_e32 v4, 0x7fc0
	v_cndmask_b32_sdwa v3, v4, v3, vcc_lo dst_sel:DWORD dst_unused:UNUSED_PAD src0_sel:DWORD src1_sel:WORD_1
	global_store_short v[0:1], v3, off offset:768
	s_or_b32 exec_lo, exec_lo, s0
	s_and_saveexec_b32 s0, s13
	s_cbranch_execz .LBB345_141
.LBB345_174:
	v_fma_f32 v3, -v2, v54, v26
	v_bfe_u32 v4, v3, 16, 1
	v_cmp_o_f32_e32 vcc_lo, v3, v3
	v_add3_u32 v3, v3, v4, 0x7fff
	v_mov_b32_e32 v4, 0x7fc0
	v_cndmask_b32_sdwa v3, v4, v3, vcc_lo dst_sel:DWORD dst_unused:UNUSED_PAD src0_sel:DWORD src1_sel:WORD_1
	global_store_short v[0:1], v3, off offset:832
	s_or_b32 exec_lo, exec_lo, s0
	s_and_saveexec_b32 s0, s14
	s_cbranch_execz .LBB345_142
.LBB345_175:
	v_fma_f32 v3, -v2, v55, v25
	v_bfe_u32 v4, v3, 16, 1
	v_cmp_o_f32_e32 vcc_lo, v3, v3
	v_add3_u32 v3, v3, v4, 0x7fff
	v_mov_b32_e32 v4, 0x7fc0
	v_cndmask_b32_sdwa v3, v4, v3, vcc_lo dst_sel:DWORD dst_unused:UNUSED_PAD src0_sel:DWORD src1_sel:WORD_1
	global_store_short v[0:1], v3, off offset:896
	s_or_b32 exec_lo, exec_lo, s0
	s_and_saveexec_b32 s0, s15
	s_cbranch_execz .LBB345_143
.LBB345_176:
	v_fma_f32 v3, -v2, v56, v24
	v_bfe_u32 v4, v3, 16, 1
	v_cmp_o_f32_e32 vcc_lo, v3, v3
	v_add3_u32 v3, v3, v4, 0x7fff
	v_mov_b32_e32 v4, 0x7fc0
	v_cndmask_b32_sdwa v3, v4, v3, vcc_lo dst_sel:DWORD dst_unused:UNUSED_PAD src0_sel:DWORD src1_sel:WORD_1
	global_store_short v[0:1], v3, off offset:960
	s_or_b32 exec_lo, exec_lo, s0
	s_and_saveexec_b32 s0, s16
	s_cbranch_execz .LBB345_144
.LBB345_177:
	v_fma_f32 v3, -v2, v57, v23
	v_bfe_u32 v4, v3, 16, 1
	v_cmp_o_f32_e32 vcc_lo, v3, v3
	v_add3_u32 v3, v3, v4, 0x7fff
	v_mov_b32_e32 v4, 0x7fc0
	v_cndmask_b32_sdwa v3, v4, v3, vcc_lo dst_sel:DWORD dst_unused:UNUSED_PAD src0_sel:DWORD src1_sel:WORD_1
	global_store_short v[0:1], v3, off offset:1024
	s_or_b32 exec_lo, exec_lo, s0
	s_and_saveexec_b32 s0, s17
	s_cbranch_execz .LBB345_145
.LBB345_178:
	v_fma_f32 v3, -v2, v58, v22
	v_bfe_u32 v4, v3, 16, 1
	v_cmp_o_f32_e32 vcc_lo, v3, v3
	v_add3_u32 v3, v3, v4, 0x7fff
	v_mov_b32_e32 v4, 0x7fc0
	v_cndmask_b32_sdwa v3, v4, v3, vcc_lo dst_sel:DWORD dst_unused:UNUSED_PAD src0_sel:DWORD src1_sel:WORD_1
	global_store_short v[0:1], v3, off offset:1088
	s_or_b32 exec_lo, exec_lo, s0
	s_and_saveexec_b32 s0, s18
	s_cbranch_execz .LBB345_146
.LBB345_179:
	v_fma_f32 v3, -v2, v59, v21
	v_bfe_u32 v4, v3, 16, 1
	v_cmp_o_f32_e32 vcc_lo, v3, v3
	v_add3_u32 v3, v3, v4, 0x7fff
	v_mov_b32_e32 v4, 0x7fc0
	v_cndmask_b32_sdwa v3, v4, v3, vcc_lo dst_sel:DWORD dst_unused:UNUSED_PAD src0_sel:DWORD src1_sel:WORD_1
	global_store_short v[0:1], v3, off offset:1152
	s_or_b32 exec_lo, exec_lo, s0
	s_and_saveexec_b32 s0, s19
	s_cbranch_execz .LBB345_147
.LBB345_180:
	v_fma_f32 v3, -v2, v60, v20
	v_bfe_u32 v4, v3, 16, 1
	v_cmp_o_f32_e32 vcc_lo, v3, v3
	v_add3_u32 v3, v3, v4, 0x7fff
	v_mov_b32_e32 v4, 0x7fc0
	v_cndmask_b32_sdwa v3, v4, v3, vcc_lo dst_sel:DWORD dst_unused:UNUSED_PAD src0_sel:DWORD src1_sel:WORD_1
	global_store_short v[0:1], v3, off offset:1216
	s_or_b32 exec_lo, exec_lo, s0
	s_and_saveexec_b32 s0, s20
	s_cbranch_execz .LBB345_148
.LBB345_181:
	v_fma_f32 v3, -v2, v61, v19
	v_bfe_u32 v4, v3, 16, 1
	v_cmp_o_f32_e32 vcc_lo, v3, v3
	v_add3_u32 v3, v3, v4, 0x7fff
	v_mov_b32_e32 v4, 0x7fc0
	v_cndmask_b32_sdwa v3, v4, v3, vcc_lo dst_sel:DWORD dst_unused:UNUSED_PAD src0_sel:DWORD src1_sel:WORD_1
	global_store_short v[0:1], v3, off offset:1280
	s_or_b32 exec_lo, exec_lo, s0
	s_and_saveexec_b32 s0, s21
	s_cbranch_execz .LBB345_149
.LBB345_182:
	v_fma_f32 v3, -v2, v62, v18
	v_bfe_u32 v4, v3, 16, 1
	v_cmp_o_f32_e32 vcc_lo, v3, v3
	v_add3_u32 v3, v3, v4, 0x7fff
	v_mov_b32_e32 v4, 0x7fc0
	v_cndmask_b32_sdwa v3, v4, v3, vcc_lo dst_sel:DWORD dst_unused:UNUSED_PAD src0_sel:DWORD src1_sel:WORD_1
	global_store_short v[0:1], v3, off offset:1344
	s_or_b32 exec_lo, exec_lo, s0
	s_and_saveexec_b32 s0, s22
	s_cbranch_execz .LBB345_150
.LBB345_183:
	v_fma_f32 v3, -v2, v63, v17
	v_bfe_u32 v4, v3, 16, 1
	v_cmp_o_f32_e32 vcc_lo, v3, v3
	v_add3_u32 v3, v3, v4, 0x7fff
	v_mov_b32_e32 v4, 0x7fc0
	v_cndmask_b32_sdwa v3, v4, v3, vcc_lo dst_sel:DWORD dst_unused:UNUSED_PAD src0_sel:DWORD src1_sel:WORD_1
	global_store_short v[0:1], v3, off offset:1408
	s_or_b32 exec_lo, exec_lo, s0
	s_and_saveexec_b32 s0, s23
	s_cbranch_execz .LBB345_151
.LBB345_184:
	v_fma_f32 v3, -v2, v64, v16
	v_bfe_u32 v4, v3, 16, 1
	v_cmp_o_f32_e32 vcc_lo, v3, v3
	v_add3_u32 v3, v3, v4, 0x7fff
	v_mov_b32_e32 v4, 0x7fc0
	v_cndmask_b32_sdwa v3, v4, v3, vcc_lo dst_sel:DWORD dst_unused:UNUSED_PAD src0_sel:DWORD src1_sel:WORD_1
	global_store_short v[0:1], v3, off offset:1472
	s_or_b32 exec_lo, exec_lo, s0
	s_and_saveexec_b32 s0, s24
	s_cbranch_execz .LBB345_152
.LBB345_185:
	v_fma_f32 v3, -v2, v65, v15
	v_bfe_u32 v4, v3, 16, 1
	v_cmp_o_f32_e32 vcc_lo, v3, v3
	v_add3_u32 v3, v3, v4, 0x7fff
	v_mov_b32_e32 v4, 0x7fc0
	v_cndmask_b32_sdwa v3, v4, v3, vcc_lo dst_sel:DWORD dst_unused:UNUSED_PAD src0_sel:DWORD src1_sel:WORD_1
	global_store_short v[0:1], v3, off offset:1536
	s_or_b32 exec_lo, exec_lo, s0
	s_and_saveexec_b32 s0, s25
	s_cbranch_execz .LBB345_153
.LBB345_186:
	v_fma_f32 v3, -v2, v66, v14
	v_bfe_u32 v4, v3, 16, 1
	v_cmp_o_f32_e32 vcc_lo, v3, v3
	v_add3_u32 v3, v3, v4, 0x7fff
	v_mov_b32_e32 v4, 0x7fc0
	v_cndmask_b32_sdwa v3, v4, v3, vcc_lo dst_sel:DWORD dst_unused:UNUSED_PAD src0_sel:DWORD src1_sel:WORD_1
	global_store_short v[0:1], v3, off offset:1600
	s_or_b32 exec_lo, exec_lo, s0
	s_and_saveexec_b32 s0, s26
	s_cbranch_execz .LBB345_154
.LBB345_187:
	v_fma_f32 v3, -v2, v67, v13
	v_bfe_u32 v4, v3, 16, 1
	v_cmp_o_f32_e32 vcc_lo, v3, v3
	v_add3_u32 v3, v3, v4, 0x7fff
	v_mov_b32_e32 v4, 0x7fc0
	v_cndmask_b32_sdwa v3, v4, v3, vcc_lo dst_sel:DWORD dst_unused:UNUSED_PAD src0_sel:DWORD src1_sel:WORD_1
	global_store_short v[0:1], v3, off offset:1664
	s_or_b32 exec_lo, exec_lo, s0
	s_and_saveexec_b32 s0, s27
	s_cbranch_execz .LBB345_155
.LBB345_188:
	v_fma_f32 v3, -v2, v68, v12
	v_bfe_u32 v4, v3, 16, 1
	v_cmp_o_f32_e32 vcc_lo, v3, v3
	v_add3_u32 v3, v3, v4, 0x7fff
	v_mov_b32_e32 v4, 0x7fc0
	v_cndmask_b32_sdwa v3, v4, v3, vcc_lo dst_sel:DWORD dst_unused:UNUSED_PAD src0_sel:DWORD src1_sel:WORD_1
	global_store_short v[0:1], v3, off offset:1728
	s_or_b32 exec_lo, exec_lo, s0
	s_and_saveexec_b32 s0, s28
	s_cbranch_execz .LBB345_156
.LBB345_189:
	v_fma_f32 v3, -v2, v69, v10
	v_bfe_u32 v4, v3, 16, 1
	v_cmp_o_f32_e32 vcc_lo, v3, v3
	v_add3_u32 v3, v3, v4, 0x7fff
	v_mov_b32_e32 v4, 0x7fc0
	v_cndmask_b32_sdwa v3, v4, v3, vcc_lo dst_sel:DWORD dst_unused:UNUSED_PAD src0_sel:DWORD src1_sel:WORD_1
	global_store_short v[0:1], v3, off offset:1792
	s_or_b32 exec_lo, exec_lo, s0
	s_and_saveexec_b32 s0, s29
	s_cbranch_execz .LBB345_157
.LBB345_190:
	v_fma_f32 v3, -v2, v70, v9
	v_bfe_u32 v4, v3, 16, 1
	v_cmp_o_f32_e32 vcc_lo, v3, v3
	v_add3_u32 v3, v3, v4, 0x7fff
	v_mov_b32_e32 v4, 0x7fc0
	v_cndmask_b32_sdwa v3, v4, v3, vcc_lo dst_sel:DWORD dst_unused:UNUSED_PAD src0_sel:DWORD src1_sel:WORD_1
	global_store_short v[0:1], v3, off offset:1856
	s_or_b32 exec_lo, exec_lo, s0
	s_and_saveexec_b32 s0, s30
	s_cbranch_execz .LBB345_158
.LBB345_191:
	v_fma_f32 v3, -v2, v7, v8
	v_bfe_u32 v4, v3, 16, 1
	v_cmp_o_f32_e32 vcc_lo, v3, v3
	v_add3_u32 v3, v3, v4, 0x7fff
	v_mov_b32_e32 v4, 0x7fc0
	v_cndmask_b32_sdwa v3, v4, v3, vcc_lo dst_sel:DWORD dst_unused:UNUSED_PAD src0_sel:DWORD src1_sel:WORD_1
	global_store_short v[0:1], v3, off offset:1920
	s_or_b32 exec_lo, exec_lo, s0
	s_and_b32 exec_lo, exec_lo, s31
	s_cbranch_execnz .LBB345_159
	s_branch .LBB345_160
	.section	.rodata,"a",@progbits
	.p2align	6, 0x0
	.amdhsa_kernel _ZN12_GLOBAL__N_121softmax_warp_backwardIfN3c108BFloat16EfLi10ELb1ELb0ELi32EEEvPT0_PKT_S7_iiiPKb
		.amdhsa_group_segment_fixed_size 0
		.amdhsa_private_segment_fixed_size 0
		.amdhsa_kernarg_size 304
		.amdhsa_user_sgpr_count 6
		.amdhsa_user_sgpr_private_segment_buffer 1
		.amdhsa_user_sgpr_dispatch_ptr 0
		.amdhsa_user_sgpr_queue_ptr 0
		.amdhsa_user_sgpr_kernarg_segment_ptr 1
		.amdhsa_user_sgpr_dispatch_id 0
		.amdhsa_user_sgpr_flat_scratch_init 0
		.amdhsa_user_sgpr_private_segment_size 0
		.amdhsa_wavefront_size32 1
		.amdhsa_uses_dynamic_stack 0
		.amdhsa_system_sgpr_private_segment_wavefront_offset 0
		.amdhsa_system_sgpr_workgroup_id_x 1
		.amdhsa_system_sgpr_workgroup_id_y 0
		.amdhsa_system_sgpr_workgroup_id_z 0
		.amdhsa_system_sgpr_workgroup_info 0
		.amdhsa_system_vgpr_workitem_id 1
		.amdhsa_next_free_vgpr 74
		.amdhsa_next_free_sgpr 44
		.amdhsa_reserve_vcc 1
		.amdhsa_reserve_flat_scratch 0
		.amdhsa_float_round_mode_32 0
		.amdhsa_float_round_mode_16_64 0
		.amdhsa_float_denorm_mode_32 3
		.amdhsa_float_denorm_mode_16_64 3
		.amdhsa_dx10_clamp 1
		.amdhsa_ieee_mode 1
		.amdhsa_fp16_overflow 0
		.amdhsa_workgroup_processor_mode 1
		.amdhsa_memory_ordered 1
		.amdhsa_forward_progress 1
		.amdhsa_shared_vgpr_count 0
		.amdhsa_exception_fp_ieee_invalid_op 0
		.amdhsa_exception_fp_denorm_src 0
		.amdhsa_exception_fp_ieee_div_zero 0
		.amdhsa_exception_fp_ieee_overflow 0
		.amdhsa_exception_fp_ieee_underflow 0
		.amdhsa_exception_fp_ieee_inexact 0
		.amdhsa_exception_int_div_zero 0
	.end_amdhsa_kernel
	.section	.text._ZN12_GLOBAL__N_121softmax_warp_backwardIfN3c108BFloat16EfLi10ELb1ELb0ELi32EEEvPT0_PKT_S7_iiiPKb,"axG",@progbits,_ZN12_GLOBAL__N_121softmax_warp_backwardIfN3c108BFloat16EfLi10ELb1ELb0ELi32EEEvPT0_PKT_S7_iiiPKb,comdat
.Lfunc_end345:
	.size	_ZN12_GLOBAL__N_121softmax_warp_backwardIfN3c108BFloat16EfLi10ELb1ELb0ELi32EEEvPT0_PKT_S7_iiiPKb, .Lfunc_end345-_ZN12_GLOBAL__N_121softmax_warp_backwardIfN3c108BFloat16EfLi10ELb1ELb0ELi32EEEvPT0_PKT_S7_iiiPKb
                                        ; -- End function
	.set _ZN12_GLOBAL__N_121softmax_warp_backwardIfN3c108BFloat16EfLi10ELb1ELb0ELi32EEEvPT0_PKT_S7_iiiPKb.num_vgpr, 74
	.set _ZN12_GLOBAL__N_121softmax_warp_backwardIfN3c108BFloat16EfLi10ELb1ELb0ELi32EEEvPT0_PKT_S7_iiiPKb.num_agpr, 0
	.set _ZN12_GLOBAL__N_121softmax_warp_backwardIfN3c108BFloat16EfLi10ELb1ELb0ELi32EEEvPT0_PKT_S7_iiiPKb.numbered_sgpr, 44
	.set _ZN12_GLOBAL__N_121softmax_warp_backwardIfN3c108BFloat16EfLi10ELb1ELb0ELi32EEEvPT0_PKT_S7_iiiPKb.num_named_barrier, 0
	.set _ZN12_GLOBAL__N_121softmax_warp_backwardIfN3c108BFloat16EfLi10ELb1ELb0ELi32EEEvPT0_PKT_S7_iiiPKb.private_seg_size, 0
	.set _ZN12_GLOBAL__N_121softmax_warp_backwardIfN3c108BFloat16EfLi10ELb1ELb0ELi32EEEvPT0_PKT_S7_iiiPKb.uses_vcc, 1
	.set _ZN12_GLOBAL__N_121softmax_warp_backwardIfN3c108BFloat16EfLi10ELb1ELb0ELi32EEEvPT0_PKT_S7_iiiPKb.uses_flat_scratch, 0
	.set _ZN12_GLOBAL__N_121softmax_warp_backwardIfN3c108BFloat16EfLi10ELb1ELb0ELi32EEEvPT0_PKT_S7_iiiPKb.has_dyn_sized_stack, 0
	.set _ZN12_GLOBAL__N_121softmax_warp_backwardIfN3c108BFloat16EfLi10ELb1ELb0ELi32EEEvPT0_PKT_S7_iiiPKb.has_recursion, 0
	.set _ZN12_GLOBAL__N_121softmax_warp_backwardIfN3c108BFloat16EfLi10ELb1ELb0ELi32EEEvPT0_PKT_S7_iiiPKb.has_indirect_call, 0
	.section	.AMDGPU.csdata,"",@progbits
; Kernel info:
; codeLenInByte = 9420
; TotalNumSgprs: 46
; NumVgprs: 74
; ScratchSize: 0
; MemoryBound: 0
; FloatMode: 240
; IeeeMode: 1
; LDSByteSize: 0 bytes/workgroup (compile time only)
; SGPRBlocks: 0
; VGPRBlocks: 9
; NumSGPRsForWavesPerEU: 46
; NumVGPRsForWavesPerEU: 74
; Occupancy: 12
; WaveLimiterHint : 0
; COMPUTE_PGM_RSRC2:SCRATCH_EN: 0
; COMPUTE_PGM_RSRC2:USER_SGPR: 6
; COMPUTE_PGM_RSRC2:TRAP_HANDLER: 0
; COMPUTE_PGM_RSRC2:TGID_X_EN: 1
; COMPUTE_PGM_RSRC2:TGID_Y_EN: 0
; COMPUTE_PGM_RSRC2:TGID_Z_EN: 0
; COMPUTE_PGM_RSRC2:TIDIG_COMP_CNT: 1
	.section	.text._ZN2at6native12_GLOBAL__N_124cunn_SoftMaxBackwardSmemILi4EN3c108BFloat16EffNS1_26LogSoftMaxBackwardEpilogueEEEvPT0_PKT2_SA_l,"axG",@progbits,_ZN2at6native12_GLOBAL__N_124cunn_SoftMaxBackwardSmemILi4EN3c108BFloat16EffNS1_26LogSoftMaxBackwardEpilogueEEEvPT0_PKT2_SA_l,comdat
	.globl	_ZN2at6native12_GLOBAL__N_124cunn_SoftMaxBackwardSmemILi4EN3c108BFloat16EffNS1_26LogSoftMaxBackwardEpilogueEEEvPT0_PKT2_SA_l ; -- Begin function _ZN2at6native12_GLOBAL__N_124cunn_SoftMaxBackwardSmemILi4EN3c108BFloat16EffNS1_26LogSoftMaxBackwardEpilogueEEEvPT0_PKT2_SA_l
	.p2align	8
	.type	_ZN2at6native12_GLOBAL__N_124cunn_SoftMaxBackwardSmemILi4EN3c108BFloat16EffNS1_26LogSoftMaxBackwardEpilogueEEEvPT0_PKT2_SA_l,@function
_ZN2at6native12_GLOBAL__N_124cunn_SoftMaxBackwardSmemILi4EN3c108BFloat16EffNS1_26LogSoftMaxBackwardEpilogueEEEvPT0_PKT2_SA_l: ; @_ZN2at6native12_GLOBAL__N_124cunn_SoftMaxBackwardSmemILi4EN3c108BFloat16EffNS1_26LogSoftMaxBackwardEpilogueEEEvPT0_PKT2_SA_l
; %bb.0:
	s_load_dwordx8 s[8:15], s[4:5], 0x0
	v_mov_b32_e32 v2, 0
	v_lshlrev_b32_e32 v1, 2, v0
	v_lshl_add_u32 v5, v0, 4, 0
	s_waitcnt lgkmcnt(0)
	v_cmp_gt_i64_e32 vcc_lo, s[14:15], v[1:2]
	s_mul_i32 s0, s15, s6
	s_mul_hi_u32 s1, s14, s6
	s_mul_i32 s2, s14, s6
	s_add_i32 s3, s1, s0
	s_and_saveexec_b32 s1, vcc_lo
	s_cbranch_execz .LBB346_4
; %bb.1:
	s_load_dword s0, s[4:5], 0x2c
	s_lshl_b64 s[6:7], s[2:3], 2
	v_lshl_add_u32 v6, v0, 4, 0
	s_add_u32 s6, s12, s6
	s_addc_u32 s7, s13, s7
	v_mov_b32_e32 v2, 0
	v_mov_b32_e32 v3, v0
	s_mov_b32 s13, 0
	s_waitcnt lgkmcnt(0)
	s_and_b32 s12, s0, 0xffff
	v_add_lshl_u32 v1, v0, s12, 2
	s_lshl_b32 s16, s12, 2
	s_lshl_b32 s17, s12, 4
	.p2align	6
.LBB346_2:                              ; =>This Inner Loop Header: Depth=1
	v_ashrrev_i32_e32 v4, 31, v3
	v_lshlrev_b64 v[7:8], 4, v[3:4]
	v_add_nc_u32_e32 v3, s12, v3
	v_add_co_u32 v7, s0, s6, v7
	v_add_co_ci_u32_e64 v8, null, s7, v8, s0
	global_load_dwordx4 v[7:10], v[7:8], off
	s_waitcnt vmcnt(0)
	v_add_f32_e32 v2, v2, v7
	ds_write_b128 v6, v[7:10]
	v_add_nc_u32_e32 v6, s17, v6
	v_add_f32_e32 v4, v2, v8
	v_ashrrev_i32_e32 v2, 31, v1
	v_add_f32_e32 v4, v4, v9
	v_cmp_le_i64_e64 s0, s[14:15], v[1:2]
	v_add_nc_u32_e32 v1, s16, v1
	v_add_f32_e32 v2, v4, v10
	s_or_b32 s13, s0, s13
	s_andn2_b32 exec_lo, exec_lo, s13
	s_cbranch_execnz .LBB346_2
; %bb.3:
	s_or_b32 exec_lo, exec_lo, s13
.LBB346_4:
	s_or_b32 exec_lo, exec_lo, s1
	v_mbcnt_lo_u32_b32 v6, -1, 0
	s_lshl_b32 s1, s14, 2
	s_mov_b32 s6, exec_lo
	s_add_i32 s1, s1, 0
	s_waitcnt lgkmcnt(0)
	v_lshl_or_b32 v1, v6, 2, 64
	v_cmp_gt_u32_e64 s0, 24, v6
	s_barrier
	buffer_gl0_inv
	ds_bpermute_b32 v4, v1, v2
	v_cndmask_b32_e64 v3, 0, 8, s0
	v_cmp_gt_u32_e64 s0, 28, v6
	v_add_lshl_u32 v3, v3, v6, 2
	s_waitcnt lgkmcnt(0)
	v_add_f32_e32 v4, v2, v4
	v_cndmask_b32_e64 v2, 0, 4, s0
	v_cmp_gt_u32_e64 s0, 30, v6
	ds_bpermute_b32 v7, v3, v4
	v_add_lshl_u32 v2, v2, v6, 2
	s_waitcnt lgkmcnt(0)
	v_add_f32_e32 v7, v4, v7
	v_cndmask_b32_e64 v4, 0, 2, s0
	v_cmp_ne_u32_e64 s0, 31, v6
	ds_bpermute_b32 v8, v2, v7
	v_add_lshl_u32 v4, v4, v6, 2
	v_add_co_ci_u32_e64 v6, null, 0, v6, s0
	v_lshlrev_b32_e32 v6, 2, v6
	s_waitcnt lgkmcnt(0)
	v_add_f32_e32 v7, v7, v8
	ds_bpermute_b32 v8, v4, v7
	s_waitcnt lgkmcnt(0)
	v_add_f32_e32 v8, v7, v8
	v_and_b32_e32 v7, 31, v0
	ds_bpermute_b32 v9, v6, v8
	v_cmpx_eq_u32_e32 0, v7
	s_cbranch_execz .LBB346_6
; %bb.5:
	v_lshrrev_b32_e32 v10, 3, v0
	s_waitcnt lgkmcnt(0)
	v_add_f32_e32 v8, v8, v9
	v_add_nc_u32_e32 v10, s1, v10
	ds_write_b32 v10, v8
.LBB346_6:
	s_or_b32 exec_lo, exec_lo, s6
	s_waitcnt lgkmcnt(0)
	s_barrier
	buffer_gl0_inv
	s_load_dword s4, s[4:5], 0x2c
	v_mov_b32_e32 v8, 0
	s_mov_b32 s5, exec_lo
	s_waitcnt lgkmcnt(0)
	s_bfe_u32 s0, s4, 0xb0005
	v_cmpx_gt_u32_e64 s0, v0
; %bb.7:
	v_lshl_add_u32 v7, v7, 2, s1
	ds_read_b32 v8, v7
; %bb.8:
	s_or_b32 exec_lo, exec_lo, s5
	s_mov_b32 s5, exec_lo
	v_cmpx_gt_u32_e32 32, v0
	s_cbranch_execz .LBB346_10
; %bb.9:
	s_waitcnt lgkmcnt(0)
	ds_bpermute_b32 v1, v1, v8
	s_waitcnt lgkmcnt(0)
	v_add_f32_e32 v1, v8, v1
	ds_bpermute_b32 v3, v3, v1
	s_waitcnt lgkmcnt(0)
	v_add_f32_e32 v1, v1, v3
	;; [unrolled: 3-line block ×5, first 2 shown]
.LBB346_10:
	s_or_b32 exec_lo, exec_lo, s5
	s_mov_b32 s5, exec_lo
	v_cmpx_eq_u32_e32 0, v0
	s_cbranch_execz .LBB346_12
; %bb.11:
	v_mov_b32_e32 v1, s1
	s_waitcnt lgkmcnt(0)
	ds_write_b32 v1, v8
.LBB346_12:
	s_or_b32 exec_lo, exec_lo, s5
	s_waitcnt lgkmcnt(0)
	s_barrier
	buffer_gl0_inv
	s_and_saveexec_b32 s0, vcc_lo
	s_cbranch_execz .LBB346_15
; %bb.13:
	v_mov_b32_e32 v1, s1
	s_lshl_b64 s[0:1], s[2:3], 1
	s_and_b32 s4, 0xffff, s4
	s_add_u32 s5, s8, s0
	s_addc_u32 s6, s9, s1
	ds_read_b32 v4, v1
	s_lshl_b64 s[0:1], s[2:3], 2
	v_add_lshl_u32 v2, v0, s4, 2
	s_add_u32 s7, s10, s0
	s_addc_u32 s8, s11, s1
	s_lshl_b32 s9, s4, 2
	s_mov_b32 s10, 0
	s_lshl_b32 s11, s4, 4
.LBB346_14:                             ; =>This Inner Loop Header: Depth=1
	v_ashrrev_i32_e32 v1, 31, v0
	v_ashrrev_i32_e32 v3, 31, v2
	ds_read_b128 v[10:13], v5
	v_add_nc_u32_e32 v5, s11, v5
	v_lshlrev_b64 v[6:7], 4, v[0:1]
	v_lshlrev_b64 v[14:15], 3, v[0:1]
	v_add_nc_u32_e32 v0, s4, v0
	v_add_co_u32 v6, vcc_lo, s7, v6
	v_add_co_ci_u32_e64 v7, null, s8, v7, vcc_lo
	v_cmp_le_i64_e32 vcc_lo, s[14:15], v[2:3]
	v_add_nc_u32_e32 v2, s9, v2
	global_load_dwordx4 v[6:9], v[6:7], off
	s_or_b32 s10, vcc_lo, s10
	s_waitcnt vmcnt(0)
	v_mul_f32_e32 v3, 0x3fb8aa3b, v7
	v_mul_f32_e32 v16, 0x3fb8aa3b, v8
	;; [unrolled: 1-line block ×4, first 2 shown]
	v_cmp_ngt_f32_e64 s0, 0xc2ce8ed0, v7
	v_fma_f32 v20, 0x3fb8aa3b, v7, -v3
	v_rndne_f32_e32 v21, v3
	v_fma_f32 v22, 0x3fb8aa3b, v8, -v16
	v_rndne_f32_e32 v23, v16
	;; [unrolled: 2-line block ×4, first 2 shown]
	v_fmac_f32_e32 v20, 0x32a5705f, v7
	v_sub_f32_e32 v3, v3, v21
	v_fmac_f32_e32 v22, 0x32a5705f, v8
	v_sub_f32_e32 v16, v16, v23
	;; [unrolled: 2-line block ×4, first 2 shown]
	v_add_f32_e32 v3, v3, v20
	v_add_f32_e32 v16, v16, v22
	;; [unrolled: 1-line block ×3, first 2 shown]
	v_cvt_i32_f32_e32 v21, v21
	v_add_f32_e32 v1, v1, v18
	v_exp_f32_e32 v3, v3
	v_exp_f32_e32 v16, v16
	;; [unrolled: 1-line block ×3, first 2 shown]
	v_cvt_i32_f32_e32 v23, v23
	v_cvt_i32_f32_e32 v25, v25
	v_exp_f32_e32 v1, v1
	v_cvt_i32_f32_e32 v19, v19
	v_cmp_ngt_f32_e64 s1, 0xc2ce8ed0, v8
	v_cmp_ngt_f32_e64 s2, 0xc2ce8ed0, v9
	;; [unrolled: 1-line block ×3, first 2 shown]
	v_ldexp_f32 v3, v3, v21
	v_ldexp_f32 v16, v16, v23
	;; [unrolled: 1-line block ×4, first 2 shown]
	v_cndmask_b32_e64 v3, 0, v3, s0
	v_cmp_nlt_f32_e64 s0, 0x42b17218, v7
	v_cndmask_b32_e64 v7, 0, v16, s1
	v_cmp_nlt_f32_e64 s1, 0x42b17218, v8
	;; [unrolled: 2-line block ×4, first 2 shown]
	v_cndmask_b32_e64 v7, 0x7f800000, v7, s1
	v_cndmask_b32_e64 v3, 0x7f800000, v3, s0
	;; [unrolled: 1-line block ×4, first 2 shown]
	s_waitcnt lgkmcnt(0)
	v_fma_f32 v7, -v4, v7, v12
	v_fma_f32 v3, -v4, v3, v11
	;; [unrolled: 1-line block ×4, first 2 shown]
	v_bfe_u32 v11, v7, 16, 1
	v_bfe_u32 v9, v3, 16, 1
	v_bfe_u32 v10, v6, 16, 1
	v_cmp_o_f32_e64 s0, v7, v7
	v_bfe_u32 v8, v1, 16, 1
	v_add3_u32 v11, v7, v11, 0x7fff
	v_add3_u32 v9, v3, v9, 0x7fff
	;; [unrolled: 1-line block ×3, first 2 shown]
	v_cmp_o_f32_e64 s2, v6, v6
	v_add3_u32 v8, v1, v8, 0x7fff
	v_lshrrev_b32_e32 v11, 16, v11
	v_and_b32_e32 v9, 0xffff0000, v9
	v_and_b32_e32 v10, 0xffff0000, v10
	v_cmp_o_f32_e64 s1, v1, v1
	v_lshrrev_b32_e32 v8, 16, v8
	v_cndmask_b32_e64 v6, 0x7fc0, v11, s0
	v_cmp_o_f32_e64 s0, v3, v3
	v_cndmask_b32_e64 v1, 0x7fc00000, v10, s2
	v_cndmask_b32_e64 v8, 0x7fc0, v8, s1
	;; [unrolled: 1-line block ×3, first 2 shown]
	v_or_b32_e32 v1, v1, v6
	v_add_co_u32 v6, s0, s5, v14
	v_add_co_ci_u32_e64 v7, null, s6, v15, s0
	v_or3_b32 v8, 0, v3, v8
	v_or3_b32 v9, v1, 0, 0
	global_store_dwordx2 v[6:7], v[8:9], off
	s_andn2_b32 exec_lo, exec_lo, s10
	s_cbranch_execnz .LBB346_14
.LBB346_15:
	s_endpgm
	.section	.rodata,"a",@progbits
	.p2align	6, 0x0
	.amdhsa_kernel _ZN2at6native12_GLOBAL__N_124cunn_SoftMaxBackwardSmemILi4EN3c108BFloat16EffNS1_26LogSoftMaxBackwardEpilogueEEEvPT0_PKT2_SA_l
		.amdhsa_group_segment_fixed_size 0
		.amdhsa_private_segment_fixed_size 0
		.amdhsa_kernarg_size 288
		.amdhsa_user_sgpr_count 6
		.amdhsa_user_sgpr_private_segment_buffer 1
		.amdhsa_user_sgpr_dispatch_ptr 0
		.amdhsa_user_sgpr_queue_ptr 0
		.amdhsa_user_sgpr_kernarg_segment_ptr 1
		.amdhsa_user_sgpr_dispatch_id 0
		.amdhsa_user_sgpr_flat_scratch_init 0
		.amdhsa_user_sgpr_private_segment_size 0
		.amdhsa_wavefront_size32 1
		.amdhsa_uses_dynamic_stack 0
		.amdhsa_system_sgpr_private_segment_wavefront_offset 0
		.amdhsa_system_sgpr_workgroup_id_x 1
		.amdhsa_system_sgpr_workgroup_id_y 0
		.amdhsa_system_sgpr_workgroup_id_z 0
		.amdhsa_system_sgpr_workgroup_info 0
		.amdhsa_system_vgpr_workitem_id 0
		.amdhsa_next_free_vgpr 26
		.amdhsa_next_free_sgpr 18
		.amdhsa_reserve_vcc 1
		.amdhsa_reserve_flat_scratch 0
		.amdhsa_float_round_mode_32 0
		.amdhsa_float_round_mode_16_64 0
		.amdhsa_float_denorm_mode_32 3
		.amdhsa_float_denorm_mode_16_64 3
		.amdhsa_dx10_clamp 1
		.amdhsa_ieee_mode 1
		.amdhsa_fp16_overflow 0
		.amdhsa_workgroup_processor_mode 1
		.amdhsa_memory_ordered 1
		.amdhsa_forward_progress 1
		.amdhsa_shared_vgpr_count 0
		.amdhsa_exception_fp_ieee_invalid_op 0
		.amdhsa_exception_fp_denorm_src 0
		.amdhsa_exception_fp_ieee_div_zero 0
		.amdhsa_exception_fp_ieee_overflow 0
		.amdhsa_exception_fp_ieee_underflow 0
		.amdhsa_exception_fp_ieee_inexact 0
		.amdhsa_exception_int_div_zero 0
	.end_amdhsa_kernel
	.section	.text._ZN2at6native12_GLOBAL__N_124cunn_SoftMaxBackwardSmemILi4EN3c108BFloat16EffNS1_26LogSoftMaxBackwardEpilogueEEEvPT0_PKT2_SA_l,"axG",@progbits,_ZN2at6native12_GLOBAL__N_124cunn_SoftMaxBackwardSmemILi4EN3c108BFloat16EffNS1_26LogSoftMaxBackwardEpilogueEEEvPT0_PKT2_SA_l,comdat
.Lfunc_end346:
	.size	_ZN2at6native12_GLOBAL__N_124cunn_SoftMaxBackwardSmemILi4EN3c108BFloat16EffNS1_26LogSoftMaxBackwardEpilogueEEEvPT0_PKT2_SA_l, .Lfunc_end346-_ZN2at6native12_GLOBAL__N_124cunn_SoftMaxBackwardSmemILi4EN3c108BFloat16EffNS1_26LogSoftMaxBackwardEpilogueEEEvPT0_PKT2_SA_l
                                        ; -- End function
	.set _ZN2at6native12_GLOBAL__N_124cunn_SoftMaxBackwardSmemILi4EN3c108BFloat16EffNS1_26LogSoftMaxBackwardEpilogueEEEvPT0_PKT2_SA_l.num_vgpr, 26
	.set _ZN2at6native12_GLOBAL__N_124cunn_SoftMaxBackwardSmemILi4EN3c108BFloat16EffNS1_26LogSoftMaxBackwardEpilogueEEEvPT0_PKT2_SA_l.num_agpr, 0
	.set _ZN2at6native12_GLOBAL__N_124cunn_SoftMaxBackwardSmemILi4EN3c108BFloat16EffNS1_26LogSoftMaxBackwardEpilogueEEEvPT0_PKT2_SA_l.numbered_sgpr, 18
	.set _ZN2at6native12_GLOBAL__N_124cunn_SoftMaxBackwardSmemILi4EN3c108BFloat16EffNS1_26LogSoftMaxBackwardEpilogueEEEvPT0_PKT2_SA_l.num_named_barrier, 0
	.set _ZN2at6native12_GLOBAL__N_124cunn_SoftMaxBackwardSmemILi4EN3c108BFloat16EffNS1_26LogSoftMaxBackwardEpilogueEEEvPT0_PKT2_SA_l.private_seg_size, 0
	.set _ZN2at6native12_GLOBAL__N_124cunn_SoftMaxBackwardSmemILi4EN3c108BFloat16EffNS1_26LogSoftMaxBackwardEpilogueEEEvPT0_PKT2_SA_l.uses_vcc, 1
	.set _ZN2at6native12_GLOBAL__N_124cunn_SoftMaxBackwardSmemILi4EN3c108BFloat16EffNS1_26LogSoftMaxBackwardEpilogueEEEvPT0_PKT2_SA_l.uses_flat_scratch, 0
	.set _ZN2at6native12_GLOBAL__N_124cunn_SoftMaxBackwardSmemILi4EN3c108BFloat16EffNS1_26LogSoftMaxBackwardEpilogueEEEvPT0_PKT2_SA_l.has_dyn_sized_stack, 0
	.set _ZN2at6native12_GLOBAL__N_124cunn_SoftMaxBackwardSmemILi4EN3c108BFloat16EffNS1_26LogSoftMaxBackwardEpilogueEEEvPT0_PKT2_SA_l.has_recursion, 0
	.set _ZN2at6native12_GLOBAL__N_124cunn_SoftMaxBackwardSmemILi4EN3c108BFloat16EffNS1_26LogSoftMaxBackwardEpilogueEEEvPT0_PKT2_SA_l.has_indirect_call, 0
	.section	.AMDGPU.csdata,"",@progbits
; Kernel info:
; codeLenInByte = 1532
; TotalNumSgprs: 20
; NumVgprs: 26
; ScratchSize: 0
; MemoryBound: 0
; FloatMode: 240
; IeeeMode: 1
; LDSByteSize: 0 bytes/workgroup (compile time only)
; SGPRBlocks: 0
; VGPRBlocks: 3
; NumSGPRsForWavesPerEU: 20
; NumVGPRsForWavesPerEU: 26
; Occupancy: 16
; WaveLimiterHint : 0
; COMPUTE_PGM_RSRC2:SCRATCH_EN: 0
; COMPUTE_PGM_RSRC2:USER_SGPR: 6
; COMPUTE_PGM_RSRC2:TRAP_HANDLER: 0
; COMPUTE_PGM_RSRC2:TGID_X_EN: 1
; COMPUTE_PGM_RSRC2:TGID_Y_EN: 0
; COMPUTE_PGM_RSRC2:TGID_Z_EN: 0
; COMPUTE_PGM_RSRC2:TIDIG_COMP_CNT: 0
	.section	.text._ZN2at6native12_GLOBAL__N_120cunn_SoftMaxBackwardILi4EN3c108BFloat16EffNS1_26LogSoftMaxBackwardEpilogueEEEvPT0_PKT2_SA_l,"axG",@progbits,_ZN2at6native12_GLOBAL__N_120cunn_SoftMaxBackwardILi4EN3c108BFloat16EffNS1_26LogSoftMaxBackwardEpilogueEEEvPT0_PKT2_SA_l,comdat
	.globl	_ZN2at6native12_GLOBAL__N_120cunn_SoftMaxBackwardILi4EN3c108BFloat16EffNS1_26LogSoftMaxBackwardEpilogueEEEvPT0_PKT2_SA_l ; -- Begin function _ZN2at6native12_GLOBAL__N_120cunn_SoftMaxBackwardILi4EN3c108BFloat16EffNS1_26LogSoftMaxBackwardEpilogueEEEvPT0_PKT2_SA_l
	.p2align	8
	.type	_ZN2at6native12_GLOBAL__N_120cunn_SoftMaxBackwardILi4EN3c108BFloat16EffNS1_26LogSoftMaxBackwardEpilogueEEEvPT0_PKT2_SA_l,@function
_ZN2at6native12_GLOBAL__N_120cunn_SoftMaxBackwardILi4EN3c108BFloat16EffNS1_26LogSoftMaxBackwardEpilogueEEEvPT0_PKT2_SA_l: ; @_ZN2at6native12_GLOBAL__N_120cunn_SoftMaxBackwardILi4EN3c108BFloat16EffNS1_26LogSoftMaxBackwardEpilogueEEEvPT0_PKT2_SA_l
; %bb.0:
	s_load_dwordx8 s[8:15], s[4:5], 0x0
	s_mov_b32 s3, 0
	s_waitcnt lgkmcnt(0)
	s_mul_i32 s0, s15, s6
	s_mul_hi_u32 s1, s14, s6
	s_mul_i32 s20, s14, s6
	s_add_i32 s21, s1, s0
	v_cmp_lt_i64_e64 s7, 0x7ffffffe, s[14:15]
	s_lshl_b64 s[26:27], s[20:21], 2
	s_mov_b64 s[18:19], s[14:15]
	s_add_u32 s16, s12, s26
	s_addc_u32 s17, s13, s27
	s_bfe_u32 s2, s16, 0x20002
	s_cmp_lg_u32 s2, 0
	s_cselect_b32 s30, -1, 0
	s_and_b32 vcc_lo, exec_lo, s7
	s_cbranch_vccz .LBB347_16
; %bb.1:
	v_mov_b32_e32 v1, 0
	s_add_u32 s0, s4, 32
	s_addc_u32 s1, s5, 0
	s_and_b32 vcc_lo, exec_lo, s30
	s_cbranch_vccz .LBB347_39
; %bb.2:
	s_lshl_b32 s0, s2, 2
	v_mov_b32_e32 v6, v1
	s_sub_u32 s24, s16, s0
	s_mov_b32 s28, 0
	s_subb_u32 s25, s17, 0
	s_mov_b32 s0, exec_lo
	v_cmpx_le_u64_e64 s[2:3], v[0:1]
	s_cbranch_execz .LBB347_4
; %bb.3:
	v_lshlrev_b32_e32 v2, 2, v0
	global_load_dword v2, v2, s[24:25]
	s_waitcnt vmcnt(0)
	v_add_f32_e32 v6, 0, v2
.LBB347_4:
	s_or_b32 exec_lo, exec_lo, s0
	s_load_dword s22, s[4:5], 0x2c
	s_add_u32 s23, s2, s14
	s_addc_u32 s29, 0, s15
	s_add_u32 s0, s4, 32
	s_addc_u32 s1, s5, 0
	s_waitcnt lgkmcnt(0)
	s_and_b32 s31, s22, 0xffff
	s_sub_u32 s22, s23, s31
	s_subb_u32 s23, s29, 0
	s_lshl_b32 s29, s31, 2
	s_add_u32 s24, s24, s29
	s_addc_u32 s25, s25, 0
	s_and_b32 vcc_lo, exec_lo, s28
	s_cbranch_vccz .LBB347_6
.LBB347_5:
	v_mov_b32_e32 v6, 0
	s_mov_b64 s[22:23], s[18:19]
	s_mov_b64 s[24:25], s[16:17]
.LBB347_6:
	s_load_dword s28, s[0:1], 0x0
	v_mov_b32_e32 v2, 0
	s_waitcnt lgkmcnt(0)
	s_cmp_lt_u32 s6, s28
	s_cselect_b32 s28, 12, 18
	s_add_u32 s0, s0, s28
	s_addc_u32 s1, s1, 0
	global_load_ushort v2, v2, s[0:1]
	s_mov_b32 s0, 0
	s_waitcnt vmcnt(0)
	v_readfirstlane_b32 s1, v2
	v_and_b32_e32 v7, 0xffff, v2
	s_and_b32 s28, 0xffff, s1
	s_mov_b32 s1, s23
	s_lshl_b32 s31, s28, 2
	s_cmp_lg_u64 s[0:1], 0
	s_cbranch_scc0 .LBB347_40
; %bb.7:
	v_cvt_f32_u32_e32 v2, s31
	s_sub_u32 s29, 0, s31
	s_subb_u32 s33, 0, 0
	v_fmamk_f32 v2, 0, 0x4f800000, v2
	v_rcp_f32_e32 v2, v2
	v_mul_f32_e32 v2, 0x5f7ffffc, v2
	v_mul_f32_e32 v3, 0x2f800000, v2
	v_trunc_f32_e32 v3, v3
	v_fmamk_f32 v2, v3, 0xcf800000, v2
	v_cvt_u32_f32_e32 v3, v3
	v_cvt_u32_f32_e32 v2, v2
	v_readfirstlane_b32 s1, v3
	v_readfirstlane_b32 s28, v2
	s_mul_i32 s34, s29, s1
	s_mul_hi_u32 s36, s29, s28
	s_mul_i32 s35, s33, s28
	s_add_i32 s34, s36, s34
	s_mul_i32 s37, s29, s28
	s_add_i32 s34, s34, s35
	s_mul_hi_u32 s36, s28, s37
	s_mul_i32 s39, s28, s34
	s_mul_hi_u32 s38, s1, s37
	s_mul_i32 s35, s1, s37
	s_mul_hi_u32 s37, s28, s34
	s_add_u32 s36, s36, s39
	s_addc_u32 s37, 0, s37
	s_mul_hi_u32 s40, s1, s34
	s_add_u32 s35, s36, s35
	s_mul_i32 s34, s1, s34
	s_addc_u32 s35, s37, s38
	s_addc_u32 s36, s40, 0
	s_add_u32 s34, s35, s34
	s_addc_u32 s35, 0, s36
	s_add_u32 s28, s28, s34
	s_cselect_b32 s34, -1, 0
	s_mul_hi_u32 s36, s29, s28
	s_cmp_lg_u32 s34, 0
	s_mul_i32 s34, s29, s28
	s_addc_u32 s1, s1, s35
	s_mul_i32 s33, s33, s28
	s_mul_i32 s29, s29, s1
	s_mul_hi_u32 s35, s28, s34
	s_add_i32 s29, s36, s29
	s_mul_hi_u32 s36, s1, s34
	s_add_i32 s29, s29, s33
	s_mul_i32 s33, s1, s34
	s_mul_i32 s38, s28, s29
	s_mul_hi_u32 s37, s28, s29
	s_add_u32 s35, s35, s38
	s_addc_u32 s37, 0, s37
	s_mul_hi_u32 s34, s1, s29
	s_add_u32 s33, s35, s33
	s_mul_i32 s29, s1, s29
	s_addc_u32 s33, s37, s36
	s_addc_u32 s34, s34, 0
	s_add_u32 s29, s33, s29
	s_addc_u32 s33, 0, s34
	s_add_u32 s28, s28, s29
	s_cselect_b32 s29, -1, 0
	s_mul_hi_u32 s34, s22, s28
	s_cmp_lg_u32 s29, 0
	s_mul_hi_u32 s29, s23, s28
	s_addc_u32 s1, s1, s33
	s_mul_i32 s28, s23, s28
	s_mul_i32 s35, s22, s1
	s_mul_hi_u32 s33, s22, s1
	s_add_u32 s34, s34, s35
	s_addc_u32 s33, 0, s33
	s_mul_hi_u32 s36, s23, s1
	s_add_u32 s28, s34, s28
	s_mul_i32 s1, s23, s1
	s_addc_u32 s28, s33, s29
	s_addc_u32 s29, s36, 0
	s_add_u32 s1, s28, s1
	s_addc_u32 s28, 0, s29
	s_mul_hi_u32 s29, s31, s1
	s_mul_i32 s28, s31, s28
	s_mul_i32 s1, s31, s1
	s_add_i32 s29, s29, s28
	s_sub_u32 s1, s22, s1
	s_cselect_b32 s28, -1, 0
	s_cmp_lg_u32 s28, 0
	s_subb_u32 s28, s23, s29
	s_sub_u32 s29, s1, s31
	s_cselect_b32 s33, -1, 0
	s_cmp_lg_u32 s33, 0
	s_subb_u32 s33, s28, 0
	;; [unrolled: 4-line block ×3, first 2 shown]
	s_cmp_ge_u32 s29, s31
	s_cselect_b32 s36, -1, 0
	s_cmp_eq_u32 s33, 0
	s_cselect_b32 s36, s36, -1
	s_cmp_lg_u32 s36, 0
	s_cselect_b32 s33, s35, s33
	s_cselect_b32 s34, s34, s29
	s_cmp_ge_u32 s1, s31
	s_cselect_b32 s29, -1, 0
	s_cmp_eq_u32 s28, 0
	s_cselect_b32 s29, s29, -1
	s_cmp_lg_u32 s29, 0
	s_cselect_b32 s29, s33, s28
	s_cselect_b32 s28, s34, s1
	s_andn2_b32 vcc_lo, exec_lo, s0
	s_cbranch_vccnz .LBB347_9
.LBB347_8:
	v_cvt_f32_u32_e32 v2, s31
	s_sub_i32 s1, 0, s31
	s_mov_b32 s29, 0
	v_rcp_iflag_f32_e32 v2, v2
	v_mul_f32_e32 v2, 0x4f7ffffe, v2
	v_cvt_u32_f32_e32 v2, v2
	v_readfirstlane_b32 s0, v2
	s_mul_i32 s1, s1, s0
	s_mul_hi_u32 s1, s0, s1
	s_add_i32 s0, s0, s1
	s_mul_hi_u32 s0, s22, s0
	s_mul_i32 s0, s0, s31
	s_sub_i32 s0, s22, s0
	s_sub_i32 s1, s0, s31
	s_cmp_ge_u32 s0, s31
	s_cselect_b32 s0, s1, s0
	s_sub_i32 s1, s0, s31
	s_cmp_ge_u32 s0, s31
	s_cselect_b32 s28, s1, s0
.LBB347_9:
	v_lshlrev_b32_e32 v2, 4, v0
	v_mov_b32_e32 v5, v1
	v_lshlrev_b32_e32 v8, 4, v7
	v_mov_b32_e32 v4, v0
	s_sub_u32 s28, s22, s28
	v_add_co_u32 v2, s0, s24, v2
	v_add_co_ci_u32_e64 v3, null, s25, 0, s0
	s_subb_u32 s29, s23, s29
	v_add_co_u32 v2, vcc_lo, v2, 8
	v_add_co_ci_u32_e64 v3, null, 0, v3, vcc_lo
	s_mov_b32 s1, 0
	.p2align	6
.LBB347_10:                             ; =>This Inner Loop Header: Depth=1
	global_load_dwordx4 v[9:12], v[2:3], off offset:-8
	v_add_co_u32 v4, vcc_lo, v4, v7
	v_add_co_ci_u32_e64 v5, null, 0, v5, vcc_lo
	v_add_co_u32 v2, s0, v2, v8
	v_add_co_ci_u32_e64 v3, null, 0, v3, s0
	v_lshlrev_b64 v[13:14], 2, v[4:5]
	v_cmp_le_i64_e32 vcc_lo, s[28:29], v[13:14]
	s_or_b32 s1, vcc_lo, s1
	s_waitcnt vmcnt(0)
	v_add_f32_e32 v1, v6, v9
	v_add_f32_e32 v1, v1, v10
	;; [unrolled: 1-line block ×4, first 2 shown]
	s_andn2_b32 exec_lo, exec_lo, s1
	s_cbranch_execnz .LBB347_10
; %bb.11:
	s_or_b32 exec_lo, exec_lo, s1
	v_add_co_u32 v1, s0, s28, v0
	v_add_co_ci_u32_e64 v2, null, s29, 0, s0
	s_mov_b32 s0, exec_lo
	v_cmpx_gt_u64_e64 s[22:23], v[1:2]
	s_cbranch_execz .LBB347_15
; %bb.12:
	s_mov_b32 s1, 0
	.p2align	6
.LBB347_13:                             ; =>This Inner Loop Header: Depth=1
	v_lshlrev_b64 v[3:4], 2, v[1:2]
	v_add_co_u32 v3, vcc_lo, s24, v3
	v_add_co_ci_u32_e64 v4, null, s25, v4, vcc_lo
	v_add_co_u32 v1, vcc_lo, v1, v7
	v_add_co_ci_u32_e64 v2, null, 0, v2, vcc_lo
	global_load_dword v3, v[3:4], off
	v_cmp_le_i64_e32 vcc_lo, s[22:23], v[1:2]
	s_or_b32 s1, vcc_lo, s1
	s_waitcnt vmcnt(0)
	v_add_f32_e32 v6, v6, v3
	s_andn2_b32 exec_lo, exec_lo, s1
	s_cbranch_execnz .LBB347_13
; %bb.14:
	s_or_b32 exec_lo, exec_lo, s1
.LBB347_15:
	s_or_b32 exec_lo, exec_lo, s0
	s_branch .LBB347_31
.LBB347_16:
                                        ; implicit-def: $vgpr6
	s_cbranch_execz .LBB347_31
; %bb.17:
	s_add_u32 s22, s4, 32
	s_addc_u32 s23, s5, 0
	s_and_b32 vcc_lo, exec_lo, s30
	s_cbranch_vccz .LBB347_41
; %bb.18:
	s_lshl_b64 s[0:1], s[2:3], 2
	v_cmp_le_u32_e32 vcc_lo, s2, v0
	s_sub_u32 s24, s16, s0
	s_subb_u32 s25, s17, s1
	s_add_i32 s1, s2, s14
	v_mov_b32_e32 v6, 0
	v_cmp_gt_i32_e64 s0, s1, v0
	s_and_b32 s22, vcc_lo, s0
	s_and_saveexec_b32 s0, s22
	s_cbranch_execz .LBB347_20
; %bb.19:
	v_lshlrev_b32_e32 v1, 2, v0
	global_load_dword v1, v1, s[24:25]
	s_waitcnt vmcnt(0)
	v_add_f32_e32 v6, 0, v1
.LBB347_20:
	s_or_b32 exec_lo, exec_lo, s0
	s_load_dword s0, s[4:5], 0x2c
	s_add_u32 s22, s4, 32
	s_addc_u32 s23, s5, 0
	s_waitcnt lgkmcnt(0)
	s_and_b32 s0, s0, 0xffff
	v_sub_nc_u32_e64 v1, s1, s0 clamp
	s_lshl_b32 s0, s0, 2
	s_add_u32 s0, s24, s0
	s_addc_u32 s1, s25, 0
	v_readfirstlane_b32 s28, v1
	s_branch .LBB347_22
.LBB347_21:
	v_mov_b32_e32 v6, 0
	s_mov_b32 s28, s14
	s_mov_b64 s[0:1], s[16:17]
.LBB347_22:
	s_load_dword s24, s[22:23], 0x0
	v_mov_b32_e32 v1, 0
	s_waitcnt lgkmcnt(0)
	s_cmp_lt_u32 s6, s24
	s_cselect_b32 s24, 12, 18
	s_add_u32 s22, s22, s24
	s_addc_u32 s23, s23, 0
	global_load_ushort v3, v1, s[22:23]
	s_waitcnt vmcnt(0)
	v_readfirstlane_b32 s22, v3
	s_lshl_b32 s22, s22, 2
	v_cvt_f32_u32_e32 v1, s22
	s_sub_i32 s24, 0, s22
	v_rcp_iflag_f32_e32 v1, v1
	v_mul_f32_e32 v1, 0x4f7ffffe, v1
	v_cvt_u32_f32_e32 v1, v1
	v_readfirstlane_b32 s23, v1
	v_lshlrev_b32_e32 v1, 2, v0
	s_mul_i32 s24, s24, s23
	s_mul_hi_u32 s24, s23, s24
	s_add_i32 s23, s23, s24
	s_mul_hi_u32 s23, s28, s23
	s_mul_i32 s23, s23, s22
	s_sub_i32 s23, s28, s23
	s_sub_i32 s24, s23, s22
	s_cmp_ge_u32 s23, s22
	s_cselect_b32 s23, s24, s23
	s_sub_i32 s24, s23, s22
	s_cmp_ge_u32 s23, s22
	s_cselect_b32 s22, s24, s23
	s_mov_b32 s24, 0
	s_sub_i32 s22, s28, s22
	s_mov_b32 s23, exec_lo
	v_cmpx_gt_i32_e64 s22, v1
	s_cbranch_execz .LBB347_26
; %bb.23:
	v_mov_b32_e32 v1, v0
	.p2align	6
.LBB347_24:                             ; =>This Inner Loop Header: Depth=1
	v_ashrrev_i32_e32 v2, 31, v1
	v_lshlrev_b64 v[4:5], 4, v[1:2]
	v_add_nc_u32_e32 v1, v1, v3
	v_add_co_u32 v4, vcc_lo, s0, v4
	v_add_co_ci_u32_e64 v5, null, s1, v5, vcc_lo
	global_load_dwordx4 v[7:10], v[4:5], off
	v_lshlrev_b32_e32 v4, 2, v1
	v_cmp_le_i32_e32 vcc_lo, s22, v4
	s_or_b32 s24, vcc_lo, s24
	s_waitcnt vmcnt(0)
	v_add_f32_e32 v2, v6, v7
	v_add_f32_e32 v2, v2, v8
	;; [unrolled: 1-line block ×4, first 2 shown]
	s_andn2_b32 exec_lo, exec_lo, s24
	s_cbranch_execnz .LBB347_24
; %bb.25:
	s_or_b32 exec_lo, exec_lo, s24
.LBB347_26:
	s_or_b32 exec_lo, exec_lo, s23
	v_add_nc_u32_e32 v1, s22, v0
	s_mov_b32 s22, exec_lo
	v_cmpx_gt_i32_e64 s28, v1
	s_cbranch_execz .LBB347_30
; %bb.27:
	s_mov_b32 s23, 0
.LBB347_28:                             ; =>This Inner Loop Header: Depth=1
	v_ashrrev_i32_e32 v2, 31, v1
	v_lshlrev_b64 v[4:5], 2, v[1:2]
	v_add_nc_u32_e32 v1, v1, v3
	v_add_co_u32 v4, vcc_lo, s0, v4
	v_add_co_ci_u32_e64 v5, null, s1, v5, vcc_lo
	v_cmp_le_i32_e32 vcc_lo, s28, v1
	global_load_dword v2, v[4:5], off
	s_or_b32 s23, vcc_lo, s23
	s_waitcnt vmcnt(0)
	v_add_f32_e32 v6, v6, v2
	s_andn2_b32 exec_lo, exec_lo, s23
	s_cbranch_execnz .LBB347_28
; %bb.29:
	s_or_b32 exec_lo, exec_lo, s23
.LBB347_30:
	s_or_b32 exec_lo, exec_lo, s22
.LBB347_31:
	v_lshl_add_u32 v1, v0, 2, 0
	s_barrier
	buffer_gl0_inv
	ds_write_b32 v1, v6
	s_waitcnt lgkmcnt(0)
	s_barrier
	buffer_gl0_inv
	s_load_dword s1, s[4:5], 0x2c
	s_add_u32 s4, s4, 32
	s_addc_u32 s5, s5, 0
	s_waitcnt lgkmcnt(0)
	s_bfe_u32 s0, s1, 0xb0005
	s_and_b32 s0, s0, 0xffff
	s_min_u32 s22, s0, 32
	v_cmp_gt_u32_e32 vcc_lo, s22, v0
	s_and_saveexec_b32 s22, vcc_lo
	s_cbranch_execz .LBB347_33
; %bb.32:
	v_mad_u32_u24 v10, 0x7c, v0, v1
	ds_read2_b32 v[2:3], v10 offset1:1
	ds_read2_b32 v[4:5], v10 offset0:2 offset1:3
	ds_read2_b32 v[6:7], v10 offset0:4 offset1:5
	;; [unrolled: 1-line block ×3, first 2 shown]
	s_waitcnt lgkmcnt(3)
	v_add_f32_e32 v2, 0, v2
	v_add_f32_e32 v2, v2, v3
	s_waitcnt lgkmcnt(2)
	v_add_f32_e32 v2, v2, v4
	v_add_f32_e32 v4, v2, v5
	ds_read2_b32 v[2:3], v10 offset0:8 offset1:9
	s_waitcnt lgkmcnt(2)
	v_add_f32_e32 v4, v4, v6
	v_add_f32_e32 v6, v4, v7
	ds_read2_b32 v[4:5], v10 offset0:10 offset1:11
	s_waitcnt lgkmcnt(2)
	v_add_f32_e32 v6, v6, v8
	v_add_f32_e32 v11, v6, v9
	ds_read2_b32 v[6:7], v10 offset0:12 offset1:13
	ds_read2_b32 v[8:9], v10 offset0:14 offset1:15
	s_waitcnt lgkmcnt(3)
	v_add_f32_e32 v2, v11, v2
	v_add_f32_e32 v2, v2, v3
	s_waitcnt lgkmcnt(2)
	v_add_f32_e32 v2, v2, v4
	v_add_f32_e32 v4, v2, v5
	ds_read2_b32 v[2:3], v10 offset0:16 offset1:17
	s_waitcnt lgkmcnt(2)
	v_add_f32_e32 v4, v4, v6
	v_add_f32_e32 v6, v4, v7
	ds_read2_b32 v[4:5], v10 offset0:18 offset1:19
	;; [unrolled: 4-line block ×3, first 2 shown]
	ds_read2_b32 v[8:9], v10 offset0:22 offset1:23
	s_waitcnt lgkmcnt(3)
	v_add_f32_e32 v2, v11, v2
	v_add_f32_e32 v2, v2, v3
	s_waitcnt lgkmcnt(2)
	v_add_f32_e32 v2, v2, v4
	v_add_f32_e32 v2, v2, v5
	s_waitcnt lgkmcnt(1)
	v_add_f32_e32 v4, v2, v6
	ds_read2_b32 v[2:3], v10 offset0:24 offset1:25
	v_add_f32_e32 v4, v4, v7
	s_waitcnt lgkmcnt(1)
	v_add_f32_e32 v6, v4, v8
	ds_read2_b32 v[4:5], v10 offset0:26 offset1:27
	v_add_f32_e32 v11, v6, v9
	ds_read2_b32 v[6:7], v10 offset0:28 offset1:29
	ds_read2_b32 v[8:9], v10 offset0:30 offset1:31
	s_waitcnt lgkmcnt(3)
	v_add_f32_e32 v2, v11, v2
	v_add_f32_e32 v2, v2, v3
	s_waitcnt lgkmcnt(2)
	v_add_f32_e32 v2, v2, v4
	v_add_f32_e32 v2, v2, v5
	;; [unrolled: 3-line block ×4, first 2 shown]
	ds_write_b32 v1, v2
.LBB347_33:
	s_or_b32 exec_lo, exec_lo, s22
	s_and_b32 s33, 0xffff, s1
	s_mov_b32 s1, exec_lo
	s_waitcnt lgkmcnt(0)
	s_barrier
	buffer_gl0_inv
	v_cmpx_eq_u32_e32 0, v0
	s_cbranch_execz .LBB347_46
; %bb.34:
	v_mov_b32_e32 v1, 0
	s_cmp_lt_u32 s33, 32
	s_cbranch_scc1 .LBB347_45
; %bb.35:
	s_add_i32 s22, s0, -1
	v_mov_b32_e32 v1, 0
	s_and_b32 s22, s22, 0xffff
	s_cmp_lt_u32 s22, 7
	s_cbranch_scc1 .LBB347_42
; %bb.36:
	s_and_b32 s22, s0, 0x7f8
	s_mov_b32 s23, 0
	s_mov_b32 s24, 0
	.p2align	6
.LBB347_37:                             ; =>This Inner Loop Header: Depth=1
	v_mov_b32_e32 v8, s24
	s_add_i32 s23, s23, 8
	s_add_i32 s24, s24, 32
	s_cmp_eq_u32 s22, s23
	ds_read2_b32 v[2:3], v8 offset1:1
	ds_read2_b32 v[4:5], v8 offset0:2 offset1:3
	ds_read2_b32 v[6:7], v8 offset0:4 offset1:5
	;; [unrolled: 1-line block ×3, first 2 shown]
	s_waitcnt lgkmcnt(3)
	v_add_f32_e32 v1, v1, v2
	v_add_f32_e32 v1, v1, v3
	s_waitcnt lgkmcnt(2)
	v_add_f32_e32 v1, v1, v4
	v_add_f32_e32 v1, v1, v5
	;; [unrolled: 3-line block ×4, first 2 shown]
	s_cbranch_scc0 .LBB347_37
; %bb.38:
	s_and_b32 s0, s0, 7
	s_cmp_eq_u32 s0, 0
	s_cbranch_scc0 .LBB347_43
	s_branch .LBB347_45
.LBB347_39:
                                        ; implicit-def: $sgpr24_sgpr25
                                        ; implicit-def: $sgpr22_sgpr23
                                        ; implicit-def: $vgpr6
	s_cbranch_execnz .LBB347_5
	s_branch .LBB347_6
.LBB347_40:
                                        ; implicit-def: $sgpr28_sgpr29
	s_branch .LBB347_8
.LBB347_41:
                                        ; implicit-def: $sgpr0_sgpr1
                                        ; implicit-def: $sgpr28
                                        ; implicit-def: $vgpr6
	s_cbranch_execnz .LBB347_21
	s_branch .LBB347_22
.LBB347_42:
	s_mov_b32 s22, 0
	s_and_b32 s0, s0, 7
	s_cmp_eq_u32 s0, 0
	s_cbranch_scc1 .LBB347_45
.LBB347_43:
	s_lshl_b32 s22, s22, 2
	s_add_i32 s22, s22, 0
.LBB347_44:                             ; =>This Inner Loop Header: Depth=1
	v_mov_b32_e32 v2, s22
	s_add_i32 s0, s0, -1
	s_add_i32 s22, s22, 4
	s_cmp_lg_u32 s0, 0
	ds_read_b32 v2, v2
	s_waitcnt lgkmcnt(0)
	v_add_f32_e32 v1, v1, v2
	s_cbranch_scc1 .LBB347_44
.LBB347_45:
	v_mov_b32_e32 v2, 0
	ds_write_b32 v2, v1
.LBB347_46:
	s_or_b32 exec_lo, exec_lo, s1
	v_mov_b32_e32 v1, 0
	s_waitcnt lgkmcnt(0)
	s_barrier
	buffer_gl0_inv
	s_lshl_b64 s[30:31], s[20:21], 1
	ds_read_b32 v8, v1
	s_add_u32 s20, s8, s30
	s_addc_u32 s21, s9, s31
	s_add_u32 s22, s10, s26
	s_addc_u32 s23, s11, s27
	s_lshr_b64 s[0:1], s[20:21], 1
	s_mov_b32 s25, 0
	s_and_b32 s24, s0, 7
	s_bfe_u32 s0, s22, 0x20002
	s_mov_b32 s1, s25
	s_cmp_eq_u64 s[24:25], s[0:1]
	s_cselect_b32 s0, -1, 0
	s_cmp_eq_u64 s[24:25], s[2:3]
	s_cselect_b32 s1, -1, 0
	s_and_b32 s0, s0, s1
	s_andn2_b32 vcc_lo, exec_lo, s0
	s_mov_b32 s0, -1
	s_cbranch_vccz .LBB347_65
; %bb.47:
	s_and_b32 vcc_lo, exec_lo, s7
	s_cbranch_vccz .LBB347_56
; %bb.48:
	s_lshl_b32 s40, s33, 2
	s_mov_b32 s42, 0
	v_cvt_f32_u32_e32 v1, s40
	s_sub_i32 s1, 0, s40
	s_mov_b32 s41, exec_lo
	v_rcp_iflag_f32_e32 v1, v1
	v_mul_f32_e32 v1, 0x4f7ffffe, v1
	v_cvt_u32_f32_e32 v1, v1
	v_readfirstlane_b32 s0, v1
	v_mov_b32_e32 v1, 0
	s_mul_i32 s1, s1, s0
	v_mov_b32_e32 v3, v1
	s_mul_hi_u32 s1, s0, s1
	v_mov_b32_e32 v2, v0
	s_add_i32 s0, s0, s1
	s_mul_hi_u32 s0, s14, s0
	s_mul_i32 s0, s0, s40
	s_sub_i32 s0, s14, s0
	s_sub_i32 s1, s0, s40
	s_cmp_ge_u32 s0, s40
	s_cselect_b32 s0, s1, s0
	s_sub_i32 s1, s0, s40
	s_cmp_ge_u32 s0, s40
	s_cselect_b32 s0, s1, s0
	s_bfe_i64 s[28:29], s[14:15], 0x200000
	s_sub_u32 s34, s28, s0
	s_subb_u32 s35, s29, 0
	v_cmpx_gt_i64_e64 s[34:35], v[0:1]
	s_cbranch_execz .LBB347_52
; %bb.49:
	s_lshl_b32 s43, s33, 1
	s_lshl_b32 s44, s33, 4
	s_add_u32 s0, s26, s40
	s_addc_u32 s1, s27, 0
	s_add_u32 s45, s10, s0
	s_addc_u32 s46, s11, s1
	s_lshl_b32 s47, s33, 3
	s_mul_i32 s36, s33, 12
	s_add_u32 s2, s26, s47
	s_addc_u32 s3, s27, 0
	s_add_u32 s48, s10, s2
	s_addc_u32 s49, s11, s3
	;; [unrolled: 2-line block ×5, first 2 shown]
	s_add_u32 s54, s12, s2
	v_lshlrev_b64 v[2:3], 1, v[0:1]
	s_addc_u32 s55, s13, s3
	s_add_u32 s56, s12, s36
	s_addc_u32 s57, s13, s37
	s_add_u32 s0, s8, s30
	s_addc_u32 s1, s9, s31
	v_add_co_u32 v6, vcc_lo, s0, v2
	v_lshlrev_b64 v[4:5], 2, v[0:1]
	v_add_co_ci_u32_e64 v7, null, s1, v3, vcc_lo
	v_mov_b32_e32 v3, v1
	v_mov_b32_e32 v2, v0
	s_mul_i32 s58, s33, 6
	s_mov_b64 s[36:37], s[16:17]
	s_mov_b64 s[38:39], s[22:23]
.LBB347_50:                             ; =>This Inner Loop Header: Depth=1
	v_add_co_u32 v9, vcc_lo, s38, v4
	v_add_co_ci_u32_e64 v10, null, s39, v5, vcc_lo
	v_add_co_u32 v11, vcc_lo, s45, v4
	v_add_co_ci_u32_e64 v12, null, s46, v5, vcc_lo
	;; [unrolled: 2-line block ×4, first 2 shown]
	global_load_dword v1, v[9:10], off
	global_load_dword v17, v[11:12], off
	;; [unrolled: 1-line block ×4, first 2 shown]
	v_add_co_u32 v9, vcc_lo, s36, v4
	v_add_co_ci_u32_e64 v10, null, s37, v5, vcc_lo
	v_add_co_u32 v11, vcc_lo, s52, v4
	v_add_co_ci_u32_e64 v12, null, s53, v5, vcc_lo
	;; [unrolled: 2-line block ×4, first 2 shown]
	global_load_dword v20, v[9:10], off
	global_load_dword v21, v[11:12], off
	;; [unrolled: 1-line block ×4, first 2 shown]
	v_add_co_u32 v9, vcc_lo, v6, s43
	v_add_co_ci_u32_e64 v10, null, 0, v7, vcc_lo
	v_add_co_u32 v11, vcc_lo, v6, s40
	s_add_u32 s38, s38, s44
	v_add_co_ci_u32_e64 v12, null, 0, v7, vcc_lo
	v_add_co_u32 v13, vcc_lo, v6, s58
	s_addc_u32 s39, s39, 0
	s_add_u32 s45, s45, s44
	v_add_co_ci_u32_e64 v14, null, 0, v7, vcc_lo
	v_add_co_u32 v2, vcc_lo, v2, s40
	s_addc_u32 s46, s46, 0
	s_add_u32 s48, s48, s44
	v_add_co_ci_u32_e64 v3, null, 0, v3, vcc_lo
	s_addc_u32 s49, s49, 0
	s_add_u32 s50, s50, s44
	s_addc_u32 s51, s51, 0
	s_add_u32 s36, s36, s44
	s_addc_u32 s37, s37, 0
	v_cmp_le_i64_e32 vcc_lo, s[34:35], v[2:3]
	s_add_u32 s52, s52, s44
	s_addc_u32 s53, s53, 0
	s_add_u32 s54, s54, s44
	s_addc_u32 s55, s55, 0
	;; [unrolled: 2-line block ×3, first 2 shown]
	s_or_b32 s42, vcc_lo, s42
	s_waitcnt vmcnt(7)
	v_mul_f32_e32 v16, 0x3fb8aa3b, v1
	s_waitcnt vmcnt(6)
	v_mul_f32_e32 v23, 0x3fb8aa3b, v17
	;; [unrolled: 2-line block ×4, first 2 shown]
	v_cmp_ngt_f32_e64 s3, 0xc2ce8ed0, v1
	v_fma_f32 v26, 0x3fb8aa3b, v1, -v16
	v_rndne_f32_e32 v27, v16
	v_fma_f32 v28, 0x3fb8aa3b, v17, -v23
	v_rndne_f32_e32 v29, v23
	v_fma_f32 v30, 0x3fb8aa3b, v18, -v24
	v_rndne_f32_e32 v31, v24
	v_fma_f32 v32, 0x3fb8aa3b, v19, -v25
	v_rndne_f32_e32 v33, v25
	v_fmac_f32_e32 v26, 0x32a5705f, v1
	v_sub_f32_e32 v16, v16, v27
	v_fmac_f32_e32 v28, 0x32a5705f, v17
	v_sub_f32_e32 v23, v23, v29
	;; [unrolled: 2-line block ×4, first 2 shown]
	v_add_f32_e32 v16, v16, v26
	v_add_f32_e32 v23, v23, v28
	;; [unrolled: 1-line block ×3, first 2 shown]
	v_cvt_i32_f32_e32 v27, v27
	v_add_f32_e32 v25, v25, v32
	v_exp_f32_e32 v16, v16
	v_exp_f32_e32 v23, v23
	;; [unrolled: 1-line block ×3, first 2 shown]
	v_cvt_i32_f32_e32 v29, v29
	v_exp_f32_e32 v25, v25
	v_cvt_i32_f32_e32 v31, v31
	v_cvt_i32_f32_e32 v33, v33
	v_cmp_ngt_f32_e64 s0, 0xc2ce8ed0, v17
	v_cmp_ngt_f32_e64 s1, 0xc2ce8ed0, v18
	v_cmp_ngt_f32_e64 s2, 0xc2ce8ed0, v19
	v_ldexp_f32 v16, v16, v27
	v_ldexp_f32 v23, v23, v29
	;; [unrolled: 1-line block ×4, first 2 shown]
	v_cndmask_b32_e64 v16, 0, v16, s3
	v_cmp_nlt_f32_e64 s3, 0x42b17218, v1
	v_cndmask_b32_e64 v23, 0, v23, s0
	v_cmp_nlt_f32_e64 s0, 0x42b17218, v17
	;; [unrolled: 2-line block ×4, first 2 shown]
	v_cndmask_b32_e64 v1, 0x7f800000, v16, s3
	v_cndmask_b32_e64 v16, 0x7f800000, v23, s0
	;; [unrolled: 1-line block ×4, first 2 shown]
	s_waitcnt vmcnt(3) lgkmcnt(0)
	v_fma_f32 v1, -v8, v1, v20
	s_waitcnt vmcnt(2)
	v_fma_f32 v16, -v8, v16, v21
	s_waitcnt vmcnt(1)
	;; [unrolled: 2-line block ×3, first 2 shown]
	v_fma_f32 v15, -v8, v18, v15
	v_bfe_u32 v18, v1, 16, 1
	v_bfe_u32 v19, v16, 16, 1
	;; [unrolled: 1-line block ×3, first 2 shown]
	v_cmp_o_f32_e64 s3, v1, v1
	v_bfe_u32 v21, v15, 16, 1
	v_add3_u32 v18, v1, v18, 0x7fff
	v_add3_u32 v19, v16, v19, 0x7fff
	;; [unrolled: 1-line block ×3, first 2 shown]
	v_cmp_o_f32_e64 s0, v16, v16
	v_add3_u32 v21, v15, v21, 0x7fff
	v_lshrrev_b32_e32 v18, 16, v18
	v_lshrrev_b32_e32 v19, 16, v19
	;; [unrolled: 1-line block ×3, first 2 shown]
	v_cmp_o_f32_e64 s1, v17, v17
	v_lshrrev_b32_e32 v17, 16, v21
	v_cndmask_b32_e64 v1, 0x7fc0, v18, s3
	v_cmp_o_f32_e64 s2, v15, v15
	v_cndmask_b32_e64 v15, 0x7fc0, v19, s0
	v_cndmask_b32_e64 v16, 0x7fc0, v16, s1
	global_store_short v[6:7], v1, off
	v_add_co_u32 v6, s0, v6, s47
	v_add_co_ci_u32_e64 v7, null, 0, v7, s0
	v_cndmask_b32_e64 v17, 0x7fc0, v17, s2
	global_store_short v[9:10], v15, off
	global_store_short v[11:12], v16, off
	;; [unrolled: 1-line block ×3, first 2 shown]
	s_andn2_b32 exec_lo, exec_lo, s42
	s_cbranch_execnz .LBB347_50
; %bb.51:
	s_or_b32 exec_lo, exec_lo, s42
.LBB347_52:
	s_or_b32 exec_lo, exec_lo, s41
	s_mov_b32 s1, exec_lo
	v_cmpx_gt_i64_e64 s[28:29], v[2:3]
	s_cbranch_execz .LBB347_55
; %bb.53:
	v_lshlrev_b64 v[4:5], 2, v[2:3]
	v_lshlrev_b64 v[9:10], 1, v[2:3]
	s_add_u32 s0, s8, s30
	s_addc_u32 s2, s9, s31
	s_lshl_b32 s3, s33, 1
	v_add_co_u32 v1, vcc_lo, s26, v4
	v_add_co_ci_u32_e64 v6, null, s27, v5, vcc_lo
	v_add_co_u32 v4, vcc_lo, s0, v9
	v_add_co_ci_u32_e64 v5, null, s2, v10, vcc_lo
	s_mov_b32 s2, 0
.LBB347_54:                             ; =>This Inner Loop Header: Depth=1
	v_add_co_u32 v9, vcc_lo, s10, v1
	v_add_co_ci_u32_e64 v10, null, s11, v6, vcc_lo
	global_load_dword v7, v[9:10], off
	v_add_co_u32 v9, vcc_lo, s12, v1
	v_add_co_ci_u32_e64 v10, null, s13, v6, vcc_lo
	v_add_co_u32 v2, vcc_lo, v2, s33
	v_add_co_ci_u32_e64 v3, null, 0, v3, vcc_lo
	global_load_dword v9, v[9:10], off
	v_add_co_u32 v1, vcc_lo, v1, s40
	v_add_co_ci_u32_e64 v6, null, 0, v6, vcc_lo
	v_cmp_le_i64_e32 vcc_lo, s[28:29], v[2:3]
	s_or_b32 s2, vcc_lo, s2
	s_waitcnt vmcnt(1)
	v_mul_f32_e32 v10, 0x3fb8aa3b, v7
	v_cmp_ngt_f32_e64 s0, 0xc2ce8ed0, v7
	v_fma_f32 v11, 0x3fb8aa3b, v7, -v10
	v_rndne_f32_e32 v12, v10
	v_fmac_f32_e32 v11, 0x32a5705f, v7
	v_sub_f32_e32 v10, v10, v12
	v_add_f32_e32 v10, v10, v11
	v_cvt_i32_f32_e32 v11, v12
	v_exp_f32_e32 v10, v10
	v_ldexp_f32 v10, v10, v11
	v_cndmask_b32_e64 v10, 0, v10, s0
	v_cmp_nlt_f32_e64 s0, 0x42b17218, v7
	v_cndmask_b32_e64 v7, 0x7f800000, v10, s0
	s_waitcnt vmcnt(0) lgkmcnt(0)
	v_fma_f32 v7, -v8, v7, v9
	v_bfe_u32 v9, v7, 16, 1
	v_cmp_o_f32_e64 s0, v7, v7
	v_add3_u32 v9, v7, v9, 0x7fff
	v_lshrrev_b32_e32 v9, 16, v9
	v_cndmask_b32_e64 v7, 0x7fc0, v9, s0
	global_store_short v[4:5], v7, off
	v_add_co_u32 v4, s0, v4, s3
	v_add_co_ci_u32_e64 v5, null, 0, v5, s0
	s_andn2_b32 exec_lo, exec_lo, s2
	s_cbranch_execnz .LBB347_54
.LBB347_55:
	s_or_b32 exec_lo, exec_lo, s1
	s_mov_b32 s0, 0
.LBB347_56:
	s_and_b32 vcc_lo, exec_lo, s0
	s_cbranch_vccz .LBB347_91
; %bb.57:
	s_lshl_b32 s0, s33, 2
	s_mov_b32 s10, 0
	v_cvt_f32_u32_e32 v1, s0
	s_sub_i32 s2, 0, s0
	s_mov_b32 s8, exec_lo
	v_rcp_iflag_f32_e32 v1, v1
	v_mul_f32_e32 v1, 0x4f7ffffe, v1
	v_cvt_u32_f32_e32 v1, v1
	v_readfirstlane_b32 s1, v1
	v_mov_b32_e32 v1, v0
	s_mul_i32 s2, s2, s1
	s_mul_hi_u32 s2, s1, s2
	s_add_i32 s1, s1, s2
	s_mul_hi_u32 s1, s14, s1
	s_mul_i32 s1, s1, s0
	s_sub_i32 s1, s14, s1
	s_sub_i32 s2, s1, s0
	s_cmp_ge_u32 s1, s0
	s_cselect_b32 s1, s2, s1
	s_sub_i32 s2, s1, s0
	s_cmp_ge_u32 s1, s0
	s_cselect_b32 s0, s2, s1
	s_sub_i32 s9, s14, s0
	v_cmpx_gt_i32_e64 s9, v0
	s_cbranch_execz .LBB347_61
; %bb.58:
	v_mov_b32_e32 v2, 0
	v_mov_b32_e32 v1, v0
	s_lshl_b32 s11, s33, 1
	s_mul_i32 s12, s33, 3
	s_add_i32 s13, s33, s33
.LBB347_59:                             ; =>This Inner Loop Header: Depth=1
	v_lshlrev_b64 v[11:12], 2, v[1:2]
	v_add_nc_u32_e32 v3, s33, v1
	v_mov_b32_e32 v4, v2
	v_add_nc_u32_e32 v5, s11, v1
	v_mov_b32_e32 v6, v2
	;; [unrolled: 2-line block ×3, first 2 shown]
	v_add_co_u32 v19, vcc_lo, s22, v11
	v_lshlrev_b64 v[13:14], 2, v[3:4]
	v_add_co_ci_u32_e64 v20, null, s23, v12, vcc_lo
	v_lshlrev_b64 v[15:16], 2, v[5:6]
	v_lshlrev_b64 v[17:18], 2, v[9:10]
	global_load_dword v25, v[19:20], off
	v_add_co_u32 v19, vcc_lo, s22, v13
	v_add_co_ci_u32_e64 v20, null, s23, v14, vcc_lo
	v_add_co_u32 v21, vcc_lo, s22, v15
	v_add_co_ci_u32_e64 v22, null, s23, v16, vcc_lo
	;; [unrolled: 2-line block ×3, first 2 shown]
	s_clause 0x2
	global_load_dword v19, v[19:20], off
	global_load_dword v20, v[21:22], off
	;; [unrolled: 1-line block ×3, first 2 shown]
	v_add_co_u32 v11, vcc_lo, s16, v11
	v_add_co_ci_u32_e64 v12, null, s17, v12, vcc_lo
	v_add_co_u32 v13, vcc_lo, s16, v13
	v_add_co_ci_u32_e64 v14, null, s17, v14, vcc_lo
	;; [unrolled: 2-line block ×4, first 2 shown]
	s_clause 0x3
	global_load_dword v22, v[11:12], off
	global_load_dword v23, v[13:14], off
	;; [unrolled: 1-line block ×4, first 2 shown]
	v_lshlrev_b64 v[11:12], 1, v[1:2]
	v_lshlrev_b64 v[13:14], 1, v[3:4]
	;; [unrolled: 1-line block ×4, first 2 shown]
	v_add3_u32 v1, s13, s33, v3
	v_add_co_u32 v9, vcc_lo, s20, v11
	v_add_co_u32 v11, s0, s20, v13
	v_add_co_ci_u32_e64 v10, null, s21, v12, vcc_lo
	v_add_co_ci_u32_e64 v12, null, s21, v14, s0
	v_add_co_u32 v3, s0, s20, v4
	v_add_co_ci_u32_e64 v4, null, s21, v5, s0
	v_add_co_u32 v5, s0, s20, v6
	v_add_co_ci_u32_e64 v6, null, s21, v7, s0
	v_cmp_le_i32_e32 vcc_lo, s9, v1
	s_or_b32 s10, vcc_lo, s10
	s_waitcnt vmcnt(7)
	v_mul_f32_e32 v7, 0x3fb8aa3b, v25
	v_cmp_ngt_f32_e64 s0, 0xc2ce8ed0, v25
	v_cmp_nlt_f32_e64 s3, 0x42b17218, v25
	v_fma_f32 v13, 0x3fb8aa3b, v25, -v7
	v_rndne_f32_e32 v14, v7
	v_fmac_f32_e32 v13, 0x32a5705f, v25
	v_sub_f32_e32 v7, v7, v14
	s_waitcnt vmcnt(6)
	v_mul_f32_e32 v17, 0x3fb8aa3b, v19
	s_waitcnt vmcnt(5)
	v_mul_f32_e32 v18, 0x3fb8aa3b, v20
	;; [unrolled: 2-line block ×3, first 2 shown]
	v_cvt_i32_f32_e32 v14, v14
	v_add_f32_e32 v7, v7, v13
	v_fma_f32 v26, 0x3fb8aa3b, v19, -v17
	v_rndne_f32_e32 v27, v17
	v_fma_f32 v28, 0x3fb8aa3b, v20, -v18
	v_rndne_f32_e32 v29, v18
	;; [unrolled: 2-line block ×3, first 2 shown]
	v_fmac_f32_e32 v26, 0x32a5705f, v19
	v_sub_f32_e32 v13, v17, v27
	v_fmac_f32_e32 v28, 0x32a5705f, v20
	v_sub_f32_e32 v18, v18, v29
	;; [unrolled: 2-line block ×3, first 2 shown]
	v_exp_f32_e32 v7, v7
	v_add_f32_e32 v13, v13, v26
	v_add_f32_e32 v18, v18, v28
	v_cvt_i32_f32_e32 v17, v27
	v_add_f32_e32 v24, v24, v30
	v_cvt_i32_f32_e32 v27, v29
	v_exp_f32_e32 v13, v13
	v_exp_f32_e32 v18, v18
	v_cvt_i32_f32_e32 v29, v31
	v_exp_f32_e32 v24, v24
	v_ldexp_f32 v7, v7, v14
	v_cmp_ngt_f32_e64 s1, 0xc2ce8ed0, v20
	v_cmp_ngt_f32_e64 s2, 0xc2ce8ed0, v21
	v_cndmask_b32_e64 v7, 0, v7, s0
	v_ldexp_f32 v13, v13, v17
	v_cmp_ngt_f32_e64 s0, 0xc2ce8ed0, v19
	v_ldexp_f32 v14, v18, v27
	v_ldexp_f32 v17, v24, v29
	v_cndmask_b32_e64 v7, 0x7f800000, v7, s3
	v_cndmask_b32_e64 v13, 0, v13, s0
	v_cmp_nlt_f32_e64 s0, 0x42b17218, v19
	v_cndmask_b32_e64 v14, 0, v14, s1
	v_cmp_nlt_f32_e64 s1, 0x42b17218, v20
	;; [unrolled: 2-line block ×3, first 2 shown]
	s_waitcnt vmcnt(3) lgkmcnt(0)
	v_fma_f32 v7, -v8, v7, v22
	v_cndmask_b32_e64 v13, 0x7f800000, v13, s0
	v_cndmask_b32_e64 v14, 0x7f800000, v14, s1
	v_cndmask_b32_e64 v17, 0x7f800000, v17, s2
	v_bfe_u32 v18, v7, 16, 1
	s_waitcnt vmcnt(2)
	v_fma_f32 v13, -v8, v13, v23
	s_waitcnt vmcnt(1)
	v_fma_f32 v14, -v8, v14, v15
	v_cmp_o_f32_e64 s0, v7, v7
	s_waitcnt vmcnt(0)
	v_fma_f32 v15, -v8, v17, v16
	v_add3_u32 v16, v7, v18, 0x7fff
	v_bfe_u32 v17, v13, 16, 1
	v_bfe_u32 v18, v14, 16, 1
	v_cmp_o_f32_e64 s2, v13, v13
	v_bfe_u32 v19, v15, 16, 1
	v_lshrrev_b32_e32 v16, 16, v16
	v_add3_u32 v17, v13, v17, 0x7fff
	v_add3_u32 v18, v14, v18, 0x7fff
	v_cmp_o_f32_e64 s1, v15, v15
	v_add3_u32 v19, v15, v19, 0x7fff
	v_cndmask_b32_e64 v7, 0x7fc0, v16, s0
	v_lshrrev_b32_e32 v16, 16, v17
	v_lshrrev_b32_e32 v17, 16, v18
	v_cmp_o_f32_e64 s0, v14, v14
	v_lshrrev_b32_e32 v14, 16, v19
	v_cndmask_b32_e64 v13, 0x7fc0, v16, s2
	v_cndmask_b32_e64 v15, 0x7fc0, v17, s0
	;; [unrolled: 1-line block ×3, first 2 shown]
	global_store_short v[9:10], v7, off
	global_store_short v[11:12], v13, off
	global_store_short v[3:4], v15, off
	global_store_short v[5:6], v14, off
	s_andn2_b32 exec_lo, exec_lo, s10
	s_cbranch_execnz .LBB347_59
; %bb.60:
	s_or_b32 exec_lo, exec_lo, s10
.LBB347_61:
	s_or_b32 exec_lo, exec_lo, s8
	s_mov_b32 s1, exec_lo
	v_cmpx_gt_i32_e64 s14, v1
	s_cbranch_execz .LBB347_64
; %bb.62:
	s_mov_b32 s2, 0
.LBB347_63:                             ; =>This Inner Loop Header: Depth=1
	v_ashrrev_i32_e32 v2, 31, v1
	v_lshlrev_b64 v[3:4], 2, v[1:2]
	v_add_co_u32 v5, vcc_lo, s22, v3
	v_add_co_ci_u32_e64 v6, null, s23, v4, vcc_lo
	v_add_co_u32 v3, vcc_lo, s16, v3
	v_add_co_ci_u32_e64 v4, null, s17, v4, vcc_lo
	global_load_dword v5, v[5:6], off
	global_load_dword v3, v[3:4], off
	s_waitcnt vmcnt(1)
	v_mul_f32_e32 v4, 0x3fb8aa3b, v5
	v_cmp_ngt_f32_e32 vcc_lo, 0xc2ce8ed0, v5
	v_fma_f32 v6, 0x3fb8aa3b, v5, -v4
	v_rndne_f32_e32 v7, v4
	v_fmac_f32_e32 v6, 0x32a5705f, v5
	v_sub_f32_e32 v4, v4, v7
	v_add_f32_e32 v4, v4, v6
	v_cvt_i32_f32_e32 v6, v7
	v_exp_f32_e32 v4, v4
	v_ldexp_f32 v4, v4, v6
	v_cndmask_b32_e32 v4, 0, v4, vcc_lo
	v_cmp_nlt_f32_e32 vcc_lo, 0x42b17218, v5
	v_cndmask_b32_e32 v4, 0x7f800000, v4, vcc_lo
	s_waitcnt vmcnt(0) lgkmcnt(0)
	v_fma_f32 v4, -v8, v4, v3
	v_bfe_u32 v3, v4, 16, 1
	v_cmp_o_f32_e64 s0, v4, v4
	v_add3_u32 v5, v4, v3, 0x7fff
	v_lshlrev_b64 v[2:3], 1, v[1:2]
	v_add_nc_u32_e32 v1, s33, v1
	v_lshrrev_b32_e32 v5, 16, v5
	v_cmp_le_i32_e32 vcc_lo, s14, v1
	v_cndmask_b32_e64 v4, 0x7fc0, v5, s0
	v_add_co_u32 v2, s0, s20, v2
	v_add_co_ci_u32_e64 v3, null, s21, v3, s0
	s_or_b32 s2, vcc_lo, s2
	global_store_short v[2:3], v4, off
	s_andn2_b32 exec_lo, exec_lo, s2
	s_cbranch_execnz .LBB347_63
.LBB347_64:
	s_or_b32 exec_lo, exec_lo, s1
	s_mov_b32 s0, 0
.LBB347_65:
	s_andn2_b32 vcc_lo, exec_lo, s0
	s_cbranch_vccnz .LBB347_92
.LBB347_66:
	s_cmp_lg_u64 s[24:25], 0
	s_mov_b32 s1, -1
	s_cselect_b32 s34, -1, 0
	s_and_b32 vcc_lo, exec_lo, s7
	v_cndmask_b32_e64 v1, 0, 1, s34
	v_cmp_ne_u32_e64 s0, 1, v1
	s_cbranch_vccz .LBB347_80
; %bb.67:
	v_mov_b32_e32 v1, 0
	s_and_b32 vcc_lo, exec_lo, s0
	s_mov_b64 s[8:9], s[20:21]
	s_mov_b64 s[10:11], s[22:23]
	;; [unrolled: 1-line block ×3, first 2 shown]
	s_cbranch_vccnz .LBB347_71
; %bb.68:
	s_lshl_b32 s0, s24, 1
	s_mov_b32 s8, exec_lo
	s_sub_u32 s0, s20, s0
	s_subb_u32 s1, s21, 0
	s_lshl_b32 s2, s24, 2
	s_sub_u32 s7, s22, s2
	s_subb_u32 s11, s23, 0
	s_sub_u32 s2, s16, s2
	s_subb_u32 s3, s17, 0
	v_cmpx_le_u64_e64 s[24:25], v[0:1]
	s_cbranch_execz .LBB347_70
; %bb.69:
	v_lshlrev_b64 v[2:3], 2, v[0:1]
	v_add_co_u32 v4, vcc_lo, s7, v2
	v_add_co_ci_u32_e64 v5, null, s11, v3, vcc_lo
	v_add_co_u32 v2, vcc_lo, s2, v2
	v_add_co_ci_u32_e64 v3, null, s3, v3, vcc_lo
	global_load_dword v4, v[4:5], off
	global_load_dword v2, v[2:3], off
	s_waitcnt vmcnt(1)
	v_mul_f32_e32 v3, 0x3fb8aa3b, v4
	v_cmp_ngt_f32_e32 vcc_lo, 0xc2ce8ed0, v4
	v_fma_f32 v5, 0x3fb8aa3b, v4, -v3
	v_rndne_f32_e32 v6, v3
	v_fmamk_f32 v5, v4, 0x32a5705f, v5
	v_sub_f32_e32 v3, v3, v6
	v_add_f32_e32 v3, v3, v5
	v_cvt_i32_f32_e32 v5, v6
	v_exp_f32_e32 v3, v3
	v_ldexp_f32 v3, v3, v5
	v_cndmask_b32_e32 v3, 0, v3, vcc_lo
	v_cmp_nlt_f32_e32 vcc_lo, 0x42b17218, v4
	v_mov_b32_e32 v4, 0x7fc0
	v_cndmask_b32_e32 v3, 0x7f800000, v3, vcc_lo
	s_waitcnt vmcnt(0) lgkmcnt(0)
	v_fma_f32 v2, -v8, v3, v2
	v_bfe_u32 v3, v2, 16, 1
	v_cmp_o_f32_e32 vcc_lo, v2, v2
	v_add3_u32 v5, v2, v3, 0x7fff
	v_lshlrev_b64 v[2:3], 1, v[0:1]
	v_cndmask_b32_sdwa v4, v4, v5, vcc_lo dst_sel:DWORD dst_unused:UNUSED_PAD src0_sel:DWORD src1_sel:WORD_1
	v_add_co_u32 v2, vcc_lo, s0, v2
	v_add_co_ci_u32_e64 v3, null, s1, v3, vcc_lo
	global_store_short v[2:3], v4, off
.LBB347_70:
	s_or_b32 exec_lo, exec_lo, s8
	s_add_u32 s8, s24, s14
	s_addc_u32 s9, 0, s15
	s_sub_u32 s18, s8, s33
	s_subb_u32 s19, s9, 0
	s_lshl_b32 s8, s33, 1
	s_add_u32 s8, s0, s8
	s_addc_u32 s9, s1, 0
	s_lshl_b32 s0, s33, 2
	s_add_u32 s10, s7, s0
	s_addc_u32 s11, s11, 0
	s_add_u32 s12, s2, s0
	s_addc_u32 s13, s3, 0
.LBB347_71:
	s_load_dword s0, s[4:5], 0x0
	v_mov_b32_e32 v2, 0
	s_waitcnt lgkmcnt(0)
	s_cmp_lt_u32 s6, s0
	s_cselect_b32 s0, 12, 18
	s_add_u32 s0, s4, s0
	s_addc_u32 s1, s5, 0
	global_load_ushort v2, v2, s[0:1]
	s_mov_b32 s0, 0
	s_waitcnt vmcnt(0)
	v_readfirstlane_b32 s1, v2
	s_and_b32 s7, s1, 0xffff
	s_mov_b32 s1, s19
	s_lshl_b32 s15, s7, 2
	s_cmp_lg_u64 s[0:1], 0
	s_cbranch_scc0 .LBB347_93
; %bb.72:
	v_cvt_f32_u32_e32 v2, s15
	s_sub_u32 s3, 0, s15
	s_subb_u32 s25, 0, 0
	v_fmamk_f32 v2, 0, 0x4f800000, v2
	v_rcp_f32_e32 v2, v2
	v_mul_f32_e32 v2, 0x5f7ffffc, v2
	v_mul_f32_e32 v3, 0x2f800000, v2
	v_trunc_f32_e32 v3, v3
	v_fmamk_f32 v2, v3, 0xcf800000, v2
	v_cvt_u32_f32_e32 v3, v3
	v_cvt_u32_f32_e32 v2, v2
	v_readfirstlane_b32 s1, v3
	v_readfirstlane_b32 s2, v2
	s_mul_i32 s26, s3, s1
	s_mul_hi_u32 s28, s3, s2
	s_mul_i32 s27, s25, s2
	s_add_i32 s26, s28, s26
	s_mul_i32 s29, s3, s2
	s_add_i32 s26, s26, s27
	s_mul_hi_u32 s28, s2, s29
	s_mul_i32 s31, s2, s26
	s_mul_hi_u32 s30, s1, s29
	s_mul_i32 s27, s1, s29
	s_mul_hi_u32 s29, s2, s26
	s_add_u32 s28, s28, s31
	s_addc_u32 s29, 0, s29
	s_mul_hi_u32 s35, s1, s26
	s_add_u32 s27, s28, s27
	s_mul_i32 s26, s1, s26
	s_addc_u32 s27, s29, s30
	s_addc_u32 s28, s35, 0
	s_add_u32 s26, s27, s26
	s_addc_u32 s27, 0, s28
	s_add_u32 s2, s2, s26
	s_cselect_b32 s26, -1, 0
	s_mul_hi_u32 s28, s3, s2
	s_cmp_lg_u32 s26, 0
	s_mul_i32 s26, s3, s2
	s_addc_u32 s1, s1, s27
	s_mul_i32 s25, s25, s2
	s_mul_i32 s3, s3, s1
	s_mul_hi_u32 s27, s2, s26
	s_add_i32 s3, s28, s3
	s_mul_hi_u32 s28, s1, s26
	s_add_i32 s3, s3, s25
	s_mul_i32 s25, s1, s26
	s_mul_i32 s30, s2, s3
	s_mul_hi_u32 s29, s2, s3
	s_add_u32 s27, s27, s30
	s_addc_u32 s29, 0, s29
	s_mul_hi_u32 s26, s1, s3
	s_add_u32 s25, s27, s25
	s_mul_i32 s3, s1, s3
	s_addc_u32 s25, s29, s28
	s_addc_u32 s26, s26, 0
	s_add_u32 s3, s25, s3
	s_addc_u32 s25, 0, s26
	s_add_u32 s2, s2, s3
	s_cselect_b32 s3, -1, 0
	s_mul_hi_u32 s26, s18, s2
	s_cmp_lg_u32 s3, 0
	s_mul_hi_u32 s3, s19, s2
	s_addc_u32 s1, s1, s25
	s_mul_i32 s2, s19, s2
	s_mul_i32 s27, s18, s1
	s_mul_hi_u32 s25, s18, s1
	s_add_u32 s26, s26, s27
	s_addc_u32 s25, 0, s25
	s_mul_hi_u32 s28, s19, s1
	s_add_u32 s2, s26, s2
	s_mul_i32 s1, s19, s1
	s_addc_u32 s2, s25, s3
	s_addc_u32 s3, s28, 0
	s_add_u32 s1, s2, s1
	s_addc_u32 s2, 0, s3
	s_mul_hi_u32 s3, s15, s1
	s_mul_i32 s2, s15, s2
	s_mul_i32 s1, s15, s1
	s_add_i32 s3, s3, s2
	s_sub_u32 s1, s18, s1
	s_cselect_b32 s2, -1, 0
	s_cmp_lg_u32 s2, 0
	s_subb_u32 s2, s19, s3
	s_sub_u32 s3, s1, s15
	s_cselect_b32 s25, -1, 0
	s_cmp_lg_u32 s25, 0
	s_subb_u32 s25, s2, 0
	;; [unrolled: 4-line block ×3, first 2 shown]
	s_cmp_ge_u32 s3, s15
	s_cselect_b32 s28, -1, 0
	s_cmp_eq_u32 s25, 0
	s_cselect_b32 s28, s28, -1
	s_cmp_lg_u32 s28, 0
	s_cselect_b32 s25, s27, s25
	s_cselect_b32 s26, s26, s3
	s_cmp_ge_u32 s1, s15
	s_cselect_b32 s3, -1, 0
	s_cmp_eq_u32 s2, 0
	s_cselect_b32 s3, s3, -1
	s_cmp_lg_u32 s3, 0
	s_cselect_b32 s3, s25, s2
	s_cselect_b32 s2, s26, s1
	s_andn2_b32 vcc_lo, exec_lo, s0
	s_cbranch_vccnz .LBB347_74
.LBB347_73:
	v_cvt_f32_u32_e32 v2, s15
	s_sub_i32 s1, 0, s15
	s_mov_b32 s3, 0
	v_rcp_iflag_f32_e32 v2, v2
	v_mul_f32_e32 v2, 0x4f7ffffe, v2
	v_cvt_u32_f32_e32 v2, v2
	v_readfirstlane_b32 s0, v2
	s_mul_i32 s1, s1, s0
	s_mul_hi_u32 s1, s0, s1
	s_add_i32 s0, s0, s1
	s_mul_hi_u32 s0, s18, s0
	s_mul_i32 s0, s0, s15
	s_sub_i32 s0, s18, s0
	s_sub_i32 s1, s0, s15
	s_cmp_ge_u32 s0, s15
	s_cselect_b32 s0, s1, s0
	s_sub_i32 s1, s0, s15
	s_cmp_ge_u32 s0, s15
	s_cselect_b32 s2, s1, s0
.LBB347_74:
	v_lshlrev_b64 v[2:3], 3, v[0:1]
	v_lshlrev_b64 v[4:5], 4, v[0:1]
	v_mov_b32_e32 v7, v1
	v_mov_b32_e32 v6, v0
	s_sub_u32 s26, s18, s2
	s_subb_u32 s27, s19, s3
	v_add_co_u32 v2, vcc_lo, s8, v2
	v_add_co_ci_u32_e64 v3, null, s9, v3, vcc_lo
	s_lshl_b32 s25, s7, 3
	s_mov_b32 s15, 0
	s_lshl_b32 s35, s7, 4
	s_mov_b64 s[28:29], s[12:13]
	s_mov_b64 s[30:31], s[10:11]
.LBB347_75:                             ; =>This Inner Loop Header: Depth=1
	v_add_co_u32 v9, vcc_lo, s30, v4
	v_add_co_ci_u32_e64 v10, null, s31, v5, vcc_lo
	v_add_co_u32 v13, vcc_lo, s28, v4
	v_add_co_ci_u32_e64 v14, null, s29, v5, vcc_lo
	global_load_dwordx4 v[9:12], v[9:10], off
	v_add_co_u32 v6, vcc_lo, v6, s7
	global_load_dwordx4 v[13:16], v[13:14], off
	v_add_co_ci_u32_e64 v7, null, 0, v7, vcc_lo
	s_add_u32 s30, s30, s35
	s_addc_u32 s31, s31, 0
	s_add_u32 s28, s28, s35
	v_lshlrev_b64 v[17:18], 2, v[6:7]
	s_addc_u32 s29, s29, 0
	v_cmp_le_i64_e32 vcc_lo, s[26:27], v[17:18]
	s_or_b32 s15, vcc_lo, s15
	s_waitcnt vmcnt(1)
	v_mul_f32_e32 v1, 0x3fb8aa3b, v9
	v_mul_f32_e32 v17, 0x3fb8aa3b, v10
	;; [unrolled: 1-line block ×4, first 2 shown]
	v_cmp_ngt_f32_e64 s0, 0xc2ce8ed0, v10
	v_fma_f32 v20, 0x3fb8aa3b, v9, -v1
	v_rndne_f32_e32 v21, v1
	v_fma_f32 v22, 0x3fb8aa3b, v10, -v17
	v_rndne_f32_e32 v23, v17
	;; [unrolled: 2-line block ×4, first 2 shown]
	v_fmac_f32_e32 v20, 0x32a5705f, v9
	v_sub_f32_e32 v1, v1, v21
	v_fmac_f32_e32 v22, 0x32a5705f, v10
	v_sub_f32_e32 v17, v17, v23
	;; [unrolled: 2-line block ×4, first 2 shown]
	v_add_f32_e32 v1, v1, v20
	v_add_f32_e32 v17, v17, v22
	v_add_f32_e32 v18, v18, v24
	v_cvt_i32_f32_e32 v21, v21
	v_add_f32_e32 v19, v19, v26
	v_exp_f32_e32 v1, v1
	v_exp_f32_e32 v17, v17
	v_cvt_i32_f32_e32 v23, v23
	v_exp_f32_e32 v18, v18
	v_exp_f32_e32 v19, v19
	v_cvt_i32_f32_e32 v25, v25
	v_cvt_i32_f32_e32 v27, v27
	v_cmp_ngt_f32_e64 s3, 0xc2ce8ed0, v9
	v_cmp_ngt_f32_e64 s1, 0xc2ce8ed0, v11
	;; [unrolled: 1-line block ×3, first 2 shown]
	v_ldexp_f32 v1, v1, v21
	v_ldexp_f32 v17, v17, v23
	;; [unrolled: 1-line block ×4, first 2 shown]
	v_cndmask_b32_e64 v1, 0, v1, s3
	v_cndmask_b32_e64 v17, 0, v17, s0
	v_cmp_nlt_f32_e64 s0, 0x42b17218, v10
	v_cmp_nlt_f32_e64 s3, 0x42b17218, v9
	v_cndmask_b32_e64 v10, 0, v18, s1
	v_cmp_nlt_f32_e64 s1, 0x42b17218, v11
	v_cndmask_b32_e64 v11, 0, v19, s2
	;; [unrolled: 2-line block ×3, first 2 shown]
	v_cndmask_b32_e64 v9, 0x7f800000, v17, s0
	v_cndmask_b32_e64 v10, 0x7f800000, v10, s1
	;; [unrolled: 1-line block ×3, first 2 shown]
	s_waitcnt vmcnt(0)
	v_fma_f32 v1, -v8, v1, v13
	v_fma_f32 v9, -v8, v9, v14
	;; [unrolled: 1-line block ×4, first 2 shown]
	v_bfe_u32 v12, v1, 16, 1
	v_bfe_u32 v13, v9, 16, 1
	;; [unrolled: 1-line block ×3, first 2 shown]
	v_cmp_o_f32_e64 s2, v1, v1
	v_bfe_u32 v15, v11, 16, 1
	v_add3_u32 v12, v1, v12, 0x7fff
	v_add3_u32 v13, v9, v13, 0x7fff
	;; [unrolled: 1-line block ×3, first 2 shown]
	v_cmp_o_f32_e64 s3, v9, v9
	v_add3_u32 v15, v11, v15, 0x7fff
	v_lshrrev_b32_e32 v12, 16, v12
	v_and_b32_e32 v13, 0xffff0000, v13
	v_lshrrev_b32_e32 v14, 16, v14
	v_cmp_o_f32_e64 s0, v11, v11
	v_and_b32_e32 v15, 0xffff0000, v15
	v_cmp_o_f32_e64 s1, v10, v10
	v_cndmask_b32_e64 v1, 0x7fc00000, v13, s3
	v_cndmask_b32_e64 v9, 0x7fc0, v12, s2
	;; [unrolled: 1-line block ×4, first 2 shown]
	v_or_b32_e32 v1, v1, v9
	v_or3_b32 v10, 0, v11, v10
	v_or3_b32 v9, v1, 0, 0
	global_store_dwordx2 v[2:3], v[9:10], off
	v_add_co_u32 v2, s0, v2, s25
	v_add_co_ci_u32_e64 v3, null, 0, v3, s0
	s_andn2_b32 exec_lo, exec_lo, s15
	s_cbranch_execnz .LBB347_75
; %bb.76:
	s_or_b32 exec_lo, exec_lo, s15
	v_add_co_u32 v1, s0, s26, v0
	v_add_co_ci_u32_e64 v2, null, s27, 0, s0
	s_mov_b32 s1, exec_lo
	v_cmpx_gt_u64_e64 s[18:19], v[1:2]
	s_cbranch_execz .LBB347_79
; %bb.77:
	s_mov_b32 s2, 0
.LBB347_78:                             ; =>This Inner Loop Header: Depth=1
	v_lshlrev_b64 v[3:4], 2, v[1:2]
	v_add_co_u32 v5, vcc_lo, s10, v3
	v_add_co_ci_u32_e64 v6, null, s11, v4, vcc_lo
	v_add_co_u32 v3, vcc_lo, s12, v3
	v_add_co_ci_u32_e64 v4, null, s13, v4, vcc_lo
	global_load_dword v5, v[5:6], off
	global_load_dword v6, v[3:4], off
	v_lshlrev_b64 v[3:4], 1, v[1:2]
	v_add_co_u32 v1, vcc_lo, v1, s7
	v_add_co_ci_u32_e64 v2, null, 0, v2, vcc_lo
	v_cmp_le_i64_e32 vcc_lo, s[18:19], v[1:2]
	s_or_b32 s2, vcc_lo, s2
	s_waitcnt vmcnt(1)
	v_mul_f32_e32 v7, 0x3fb8aa3b, v5
	v_cmp_ngt_f32_e64 s0, 0xc2ce8ed0, v5
	v_fma_f32 v9, 0x3fb8aa3b, v5, -v7
	v_rndne_f32_e32 v10, v7
	v_fmac_f32_e32 v9, 0x32a5705f, v5
	v_sub_f32_e32 v7, v7, v10
	v_add_f32_e32 v7, v7, v9
	v_cvt_i32_f32_e32 v9, v10
	v_exp_f32_e32 v7, v7
	v_ldexp_f32 v7, v7, v9
	v_cndmask_b32_e64 v7, 0, v7, s0
	v_cmp_nlt_f32_e64 s0, 0x42b17218, v5
	v_cndmask_b32_e64 v5, 0x7f800000, v7, s0
	v_add_co_u32 v3, s0, s8, v3
	v_add_co_ci_u32_e64 v4, null, s9, v4, s0
	s_waitcnt vmcnt(0)
	v_fma_f32 v5, -v8, v5, v6
	v_bfe_u32 v6, v5, 16, 1
	v_cmp_o_f32_e64 s0, v5, v5
	v_add3_u32 v6, v5, v6, 0x7fff
	v_lshrrev_b32_e32 v6, 16, v6
	v_cndmask_b32_e64 v5, 0x7fc0, v6, s0
	global_store_short v[3:4], v5, off
	s_andn2_b32 exec_lo, exec_lo, s2
	s_cbranch_execnz .LBB347_78
.LBB347_79:
	s_or_b32 exec_lo, exec_lo, s1
	s_mov_b32 s1, 0
.LBB347_80:
	s_and_b32 vcc_lo, exec_lo, s1
	s_cbranch_vccz .LBB347_92
; %bb.81:
	s_andn2_b32 vcc_lo, exec_lo, s34
	s_cbranch_vccnz .LBB347_85
; %bb.82:
	s_lshl_b32 s0, s24, 1
	s_mov_b32 s9, exec_lo
	s_sub_u32 s3, s20, s0
	s_subb_u32 s7, s21, 0
	s_lshl_b32 s1, s24, 2
	s_sub_u32 s0, s22, s1
	s_subb_u32 s8, s23, 0
	s_sub_u32 s1, s16, s1
	s_subb_u32 s2, s17, 0
	v_cmpx_le_u32_e64 s24, v0
	s_cbranch_execz .LBB347_84
; %bb.83:
	v_mov_b32_e32 v1, 0
	v_lshlrev_b64 v[2:3], 2, v[0:1]
	v_add_co_u32 v4, vcc_lo, s0, v2
	v_add_co_ci_u32_e64 v5, null, s8, v3, vcc_lo
	v_add_co_u32 v2, vcc_lo, s1, v2
	v_add_co_ci_u32_e64 v3, null, s2, v3, vcc_lo
	global_load_dword v4, v[4:5], off
	global_load_dword v2, v[2:3], off
	s_waitcnt vmcnt(1)
	v_mul_f32_e32 v3, 0x3fb8aa3b, v4
	v_cmp_ngt_f32_e32 vcc_lo, 0xc2ce8ed0, v4
	v_fma_f32 v5, 0x3fb8aa3b, v4, -v3
	v_rndne_f32_e32 v6, v3
	v_fmamk_f32 v5, v4, 0x32a5705f, v5
	v_sub_f32_e32 v3, v3, v6
	v_add_f32_e32 v3, v3, v5
	v_cvt_i32_f32_e32 v5, v6
	v_exp_f32_e32 v3, v3
	v_ldexp_f32 v3, v3, v5
	v_cndmask_b32_e32 v3, 0, v3, vcc_lo
	v_cmp_nlt_f32_e32 vcc_lo, 0x42b17218, v4
	v_mov_b32_e32 v4, 0x7fc0
	v_cndmask_b32_e32 v3, 0x7f800000, v3, vcc_lo
	s_waitcnt vmcnt(0) lgkmcnt(0)
	v_fma_f32 v2, -v8, v3, v2
	v_bfe_u32 v3, v2, 16, 1
	v_cmp_o_f32_e32 vcc_lo, v2, v2
	v_add3_u32 v3, v2, v3, 0x7fff
	v_lshlrev_b64 v[1:2], 1, v[0:1]
	v_cndmask_b32_sdwa v3, v4, v3, vcc_lo dst_sel:DWORD dst_unused:UNUSED_PAD src0_sel:DWORD src1_sel:WORD_1
	v_add_co_u32 v1, vcc_lo, s3, v1
	v_add_co_ci_u32_e64 v2, null, s7, v2, vcc_lo
	global_store_short v[1:2], v3, off
.LBB347_84:
	s_or_b32 exec_lo, exec_lo, s9
	s_add_i32 s9, s24, s14
	s_lshl_b32 s10, s33, 1
	v_sub_nc_u32_e64 v1, s9, s33 clamp
	s_add_u32 s20, s3, s10
	s_addc_u32 s21, s7, 0
	s_lshl_b32 s3, s33, 2
	s_add_u32 s22, s0, s3
	v_readfirstlane_b32 s14, v1
	s_addc_u32 s23, s8, 0
	s_add_u32 s16, s1, s3
	s_addc_u32 s17, s2, 0
.LBB347_85:
	s_load_dword s0, s[4:5], 0x0
	v_mov_b32_e32 v1, 0
	s_waitcnt lgkmcnt(0)
	s_cmp_lt_u32 s6, s0
	s_cselect_b32 s0, 12, 18
	s_add_u32 s0, s4, s0
	s_addc_u32 s1, s5, 0
	global_load_ushort v3, v1, s[0:1]
	s_waitcnt vmcnt(0)
	v_readfirstlane_b32 s0, v3
	s_lshl_b32 s0, s0, 2
	v_cvt_f32_u32_e32 v1, s0
	s_sub_i32 s2, 0, s0
	v_rcp_iflag_f32_e32 v1, v1
	v_mul_f32_e32 v1, 0x4f7ffffe, v1
	v_cvt_u32_f32_e32 v1, v1
	v_readfirstlane_b32 s1, v1
	v_lshlrev_b32_e32 v1, 2, v0
	s_mul_i32 s2, s2, s1
	s_mul_hi_u32 s2, s1, s2
	s_add_i32 s1, s1, s2
	s_mul_hi_u32 s1, s14, s1
	s_mul_i32 s1, s1, s0
	s_sub_i32 s1, s14, s1
	s_sub_i32 s2, s1, s0
	s_cmp_ge_u32 s1, s0
	s_cselect_b32 s1, s2, s1
	s_sub_i32 s2, s1, s0
	s_cmp_ge_u32 s1, s0
	s_cselect_b32 s0, s2, s1
	s_mov_b32 s2, 0
	s_sub_i32 s0, s14, s0
	s_mov_b32 s1, exec_lo
	v_cmpx_gt_i32_e64 s0, v1
	s_cbranch_execz .LBB347_88
; %bb.86:
	v_mov_b32_e32 v1, v0
.LBB347_87:                             ; =>This Inner Loop Header: Depth=1
	v_ashrrev_i32_e32 v2, 31, v1
	v_lshlrev_b64 v[9:10], 4, v[1:2]
	v_add_co_u32 v4, vcc_lo, s22, v9
	v_add_co_ci_u32_e64 v5, null, s23, v10, vcc_lo
	v_add_co_u32 v9, vcc_lo, s16, v9
	v_add_co_ci_u32_e64 v10, null, s17, v10, vcc_lo
	global_load_dwordx4 v[4:7], v[4:5], off
	global_load_dwordx4 v[9:12], v[9:10], off
	s_waitcnt vmcnt(1)
	v_mul_f32_e32 v13, 0x3fb8aa3b, v4
	v_mul_f32_e32 v14, 0x3fb8aa3b, v5
	;; [unrolled: 1-line block ×4, first 2 shown]
	v_cmp_ngt_f32_e32 vcc_lo, 0xc2ce8ed0, v4
	v_fma_f32 v17, 0x3fb8aa3b, v4, -v13
	v_rndne_f32_e32 v18, v13
	v_fma_f32 v19, 0x3fb8aa3b, v5, -v14
	v_rndne_f32_e32 v20, v14
	v_fma_f32 v21, 0x3fb8aa3b, v6, -v15
	v_fmac_f32_e32 v17, 0x32a5705f, v4
	v_sub_f32_e32 v13, v13, v18
	v_rndne_f32_e32 v22, v15
	v_fmac_f32_e32 v19, 0x32a5705f, v5
	v_sub_f32_e32 v14, v14, v20
	v_fma_f32 v23, 0x3fb8aa3b, v7, -v16
	v_add_f32_e32 v13, v13, v17
	v_rndne_f32_e32 v24, v16
	v_fmac_f32_e32 v21, 0x32a5705f, v6
	v_sub_f32_e32 v15, v15, v22
	v_add_f32_e32 v14, v14, v19
	v_exp_f32_e32 v13, v13
	v_fmac_f32_e32 v23, 0x32a5705f, v7
	v_sub_f32_e32 v16, v16, v24
	v_add_f32_e32 v15, v15, v21
	v_exp_f32_e32 v14, v14
	v_cvt_i32_f32_e32 v17, v18
	v_cvt_i32_f32_e32 v18, v20
	v_add_f32_e32 v16, v16, v23
	v_exp_f32_e32 v15, v15
	v_cvt_i32_f32_e32 v19, v22
	v_ldexp_f32 v13, v13, v17
	v_cvt_i32_f32_e32 v20, v24
	v_exp_f32_e32 v16, v16
	v_ldexp_f32 v14, v14, v18
	v_cndmask_b32_e32 v13, 0, v13, vcc_lo
	v_cmp_ngt_f32_e32 vcc_lo, 0xc2ce8ed0, v5
	v_ldexp_f32 v15, v15, v19
	v_cndmask_b32_e32 v14, 0, v14, vcc_lo
	v_cmp_ngt_f32_e32 vcc_lo, 0xc2ce8ed0, v6
	v_ldexp_f32 v16, v16, v20
	v_cndmask_b32_e32 v15, 0, v15, vcc_lo
	v_cmp_ngt_f32_e32 vcc_lo, 0xc2ce8ed0, v7
	v_cndmask_b32_e32 v16, 0, v16, vcc_lo
	v_cmp_nlt_f32_e32 vcc_lo, 0x42b17218, v4
	v_cndmask_b32_e32 v4, 0x7f800000, v13, vcc_lo
	v_cmp_nlt_f32_e32 vcc_lo, 0x42b17218, v5
	s_waitcnt vmcnt(0)
	v_fma_f32 v9, -v8, v4, v9
	v_cndmask_b32_e32 v5, 0x7f800000, v14, vcc_lo
	v_cmp_nlt_f32_e32 vcc_lo, 0x42b17218, v6
	v_fma_f32 v10, -v8, v5, v10
	v_cndmask_b32_e32 v6, 0x7f800000, v15, vcc_lo
	v_cmp_nlt_f32_e32 vcc_lo, 0x42b17218, v7
	v_lshlrev_b64 v[4:5], 3, v[1:2]
	v_add_nc_u32_e32 v1, v1, v3
	v_bfe_u32 v2, v10, 16, 1
	v_fma_f32 v6, -v8, v6, v11
	v_cndmask_b32_e32 v7, 0x7f800000, v16, vcc_lo
	v_bfe_u32 v11, v9, 16, 1
	v_cmp_o_f32_e32 vcc_lo, v10, v10
	v_add3_u32 v2, v10, v2, 0x7fff
	v_lshlrev_b32_e32 v14, 2, v1
	v_fma_f32 v7, -v8, v7, v12
	v_add3_u32 v11, v9, v11, 0x7fff
	v_bfe_u32 v12, v6, 16, 1
	v_and_b32_e32 v2, 0xffff0000, v2
	v_bfe_u32 v13, v7, 16, 1
	v_lshrrev_b32_e32 v11, 16, v11
	v_add3_u32 v12, v6, v12, 0x7fff
	v_cndmask_b32_e32 v2, 0x7fc00000, v2, vcc_lo
	v_cmp_o_f32_e32 vcc_lo, v9, v9
	v_add3_u32 v13, v7, v13, 0x7fff
	v_lshrrev_b32_e32 v12, 16, v12
	v_cndmask_b32_e32 v9, 0x7fc0, v11, vcc_lo
	v_and_b32_e32 v13, 0xffff0000, v13
	v_cmp_o_f32_e32 vcc_lo, v7, v7
	v_or_b32_e32 v2, v2, v9
	v_cndmask_b32_e32 v7, 0x7fc00000, v13, vcc_lo
	v_cmp_o_f32_e32 vcc_lo, v6, v6
	v_cndmask_b32_e32 v6, 0x7fc0, v12, vcc_lo
	v_add_co_u32 v4, vcc_lo, s20, v4
	v_add_co_ci_u32_e64 v5, null, s21, v5, vcc_lo
	v_cmp_le_i32_e32 vcc_lo, s0, v14
	v_or3_b32 v7, 0, v6, v7
	v_or3_b32 v6, v2, 0, 0
	s_or_b32 s2, vcc_lo, s2
	global_store_dwordx2 v[4:5], v[6:7], off
	s_andn2_b32 exec_lo, exec_lo, s2
	s_cbranch_execnz .LBB347_87
.LBB347_88:
	s_or_b32 exec_lo, exec_lo, s1
	v_add_nc_u32_e32 v0, s0, v0
	s_mov_b32 s0, exec_lo
	v_cmpx_gt_i32_e64 s14, v0
	s_cbranch_execz .LBB347_92
; %bb.89:
	s_mov_b32 s1, 0
.LBB347_90:                             ; =>This Inner Loop Header: Depth=1
	v_ashrrev_i32_e32 v1, 31, v0
	v_lshlrev_b64 v[4:5], 2, v[0:1]
	v_add_co_u32 v6, vcc_lo, s22, v4
	v_add_co_ci_u32_e64 v7, null, s23, v5, vcc_lo
	v_add_co_u32 v4, vcc_lo, s16, v4
	v_add_co_ci_u32_e64 v5, null, s17, v5, vcc_lo
	global_load_dword v2, v[6:7], off
	global_load_dword v4, v[4:5], off
	s_waitcnt vmcnt(1)
	v_mul_f32_e32 v5, 0x3fb8aa3b, v2
	v_cmp_ngt_f32_e32 vcc_lo, 0xc2ce8ed0, v2
	v_fma_f32 v6, 0x3fb8aa3b, v2, -v5
	v_rndne_f32_e32 v7, v5
	v_fmac_f32_e32 v6, 0x32a5705f, v2
	v_sub_f32_e32 v5, v5, v7
	v_add_f32_e32 v5, v5, v6
	v_cvt_i32_f32_e32 v6, v7
	v_exp_f32_e32 v5, v5
	v_ldexp_f32 v5, v5, v6
	v_cndmask_b32_e32 v5, 0, v5, vcc_lo
	v_cmp_nlt_f32_e32 vcc_lo, 0x42b17218, v2
	v_cndmask_b32_e32 v2, 0x7f800000, v5, vcc_lo
	s_waitcnt vmcnt(0)
	v_fma_f32 v4, -v8, v2, v4
	v_bfe_u32 v2, v4, 16, 1
	v_cmp_o_f32_e64 s0, v4, v4
	v_add3_u32 v5, v4, v2, 0x7fff
	v_lshlrev_b64 v[1:2], 1, v[0:1]
	v_add_nc_u32_e32 v0, v0, v3
	v_lshrrev_b32_e32 v5, 16, v5
	v_cmp_le_i32_e32 vcc_lo, s14, v0
	v_cndmask_b32_e64 v4, 0x7fc0, v5, s0
	v_add_co_u32 v1, s0, s20, v1
	v_add_co_ci_u32_e64 v2, null, s21, v2, s0
	s_or_b32 s1, vcc_lo, s1
	global_store_short v[1:2], v4, off
	s_andn2_b32 exec_lo, exec_lo, s1
	s_cbranch_execnz .LBB347_90
	s_branch .LBB347_92
.LBB347_91:
	s_cbranch_execz .LBB347_66
.LBB347_92:
	s_endpgm
.LBB347_93:
                                        ; implicit-def: $sgpr2_sgpr3
	s_branch .LBB347_73
	.section	.rodata,"a",@progbits
	.p2align	6, 0x0
	.amdhsa_kernel _ZN2at6native12_GLOBAL__N_120cunn_SoftMaxBackwardILi4EN3c108BFloat16EffNS1_26LogSoftMaxBackwardEpilogueEEEvPT0_PKT2_SA_l
		.amdhsa_group_segment_fixed_size 0
		.amdhsa_private_segment_fixed_size 0
		.amdhsa_kernarg_size 288
		.amdhsa_user_sgpr_count 6
		.amdhsa_user_sgpr_private_segment_buffer 1
		.amdhsa_user_sgpr_dispatch_ptr 0
		.amdhsa_user_sgpr_queue_ptr 0
		.amdhsa_user_sgpr_kernarg_segment_ptr 1
		.amdhsa_user_sgpr_dispatch_id 0
		.amdhsa_user_sgpr_flat_scratch_init 0
		.amdhsa_user_sgpr_private_segment_size 0
		.amdhsa_wavefront_size32 1
		.amdhsa_uses_dynamic_stack 0
		.amdhsa_system_sgpr_private_segment_wavefront_offset 0
		.amdhsa_system_sgpr_workgroup_id_x 1
		.amdhsa_system_sgpr_workgroup_id_y 0
		.amdhsa_system_sgpr_workgroup_id_z 0
		.amdhsa_system_sgpr_workgroup_info 0
		.amdhsa_system_vgpr_workitem_id 0
		.amdhsa_next_free_vgpr 34
		.amdhsa_next_free_sgpr 59
		.amdhsa_reserve_vcc 1
		.amdhsa_reserve_flat_scratch 0
		.amdhsa_float_round_mode_32 0
		.amdhsa_float_round_mode_16_64 0
		.amdhsa_float_denorm_mode_32 3
		.amdhsa_float_denorm_mode_16_64 3
		.amdhsa_dx10_clamp 1
		.amdhsa_ieee_mode 1
		.amdhsa_fp16_overflow 0
		.amdhsa_workgroup_processor_mode 1
		.amdhsa_memory_ordered 1
		.amdhsa_forward_progress 1
		.amdhsa_shared_vgpr_count 0
		.amdhsa_exception_fp_ieee_invalid_op 0
		.amdhsa_exception_fp_denorm_src 0
		.amdhsa_exception_fp_ieee_div_zero 0
		.amdhsa_exception_fp_ieee_overflow 0
		.amdhsa_exception_fp_ieee_underflow 0
		.amdhsa_exception_fp_ieee_inexact 0
		.amdhsa_exception_int_div_zero 0
	.end_amdhsa_kernel
	.section	.text._ZN2at6native12_GLOBAL__N_120cunn_SoftMaxBackwardILi4EN3c108BFloat16EffNS1_26LogSoftMaxBackwardEpilogueEEEvPT0_PKT2_SA_l,"axG",@progbits,_ZN2at6native12_GLOBAL__N_120cunn_SoftMaxBackwardILi4EN3c108BFloat16EffNS1_26LogSoftMaxBackwardEpilogueEEEvPT0_PKT2_SA_l,comdat
.Lfunc_end347:
	.size	_ZN2at6native12_GLOBAL__N_120cunn_SoftMaxBackwardILi4EN3c108BFloat16EffNS1_26LogSoftMaxBackwardEpilogueEEEvPT0_PKT2_SA_l, .Lfunc_end347-_ZN2at6native12_GLOBAL__N_120cunn_SoftMaxBackwardILi4EN3c108BFloat16EffNS1_26LogSoftMaxBackwardEpilogueEEEvPT0_PKT2_SA_l
                                        ; -- End function
	.set _ZN2at6native12_GLOBAL__N_120cunn_SoftMaxBackwardILi4EN3c108BFloat16EffNS1_26LogSoftMaxBackwardEpilogueEEEvPT0_PKT2_SA_l.num_vgpr, 34
	.set _ZN2at6native12_GLOBAL__N_120cunn_SoftMaxBackwardILi4EN3c108BFloat16EffNS1_26LogSoftMaxBackwardEpilogueEEEvPT0_PKT2_SA_l.num_agpr, 0
	.set _ZN2at6native12_GLOBAL__N_120cunn_SoftMaxBackwardILi4EN3c108BFloat16EffNS1_26LogSoftMaxBackwardEpilogueEEEvPT0_PKT2_SA_l.numbered_sgpr, 59
	.set _ZN2at6native12_GLOBAL__N_120cunn_SoftMaxBackwardILi4EN3c108BFloat16EffNS1_26LogSoftMaxBackwardEpilogueEEEvPT0_PKT2_SA_l.num_named_barrier, 0
	.set _ZN2at6native12_GLOBAL__N_120cunn_SoftMaxBackwardILi4EN3c108BFloat16EffNS1_26LogSoftMaxBackwardEpilogueEEEvPT0_PKT2_SA_l.private_seg_size, 0
	.set _ZN2at6native12_GLOBAL__N_120cunn_SoftMaxBackwardILi4EN3c108BFloat16EffNS1_26LogSoftMaxBackwardEpilogueEEEvPT0_PKT2_SA_l.uses_vcc, 1
	.set _ZN2at6native12_GLOBAL__N_120cunn_SoftMaxBackwardILi4EN3c108BFloat16EffNS1_26LogSoftMaxBackwardEpilogueEEEvPT0_PKT2_SA_l.uses_flat_scratch, 0
	.set _ZN2at6native12_GLOBAL__N_120cunn_SoftMaxBackwardILi4EN3c108BFloat16EffNS1_26LogSoftMaxBackwardEpilogueEEEvPT0_PKT2_SA_l.has_dyn_sized_stack, 0
	.set _ZN2at6native12_GLOBAL__N_120cunn_SoftMaxBackwardILi4EN3c108BFloat16EffNS1_26LogSoftMaxBackwardEpilogueEEEvPT0_PKT2_SA_l.has_recursion, 0
	.set _ZN2at6native12_GLOBAL__N_120cunn_SoftMaxBackwardILi4EN3c108BFloat16EffNS1_26LogSoftMaxBackwardEpilogueEEEvPT0_PKT2_SA_l.has_indirect_call, 0
	.section	.AMDGPU.csdata,"",@progbits
; Kernel info:
; codeLenInByte = 9416
; TotalNumSgprs: 61
; NumVgprs: 34
; ScratchSize: 0
; MemoryBound: 0
; FloatMode: 240
; IeeeMode: 1
; LDSByteSize: 0 bytes/workgroup (compile time only)
; SGPRBlocks: 0
; VGPRBlocks: 4
; NumSGPRsForWavesPerEU: 61
; NumVGPRsForWavesPerEU: 34
; Occupancy: 16
; WaveLimiterHint : 0
; COMPUTE_PGM_RSRC2:SCRATCH_EN: 0
; COMPUTE_PGM_RSRC2:USER_SGPR: 6
; COMPUTE_PGM_RSRC2:TRAP_HANDLER: 0
; COMPUTE_PGM_RSRC2:TGID_X_EN: 1
; COMPUTE_PGM_RSRC2:TGID_Y_EN: 0
; COMPUTE_PGM_RSRC2:TGID_Z_EN: 0
; COMPUTE_PGM_RSRC2:TIDIG_COMP_CNT: 0
	.section	.text._ZN2at6native12_GLOBAL__N_127cunn_SpatialSoftMaxBackwardIdddNS1_26LogSoftMaxBackwardEpilogueEEEvPT_PKT1_S8_jjj,"axG",@progbits,_ZN2at6native12_GLOBAL__N_127cunn_SpatialSoftMaxBackwardIdddNS1_26LogSoftMaxBackwardEpilogueEEEvPT_PKT1_S8_jjj,comdat
	.globl	_ZN2at6native12_GLOBAL__N_127cunn_SpatialSoftMaxBackwardIdddNS1_26LogSoftMaxBackwardEpilogueEEEvPT_PKT1_S8_jjj ; -- Begin function _ZN2at6native12_GLOBAL__N_127cunn_SpatialSoftMaxBackwardIdddNS1_26LogSoftMaxBackwardEpilogueEEEvPT_PKT1_S8_jjj
	.p2align	8
	.type	_ZN2at6native12_GLOBAL__N_127cunn_SpatialSoftMaxBackwardIdddNS1_26LogSoftMaxBackwardEpilogueEEEvPT_PKT1_S8_jjj,@function
_ZN2at6native12_GLOBAL__N_127cunn_SpatialSoftMaxBackwardIdddNS1_26LogSoftMaxBackwardEpilogueEEEvPT_PKT1_S8_jjj: ; @_ZN2at6native12_GLOBAL__N_127cunn_SpatialSoftMaxBackwardIdddNS1_26LogSoftMaxBackwardEpilogueEEEvPT_PKT1_S8_jjj
; %bb.0:
	s_load_dwordx4 s[8:11], s[4:5], 0x18
	s_waitcnt lgkmcnt(0)
	s_cmp_ge_u32 s6, s8
	s_cbranch_scc1 .LBB348_26
; %bb.1:
	s_clause 0x3
	s_load_dword s1, s[4:5], 0x34
	s_load_dwordx2 s[16:17], s[4:5], 0x28
	s_load_dwordx4 s[12:15], s[4:5], 0x0
	s_load_dwordx2 s[18:19], s[4:5], 0x10
	s_mul_i32 s2, s6, s9
	s_add_u32 s4, s4, 40
	v_add_nc_u32_e32 v2, s2, v0
	s_addc_u32 s5, s5, 0
	s_mul_i32 s2, s2, s10
	v_cmp_gt_u32_e64 s0, s9, v0
	v_mov_b32_e32 v3, 0
	v_mul_lo_u32 v2, s10, v2
	s_mov_b32 s20, 0x652b82fe
	s_mov_b32 s22, 0xfefa39ef
	;; [unrolled: 1-line block ×8, first 2 shown]
	s_waitcnt lgkmcnt(0)
	s_lshr_b32 s1, s1, 16
	s_mul_i32 s11, s16, s10
	s_mul_i32 s26, s7, s1
	;; [unrolled: 1-line block ×3, first 2 shown]
	v_add_nc_u32_e32 v6, s26, v1
	v_add3_u32 v7, s26, s2, v1
	v_add3_u32 v8, v1, v2, s26
	s_cmp_lg_u32 s9, 0
	s_mov_b32 s26, 0xfca7ab0c
	v_cmp_gt_u32_e64 s1, s10, v6
	s_mov_b32 s40, 0x11122322
	s_mov_b32 s42, 0x555502a1
	;; [unrolled: 1-line block ×7, first 2 shown]
	s_mul_i32 s7, s11, s9
	s_cselect_b32 s11, -1, 0
	s_mov_b32 s27, 0x3e928af3
	s_mov_b32 s29, 0x3e5ade15
	;; [unrolled: 1-line block ×10, first 2 shown]
	s_branch .LBB348_3
.LBB348_2:                              ;   in Loop: Header=BB348_3 Depth=1
	s_or_b32 exec_lo, exec_lo, s17
	v_add_nc_u32_e32 v7, s7, v7
	v_add_nc_u32_e32 v8, s7, v8
	s_add_i32 s6, s16, s6
	s_cmp_ge_u32 s6, s8
	s_cbranch_scc1 .LBB348_26
.LBB348_3:                              ; =>This Loop Header: Depth=1
                                        ;     Child Loop BB348_7 Depth 2
                                        ;       Child Loop BB348_10 Depth 3
                                        ;       Child Loop BB348_12 Depth 3
	;; [unrolled: 1-line block ×5, first 2 shown]
	s_and_saveexec_b32 s17, s1
	s_cbranch_execz .LBB348_2
; %bb.4:                                ;   in Loop: Header=BB348_3 Depth=1
	s_load_dword s2, s[4:5], 0xc
	v_mov_b32_e32 v9, v8
	v_mov_b32_e32 v11, v7
	;; [unrolled: 1-line block ×3, first 2 shown]
	s_mov_b32 s50, 0
	s_waitcnt lgkmcnt(0)
	s_and_b32 s33, s2, 0xffff
	v_mul_u32_u24_e32 v2, s33, v1
	s_cmp_lt_u32 s33, 2
	s_mul_i32 s49, s10, s33
	s_cselect_b32 s48, -1, 0
	v_lshl_add_u32 v10, v2, 3, 0
	v_lshl_add_u32 v12, v0, 3, v10
	s_branch .LBB348_7
.LBB348_5:                              ;   in Loop: Header=BB348_7 Depth=2
	s_or_b32 exec_lo, exec_lo, s51
.LBB348_6:                              ;   in Loop: Header=BB348_7 Depth=2
	v_add_nc_u32_e32 v13, s3, v13
	v_add_nc_u32_e32 v11, s3, v11
	;; [unrolled: 1-line block ×3, first 2 shown]
	v_cmp_le_u32_e32 vcc_lo, s10, v13
	s_or_b32 s50, vcc_lo, s50
	s_andn2_b32 exec_lo, exec_lo, s50
	s_cbranch_execz .LBB348_2
.LBB348_7:                              ;   Parent Loop BB348_3 Depth=1
                                        ; =>  This Loop Header: Depth=2
                                        ;       Child Loop BB348_10 Depth 3
                                        ;       Child Loop BB348_12 Depth 3
	;; [unrolled: 1-line block ×5, first 2 shown]
	s_andn2_b32 vcc_lo, exec_lo, s48
	s_mov_b32 s2, -1
	s_cbranch_vccnz .LBB348_14
; %bb.8:                                ;   in Loop: Header=BB348_7 Depth=2
	s_andn2_b32 vcc_lo, exec_lo, s11
	s_cbranch_vccnz .LBB348_13
; %bb.9:                                ;   in Loop: Header=BB348_7 Depth=2
	v_mov_b32_e32 v4, 0
	v_mov_b32_e32 v5, 0
	;; [unrolled: 1-line block ×3, first 2 shown]
	s_mov_b32 s2, s9
.LBB348_10:                             ;   Parent Loop BB348_3 Depth=1
                                        ;     Parent Loop BB348_7 Depth=2
                                        ; =>    This Inner Loop Header: Depth=3
	v_lshlrev_b64 v[14:15], 3, v[2:3]
	v_add_nc_u32_e32 v2, s10, v2
	s_add_i32 s2, s2, -1
	s_cmp_lg_u32 s2, 0
	v_add_co_u32 v14, vcc_lo, s18, v14
	v_add_co_ci_u32_e64 v15, null, s19, v15, vcc_lo
	global_load_dwordx2 v[14:15], v[14:15], off
	s_waitcnt vmcnt(0)
	v_add_f64 v[4:5], v[4:5], v[14:15]
	s_cbranch_scc1 .LBB348_10
; %bb.11:                               ;   in Loop: Header=BB348_7 Depth=2
	v_mov_b32_e32 v2, v11
	s_mov_b32 s51, s9
.LBB348_12:                             ;   Parent Loop BB348_3 Depth=1
                                        ;     Parent Loop BB348_7 Depth=2
                                        ; =>    This Inner Loop Header: Depth=3
	v_lshlrev_b64 v[14:15], 3, v[2:3]
	v_add_nc_u32_e32 v2, s10, v2
	s_add_i32 s51, s51, -1
	v_add_co_u32 v16, vcc_lo, s14, v14
	v_add_co_ci_u32_e64 v17, null, s15, v15, vcc_lo
	v_add_co_u32 v22, vcc_lo, s18, v14
	v_add_co_ci_u32_e64 v23, null, s19, v15, vcc_lo
	global_load_dwordx2 v[16:17], v[16:17], off
	global_load_dwordx2 v[22:23], v[22:23], off
	s_waitcnt vmcnt(1)
	v_mul_f64 v[18:19], v[16:17], s[20:21]
	v_cmp_nlt_f64_e32 vcc_lo, 0x40900000, v[16:17]
	v_cmp_ngt_f64_e64 s2, 0xc090cc00, v[16:17]
	v_rndne_f64_e32 v[18:19], v[18:19]
	v_fma_f64 v[20:21], v[18:19], s[22:23], v[16:17]
	v_cvt_i32_f64_e32 v26, v[18:19]
	v_fma_f64 v[20:21], v[18:19], s[24:25], v[20:21]
	v_fma_f64 v[24:25], v[20:21], s[28:29], s[26:27]
	;; [unrolled: 1-line block ×10, first 2 shown]
	v_fma_f64 v[24:25], v[20:21], v[24:25], 1.0
	v_fma_f64 v[18:19], v[20:21], v[24:25], 1.0
	v_ldexp_f64 v[18:19], v[18:19], v26
	v_cndmask_b32_e32 v19, 0x7ff00000, v19, vcc_lo
	s_and_b32 vcc_lo, s2, vcc_lo
	s_cmp_lg_u32 s51, 0
	v_cndmask_b32_e32 v16, 0, v18, vcc_lo
	v_add_co_u32 v14, vcc_lo, s12, v14
	v_cndmask_b32_e64 v17, 0, v19, s2
	v_add_co_ci_u32_e64 v15, null, s13, v15, vcc_lo
	s_waitcnt vmcnt(0)
	v_fma_f64 v[16:17], -v[4:5], v[16:17], v[22:23]
	global_store_dwordx2 v[14:15], v[16:17], off
	s_cbranch_scc1 .LBB348_12
.LBB348_13:                             ;   in Loop: Header=BB348_7 Depth=2
	s_mov_b32 s2, 0
.LBB348_14:                             ;   in Loop: Header=BB348_7 Depth=2
	s_andn2_b32 vcc_lo, exec_lo, s2
	s_cbranch_vccnz .LBB348_6
; %bb.15:                               ;   in Loop: Header=BB348_7 Depth=2
	v_mov_b32_e32 v4, 0
	v_mov_b32_e32 v5, 0
	s_and_saveexec_b32 s2, s0
	s_cbranch_execz .LBB348_19
; %bb.16:                               ;   in Loop: Header=BB348_7 Depth=2
	v_mov_b32_e32 v4, 0
	v_mov_b32_e32 v5, 0
	v_mov_b32_e32 v2, v9
	v_mov_b32_e32 v14, v0
	s_mov_b32 s51, 0
.LBB348_17:                             ;   Parent Loop BB348_3 Depth=1
                                        ;     Parent Loop BB348_7 Depth=2
                                        ; =>    This Inner Loop Header: Depth=3
	v_lshlrev_b64 v[15:16], 3, v[2:3]
	v_add_nc_u32_e32 v14, s33, v14
	v_add_nc_u32_e32 v2, s49, v2
	v_add_co_u32 v15, vcc_lo, s18, v15
	v_add_co_ci_u32_e64 v16, null, s19, v16, vcc_lo
	v_cmp_le_u32_e32 vcc_lo, s9, v14
	global_load_dwordx2 v[15:16], v[15:16], off
	s_or_b32 s51, vcc_lo, s51
	s_waitcnt vmcnt(0)
	v_add_f64 v[4:5], v[4:5], v[15:16]
	s_andn2_b32 exec_lo, exec_lo, s51
	s_cbranch_execnz .LBB348_17
; %bb.18:                               ;   in Loop: Header=BB348_7 Depth=2
	s_or_b32 exec_lo, exec_lo, s51
.LBB348_19:                             ;   in Loop: Header=BB348_7 Depth=2
	s_or_b32 exec_lo, exec_lo, s2
	s_mov_b32 s2, s33
	s_waitcnt_vscnt null, 0x0
	s_barrier
	buffer_gl0_inv
	ds_write_b64 v12, v[4:5]
	s_branch .LBB348_21
	.p2align	6
.LBB348_20:                             ;   in Loop: Header=BB348_21 Depth=3
	s_or_b32 exec_lo, exec_lo, s52
	s_cmp_gt_u32 s2, 3
	s_mov_b32 s2, s51
	s_cbranch_scc0 .LBB348_23
.LBB348_21:                             ;   Parent Loop BB348_3 Depth=1
                                        ;     Parent Loop BB348_7 Depth=2
                                        ; =>    This Inner Loop Header: Depth=3
	s_lshr_b32 s51, s2, 1
	s_mov_b32 s52, exec_lo
	s_waitcnt lgkmcnt(0)
	s_barrier
	buffer_gl0_inv
	v_cmpx_gt_u32_e64 s51, v0
	s_cbranch_execz .LBB348_20
; %bb.22:                               ;   in Loop: Header=BB348_21 Depth=3
	v_lshl_add_u32 v2, s51, 3, v12
	ds_read_b64 v[4:5], v12
	ds_read_b64 v[14:15], v2
	s_waitcnt lgkmcnt(0)
	v_add_f64 v[4:5], v[4:5], v[14:15]
	ds_write_b64 v12, v[4:5]
	s_branch .LBB348_20
.LBB348_23:                             ;   in Loop: Header=BB348_7 Depth=2
	s_waitcnt lgkmcnt(0)
	s_barrier
	buffer_gl0_inv
	s_and_saveexec_b32 s51, s0
	s_cbranch_execz .LBB348_5
; %bb.24:                               ;   in Loop: Header=BB348_7 Depth=2
	ds_read_b64 v[4:5], v10
	v_mov_b32_e32 v2, v9
	v_mov_b32_e32 v14, v0
	s_mov_b32 s52, 0
.LBB348_25:                             ;   Parent Loop BB348_3 Depth=1
                                        ;     Parent Loop BB348_7 Depth=2
                                        ; =>    This Inner Loop Header: Depth=3
	v_lshlrev_b64 v[15:16], 3, v[2:3]
	v_add_nc_u32_e32 v14, s33, v14
	v_add_nc_u32_e32 v2, s49, v2
	v_add_co_u32 v17, vcc_lo, s14, v15
	v_add_co_ci_u32_e64 v18, null, s15, v16, vcc_lo
	v_add_co_u32 v23, vcc_lo, s18, v15
	v_add_co_ci_u32_e64 v24, null, s19, v16, vcc_lo
	global_load_dwordx2 v[17:18], v[17:18], off
	global_load_dwordx2 v[23:24], v[23:24], off
	s_waitcnt vmcnt(1)
	v_mul_f64 v[19:20], v[17:18], s[20:21]
	v_cmp_nlt_f64_e32 vcc_lo, 0x40900000, v[17:18]
	v_cmp_ngt_f64_e64 s2, 0xc090cc00, v[17:18]
	v_rndne_f64_e32 v[19:20], v[19:20]
	v_fma_f64 v[21:22], v[19:20], s[22:23], v[17:18]
	v_cvt_i32_f64_e32 v27, v[19:20]
	v_fma_f64 v[21:22], v[19:20], s[24:25], v[21:22]
	v_fma_f64 v[25:26], v[21:22], s[28:29], s[26:27]
	;; [unrolled: 1-line block ×10, first 2 shown]
	v_fma_f64 v[25:26], v[21:22], v[25:26], 1.0
	v_fma_f64 v[19:20], v[21:22], v[25:26], 1.0
	v_ldexp_f64 v[19:20], v[19:20], v27
	v_cndmask_b32_e32 v20, 0x7ff00000, v20, vcc_lo
	s_and_b32 vcc_lo, s2, vcc_lo
	v_cndmask_b32_e32 v17, 0, v19, vcc_lo
	v_cmp_le_u32_e32 vcc_lo, s9, v14
	v_cndmask_b32_e64 v18, 0, v20, s2
	v_add_co_u32 v15, s2, s12, v15
	v_add_co_ci_u32_e64 v16, null, s13, v16, s2
	s_waitcnt vmcnt(0) lgkmcnt(0)
	v_fma_f64 v[17:18], -v[4:5], v[17:18], v[23:24]
	s_or_b32 s52, vcc_lo, s52
	global_store_dwordx2 v[15:16], v[17:18], off
	s_andn2_b32 exec_lo, exec_lo, s52
	s_cbranch_execnz .LBB348_25
	s_branch .LBB348_5
.LBB348_26:
	s_endpgm
	.section	.rodata,"a",@progbits
	.p2align	6, 0x0
	.amdhsa_kernel _ZN2at6native12_GLOBAL__N_127cunn_SpatialSoftMaxBackwardIdddNS1_26LogSoftMaxBackwardEpilogueEEEvPT_PKT1_S8_jjj
		.amdhsa_group_segment_fixed_size 0
		.amdhsa_private_segment_fixed_size 0
		.amdhsa_kernarg_size 296
		.amdhsa_user_sgpr_count 6
		.amdhsa_user_sgpr_private_segment_buffer 1
		.amdhsa_user_sgpr_dispatch_ptr 0
		.amdhsa_user_sgpr_queue_ptr 0
		.amdhsa_user_sgpr_kernarg_segment_ptr 1
		.amdhsa_user_sgpr_dispatch_id 0
		.amdhsa_user_sgpr_flat_scratch_init 0
		.amdhsa_user_sgpr_private_segment_size 0
		.amdhsa_wavefront_size32 1
		.amdhsa_uses_dynamic_stack 0
		.amdhsa_system_sgpr_private_segment_wavefront_offset 0
		.amdhsa_system_sgpr_workgroup_id_x 1
		.amdhsa_system_sgpr_workgroup_id_y 1
		.amdhsa_system_sgpr_workgroup_id_z 0
		.amdhsa_system_sgpr_workgroup_info 0
		.amdhsa_system_vgpr_workitem_id 1
		.amdhsa_next_free_vgpr 28
		.amdhsa_next_free_sgpr 53
		.amdhsa_reserve_vcc 1
		.amdhsa_reserve_flat_scratch 0
		.amdhsa_float_round_mode_32 0
		.amdhsa_float_round_mode_16_64 0
		.amdhsa_float_denorm_mode_32 3
		.amdhsa_float_denorm_mode_16_64 3
		.amdhsa_dx10_clamp 1
		.amdhsa_ieee_mode 1
		.amdhsa_fp16_overflow 0
		.amdhsa_workgroup_processor_mode 1
		.amdhsa_memory_ordered 1
		.amdhsa_forward_progress 1
		.amdhsa_shared_vgpr_count 0
		.amdhsa_exception_fp_ieee_invalid_op 0
		.amdhsa_exception_fp_denorm_src 0
		.amdhsa_exception_fp_ieee_div_zero 0
		.amdhsa_exception_fp_ieee_overflow 0
		.amdhsa_exception_fp_ieee_underflow 0
		.amdhsa_exception_fp_ieee_inexact 0
		.amdhsa_exception_int_div_zero 0
	.end_amdhsa_kernel
	.section	.text._ZN2at6native12_GLOBAL__N_127cunn_SpatialSoftMaxBackwardIdddNS1_26LogSoftMaxBackwardEpilogueEEEvPT_PKT1_S8_jjj,"axG",@progbits,_ZN2at6native12_GLOBAL__N_127cunn_SpatialSoftMaxBackwardIdddNS1_26LogSoftMaxBackwardEpilogueEEEvPT_PKT1_S8_jjj,comdat
.Lfunc_end348:
	.size	_ZN2at6native12_GLOBAL__N_127cunn_SpatialSoftMaxBackwardIdddNS1_26LogSoftMaxBackwardEpilogueEEEvPT_PKT1_S8_jjj, .Lfunc_end348-_ZN2at6native12_GLOBAL__N_127cunn_SpatialSoftMaxBackwardIdddNS1_26LogSoftMaxBackwardEpilogueEEEvPT_PKT1_S8_jjj
                                        ; -- End function
	.set _ZN2at6native12_GLOBAL__N_127cunn_SpatialSoftMaxBackwardIdddNS1_26LogSoftMaxBackwardEpilogueEEEvPT_PKT1_S8_jjj.num_vgpr, 28
	.set _ZN2at6native12_GLOBAL__N_127cunn_SpatialSoftMaxBackwardIdddNS1_26LogSoftMaxBackwardEpilogueEEEvPT_PKT1_S8_jjj.num_agpr, 0
	.set _ZN2at6native12_GLOBAL__N_127cunn_SpatialSoftMaxBackwardIdddNS1_26LogSoftMaxBackwardEpilogueEEEvPT_PKT1_S8_jjj.numbered_sgpr, 53
	.set _ZN2at6native12_GLOBAL__N_127cunn_SpatialSoftMaxBackwardIdddNS1_26LogSoftMaxBackwardEpilogueEEEvPT_PKT1_S8_jjj.num_named_barrier, 0
	.set _ZN2at6native12_GLOBAL__N_127cunn_SpatialSoftMaxBackwardIdddNS1_26LogSoftMaxBackwardEpilogueEEEvPT_PKT1_S8_jjj.private_seg_size, 0
	.set _ZN2at6native12_GLOBAL__N_127cunn_SpatialSoftMaxBackwardIdddNS1_26LogSoftMaxBackwardEpilogueEEEvPT_PKT1_S8_jjj.uses_vcc, 1
	.set _ZN2at6native12_GLOBAL__N_127cunn_SpatialSoftMaxBackwardIdddNS1_26LogSoftMaxBackwardEpilogueEEEvPT_PKT1_S8_jjj.uses_flat_scratch, 0
	.set _ZN2at6native12_GLOBAL__N_127cunn_SpatialSoftMaxBackwardIdddNS1_26LogSoftMaxBackwardEpilogueEEEvPT_PKT1_S8_jjj.has_dyn_sized_stack, 0
	.set _ZN2at6native12_GLOBAL__N_127cunn_SpatialSoftMaxBackwardIdddNS1_26LogSoftMaxBackwardEpilogueEEEvPT_PKT1_S8_jjj.has_recursion, 0
	.set _ZN2at6native12_GLOBAL__N_127cunn_SpatialSoftMaxBackwardIdddNS1_26LogSoftMaxBackwardEpilogueEEEvPT_PKT1_S8_jjj.has_indirect_call, 0
	.section	.AMDGPU.csdata,"",@progbits
; Kernel info:
; codeLenInByte = 1532
; TotalNumSgprs: 55
; NumVgprs: 28
; ScratchSize: 0
; MemoryBound: 0
; FloatMode: 240
; IeeeMode: 1
; LDSByteSize: 0 bytes/workgroup (compile time only)
; SGPRBlocks: 0
; VGPRBlocks: 3
; NumSGPRsForWavesPerEU: 55
; NumVGPRsForWavesPerEU: 28
; Occupancy: 16
; WaveLimiterHint : 0
; COMPUTE_PGM_RSRC2:SCRATCH_EN: 0
; COMPUTE_PGM_RSRC2:USER_SGPR: 6
; COMPUTE_PGM_RSRC2:TRAP_HANDLER: 0
; COMPUTE_PGM_RSRC2:TGID_X_EN: 1
; COMPUTE_PGM_RSRC2:TGID_Y_EN: 1
; COMPUTE_PGM_RSRC2:TGID_Z_EN: 0
; COMPUTE_PGM_RSRC2:TIDIG_COMP_CNT: 1
	.section	.text._ZN2at6native12_GLOBAL__N_127cunn_SpatialSoftMaxBackwardIfffNS1_26LogSoftMaxBackwardEpilogueEEEvPT_PKT1_S8_jjj,"axG",@progbits,_ZN2at6native12_GLOBAL__N_127cunn_SpatialSoftMaxBackwardIfffNS1_26LogSoftMaxBackwardEpilogueEEEvPT_PKT1_S8_jjj,comdat
	.globl	_ZN2at6native12_GLOBAL__N_127cunn_SpatialSoftMaxBackwardIfffNS1_26LogSoftMaxBackwardEpilogueEEEvPT_PKT1_S8_jjj ; -- Begin function _ZN2at6native12_GLOBAL__N_127cunn_SpatialSoftMaxBackwardIfffNS1_26LogSoftMaxBackwardEpilogueEEEvPT_PKT1_S8_jjj
	.p2align	8
	.type	_ZN2at6native12_GLOBAL__N_127cunn_SpatialSoftMaxBackwardIfffNS1_26LogSoftMaxBackwardEpilogueEEEvPT_PKT1_S8_jjj,@function
_ZN2at6native12_GLOBAL__N_127cunn_SpatialSoftMaxBackwardIfffNS1_26LogSoftMaxBackwardEpilogueEEEvPT_PKT1_S8_jjj: ; @_ZN2at6native12_GLOBAL__N_127cunn_SpatialSoftMaxBackwardIfffNS1_26LogSoftMaxBackwardEpilogueEEEvPT_PKT1_S8_jjj
; %bb.0:
	s_load_dwordx4 s[8:11], s[4:5], 0x18
	s_waitcnt lgkmcnt(0)
	s_cmp_ge_u32 s6, s8
	s_cbranch_scc1 .LBB349_26
; %bb.1:
	s_clause 0x1
	s_load_dword s1, s[4:5], 0x34
	s_load_dwordx2 s[16:17], s[4:5], 0x28
	s_mul_i32 s2, s6, s9
	s_clause 0x1
	s_load_dwordx4 s[12:15], s[4:5], 0x0
	s_load_dwordx2 s[18:19], s[4:5], 0x10
	v_add_nc_u32_e32 v2, s2, v0
	s_add_u32 s4, s4, 40
	s_addc_u32 s5, s5, 0
	s_mul_i32 s2, s2, s10
	v_cmp_gt_u32_e64 s0, s9, v0
	v_mul_lo_u32 v2, s10, v2
	v_mov_b32_e32 v3, 0
	s_waitcnt lgkmcnt(0)
	s_lshr_b32 s11, s1, 16
	s_cmp_lg_u32 s9, 0
	s_mul_i32 s7, s7, s11
	s_cselect_b32 s3, -1, 0
	v_add_nc_u32_e32 v4, s7, v1
	v_add3_u32 v5, s7, s2, v1
	v_add3_u32 v6, v1, v2, s7
	s_mul_i32 s2, s16, s10
	s_mul_i32 s7, s17, s11
	v_cmp_gt_u32_e64 s1, s10, v4
	s_mul_i32 s11, s2, s9
	s_branch .LBB349_3
.LBB349_2:                              ;   in Loop: Header=BB349_3 Depth=1
	s_or_b32 exec_lo, exec_lo, s17
	v_add_nc_u32_e32 v5, s11, v5
	v_add_nc_u32_e32 v6, s11, v6
	s_add_i32 s6, s16, s6
	s_cmp_ge_u32 s6, s8
	s_cbranch_scc1 .LBB349_26
.LBB349_3:                              ; =>This Loop Header: Depth=1
                                        ;     Child Loop BB349_7 Depth 2
                                        ;       Child Loop BB349_10 Depth 3
                                        ;       Child Loop BB349_12 Depth 3
	;; [unrolled: 1-line block ×5, first 2 shown]
	s_and_saveexec_b32 s17, s1
	s_cbranch_execz .LBB349_2
; %bb.4:                                ;   in Loop: Header=BB349_3 Depth=1
	s_load_dword s2, s[4:5], 0xc
	v_mov_b32_e32 v7, v6
	v_mov_b32_e32 v9, v5
	v_mov_b32_e32 v11, v4
	s_mov_b32 s23, 0
	s_waitcnt lgkmcnt(0)
	s_and_b32 s20, s2, 0xffff
	v_mul_u32_u24_e32 v2, s20, v1
	s_cmp_lt_u32 s20, 2
	s_mul_i32 s22, s10, s20
	s_cselect_b32 s21, -1, 0
	v_lshl_add_u32 v8, v2, 2, 0
	v_lshl_add_u32 v10, v0, 2, v8
	s_branch .LBB349_7
.LBB349_5:                              ;   in Loop: Header=BB349_7 Depth=2
	s_or_b32 exec_lo, exec_lo, s24
.LBB349_6:                              ;   in Loop: Header=BB349_7 Depth=2
	v_add_nc_u32_e32 v11, s7, v11
	v_add_nc_u32_e32 v9, s7, v9
	;; [unrolled: 1-line block ×3, first 2 shown]
	v_cmp_le_u32_e32 vcc_lo, s10, v11
	s_or_b32 s23, vcc_lo, s23
	s_andn2_b32 exec_lo, exec_lo, s23
	s_cbranch_execz .LBB349_2
.LBB349_7:                              ;   Parent Loop BB349_3 Depth=1
                                        ; =>  This Loop Header: Depth=2
                                        ;       Child Loop BB349_10 Depth 3
                                        ;       Child Loop BB349_12 Depth 3
	;; [unrolled: 1-line block ×5, first 2 shown]
	s_andn2_b32 vcc_lo, exec_lo, s21
	s_mov_b32 s2, -1
	s_cbranch_vccnz .LBB349_14
; %bb.8:                                ;   in Loop: Header=BB349_7 Depth=2
	s_andn2_b32 vcc_lo, exec_lo, s3
	s_cbranch_vccnz .LBB349_13
; %bb.9:                                ;   in Loop: Header=BB349_7 Depth=2
	v_mov_b32_e32 v12, 0
	v_mov_b32_e32 v2, v9
	s_mov_b32 s2, s9
.LBB349_10:                             ;   Parent Loop BB349_3 Depth=1
                                        ;     Parent Loop BB349_7 Depth=2
                                        ; =>    This Inner Loop Header: Depth=3
	v_lshlrev_b64 v[13:14], 2, v[2:3]
	v_add_nc_u32_e32 v2, s10, v2
	s_add_i32 s2, s2, -1
	s_cmp_lg_u32 s2, 0
	v_add_co_u32 v13, vcc_lo, s18, v13
	v_add_co_ci_u32_e64 v14, null, s19, v14, vcc_lo
	global_load_dword v13, v[13:14], off
	s_waitcnt vmcnt(0)
	v_add_f32_e32 v12, v12, v13
	s_cbranch_scc1 .LBB349_10
; %bb.11:                               ;   in Loop: Header=BB349_7 Depth=2
	v_mov_b32_e32 v2, v9
	s_mov_b32 s2, s9
	s_inst_prefetch 0x1
	.p2align	6
.LBB349_12:                             ;   Parent Loop BB349_3 Depth=1
                                        ;     Parent Loop BB349_7 Depth=2
                                        ; =>    This Inner Loop Header: Depth=3
	v_lshlrev_b64 v[13:14], 2, v[2:3]
	v_add_nc_u32_e32 v2, s10, v2
	s_add_i32 s2, s2, -1
	s_cmp_lg_u32 s2, 0
	v_add_co_u32 v15, vcc_lo, s14, v13
	v_add_co_ci_u32_e64 v16, null, s15, v14, vcc_lo
	global_load_dword v17, v[15:16], off
	v_add_co_u32 v15, vcc_lo, s18, v13
	v_add_co_ci_u32_e64 v16, null, s19, v14, vcc_lo
	global_load_dword v15, v[15:16], off
	s_waitcnt vmcnt(1)
	v_mul_f32_e32 v16, 0x3fb8aa3b, v17
	v_cmp_ngt_f32_e32 vcc_lo, 0xc2ce8ed0, v17
	v_fma_f32 v18, 0x3fb8aa3b, v17, -v16
	v_rndne_f32_e32 v19, v16
	v_fmac_f32_e32 v18, 0x32a5705f, v17
	v_sub_f32_e32 v16, v16, v19
	v_add_f32_e32 v16, v16, v18
	v_cvt_i32_f32_e32 v18, v19
	v_exp_f32_e32 v16, v16
	v_ldexp_f32 v16, v16, v18
	v_cndmask_b32_e32 v16, 0, v16, vcc_lo
	v_cmp_nlt_f32_e32 vcc_lo, 0x42b17218, v17
	v_cndmask_b32_e32 v16, 0x7f800000, v16, vcc_lo
	v_add_co_u32 v13, vcc_lo, s12, v13
	v_add_co_ci_u32_e64 v14, null, s13, v14, vcc_lo
	s_waitcnt vmcnt(0)
	v_fma_f32 v15, -v12, v16, v15
	global_store_dword v[13:14], v15, off
	s_cbranch_scc1 .LBB349_12
.LBB349_13:                             ;   in Loop: Header=BB349_7 Depth=2
	s_inst_prefetch 0x2
	s_mov_b32 s2, 0
.LBB349_14:                             ;   in Loop: Header=BB349_7 Depth=2
	s_andn2_b32 vcc_lo, exec_lo, s2
	s_cbranch_vccnz .LBB349_6
; %bb.15:                               ;   in Loop: Header=BB349_7 Depth=2
	v_mov_b32_e32 v12, 0
	s_and_saveexec_b32 s2, s0
	s_cbranch_execz .LBB349_19
; %bb.16:                               ;   in Loop: Header=BB349_7 Depth=2
	v_mov_b32_e32 v12, 0
	v_mov_b32_e32 v2, v7
	v_mov_b32_e32 v13, v0
	s_mov_b32 s24, 0
.LBB349_17:                             ;   Parent Loop BB349_3 Depth=1
                                        ;     Parent Loop BB349_7 Depth=2
                                        ; =>    This Inner Loop Header: Depth=3
	v_lshlrev_b64 v[14:15], 2, v[2:3]
	v_add_nc_u32_e32 v13, s20, v13
	v_add_nc_u32_e32 v2, s22, v2
	v_add_co_u32 v14, vcc_lo, s18, v14
	v_add_co_ci_u32_e64 v15, null, s19, v15, vcc_lo
	v_cmp_le_u32_e32 vcc_lo, s9, v13
	global_load_dword v14, v[14:15], off
	s_or_b32 s24, vcc_lo, s24
	s_waitcnt vmcnt(0)
	v_add_f32_e32 v12, v12, v14
	s_andn2_b32 exec_lo, exec_lo, s24
	s_cbranch_execnz .LBB349_17
; %bb.18:                               ;   in Loop: Header=BB349_7 Depth=2
	s_or_b32 exec_lo, exec_lo, s24
.LBB349_19:                             ;   in Loop: Header=BB349_7 Depth=2
	s_or_b32 exec_lo, exec_lo, s2
	s_mov_b32 s2, s20
	s_waitcnt_vscnt null, 0x0
	s_barrier
	buffer_gl0_inv
	ds_write_b32 v10, v12
	s_branch .LBB349_21
	.p2align	6
.LBB349_20:                             ;   in Loop: Header=BB349_21 Depth=3
	s_or_b32 exec_lo, exec_lo, s25
	s_cmp_gt_u32 s2, 3
	s_mov_b32 s2, s24
	s_cbranch_scc0 .LBB349_23
.LBB349_21:                             ;   Parent Loop BB349_3 Depth=1
                                        ;     Parent Loop BB349_7 Depth=2
                                        ; =>    This Inner Loop Header: Depth=3
	s_lshr_b32 s24, s2, 1
	s_mov_b32 s25, exec_lo
	s_waitcnt lgkmcnt(0)
	s_barrier
	buffer_gl0_inv
	v_cmpx_gt_u32_e64 s24, v0
	s_cbranch_execz .LBB349_20
; %bb.22:                               ;   in Loop: Header=BB349_21 Depth=3
	v_lshl_add_u32 v2, s24, 2, v10
	ds_read_b32 v12, v10
	ds_read_b32 v2, v2
	s_waitcnt lgkmcnt(0)
	v_add_f32_e32 v2, v12, v2
	ds_write_b32 v10, v2
	s_branch .LBB349_20
.LBB349_23:                             ;   in Loop: Header=BB349_7 Depth=2
	s_waitcnt lgkmcnt(0)
	s_barrier
	buffer_gl0_inv
	s_and_saveexec_b32 s24, s0
	s_cbranch_execz .LBB349_5
; %bb.24:                               ;   in Loop: Header=BB349_7 Depth=2
	ds_read_b32 v12, v8
	v_mov_b32_e32 v2, v7
	v_mov_b32_e32 v13, v0
	s_mov_b32 s25, 0
.LBB349_25:                             ;   Parent Loop BB349_3 Depth=1
                                        ;     Parent Loop BB349_7 Depth=2
                                        ; =>    This Inner Loop Header: Depth=3
	v_lshlrev_b64 v[14:15], 2, v[2:3]
	v_add_nc_u32_e32 v13, s20, v13
	v_add_nc_u32_e32 v2, s22, v2
	v_add_co_u32 v16, vcc_lo, s14, v14
	v_add_co_ci_u32_e64 v17, null, s15, v15, vcc_lo
	global_load_dword v18, v[16:17], off
	v_add_co_u32 v16, vcc_lo, s18, v14
	v_add_co_ci_u32_e64 v17, null, s19, v15, vcc_lo
	global_load_dword v16, v[16:17], off
	s_waitcnt vmcnt(1)
	v_mul_f32_e32 v17, 0x3fb8aa3b, v18
	v_cmp_ngt_f32_e32 vcc_lo, 0xc2ce8ed0, v18
	v_cmp_nlt_f32_e64 s2, 0x42b17218, v18
	v_fma_f32 v19, 0x3fb8aa3b, v18, -v17
	v_rndne_f32_e32 v20, v17
	v_fmac_f32_e32 v19, 0x32a5705f, v18
	v_sub_f32_e32 v17, v17, v20
	v_add_f32_e32 v17, v17, v19
	v_cvt_i32_f32_e32 v19, v20
	v_exp_f32_e32 v17, v17
	v_ldexp_f32 v17, v17, v19
	v_cndmask_b32_e32 v17, 0, v17, vcc_lo
	v_cmp_le_u32_e32 vcc_lo, s9, v13
	v_cndmask_b32_e64 v17, 0x7f800000, v17, s2
	v_add_co_u32 v14, s2, s12, v14
	v_add_co_ci_u32_e64 v15, null, s13, v15, s2
	s_waitcnt vmcnt(0) lgkmcnt(0)
	v_fma_f32 v16, -v12, v17, v16
	s_or_b32 s25, vcc_lo, s25
	global_store_dword v[14:15], v16, off
	s_andn2_b32 exec_lo, exec_lo, s25
	s_cbranch_execnz .LBB349_25
	s_branch .LBB349_5
.LBB349_26:
	s_endpgm
	.section	.rodata,"a",@progbits
	.p2align	6, 0x0
	.amdhsa_kernel _ZN2at6native12_GLOBAL__N_127cunn_SpatialSoftMaxBackwardIfffNS1_26LogSoftMaxBackwardEpilogueEEEvPT_PKT1_S8_jjj
		.amdhsa_group_segment_fixed_size 0
		.amdhsa_private_segment_fixed_size 0
		.amdhsa_kernarg_size 296
		.amdhsa_user_sgpr_count 6
		.amdhsa_user_sgpr_private_segment_buffer 1
		.amdhsa_user_sgpr_dispatch_ptr 0
		.amdhsa_user_sgpr_queue_ptr 0
		.amdhsa_user_sgpr_kernarg_segment_ptr 1
		.amdhsa_user_sgpr_dispatch_id 0
		.amdhsa_user_sgpr_flat_scratch_init 0
		.amdhsa_user_sgpr_private_segment_size 0
		.amdhsa_wavefront_size32 1
		.amdhsa_uses_dynamic_stack 0
		.amdhsa_system_sgpr_private_segment_wavefront_offset 0
		.amdhsa_system_sgpr_workgroup_id_x 1
		.amdhsa_system_sgpr_workgroup_id_y 1
		.amdhsa_system_sgpr_workgroup_id_z 0
		.amdhsa_system_sgpr_workgroup_info 0
		.amdhsa_system_vgpr_workitem_id 1
		.amdhsa_next_free_vgpr 21
		.amdhsa_next_free_sgpr 26
		.amdhsa_reserve_vcc 1
		.amdhsa_reserve_flat_scratch 0
		.amdhsa_float_round_mode_32 0
		.amdhsa_float_round_mode_16_64 0
		.amdhsa_float_denorm_mode_32 3
		.amdhsa_float_denorm_mode_16_64 3
		.amdhsa_dx10_clamp 1
		.amdhsa_ieee_mode 1
		.amdhsa_fp16_overflow 0
		.amdhsa_workgroup_processor_mode 1
		.amdhsa_memory_ordered 1
		.amdhsa_forward_progress 1
		.amdhsa_shared_vgpr_count 0
		.amdhsa_exception_fp_ieee_invalid_op 0
		.amdhsa_exception_fp_denorm_src 0
		.amdhsa_exception_fp_ieee_div_zero 0
		.amdhsa_exception_fp_ieee_overflow 0
		.amdhsa_exception_fp_ieee_underflow 0
		.amdhsa_exception_fp_ieee_inexact 0
		.amdhsa_exception_int_div_zero 0
	.end_amdhsa_kernel
	.section	.text._ZN2at6native12_GLOBAL__N_127cunn_SpatialSoftMaxBackwardIfffNS1_26LogSoftMaxBackwardEpilogueEEEvPT_PKT1_S8_jjj,"axG",@progbits,_ZN2at6native12_GLOBAL__N_127cunn_SpatialSoftMaxBackwardIfffNS1_26LogSoftMaxBackwardEpilogueEEEvPT_PKT1_S8_jjj,comdat
.Lfunc_end349:
	.size	_ZN2at6native12_GLOBAL__N_127cunn_SpatialSoftMaxBackwardIfffNS1_26LogSoftMaxBackwardEpilogueEEEvPT_PKT1_S8_jjj, .Lfunc_end349-_ZN2at6native12_GLOBAL__N_127cunn_SpatialSoftMaxBackwardIfffNS1_26LogSoftMaxBackwardEpilogueEEEvPT_PKT1_S8_jjj
                                        ; -- End function
	.set _ZN2at6native12_GLOBAL__N_127cunn_SpatialSoftMaxBackwardIfffNS1_26LogSoftMaxBackwardEpilogueEEEvPT_PKT1_S8_jjj.num_vgpr, 21
	.set _ZN2at6native12_GLOBAL__N_127cunn_SpatialSoftMaxBackwardIfffNS1_26LogSoftMaxBackwardEpilogueEEEvPT_PKT1_S8_jjj.num_agpr, 0
	.set _ZN2at6native12_GLOBAL__N_127cunn_SpatialSoftMaxBackwardIfffNS1_26LogSoftMaxBackwardEpilogueEEEvPT_PKT1_S8_jjj.numbered_sgpr, 26
	.set _ZN2at6native12_GLOBAL__N_127cunn_SpatialSoftMaxBackwardIfffNS1_26LogSoftMaxBackwardEpilogueEEEvPT_PKT1_S8_jjj.num_named_barrier, 0
	.set _ZN2at6native12_GLOBAL__N_127cunn_SpatialSoftMaxBackwardIfffNS1_26LogSoftMaxBackwardEpilogueEEEvPT_PKT1_S8_jjj.private_seg_size, 0
	.set _ZN2at6native12_GLOBAL__N_127cunn_SpatialSoftMaxBackwardIfffNS1_26LogSoftMaxBackwardEpilogueEEEvPT_PKT1_S8_jjj.uses_vcc, 1
	.set _ZN2at6native12_GLOBAL__N_127cunn_SpatialSoftMaxBackwardIfffNS1_26LogSoftMaxBackwardEpilogueEEEvPT_PKT1_S8_jjj.uses_flat_scratch, 0
	.set _ZN2at6native12_GLOBAL__N_127cunn_SpatialSoftMaxBackwardIfffNS1_26LogSoftMaxBackwardEpilogueEEEvPT_PKT1_S8_jjj.has_dyn_sized_stack, 0
	.set _ZN2at6native12_GLOBAL__N_127cunn_SpatialSoftMaxBackwardIfffNS1_26LogSoftMaxBackwardEpilogueEEEvPT_PKT1_S8_jjj.has_recursion, 0
	.set _ZN2at6native12_GLOBAL__N_127cunn_SpatialSoftMaxBackwardIfffNS1_26LogSoftMaxBackwardEpilogueEEEvPT_PKT1_S8_jjj.has_indirect_call, 0
	.section	.AMDGPU.csdata,"",@progbits
; Kernel info:
; codeLenInByte = 1192
; TotalNumSgprs: 28
; NumVgprs: 21
; ScratchSize: 0
; MemoryBound: 0
; FloatMode: 240
; IeeeMode: 1
; LDSByteSize: 0 bytes/workgroup (compile time only)
; SGPRBlocks: 0
; VGPRBlocks: 2
; NumSGPRsForWavesPerEU: 28
; NumVGPRsForWavesPerEU: 21
; Occupancy: 16
; WaveLimiterHint : 0
; COMPUTE_PGM_RSRC2:SCRATCH_EN: 0
; COMPUTE_PGM_RSRC2:USER_SGPR: 6
; COMPUTE_PGM_RSRC2:TRAP_HANDLER: 0
; COMPUTE_PGM_RSRC2:TGID_X_EN: 1
; COMPUTE_PGM_RSRC2:TGID_Y_EN: 1
; COMPUTE_PGM_RSRC2:TGID_Z_EN: 0
; COMPUTE_PGM_RSRC2:TIDIG_COMP_CNT: 1
	.section	.text._ZN2at6native12_GLOBAL__N_127cunn_SpatialSoftMaxBackwardIN3c104HalfEfS4_NS1_26LogSoftMaxBackwardEpilogueEEEvPT_PKT1_SA_jjj,"axG",@progbits,_ZN2at6native12_GLOBAL__N_127cunn_SpatialSoftMaxBackwardIN3c104HalfEfS4_NS1_26LogSoftMaxBackwardEpilogueEEEvPT_PKT1_SA_jjj,comdat
	.globl	_ZN2at6native12_GLOBAL__N_127cunn_SpatialSoftMaxBackwardIN3c104HalfEfS4_NS1_26LogSoftMaxBackwardEpilogueEEEvPT_PKT1_SA_jjj ; -- Begin function _ZN2at6native12_GLOBAL__N_127cunn_SpatialSoftMaxBackwardIN3c104HalfEfS4_NS1_26LogSoftMaxBackwardEpilogueEEEvPT_PKT1_SA_jjj
	.p2align	8
	.type	_ZN2at6native12_GLOBAL__N_127cunn_SpatialSoftMaxBackwardIN3c104HalfEfS4_NS1_26LogSoftMaxBackwardEpilogueEEEvPT_PKT1_SA_jjj,@function
_ZN2at6native12_GLOBAL__N_127cunn_SpatialSoftMaxBackwardIN3c104HalfEfS4_NS1_26LogSoftMaxBackwardEpilogueEEEvPT_PKT1_SA_jjj: ; @_ZN2at6native12_GLOBAL__N_127cunn_SpatialSoftMaxBackwardIN3c104HalfEfS4_NS1_26LogSoftMaxBackwardEpilogueEEEvPT_PKT1_SA_jjj
; %bb.0:
	s_load_dwordx4 s[8:11], s[4:5], 0x18
	s_waitcnt lgkmcnt(0)
	s_cmp_ge_u32 s6, s8
	s_cbranch_scc1 .LBB350_26
; %bb.1:
	s_clause 0x1
	s_load_dword s1, s[4:5], 0x34
	s_load_dwordx2 s[16:17], s[4:5], 0x28
	s_mul_i32 s2, s6, s9
	s_clause 0x1
	s_load_dwordx4 s[12:15], s[4:5], 0x0
	s_load_dwordx2 s[18:19], s[4:5], 0x10
	v_add_nc_u32_e32 v2, s2, v0
	s_add_u32 s4, s4, 40
	s_addc_u32 s5, s5, 0
	s_mul_i32 s2, s2, s10
	v_cmp_gt_u32_e64 s0, s9, v0
	v_mul_lo_u32 v2, s10, v2
	v_mov_b32_e32 v3, 0
	s_waitcnt lgkmcnt(0)
	s_lshr_b32 s1, s1, 16
	s_mul_i32 s11, s16, s10
	s_mul_i32 s20, s7, s1
	;; [unrolled: 1-line block ×3, first 2 shown]
	v_add_nc_u32_e32 v4, s20, v1
	v_add3_u32 v5, s20, s2, v1
	v_add3_u32 v6, v1, v2, s20
	s_cmp_lg_u32 s9, 0
	s_mul_i32 s11, s11, s9
	v_cmp_gt_u32_e64 s1, s10, v4
	s_cselect_b32 s7, -1, 0
	s_mov_b32 s17, 0x3fb8aa3b
	s_mov_b32 s20, 0x32a5705f
	s_branch .LBB350_3
.LBB350_2:                              ;   in Loop: Header=BB350_3 Depth=1
	s_or_b32 exec_lo, exec_lo, s21
	v_add_nc_u32_e32 v5, s11, v5
	v_add_nc_u32_e32 v6, s11, v6
	s_add_i32 s6, s16, s6
	s_cmp_ge_u32 s6, s8
	s_cbranch_scc1 .LBB350_26
.LBB350_3:                              ; =>This Loop Header: Depth=1
                                        ;     Child Loop BB350_7 Depth 2
                                        ;       Child Loop BB350_10 Depth 3
                                        ;       Child Loop BB350_12 Depth 3
	;; [unrolled: 1-line block ×5, first 2 shown]
	s_and_saveexec_b32 s21, s1
	s_cbranch_execz .LBB350_2
; %bb.4:                                ;   in Loop: Header=BB350_3 Depth=1
	s_load_dword s2, s[4:5], 0xc
	v_mov_b32_e32 v7, v6
	v_mov_b32_e32 v9, v5
	;; [unrolled: 1-line block ×3, first 2 shown]
	s_mov_b32 s25, 0
	s_waitcnt lgkmcnt(0)
	s_and_b32 s22, s2, 0xffff
	v_mul_u32_u24_e32 v2, s22, v1
	s_cmp_lt_u32 s22, 2
	s_mul_i32 s24, s10, s22
	s_cselect_b32 s23, -1, 0
	v_lshl_add_u32 v8, v2, 2, 0
	v_lshl_add_u32 v10, v0, 2, v8
	s_branch .LBB350_7
.LBB350_5:                              ;   in Loop: Header=BB350_7 Depth=2
	s_or_b32 exec_lo, exec_lo, s26
.LBB350_6:                              ;   in Loop: Header=BB350_7 Depth=2
	v_add_nc_u32_e32 v11, s3, v11
	v_add_nc_u32_e32 v9, s3, v9
	;; [unrolled: 1-line block ×3, first 2 shown]
	v_cmp_le_u32_e32 vcc_lo, s10, v11
	s_or_b32 s25, vcc_lo, s25
	s_andn2_b32 exec_lo, exec_lo, s25
	s_cbranch_execz .LBB350_2
.LBB350_7:                              ;   Parent Loop BB350_3 Depth=1
                                        ; =>  This Loop Header: Depth=2
                                        ;       Child Loop BB350_10 Depth 3
                                        ;       Child Loop BB350_12 Depth 3
	;; [unrolled: 1-line block ×5, first 2 shown]
	s_andn2_b32 vcc_lo, exec_lo, s23
	s_mov_b32 s2, -1
	s_cbranch_vccnz .LBB350_14
; %bb.8:                                ;   in Loop: Header=BB350_7 Depth=2
	s_andn2_b32 vcc_lo, exec_lo, s7
	s_cbranch_vccnz .LBB350_13
; %bb.9:                                ;   in Loop: Header=BB350_7 Depth=2
	v_mov_b32_e32 v12, 0
	v_mov_b32_e32 v2, v9
	s_mov_b32 s2, s9
.LBB350_10:                             ;   Parent Loop BB350_3 Depth=1
                                        ;     Parent Loop BB350_7 Depth=2
                                        ; =>    This Inner Loop Header: Depth=3
	v_lshlrev_b64 v[13:14], 1, v[2:3]
	v_add_nc_u32_e32 v2, s10, v2
	s_add_i32 s2, s2, -1
	s_cmp_lg_u32 s2, 0
	v_add_co_u32 v13, vcc_lo, s18, v13
	v_add_co_ci_u32_e64 v14, null, s19, v14, vcc_lo
	global_load_ushort v13, v[13:14], off
	s_waitcnt vmcnt(0)
	v_cvt_f32_f16_e32 v13, v13
	v_add_f32_e32 v12, v12, v13
	s_cbranch_scc1 .LBB350_10
; %bb.11:                               ;   in Loop: Header=BB350_7 Depth=2
	v_mov_b32_e32 v2, v9
	s_mov_b32 s2, s9
	s_inst_prefetch 0x1
	.p2align	6
.LBB350_12:                             ;   Parent Loop BB350_3 Depth=1
                                        ;     Parent Loop BB350_7 Depth=2
                                        ; =>    This Inner Loop Header: Depth=3
	v_lshlrev_b64 v[13:14], 1, v[2:3]
	v_add_nc_u32_e32 v2, s10, v2
	s_add_i32 s2, s2, -1
	s_cmp_lg_u32 s2, 0
	v_add_co_u32 v15, vcc_lo, s14, v13
	v_add_co_ci_u32_e64 v16, null, s15, v14, vcc_lo
	global_load_ushort v17, v[15:16], off
	v_add_co_u32 v15, vcc_lo, s18, v13
	v_add_co_ci_u32_e64 v16, null, s19, v14, vcc_lo
	global_load_ushort v15, v[15:16], off
	s_waitcnt vmcnt(1)
	v_cvt_f32_f16_e32 v16, v17
	v_mul_f32_e32 v18, 0x3fb8aa3b, v16
	v_cmp_ngt_f32_e32 vcc_lo, 0xc2ce8ed0, v16
	v_fma_mix_f32 v19, v17, s17, -v18 op_sel_hi:[1,0,0]
	v_rndne_f32_e32 v20, v18
	v_fma_mix_f32 v17, v17, s20, v19 op_sel_hi:[1,0,0]
	v_sub_f32_e32 v18, v18, v20
	v_add_f32_e32 v17, v18, v17
	v_cvt_i32_f32_e32 v18, v20
	v_exp_f32_e32 v17, v17
	v_ldexp_f32 v17, v17, v18
	v_cndmask_b32_e32 v17, 0, v17, vcc_lo
	v_cmp_nlt_f32_e32 vcc_lo, 0x42b17218, v16
	v_cndmask_b32_e32 v16, 0x7f800000, v17, vcc_lo
	v_add_co_u32 v13, vcc_lo, s12, v13
	v_add_co_ci_u32_e64 v14, null, s13, v14, vcc_lo
	s_waitcnt vmcnt(0)
	v_fma_mixlo_f16 v15, -v12, v16, v15 op_sel_hi:[0,0,1]
	global_store_short v[13:14], v15, off
	s_cbranch_scc1 .LBB350_12
.LBB350_13:                             ;   in Loop: Header=BB350_7 Depth=2
	s_inst_prefetch 0x2
	s_mov_b32 s2, 0
.LBB350_14:                             ;   in Loop: Header=BB350_7 Depth=2
	s_andn2_b32 vcc_lo, exec_lo, s2
	s_cbranch_vccnz .LBB350_6
; %bb.15:                               ;   in Loop: Header=BB350_7 Depth=2
	v_mov_b32_e32 v12, 0
	s_and_saveexec_b32 s2, s0
	s_cbranch_execz .LBB350_19
; %bb.16:                               ;   in Loop: Header=BB350_7 Depth=2
	v_mov_b32_e32 v12, 0
	v_mov_b32_e32 v2, v7
	;; [unrolled: 1-line block ×3, first 2 shown]
	s_mov_b32 s26, 0
.LBB350_17:                             ;   Parent Loop BB350_3 Depth=1
                                        ;     Parent Loop BB350_7 Depth=2
                                        ; =>    This Inner Loop Header: Depth=3
	v_lshlrev_b64 v[14:15], 1, v[2:3]
	v_add_nc_u32_e32 v13, s22, v13
	v_add_nc_u32_e32 v2, s24, v2
	v_add_co_u32 v14, vcc_lo, s18, v14
	v_add_co_ci_u32_e64 v15, null, s19, v15, vcc_lo
	v_cmp_le_u32_e32 vcc_lo, s9, v13
	global_load_ushort v14, v[14:15], off
	s_or_b32 s26, vcc_lo, s26
	s_waitcnt vmcnt(0)
	v_cvt_f32_f16_e32 v14, v14
	v_add_f32_e32 v12, v12, v14
	s_andn2_b32 exec_lo, exec_lo, s26
	s_cbranch_execnz .LBB350_17
; %bb.18:                               ;   in Loop: Header=BB350_7 Depth=2
	s_or_b32 exec_lo, exec_lo, s26
.LBB350_19:                             ;   in Loop: Header=BB350_7 Depth=2
	s_or_b32 exec_lo, exec_lo, s2
	s_mov_b32 s2, s22
	s_waitcnt_vscnt null, 0x0
	s_barrier
	buffer_gl0_inv
	ds_write_b32 v10, v12
	s_branch .LBB350_21
	.p2align	6
.LBB350_20:                             ;   in Loop: Header=BB350_21 Depth=3
	s_or_b32 exec_lo, exec_lo, s27
	s_cmp_gt_u32 s2, 3
	s_mov_b32 s2, s26
	s_cbranch_scc0 .LBB350_23
.LBB350_21:                             ;   Parent Loop BB350_3 Depth=1
                                        ;     Parent Loop BB350_7 Depth=2
                                        ; =>    This Inner Loop Header: Depth=3
	s_lshr_b32 s26, s2, 1
	s_mov_b32 s27, exec_lo
	s_waitcnt lgkmcnt(0)
	s_barrier
	buffer_gl0_inv
	v_cmpx_gt_u32_e64 s26, v0
	s_cbranch_execz .LBB350_20
; %bb.22:                               ;   in Loop: Header=BB350_21 Depth=3
	v_lshl_add_u32 v2, s26, 2, v10
	ds_read_b32 v12, v10
	ds_read_b32 v2, v2
	s_waitcnt lgkmcnt(0)
	v_add_f32_e32 v2, v12, v2
	ds_write_b32 v10, v2
	s_branch .LBB350_20
.LBB350_23:                             ;   in Loop: Header=BB350_7 Depth=2
	s_waitcnt lgkmcnt(0)
	s_barrier
	buffer_gl0_inv
	s_and_saveexec_b32 s26, s0
	s_cbranch_execz .LBB350_5
; %bb.24:                               ;   in Loop: Header=BB350_7 Depth=2
	ds_read_b32 v12, v8
	v_mov_b32_e32 v2, v7
	v_mov_b32_e32 v13, v0
	s_mov_b32 s27, 0
.LBB350_25:                             ;   Parent Loop BB350_3 Depth=1
                                        ;     Parent Loop BB350_7 Depth=2
                                        ; =>    This Inner Loop Header: Depth=3
	v_lshlrev_b64 v[14:15], 1, v[2:3]
	v_add_nc_u32_e32 v13, s22, v13
	v_add_nc_u32_e32 v2, s24, v2
	v_add_co_u32 v16, vcc_lo, s14, v14
	v_add_co_ci_u32_e64 v17, null, s15, v15, vcc_lo
	global_load_ushort v18, v[16:17], off
	v_add_co_u32 v16, vcc_lo, s18, v14
	v_add_co_ci_u32_e64 v17, null, s19, v15, vcc_lo
	global_load_ushort v16, v[16:17], off
	s_waitcnt vmcnt(1)
	v_cvt_f32_f16_e32 v17, v18
	v_mul_f32_e32 v19, 0x3fb8aa3b, v17
	v_cmp_ngt_f32_e32 vcc_lo, 0xc2ce8ed0, v17
	v_cmp_nlt_f32_e64 s2, 0x42b17218, v17
	v_fma_mix_f32 v20, v18, s17, -v19 op_sel_hi:[1,0,0]
	v_rndne_f32_e32 v21, v19
	v_fma_mix_f32 v18, v18, s20, v20 op_sel_hi:[1,0,0]
	v_sub_f32_e32 v19, v19, v21
	v_add_f32_e32 v18, v19, v18
	v_cvt_i32_f32_e32 v19, v21
	v_exp_f32_e32 v18, v18
	v_ldexp_f32 v18, v18, v19
	v_cndmask_b32_e32 v18, 0, v18, vcc_lo
	v_cmp_le_u32_e32 vcc_lo, s9, v13
	v_cndmask_b32_e64 v17, 0x7f800000, v18, s2
	v_add_co_u32 v14, s2, s12, v14
	v_add_co_ci_u32_e64 v15, null, s13, v15, s2
	s_waitcnt vmcnt(0) lgkmcnt(0)
	v_fma_mixlo_f16 v16, -v12, v17, v16 op_sel_hi:[0,0,1]
	s_or_b32 s27, vcc_lo, s27
	global_store_short v[14:15], v16, off
	s_andn2_b32 exec_lo, exec_lo, s27
	s_cbranch_execnz .LBB350_25
	s_branch .LBB350_5
.LBB350_26:
	s_endpgm
	.section	.rodata,"a",@progbits
	.p2align	6, 0x0
	.amdhsa_kernel _ZN2at6native12_GLOBAL__N_127cunn_SpatialSoftMaxBackwardIN3c104HalfEfS4_NS1_26LogSoftMaxBackwardEpilogueEEEvPT_PKT1_SA_jjj
		.amdhsa_group_segment_fixed_size 0
		.amdhsa_private_segment_fixed_size 0
		.amdhsa_kernarg_size 296
		.amdhsa_user_sgpr_count 6
		.amdhsa_user_sgpr_private_segment_buffer 1
		.amdhsa_user_sgpr_dispatch_ptr 0
		.amdhsa_user_sgpr_queue_ptr 0
		.amdhsa_user_sgpr_kernarg_segment_ptr 1
		.amdhsa_user_sgpr_dispatch_id 0
		.amdhsa_user_sgpr_flat_scratch_init 0
		.amdhsa_user_sgpr_private_segment_size 0
		.amdhsa_wavefront_size32 1
		.amdhsa_uses_dynamic_stack 0
		.amdhsa_system_sgpr_private_segment_wavefront_offset 0
		.amdhsa_system_sgpr_workgroup_id_x 1
		.amdhsa_system_sgpr_workgroup_id_y 1
		.amdhsa_system_sgpr_workgroup_id_z 0
		.amdhsa_system_sgpr_workgroup_info 0
		.amdhsa_system_vgpr_workitem_id 1
		.amdhsa_next_free_vgpr 22
		.amdhsa_next_free_sgpr 28
		.amdhsa_reserve_vcc 1
		.amdhsa_reserve_flat_scratch 0
		.amdhsa_float_round_mode_32 0
		.amdhsa_float_round_mode_16_64 0
		.amdhsa_float_denorm_mode_32 3
		.amdhsa_float_denorm_mode_16_64 3
		.amdhsa_dx10_clamp 1
		.amdhsa_ieee_mode 1
		.amdhsa_fp16_overflow 0
		.amdhsa_workgroup_processor_mode 1
		.amdhsa_memory_ordered 1
		.amdhsa_forward_progress 1
		.amdhsa_shared_vgpr_count 0
		.amdhsa_exception_fp_ieee_invalid_op 0
		.amdhsa_exception_fp_denorm_src 0
		.amdhsa_exception_fp_ieee_div_zero 0
		.amdhsa_exception_fp_ieee_overflow 0
		.amdhsa_exception_fp_ieee_underflow 0
		.amdhsa_exception_fp_ieee_inexact 0
		.amdhsa_exception_int_div_zero 0
	.end_amdhsa_kernel
	.section	.text._ZN2at6native12_GLOBAL__N_127cunn_SpatialSoftMaxBackwardIN3c104HalfEfS4_NS1_26LogSoftMaxBackwardEpilogueEEEvPT_PKT1_SA_jjj,"axG",@progbits,_ZN2at6native12_GLOBAL__N_127cunn_SpatialSoftMaxBackwardIN3c104HalfEfS4_NS1_26LogSoftMaxBackwardEpilogueEEEvPT_PKT1_SA_jjj,comdat
.Lfunc_end350:
	.size	_ZN2at6native12_GLOBAL__N_127cunn_SpatialSoftMaxBackwardIN3c104HalfEfS4_NS1_26LogSoftMaxBackwardEpilogueEEEvPT_PKT1_SA_jjj, .Lfunc_end350-_ZN2at6native12_GLOBAL__N_127cunn_SpatialSoftMaxBackwardIN3c104HalfEfS4_NS1_26LogSoftMaxBackwardEpilogueEEEvPT_PKT1_SA_jjj
                                        ; -- End function
	.set _ZN2at6native12_GLOBAL__N_127cunn_SpatialSoftMaxBackwardIN3c104HalfEfS4_NS1_26LogSoftMaxBackwardEpilogueEEEvPT_PKT1_SA_jjj.num_vgpr, 22
	.set _ZN2at6native12_GLOBAL__N_127cunn_SpatialSoftMaxBackwardIN3c104HalfEfS4_NS1_26LogSoftMaxBackwardEpilogueEEEvPT_PKT1_SA_jjj.num_agpr, 0
	.set _ZN2at6native12_GLOBAL__N_127cunn_SpatialSoftMaxBackwardIN3c104HalfEfS4_NS1_26LogSoftMaxBackwardEpilogueEEEvPT_PKT1_SA_jjj.numbered_sgpr, 28
	.set _ZN2at6native12_GLOBAL__N_127cunn_SpatialSoftMaxBackwardIN3c104HalfEfS4_NS1_26LogSoftMaxBackwardEpilogueEEEvPT_PKT1_SA_jjj.num_named_barrier, 0
	.set _ZN2at6native12_GLOBAL__N_127cunn_SpatialSoftMaxBackwardIN3c104HalfEfS4_NS1_26LogSoftMaxBackwardEpilogueEEEvPT_PKT1_SA_jjj.private_seg_size, 0
	.set _ZN2at6native12_GLOBAL__N_127cunn_SpatialSoftMaxBackwardIN3c104HalfEfS4_NS1_26LogSoftMaxBackwardEpilogueEEEvPT_PKT1_SA_jjj.uses_vcc, 1
	.set _ZN2at6native12_GLOBAL__N_127cunn_SpatialSoftMaxBackwardIN3c104HalfEfS4_NS1_26LogSoftMaxBackwardEpilogueEEEvPT_PKT1_SA_jjj.uses_flat_scratch, 0
	.set _ZN2at6native12_GLOBAL__N_127cunn_SpatialSoftMaxBackwardIN3c104HalfEfS4_NS1_26LogSoftMaxBackwardEpilogueEEEvPT_PKT1_SA_jjj.has_dyn_sized_stack, 0
	.set _ZN2at6native12_GLOBAL__N_127cunn_SpatialSoftMaxBackwardIN3c104HalfEfS4_NS1_26LogSoftMaxBackwardEpilogueEEEvPT_PKT1_SA_jjj.has_recursion, 0
	.set _ZN2at6native12_GLOBAL__N_127cunn_SpatialSoftMaxBackwardIN3c104HalfEfS4_NS1_26LogSoftMaxBackwardEpilogueEEEvPT_PKT1_SA_jjj.has_indirect_call, 0
	.section	.AMDGPU.csdata,"",@progbits
; Kernel info:
; codeLenInByte = 1192
; TotalNumSgprs: 30
; NumVgprs: 22
; ScratchSize: 0
; MemoryBound: 0
; FloatMode: 240
; IeeeMode: 1
; LDSByteSize: 0 bytes/workgroup (compile time only)
; SGPRBlocks: 0
; VGPRBlocks: 2
; NumSGPRsForWavesPerEU: 30
; NumVGPRsForWavesPerEU: 22
; Occupancy: 16
; WaveLimiterHint : 0
; COMPUTE_PGM_RSRC2:SCRATCH_EN: 0
; COMPUTE_PGM_RSRC2:USER_SGPR: 6
; COMPUTE_PGM_RSRC2:TRAP_HANDLER: 0
; COMPUTE_PGM_RSRC2:TGID_X_EN: 1
; COMPUTE_PGM_RSRC2:TGID_Y_EN: 1
; COMPUTE_PGM_RSRC2:TGID_Z_EN: 0
; COMPUTE_PGM_RSRC2:TIDIG_COMP_CNT: 1
	.section	.text._ZN2at6native12_GLOBAL__N_127cunn_SpatialSoftMaxBackwardIN3c104HalfEffNS1_26LogSoftMaxBackwardEpilogueEEEvPT_PKT1_SA_jjj,"axG",@progbits,_ZN2at6native12_GLOBAL__N_127cunn_SpatialSoftMaxBackwardIN3c104HalfEffNS1_26LogSoftMaxBackwardEpilogueEEEvPT_PKT1_SA_jjj,comdat
	.globl	_ZN2at6native12_GLOBAL__N_127cunn_SpatialSoftMaxBackwardIN3c104HalfEffNS1_26LogSoftMaxBackwardEpilogueEEEvPT_PKT1_SA_jjj ; -- Begin function _ZN2at6native12_GLOBAL__N_127cunn_SpatialSoftMaxBackwardIN3c104HalfEffNS1_26LogSoftMaxBackwardEpilogueEEEvPT_PKT1_SA_jjj
	.p2align	8
	.type	_ZN2at6native12_GLOBAL__N_127cunn_SpatialSoftMaxBackwardIN3c104HalfEffNS1_26LogSoftMaxBackwardEpilogueEEEvPT_PKT1_SA_jjj,@function
_ZN2at6native12_GLOBAL__N_127cunn_SpatialSoftMaxBackwardIN3c104HalfEffNS1_26LogSoftMaxBackwardEpilogueEEEvPT_PKT1_SA_jjj: ; @_ZN2at6native12_GLOBAL__N_127cunn_SpatialSoftMaxBackwardIN3c104HalfEffNS1_26LogSoftMaxBackwardEpilogueEEEvPT_PKT1_SA_jjj
; %bb.0:
	s_load_dwordx4 s[8:11], s[4:5], 0x18
	s_waitcnt lgkmcnt(0)
	s_cmp_ge_u32 s6, s8
	s_cbranch_scc1 .LBB351_26
; %bb.1:
	s_clause 0x1
	s_load_dword s1, s[4:5], 0x34
	s_load_dwordx2 s[16:17], s[4:5], 0x28
	s_mul_i32 s2, s6, s9
	s_clause 0x1
	s_load_dwordx4 s[12:15], s[4:5], 0x0
	s_load_dwordx2 s[18:19], s[4:5], 0x10
	v_add_nc_u32_e32 v2, s2, v0
	s_add_u32 s4, s4, 40
	s_addc_u32 s5, s5, 0
	s_mul_i32 s2, s2, s10
	v_cmp_gt_u32_e64 s0, s9, v0
	v_mul_lo_u32 v2, s10, v2
	v_mov_b32_e32 v3, 0
	s_waitcnt lgkmcnt(0)
	s_lshr_b32 s11, s1, 16
	s_cmp_lg_u32 s9, 0
	s_mul_i32 s7, s7, s11
	s_cselect_b32 s3, -1, 0
	v_add_nc_u32_e32 v4, s7, v1
	v_add3_u32 v5, s7, s2, v1
	v_add3_u32 v6, v1, v2, s7
	s_mul_i32 s2, s16, s10
	s_mul_i32 s7, s17, s11
	v_cmp_gt_u32_e64 s1, s10, v4
	s_mul_i32 s11, s2, s9
	s_branch .LBB351_3
.LBB351_2:                              ;   in Loop: Header=BB351_3 Depth=1
	s_or_b32 exec_lo, exec_lo, s17
	v_add_nc_u32_e32 v5, s11, v5
	v_add_nc_u32_e32 v6, s11, v6
	s_add_i32 s6, s16, s6
	s_cmp_ge_u32 s6, s8
	s_cbranch_scc1 .LBB351_26
.LBB351_3:                              ; =>This Loop Header: Depth=1
                                        ;     Child Loop BB351_7 Depth 2
                                        ;       Child Loop BB351_10 Depth 3
                                        ;       Child Loop BB351_12 Depth 3
                                        ;       Child Loop BB351_17 Depth 3
                                        ;       Child Loop BB351_21 Depth 3
                                        ;       Child Loop BB351_25 Depth 3
	s_and_saveexec_b32 s17, s1
	s_cbranch_execz .LBB351_2
; %bb.4:                                ;   in Loop: Header=BB351_3 Depth=1
	s_load_dword s2, s[4:5], 0xc
	v_mov_b32_e32 v7, v6
	v_mov_b32_e32 v9, v5
	;; [unrolled: 1-line block ×3, first 2 shown]
	s_mov_b32 s23, 0
	s_waitcnt lgkmcnt(0)
	s_and_b32 s20, s2, 0xffff
	v_mul_u32_u24_e32 v2, s20, v1
	s_cmp_lt_u32 s20, 2
	s_mul_i32 s22, s10, s20
	s_cselect_b32 s21, -1, 0
	v_lshl_add_u32 v8, v2, 2, 0
	v_lshl_add_u32 v10, v0, 2, v8
	s_branch .LBB351_7
.LBB351_5:                              ;   in Loop: Header=BB351_7 Depth=2
	s_or_b32 exec_lo, exec_lo, s24
.LBB351_6:                              ;   in Loop: Header=BB351_7 Depth=2
	v_add_nc_u32_e32 v11, s7, v11
	v_add_nc_u32_e32 v9, s7, v9
	;; [unrolled: 1-line block ×3, first 2 shown]
	v_cmp_le_u32_e32 vcc_lo, s10, v11
	s_or_b32 s23, vcc_lo, s23
	s_andn2_b32 exec_lo, exec_lo, s23
	s_cbranch_execz .LBB351_2
.LBB351_7:                              ;   Parent Loop BB351_3 Depth=1
                                        ; =>  This Loop Header: Depth=2
                                        ;       Child Loop BB351_10 Depth 3
                                        ;       Child Loop BB351_12 Depth 3
	;; [unrolled: 1-line block ×5, first 2 shown]
	s_andn2_b32 vcc_lo, exec_lo, s21
	s_mov_b32 s2, -1
	s_cbranch_vccnz .LBB351_14
; %bb.8:                                ;   in Loop: Header=BB351_7 Depth=2
	s_andn2_b32 vcc_lo, exec_lo, s3
	s_cbranch_vccnz .LBB351_13
; %bb.9:                                ;   in Loop: Header=BB351_7 Depth=2
	v_mov_b32_e32 v12, 0
	v_mov_b32_e32 v2, v9
	s_mov_b32 s2, s9
.LBB351_10:                             ;   Parent Loop BB351_3 Depth=1
                                        ;     Parent Loop BB351_7 Depth=2
                                        ; =>    This Inner Loop Header: Depth=3
	v_lshlrev_b64 v[13:14], 2, v[2:3]
	v_add_nc_u32_e32 v2, s10, v2
	s_add_i32 s2, s2, -1
	s_cmp_lg_u32 s2, 0
	v_add_co_u32 v13, vcc_lo, s18, v13
	v_add_co_ci_u32_e64 v14, null, s19, v14, vcc_lo
	global_load_dword v13, v[13:14], off
	s_waitcnt vmcnt(0)
	v_add_f32_e32 v12, v12, v13
	s_cbranch_scc1 .LBB351_10
; %bb.11:                               ;   in Loop: Header=BB351_7 Depth=2
	v_mov_b32_e32 v2, v9
	s_mov_b32 s2, s9
.LBB351_12:                             ;   Parent Loop BB351_3 Depth=1
                                        ;     Parent Loop BB351_7 Depth=2
                                        ; =>    This Inner Loop Header: Depth=3
	v_lshlrev_b64 v[13:14], 2, v[2:3]
	s_add_i32 s2, s2, -1
	s_cmp_lg_u32 s2, 0
	v_add_co_u32 v15, vcc_lo, s14, v13
	v_add_co_ci_u32_e64 v16, null, s15, v14, vcc_lo
	v_add_co_u32 v13, vcc_lo, s18, v13
	v_add_co_ci_u32_e64 v14, null, s19, v14, vcc_lo
	global_load_dword v15, v[15:16], off
	global_load_dword v16, v[13:14], off
	s_waitcnt vmcnt(1)
	v_mul_f32_e32 v13, 0x3fb8aa3b, v15
	v_cmp_ngt_f32_e32 vcc_lo, 0xc2ce8ed0, v15
	v_fma_f32 v14, 0x3fb8aa3b, v15, -v13
	v_rndne_f32_e32 v17, v13
	v_fmac_f32_e32 v14, 0x32a5705f, v15
	v_sub_f32_e32 v13, v13, v17
	v_add_f32_e32 v13, v13, v14
	v_cvt_i32_f32_e32 v14, v17
	v_exp_f32_e32 v13, v13
	v_ldexp_f32 v13, v13, v14
	v_cndmask_b32_e32 v17, 0, v13, vcc_lo
	v_cmp_nlt_f32_e32 vcc_lo, 0x42b17218, v15
	v_lshlrev_b64 v[13:14], 1, v[2:3]
	v_add_nc_u32_e32 v2, s10, v2
	v_cndmask_b32_e32 v15, 0x7f800000, v17, vcc_lo
	v_add_co_u32 v13, vcc_lo, s12, v13
	v_add_co_ci_u32_e64 v14, null, s13, v14, vcc_lo
	s_waitcnt vmcnt(0)
	v_fma_mixlo_f16 v15, -v12, v15, v16
	global_store_short v[13:14], v15, off
	s_cbranch_scc1 .LBB351_12
.LBB351_13:                             ;   in Loop: Header=BB351_7 Depth=2
	s_mov_b32 s2, 0
.LBB351_14:                             ;   in Loop: Header=BB351_7 Depth=2
	s_andn2_b32 vcc_lo, exec_lo, s2
	s_cbranch_vccnz .LBB351_6
; %bb.15:                               ;   in Loop: Header=BB351_7 Depth=2
	v_mov_b32_e32 v12, 0
	s_and_saveexec_b32 s2, s0
	s_cbranch_execz .LBB351_19
; %bb.16:                               ;   in Loop: Header=BB351_7 Depth=2
	v_mov_b32_e32 v12, 0
	v_mov_b32_e32 v2, v7
	;; [unrolled: 1-line block ×3, first 2 shown]
	s_mov_b32 s24, 0
.LBB351_17:                             ;   Parent Loop BB351_3 Depth=1
                                        ;     Parent Loop BB351_7 Depth=2
                                        ; =>    This Inner Loop Header: Depth=3
	v_lshlrev_b64 v[14:15], 2, v[2:3]
	v_add_nc_u32_e32 v13, s20, v13
	v_add_nc_u32_e32 v2, s22, v2
	v_add_co_u32 v14, vcc_lo, s18, v14
	v_add_co_ci_u32_e64 v15, null, s19, v15, vcc_lo
	v_cmp_le_u32_e32 vcc_lo, s9, v13
	global_load_dword v14, v[14:15], off
	s_or_b32 s24, vcc_lo, s24
	s_waitcnt vmcnt(0)
	v_add_f32_e32 v12, v12, v14
	s_andn2_b32 exec_lo, exec_lo, s24
	s_cbranch_execnz .LBB351_17
; %bb.18:                               ;   in Loop: Header=BB351_7 Depth=2
	s_or_b32 exec_lo, exec_lo, s24
.LBB351_19:                             ;   in Loop: Header=BB351_7 Depth=2
	s_or_b32 exec_lo, exec_lo, s2
	s_mov_b32 s2, s20
	s_waitcnt_vscnt null, 0x0
	s_barrier
	buffer_gl0_inv
	ds_write_b32 v10, v12
	s_branch .LBB351_21
	.p2align	6
.LBB351_20:                             ;   in Loop: Header=BB351_21 Depth=3
	s_or_b32 exec_lo, exec_lo, s25
	s_cmp_gt_u32 s2, 3
	s_mov_b32 s2, s24
	s_cbranch_scc0 .LBB351_23
.LBB351_21:                             ;   Parent Loop BB351_3 Depth=1
                                        ;     Parent Loop BB351_7 Depth=2
                                        ; =>    This Inner Loop Header: Depth=3
	s_lshr_b32 s24, s2, 1
	s_mov_b32 s25, exec_lo
	s_waitcnt lgkmcnt(0)
	s_barrier
	buffer_gl0_inv
	v_cmpx_gt_u32_e64 s24, v0
	s_cbranch_execz .LBB351_20
; %bb.22:                               ;   in Loop: Header=BB351_21 Depth=3
	v_lshl_add_u32 v2, s24, 2, v10
	ds_read_b32 v12, v10
	ds_read_b32 v2, v2
	s_waitcnt lgkmcnt(0)
	v_add_f32_e32 v2, v12, v2
	ds_write_b32 v10, v2
	s_branch .LBB351_20
.LBB351_23:                             ;   in Loop: Header=BB351_7 Depth=2
	s_waitcnt lgkmcnt(0)
	s_barrier
	buffer_gl0_inv
	s_and_saveexec_b32 s24, s0
	s_cbranch_execz .LBB351_5
; %bb.24:                               ;   in Loop: Header=BB351_7 Depth=2
	ds_read_b32 v12, v8
	v_mov_b32_e32 v2, v7
	v_mov_b32_e32 v13, v0
	s_mov_b32 s25, 0
.LBB351_25:                             ;   Parent Loop BB351_3 Depth=1
                                        ;     Parent Loop BB351_7 Depth=2
                                        ; =>    This Inner Loop Header: Depth=3
	v_lshlrev_b64 v[14:15], 2, v[2:3]
	v_add_nc_u32_e32 v13, s20, v13
	v_add_co_u32 v16, vcc_lo, s14, v14
	v_add_co_ci_u32_e64 v17, null, s15, v15, vcc_lo
	v_add_co_u32 v14, vcc_lo, s18, v14
	v_add_co_ci_u32_e64 v15, null, s19, v15, vcc_lo
	global_load_dword v16, v[16:17], off
	global_load_dword v17, v[14:15], off
	s_waitcnt vmcnt(1)
	v_mul_f32_e32 v14, 0x3fb8aa3b, v16
	v_cmp_ngt_f32_e32 vcc_lo, 0xc2ce8ed0, v16
	v_cmp_nlt_f32_e64 s2, 0x42b17218, v16
	v_fma_f32 v15, 0x3fb8aa3b, v16, -v14
	v_rndne_f32_e32 v18, v14
	v_fmac_f32_e32 v15, 0x32a5705f, v16
	v_sub_f32_e32 v14, v14, v18
	v_add_f32_e32 v14, v14, v15
	v_cvt_i32_f32_e32 v15, v18
	v_exp_f32_e32 v14, v14
	v_ldexp_f32 v14, v14, v15
	v_cndmask_b32_e32 v18, 0, v14, vcc_lo
	v_lshlrev_b64 v[14:15], 1, v[2:3]
	v_cmp_le_u32_e32 vcc_lo, s9, v13
	v_add_nc_u32_e32 v2, s22, v2
	v_cndmask_b32_e64 v16, 0x7f800000, v18, s2
	v_add_co_u32 v14, s2, s12, v14
	v_add_co_ci_u32_e64 v15, null, s13, v15, s2
	s_waitcnt vmcnt(0) lgkmcnt(0)
	v_fma_mixlo_f16 v16, -v12, v16, v17
	s_or_b32 s25, vcc_lo, s25
	global_store_short v[14:15], v16, off
	s_andn2_b32 exec_lo, exec_lo, s25
	s_cbranch_execnz .LBB351_25
	s_branch .LBB351_5
.LBB351_26:
	s_endpgm
	.section	.rodata,"a",@progbits
	.p2align	6, 0x0
	.amdhsa_kernel _ZN2at6native12_GLOBAL__N_127cunn_SpatialSoftMaxBackwardIN3c104HalfEffNS1_26LogSoftMaxBackwardEpilogueEEEvPT_PKT1_SA_jjj
		.amdhsa_group_segment_fixed_size 0
		.amdhsa_private_segment_fixed_size 0
		.amdhsa_kernarg_size 296
		.amdhsa_user_sgpr_count 6
		.amdhsa_user_sgpr_private_segment_buffer 1
		.amdhsa_user_sgpr_dispatch_ptr 0
		.amdhsa_user_sgpr_queue_ptr 0
		.amdhsa_user_sgpr_kernarg_segment_ptr 1
		.amdhsa_user_sgpr_dispatch_id 0
		.amdhsa_user_sgpr_flat_scratch_init 0
		.amdhsa_user_sgpr_private_segment_size 0
		.amdhsa_wavefront_size32 1
		.amdhsa_uses_dynamic_stack 0
		.amdhsa_system_sgpr_private_segment_wavefront_offset 0
		.amdhsa_system_sgpr_workgroup_id_x 1
		.amdhsa_system_sgpr_workgroup_id_y 1
		.amdhsa_system_sgpr_workgroup_id_z 0
		.amdhsa_system_sgpr_workgroup_info 0
		.amdhsa_system_vgpr_workitem_id 1
		.amdhsa_next_free_vgpr 19
		.amdhsa_next_free_sgpr 26
		.amdhsa_reserve_vcc 1
		.amdhsa_reserve_flat_scratch 0
		.amdhsa_float_round_mode_32 0
		.amdhsa_float_round_mode_16_64 0
		.amdhsa_float_denorm_mode_32 3
		.amdhsa_float_denorm_mode_16_64 3
		.amdhsa_dx10_clamp 1
		.amdhsa_ieee_mode 1
		.amdhsa_fp16_overflow 0
		.amdhsa_workgroup_processor_mode 1
		.amdhsa_memory_ordered 1
		.amdhsa_forward_progress 1
		.amdhsa_shared_vgpr_count 0
		.amdhsa_exception_fp_ieee_invalid_op 0
		.amdhsa_exception_fp_denorm_src 0
		.amdhsa_exception_fp_ieee_div_zero 0
		.amdhsa_exception_fp_ieee_overflow 0
		.amdhsa_exception_fp_ieee_underflow 0
		.amdhsa_exception_fp_ieee_inexact 0
		.amdhsa_exception_int_div_zero 0
	.end_amdhsa_kernel
	.section	.text._ZN2at6native12_GLOBAL__N_127cunn_SpatialSoftMaxBackwardIN3c104HalfEffNS1_26LogSoftMaxBackwardEpilogueEEEvPT_PKT1_SA_jjj,"axG",@progbits,_ZN2at6native12_GLOBAL__N_127cunn_SpatialSoftMaxBackwardIN3c104HalfEffNS1_26LogSoftMaxBackwardEpilogueEEEvPT_PKT1_SA_jjj,comdat
.Lfunc_end351:
	.size	_ZN2at6native12_GLOBAL__N_127cunn_SpatialSoftMaxBackwardIN3c104HalfEffNS1_26LogSoftMaxBackwardEpilogueEEEvPT_PKT1_SA_jjj, .Lfunc_end351-_ZN2at6native12_GLOBAL__N_127cunn_SpatialSoftMaxBackwardIN3c104HalfEffNS1_26LogSoftMaxBackwardEpilogueEEEvPT_PKT1_SA_jjj
                                        ; -- End function
	.set _ZN2at6native12_GLOBAL__N_127cunn_SpatialSoftMaxBackwardIN3c104HalfEffNS1_26LogSoftMaxBackwardEpilogueEEEvPT_PKT1_SA_jjj.num_vgpr, 19
	.set _ZN2at6native12_GLOBAL__N_127cunn_SpatialSoftMaxBackwardIN3c104HalfEffNS1_26LogSoftMaxBackwardEpilogueEEEvPT_PKT1_SA_jjj.num_agpr, 0
	.set _ZN2at6native12_GLOBAL__N_127cunn_SpatialSoftMaxBackwardIN3c104HalfEffNS1_26LogSoftMaxBackwardEpilogueEEEvPT_PKT1_SA_jjj.numbered_sgpr, 26
	.set _ZN2at6native12_GLOBAL__N_127cunn_SpatialSoftMaxBackwardIN3c104HalfEffNS1_26LogSoftMaxBackwardEpilogueEEEvPT_PKT1_SA_jjj.num_named_barrier, 0
	.set _ZN2at6native12_GLOBAL__N_127cunn_SpatialSoftMaxBackwardIN3c104HalfEffNS1_26LogSoftMaxBackwardEpilogueEEEvPT_PKT1_SA_jjj.private_seg_size, 0
	.set _ZN2at6native12_GLOBAL__N_127cunn_SpatialSoftMaxBackwardIN3c104HalfEffNS1_26LogSoftMaxBackwardEpilogueEEEvPT_PKT1_SA_jjj.uses_vcc, 1
	.set _ZN2at6native12_GLOBAL__N_127cunn_SpatialSoftMaxBackwardIN3c104HalfEffNS1_26LogSoftMaxBackwardEpilogueEEEvPT_PKT1_SA_jjj.uses_flat_scratch, 0
	.set _ZN2at6native12_GLOBAL__N_127cunn_SpatialSoftMaxBackwardIN3c104HalfEffNS1_26LogSoftMaxBackwardEpilogueEEEvPT_PKT1_SA_jjj.has_dyn_sized_stack, 0
	.set _ZN2at6native12_GLOBAL__N_127cunn_SpatialSoftMaxBackwardIN3c104HalfEffNS1_26LogSoftMaxBackwardEpilogueEEEvPT_PKT1_SA_jjj.has_recursion, 0
	.set _ZN2at6native12_GLOBAL__N_127cunn_SpatialSoftMaxBackwardIN3c104HalfEffNS1_26LogSoftMaxBackwardEpilogueEEEvPT_PKT1_SA_jjj.has_indirect_call, 0
	.section	.AMDGPU.csdata,"",@progbits
; Kernel info:
; codeLenInByte = 1136
; TotalNumSgprs: 28
; NumVgprs: 19
; ScratchSize: 0
; MemoryBound: 0
; FloatMode: 240
; IeeeMode: 1
; LDSByteSize: 0 bytes/workgroup (compile time only)
; SGPRBlocks: 0
; VGPRBlocks: 2
; NumSGPRsForWavesPerEU: 28
; NumVGPRsForWavesPerEU: 19
; Occupancy: 16
; WaveLimiterHint : 0
; COMPUTE_PGM_RSRC2:SCRATCH_EN: 0
; COMPUTE_PGM_RSRC2:USER_SGPR: 6
; COMPUTE_PGM_RSRC2:TRAP_HANDLER: 0
; COMPUTE_PGM_RSRC2:TGID_X_EN: 1
; COMPUTE_PGM_RSRC2:TGID_Y_EN: 1
; COMPUTE_PGM_RSRC2:TGID_Z_EN: 0
; COMPUTE_PGM_RSRC2:TIDIG_COMP_CNT: 1
	.section	.text._ZN2at6native12_GLOBAL__N_127cunn_SpatialSoftMaxBackwardIN3c108BFloat16EfS4_NS1_26LogSoftMaxBackwardEpilogueEEEvPT_PKT1_SA_jjj,"axG",@progbits,_ZN2at6native12_GLOBAL__N_127cunn_SpatialSoftMaxBackwardIN3c108BFloat16EfS4_NS1_26LogSoftMaxBackwardEpilogueEEEvPT_PKT1_SA_jjj,comdat
	.globl	_ZN2at6native12_GLOBAL__N_127cunn_SpatialSoftMaxBackwardIN3c108BFloat16EfS4_NS1_26LogSoftMaxBackwardEpilogueEEEvPT_PKT1_SA_jjj ; -- Begin function _ZN2at6native12_GLOBAL__N_127cunn_SpatialSoftMaxBackwardIN3c108BFloat16EfS4_NS1_26LogSoftMaxBackwardEpilogueEEEvPT_PKT1_SA_jjj
	.p2align	8
	.type	_ZN2at6native12_GLOBAL__N_127cunn_SpatialSoftMaxBackwardIN3c108BFloat16EfS4_NS1_26LogSoftMaxBackwardEpilogueEEEvPT_PKT1_SA_jjj,@function
_ZN2at6native12_GLOBAL__N_127cunn_SpatialSoftMaxBackwardIN3c108BFloat16EfS4_NS1_26LogSoftMaxBackwardEpilogueEEEvPT_PKT1_SA_jjj: ; @_ZN2at6native12_GLOBAL__N_127cunn_SpatialSoftMaxBackwardIN3c108BFloat16EfS4_NS1_26LogSoftMaxBackwardEpilogueEEEvPT_PKT1_SA_jjj
; %bb.0:
	s_load_dwordx4 s[8:11], s[4:5], 0x18
	s_waitcnt lgkmcnt(0)
	s_cmp_ge_u32 s6, s8
	s_cbranch_scc1 .LBB352_26
; %bb.1:
	s_clause 0x1
	s_load_dword s1, s[4:5], 0x34
	s_load_dwordx2 s[16:17], s[4:5], 0x28
	s_mul_i32 s2, s6, s9
	s_clause 0x1
	s_load_dwordx4 s[12:15], s[4:5], 0x0
	s_load_dwordx2 s[18:19], s[4:5], 0x10
	v_add_nc_u32_e32 v2, s2, v0
	s_add_u32 s4, s4, 40
	s_addc_u32 s5, s5, 0
	s_mul_i32 s2, s2, s10
	v_cmp_gt_u32_e64 s0, s9, v0
	v_mul_lo_u32 v2, s10, v2
	v_mov_b32_e32 v3, 0
	v_mov_b32_e32 v7, 0x7fc0
	s_waitcnt lgkmcnt(0)
	s_lshr_b32 s11, s1, 16
	s_cmp_lg_u32 s9, 0
	s_mul_i32 s7, s7, s11
	s_cselect_b32 s3, -1, 0
	v_add_nc_u32_e32 v4, s7, v1
	v_add3_u32 v5, s7, s2, v1
	v_add3_u32 v6, v1, v2, s7
	s_mul_i32 s2, s16, s10
	s_mul_i32 s7, s17, s11
	v_cmp_gt_u32_e64 s1, s10, v4
	s_mul_i32 s11, s2, s9
	s_branch .LBB352_3
.LBB352_2:                              ;   in Loop: Header=BB352_3 Depth=1
	s_or_b32 exec_lo, exec_lo, s17
	v_add_nc_u32_e32 v5, s11, v5
	v_add_nc_u32_e32 v6, s11, v6
	s_add_i32 s6, s16, s6
	s_cmp_ge_u32 s6, s8
	s_cbranch_scc1 .LBB352_26
.LBB352_3:                              ; =>This Loop Header: Depth=1
                                        ;     Child Loop BB352_7 Depth 2
                                        ;       Child Loop BB352_10 Depth 3
                                        ;       Child Loop BB352_12 Depth 3
	;; [unrolled: 1-line block ×5, first 2 shown]
	s_and_saveexec_b32 s17, s1
	s_cbranch_execz .LBB352_2
; %bb.4:                                ;   in Loop: Header=BB352_3 Depth=1
	s_load_dword s2, s[4:5], 0xc
	v_mov_b32_e32 v8, v6
	v_mov_b32_e32 v10, v5
	;; [unrolled: 1-line block ×3, first 2 shown]
	s_mov_b32 s23, 0
	s_waitcnt lgkmcnt(0)
	s_and_b32 s20, s2, 0xffff
	v_mul_u32_u24_e32 v2, s20, v1
	s_cmp_lt_u32 s20, 2
	s_mul_i32 s22, s10, s20
	s_cselect_b32 s21, -1, 0
	v_lshl_add_u32 v9, v2, 2, 0
	v_lshl_add_u32 v11, v0, 2, v9
	s_branch .LBB352_7
.LBB352_5:                              ;   in Loop: Header=BB352_7 Depth=2
	s_or_b32 exec_lo, exec_lo, s24
.LBB352_6:                              ;   in Loop: Header=BB352_7 Depth=2
	v_add_nc_u32_e32 v12, s7, v12
	v_add_nc_u32_e32 v10, s7, v10
	;; [unrolled: 1-line block ×3, first 2 shown]
	v_cmp_le_u32_e32 vcc_lo, s10, v12
	s_or_b32 s23, vcc_lo, s23
	s_andn2_b32 exec_lo, exec_lo, s23
	s_cbranch_execz .LBB352_2
.LBB352_7:                              ;   Parent Loop BB352_3 Depth=1
                                        ; =>  This Loop Header: Depth=2
                                        ;       Child Loop BB352_10 Depth 3
                                        ;       Child Loop BB352_12 Depth 3
	;; [unrolled: 1-line block ×5, first 2 shown]
	s_andn2_b32 vcc_lo, exec_lo, s21
	s_mov_b32 s2, -1
	s_cbranch_vccnz .LBB352_14
; %bb.8:                                ;   in Loop: Header=BB352_7 Depth=2
	s_andn2_b32 vcc_lo, exec_lo, s3
	s_cbranch_vccnz .LBB352_13
; %bb.9:                                ;   in Loop: Header=BB352_7 Depth=2
	v_mov_b32_e32 v13, 0
	v_mov_b32_e32 v2, v10
	s_mov_b32 s2, s9
.LBB352_10:                             ;   Parent Loop BB352_3 Depth=1
                                        ;     Parent Loop BB352_7 Depth=2
                                        ; =>    This Inner Loop Header: Depth=3
	v_lshlrev_b64 v[14:15], 1, v[2:3]
	v_add_nc_u32_e32 v2, s10, v2
	s_add_i32 s2, s2, -1
	s_cmp_lg_u32 s2, 0
	v_add_co_u32 v14, vcc_lo, s18, v14
	v_add_co_ci_u32_e64 v15, null, s19, v15, vcc_lo
	global_load_ushort v14, v[14:15], off
	s_waitcnt vmcnt(0)
	v_lshlrev_b32_e32 v14, 16, v14
	v_add_f32_e32 v13, v13, v14
	s_cbranch_scc1 .LBB352_10
; %bb.11:                               ;   in Loop: Header=BB352_7 Depth=2
	v_mov_b32_e32 v2, v10
	s_mov_b32 s24, s9
.LBB352_12:                             ;   Parent Loop BB352_3 Depth=1
                                        ;     Parent Loop BB352_7 Depth=2
                                        ; =>    This Inner Loop Header: Depth=3
	v_lshlrev_b64 v[14:15], 1, v[2:3]
	v_add_nc_u32_e32 v2, s10, v2
	s_add_i32 s24, s24, -1
	s_cmp_lg_u32 s24, 0
	v_add_co_u32 v16, vcc_lo, s14, v14
	v_add_co_ci_u32_e64 v17, null, s15, v15, vcc_lo
	global_load_ushort v18, v[16:17], off
	v_add_co_u32 v16, vcc_lo, s18, v14
	v_add_co_ci_u32_e64 v17, null, s19, v15, vcc_lo
	v_add_co_u32 v14, s2, s12, v14
	v_add_co_ci_u32_e64 v15, null, s13, v15, s2
	global_load_ushort v16, v[16:17], off
	s_waitcnt vmcnt(1)
	v_lshlrev_b32_e32 v17, 16, v18
	v_mul_f32_e32 v18, 0x3fb8aa3b, v17
	v_cmp_ngt_f32_e32 vcc_lo, 0xc2ce8ed0, v17
	s_waitcnt vmcnt(0)
	v_lshlrev_b32_e32 v16, 16, v16
	v_fma_f32 v19, 0x3fb8aa3b, v17, -v18
	v_rndne_f32_e32 v20, v18
	v_fmac_f32_e32 v19, 0x32a5705f, v17
	v_sub_f32_e32 v18, v18, v20
	v_add_f32_e32 v18, v18, v19
	v_cvt_i32_f32_e32 v19, v20
	v_exp_f32_e32 v18, v18
	v_ldexp_f32 v18, v18, v19
	v_cndmask_b32_e32 v18, 0, v18, vcc_lo
	v_cmp_nlt_f32_e32 vcc_lo, 0x42b17218, v17
	v_cndmask_b32_e32 v17, 0x7f800000, v18, vcc_lo
	v_fma_f32 v16, -v13, v17, v16
	v_bfe_u32 v17, v16, 16, 1
	v_cmp_o_f32_e32 vcc_lo, v16, v16
	v_add3_u32 v16, v16, v17, 0x7fff
	v_cndmask_b32_sdwa v16, v7, v16, vcc_lo dst_sel:DWORD dst_unused:UNUSED_PAD src0_sel:DWORD src1_sel:WORD_1
	global_store_short v[14:15], v16, off
	s_cbranch_scc1 .LBB352_12
.LBB352_13:                             ;   in Loop: Header=BB352_7 Depth=2
	s_mov_b32 s2, 0
.LBB352_14:                             ;   in Loop: Header=BB352_7 Depth=2
	s_andn2_b32 vcc_lo, exec_lo, s2
	s_cbranch_vccnz .LBB352_6
; %bb.15:                               ;   in Loop: Header=BB352_7 Depth=2
	v_mov_b32_e32 v13, 0
	s_and_saveexec_b32 s2, s0
	s_cbranch_execz .LBB352_19
; %bb.16:                               ;   in Loop: Header=BB352_7 Depth=2
	v_mov_b32_e32 v13, 0
	v_mov_b32_e32 v2, v8
	;; [unrolled: 1-line block ×3, first 2 shown]
	s_mov_b32 s24, 0
.LBB352_17:                             ;   Parent Loop BB352_3 Depth=1
                                        ;     Parent Loop BB352_7 Depth=2
                                        ; =>    This Inner Loop Header: Depth=3
	v_lshlrev_b64 v[15:16], 1, v[2:3]
	v_add_nc_u32_e32 v14, s20, v14
	v_add_nc_u32_e32 v2, s22, v2
	v_add_co_u32 v15, vcc_lo, s18, v15
	v_add_co_ci_u32_e64 v16, null, s19, v16, vcc_lo
	v_cmp_le_u32_e32 vcc_lo, s9, v14
	global_load_ushort v15, v[15:16], off
	s_or_b32 s24, vcc_lo, s24
	s_waitcnt vmcnt(0)
	v_lshlrev_b32_e32 v15, 16, v15
	v_add_f32_e32 v13, v13, v15
	s_andn2_b32 exec_lo, exec_lo, s24
	s_cbranch_execnz .LBB352_17
; %bb.18:                               ;   in Loop: Header=BB352_7 Depth=2
	s_or_b32 exec_lo, exec_lo, s24
.LBB352_19:                             ;   in Loop: Header=BB352_7 Depth=2
	s_or_b32 exec_lo, exec_lo, s2
	s_mov_b32 s2, s20
	s_waitcnt_vscnt null, 0x0
	s_barrier
	buffer_gl0_inv
	ds_write_b32 v11, v13
	s_branch .LBB352_21
	.p2align	6
.LBB352_20:                             ;   in Loop: Header=BB352_21 Depth=3
	s_or_b32 exec_lo, exec_lo, s25
	s_cmp_gt_u32 s2, 3
	s_mov_b32 s2, s24
	s_cbranch_scc0 .LBB352_23
.LBB352_21:                             ;   Parent Loop BB352_3 Depth=1
                                        ;     Parent Loop BB352_7 Depth=2
                                        ; =>    This Inner Loop Header: Depth=3
	s_lshr_b32 s24, s2, 1
	s_mov_b32 s25, exec_lo
	s_waitcnt lgkmcnt(0)
	s_barrier
	buffer_gl0_inv
	v_cmpx_gt_u32_e64 s24, v0
	s_cbranch_execz .LBB352_20
; %bb.22:                               ;   in Loop: Header=BB352_21 Depth=3
	v_lshl_add_u32 v2, s24, 2, v11
	ds_read_b32 v13, v11
	ds_read_b32 v2, v2
	s_waitcnt lgkmcnt(0)
	v_add_f32_e32 v2, v13, v2
	ds_write_b32 v11, v2
	s_branch .LBB352_20
.LBB352_23:                             ;   in Loop: Header=BB352_7 Depth=2
	s_waitcnt lgkmcnt(0)
	s_barrier
	buffer_gl0_inv
	s_and_saveexec_b32 s24, s0
	s_cbranch_execz .LBB352_5
; %bb.24:                               ;   in Loop: Header=BB352_7 Depth=2
	ds_read_b32 v13, v9
	v_mov_b32_e32 v2, v8
	v_mov_b32_e32 v14, v0
	s_mov_b32 s25, 0
.LBB352_25:                             ;   Parent Loop BB352_3 Depth=1
                                        ;     Parent Loop BB352_7 Depth=2
                                        ; =>    This Inner Loop Header: Depth=3
	v_lshlrev_b64 v[15:16], 1, v[2:3]
	v_add_nc_u32_e32 v14, s20, v14
	v_add_nc_u32_e32 v2, s22, v2
	v_add_co_u32 v17, vcc_lo, s14, v15
	v_add_co_ci_u32_e64 v18, null, s15, v16, vcc_lo
	global_load_ushort v19, v[17:18], off
	v_add_co_u32 v17, vcc_lo, s18, v15
	v_add_co_ci_u32_e64 v18, null, s19, v16, vcc_lo
	v_add_co_u32 v15, s2, s12, v15
	v_add_co_ci_u32_e64 v16, null, s13, v16, s2
	global_load_ushort v17, v[17:18], off
	s_waitcnt vmcnt(1)
	v_lshlrev_b32_e32 v18, 16, v19
	v_mul_f32_e32 v19, 0x3fb8aa3b, v18
	v_cmp_ngt_f32_e32 vcc_lo, 0xc2ce8ed0, v18
	s_waitcnt vmcnt(0)
	v_lshlrev_b32_e32 v17, 16, v17
	v_fma_f32 v20, 0x3fb8aa3b, v18, -v19
	v_rndne_f32_e32 v21, v19
	v_fmac_f32_e32 v20, 0x32a5705f, v18
	v_sub_f32_e32 v19, v19, v21
	v_add_f32_e32 v19, v19, v20
	v_cvt_i32_f32_e32 v20, v21
	v_exp_f32_e32 v19, v19
	v_ldexp_f32 v19, v19, v20
	v_cndmask_b32_e32 v19, 0, v19, vcc_lo
	v_cmp_nlt_f32_e32 vcc_lo, 0x42b17218, v18
	v_cndmask_b32_e32 v18, 0x7f800000, v19, vcc_lo
	v_cmp_le_u32_e32 vcc_lo, s9, v14
	s_waitcnt lgkmcnt(0)
	v_fma_f32 v17, -v13, v18, v17
	s_or_b32 s25, vcc_lo, s25
	v_bfe_u32 v18, v17, 16, 1
	v_cmp_o_f32_e64 s2, v17, v17
	v_add3_u32 v18, v17, v18, 0x7fff
	v_lshrrev_b32_e32 v18, 16, v18
	v_cndmask_b32_e64 v17, 0x7fc0, v18, s2
	global_store_short v[15:16], v17, off
	s_andn2_b32 exec_lo, exec_lo, s25
	s_cbranch_execnz .LBB352_25
	s_branch .LBB352_5
.LBB352_26:
	s_endpgm
	.section	.rodata,"a",@progbits
	.p2align	6, 0x0
	.amdhsa_kernel _ZN2at6native12_GLOBAL__N_127cunn_SpatialSoftMaxBackwardIN3c108BFloat16EfS4_NS1_26LogSoftMaxBackwardEpilogueEEEvPT_PKT1_SA_jjj
		.amdhsa_group_segment_fixed_size 0
		.amdhsa_private_segment_fixed_size 0
		.amdhsa_kernarg_size 296
		.amdhsa_user_sgpr_count 6
		.amdhsa_user_sgpr_private_segment_buffer 1
		.amdhsa_user_sgpr_dispatch_ptr 0
		.amdhsa_user_sgpr_queue_ptr 0
		.amdhsa_user_sgpr_kernarg_segment_ptr 1
		.amdhsa_user_sgpr_dispatch_id 0
		.amdhsa_user_sgpr_flat_scratch_init 0
		.amdhsa_user_sgpr_private_segment_size 0
		.amdhsa_wavefront_size32 1
		.amdhsa_uses_dynamic_stack 0
		.amdhsa_system_sgpr_private_segment_wavefront_offset 0
		.amdhsa_system_sgpr_workgroup_id_x 1
		.amdhsa_system_sgpr_workgroup_id_y 1
		.amdhsa_system_sgpr_workgroup_id_z 0
		.amdhsa_system_sgpr_workgroup_info 0
		.amdhsa_system_vgpr_workitem_id 1
		.amdhsa_next_free_vgpr 22
		.amdhsa_next_free_sgpr 26
		.amdhsa_reserve_vcc 1
		.amdhsa_reserve_flat_scratch 0
		.amdhsa_float_round_mode_32 0
		.amdhsa_float_round_mode_16_64 0
		.amdhsa_float_denorm_mode_32 3
		.amdhsa_float_denorm_mode_16_64 3
		.amdhsa_dx10_clamp 1
		.amdhsa_ieee_mode 1
		.amdhsa_fp16_overflow 0
		.amdhsa_workgroup_processor_mode 1
		.amdhsa_memory_ordered 1
		.amdhsa_forward_progress 1
		.amdhsa_shared_vgpr_count 0
		.amdhsa_exception_fp_ieee_invalid_op 0
		.amdhsa_exception_fp_denorm_src 0
		.amdhsa_exception_fp_ieee_div_zero 0
		.amdhsa_exception_fp_ieee_overflow 0
		.amdhsa_exception_fp_ieee_underflow 0
		.amdhsa_exception_fp_ieee_inexact 0
		.amdhsa_exception_int_div_zero 0
	.end_amdhsa_kernel
	.section	.text._ZN2at6native12_GLOBAL__N_127cunn_SpatialSoftMaxBackwardIN3c108BFloat16EfS4_NS1_26LogSoftMaxBackwardEpilogueEEEvPT_PKT1_SA_jjj,"axG",@progbits,_ZN2at6native12_GLOBAL__N_127cunn_SpatialSoftMaxBackwardIN3c108BFloat16EfS4_NS1_26LogSoftMaxBackwardEpilogueEEEvPT_PKT1_SA_jjj,comdat
.Lfunc_end352:
	.size	_ZN2at6native12_GLOBAL__N_127cunn_SpatialSoftMaxBackwardIN3c108BFloat16EfS4_NS1_26LogSoftMaxBackwardEpilogueEEEvPT_PKT1_SA_jjj, .Lfunc_end352-_ZN2at6native12_GLOBAL__N_127cunn_SpatialSoftMaxBackwardIN3c108BFloat16EfS4_NS1_26LogSoftMaxBackwardEpilogueEEEvPT_PKT1_SA_jjj
                                        ; -- End function
	.set _ZN2at6native12_GLOBAL__N_127cunn_SpatialSoftMaxBackwardIN3c108BFloat16EfS4_NS1_26LogSoftMaxBackwardEpilogueEEEvPT_PKT1_SA_jjj.num_vgpr, 22
	.set _ZN2at6native12_GLOBAL__N_127cunn_SpatialSoftMaxBackwardIN3c108BFloat16EfS4_NS1_26LogSoftMaxBackwardEpilogueEEEvPT_PKT1_SA_jjj.num_agpr, 0
	.set _ZN2at6native12_GLOBAL__N_127cunn_SpatialSoftMaxBackwardIN3c108BFloat16EfS4_NS1_26LogSoftMaxBackwardEpilogueEEEvPT_PKT1_SA_jjj.numbered_sgpr, 26
	.set _ZN2at6native12_GLOBAL__N_127cunn_SpatialSoftMaxBackwardIN3c108BFloat16EfS4_NS1_26LogSoftMaxBackwardEpilogueEEEvPT_PKT1_SA_jjj.num_named_barrier, 0
	.set _ZN2at6native12_GLOBAL__N_127cunn_SpatialSoftMaxBackwardIN3c108BFloat16EfS4_NS1_26LogSoftMaxBackwardEpilogueEEEvPT_PKT1_SA_jjj.private_seg_size, 0
	.set _ZN2at6native12_GLOBAL__N_127cunn_SpatialSoftMaxBackwardIN3c108BFloat16EfS4_NS1_26LogSoftMaxBackwardEpilogueEEEvPT_PKT1_SA_jjj.uses_vcc, 1
	.set _ZN2at6native12_GLOBAL__N_127cunn_SpatialSoftMaxBackwardIN3c108BFloat16EfS4_NS1_26LogSoftMaxBackwardEpilogueEEEvPT_PKT1_SA_jjj.uses_flat_scratch, 0
	.set _ZN2at6native12_GLOBAL__N_127cunn_SpatialSoftMaxBackwardIN3c108BFloat16EfS4_NS1_26LogSoftMaxBackwardEpilogueEEEvPT_PKT1_SA_jjj.has_dyn_sized_stack, 0
	.set _ZN2at6native12_GLOBAL__N_127cunn_SpatialSoftMaxBackwardIN3c108BFloat16EfS4_NS1_26LogSoftMaxBackwardEpilogueEEEvPT_PKT1_SA_jjj.has_recursion, 0
	.set _ZN2at6native12_GLOBAL__N_127cunn_SpatialSoftMaxBackwardIN3c108BFloat16EfS4_NS1_26LogSoftMaxBackwardEpilogueEEEvPT_PKT1_SA_jjj.has_indirect_call, 0
	.section	.AMDGPU.csdata,"",@progbits
; Kernel info:
; codeLenInByte = 1240
; TotalNumSgprs: 28
; NumVgprs: 22
; ScratchSize: 0
; MemoryBound: 0
; FloatMode: 240
; IeeeMode: 1
; LDSByteSize: 0 bytes/workgroup (compile time only)
; SGPRBlocks: 0
; VGPRBlocks: 2
; NumSGPRsForWavesPerEU: 28
; NumVGPRsForWavesPerEU: 22
; Occupancy: 16
; WaveLimiterHint : 0
; COMPUTE_PGM_RSRC2:SCRATCH_EN: 0
; COMPUTE_PGM_RSRC2:USER_SGPR: 6
; COMPUTE_PGM_RSRC2:TRAP_HANDLER: 0
; COMPUTE_PGM_RSRC2:TGID_X_EN: 1
; COMPUTE_PGM_RSRC2:TGID_Y_EN: 1
; COMPUTE_PGM_RSRC2:TGID_Z_EN: 0
; COMPUTE_PGM_RSRC2:TIDIG_COMP_CNT: 1
	.section	.text._ZN2at6native12_GLOBAL__N_127cunn_SpatialSoftMaxBackwardIN3c108BFloat16EffNS1_26LogSoftMaxBackwardEpilogueEEEvPT_PKT1_SA_jjj,"axG",@progbits,_ZN2at6native12_GLOBAL__N_127cunn_SpatialSoftMaxBackwardIN3c108BFloat16EffNS1_26LogSoftMaxBackwardEpilogueEEEvPT_PKT1_SA_jjj,comdat
	.globl	_ZN2at6native12_GLOBAL__N_127cunn_SpatialSoftMaxBackwardIN3c108BFloat16EffNS1_26LogSoftMaxBackwardEpilogueEEEvPT_PKT1_SA_jjj ; -- Begin function _ZN2at6native12_GLOBAL__N_127cunn_SpatialSoftMaxBackwardIN3c108BFloat16EffNS1_26LogSoftMaxBackwardEpilogueEEEvPT_PKT1_SA_jjj
	.p2align	8
	.type	_ZN2at6native12_GLOBAL__N_127cunn_SpatialSoftMaxBackwardIN3c108BFloat16EffNS1_26LogSoftMaxBackwardEpilogueEEEvPT_PKT1_SA_jjj,@function
_ZN2at6native12_GLOBAL__N_127cunn_SpatialSoftMaxBackwardIN3c108BFloat16EffNS1_26LogSoftMaxBackwardEpilogueEEEvPT_PKT1_SA_jjj: ; @_ZN2at6native12_GLOBAL__N_127cunn_SpatialSoftMaxBackwardIN3c108BFloat16EffNS1_26LogSoftMaxBackwardEpilogueEEEvPT_PKT1_SA_jjj
; %bb.0:
	s_load_dwordx4 s[8:11], s[4:5], 0x18
	s_waitcnt lgkmcnt(0)
	s_cmp_ge_u32 s6, s8
	s_cbranch_scc1 .LBB353_26
; %bb.1:
	s_clause 0x1
	s_load_dword s1, s[4:5], 0x34
	s_load_dwordx2 s[16:17], s[4:5], 0x28
	s_mul_i32 s2, s6, s9
	s_clause 0x1
	s_load_dwordx4 s[12:15], s[4:5], 0x0
	s_load_dwordx2 s[18:19], s[4:5], 0x10
	v_add_nc_u32_e32 v2, s2, v0
	s_add_u32 s4, s4, 40
	s_addc_u32 s5, s5, 0
	s_mul_i32 s2, s2, s10
	v_cmp_gt_u32_e64 s0, s9, v0
	v_mul_lo_u32 v2, s10, v2
	v_mov_b32_e32 v3, 0
	s_waitcnt lgkmcnt(0)
	s_lshr_b32 s11, s1, 16
	s_cmp_lg_u32 s9, 0
	s_mul_i32 s7, s7, s11
	s_cselect_b32 s3, -1, 0
	v_add_nc_u32_e32 v4, s7, v1
	v_add3_u32 v5, s7, s2, v1
	v_add3_u32 v6, v1, v2, s7
	s_mul_i32 s2, s16, s10
	s_mul_i32 s7, s17, s11
	v_cmp_gt_u32_e64 s1, s10, v4
	s_mul_i32 s11, s2, s9
	s_branch .LBB353_3
.LBB353_2:                              ;   in Loop: Header=BB353_3 Depth=1
	s_or_b32 exec_lo, exec_lo, s17
	v_add_nc_u32_e32 v5, s11, v5
	v_add_nc_u32_e32 v6, s11, v6
	s_add_i32 s6, s16, s6
	s_cmp_ge_u32 s6, s8
	s_cbranch_scc1 .LBB353_26
.LBB353_3:                              ; =>This Loop Header: Depth=1
                                        ;     Child Loop BB353_7 Depth 2
                                        ;       Child Loop BB353_10 Depth 3
                                        ;       Child Loop BB353_12 Depth 3
	;; [unrolled: 1-line block ×5, first 2 shown]
	s_and_saveexec_b32 s17, s1
	s_cbranch_execz .LBB353_2
; %bb.4:                                ;   in Loop: Header=BB353_3 Depth=1
	s_load_dword s2, s[4:5], 0xc
	v_mov_b32_e32 v7, v6
	v_mov_b32_e32 v9, v5
	;; [unrolled: 1-line block ×3, first 2 shown]
	s_mov_b32 s23, 0
	s_waitcnt lgkmcnt(0)
	s_and_b32 s20, s2, 0xffff
	v_mul_u32_u24_e32 v2, s20, v1
	s_cmp_lt_u32 s20, 2
	s_mul_i32 s22, s10, s20
	s_cselect_b32 s21, -1, 0
	v_lshl_add_u32 v8, v2, 2, 0
	v_lshl_add_u32 v10, v0, 2, v8
	s_branch .LBB353_7
.LBB353_5:                              ;   in Loop: Header=BB353_7 Depth=2
	s_or_b32 exec_lo, exec_lo, s24
.LBB353_6:                              ;   in Loop: Header=BB353_7 Depth=2
	v_add_nc_u32_e32 v11, s7, v11
	v_add_nc_u32_e32 v9, s7, v9
	v_add_nc_u32_e32 v7, s7, v7
	v_cmp_le_u32_e32 vcc_lo, s10, v11
	s_or_b32 s23, vcc_lo, s23
	s_andn2_b32 exec_lo, exec_lo, s23
	s_cbranch_execz .LBB353_2
.LBB353_7:                              ;   Parent Loop BB353_3 Depth=1
                                        ; =>  This Loop Header: Depth=2
                                        ;       Child Loop BB353_10 Depth 3
                                        ;       Child Loop BB353_12 Depth 3
	;; [unrolled: 1-line block ×5, first 2 shown]
	s_andn2_b32 vcc_lo, exec_lo, s21
	s_mov_b32 s2, -1
	s_cbranch_vccnz .LBB353_14
; %bb.8:                                ;   in Loop: Header=BB353_7 Depth=2
	s_andn2_b32 vcc_lo, exec_lo, s3
	s_cbranch_vccnz .LBB353_13
; %bb.9:                                ;   in Loop: Header=BB353_7 Depth=2
	v_mov_b32_e32 v12, 0
	v_mov_b32_e32 v2, v9
	s_mov_b32 s2, s9
.LBB353_10:                             ;   Parent Loop BB353_3 Depth=1
                                        ;     Parent Loop BB353_7 Depth=2
                                        ; =>    This Inner Loop Header: Depth=3
	v_lshlrev_b64 v[13:14], 2, v[2:3]
	v_add_nc_u32_e32 v2, s10, v2
	s_add_i32 s2, s2, -1
	s_cmp_lg_u32 s2, 0
	v_add_co_u32 v13, vcc_lo, s18, v13
	v_add_co_ci_u32_e64 v14, null, s19, v14, vcc_lo
	global_load_dword v13, v[13:14], off
	s_waitcnt vmcnt(0)
	v_add_f32_e32 v12, v12, v13
	s_cbranch_scc1 .LBB353_10
; %bb.11:                               ;   in Loop: Header=BB353_7 Depth=2
	v_mov_b32_e32 v2, v9
	s_mov_b32 s2, s9
.LBB353_12:                             ;   Parent Loop BB353_3 Depth=1
                                        ;     Parent Loop BB353_7 Depth=2
                                        ; =>    This Inner Loop Header: Depth=3
	v_lshlrev_b64 v[13:14], 2, v[2:3]
	s_add_i32 s2, s2, -1
	s_cmp_lg_u32 s2, 0
	v_add_co_u32 v15, vcc_lo, s14, v13
	v_add_co_ci_u32_e64 v16, null, s15, v14, vcc_lo
	v_add_co_u32 v13, vcc_lo, s18, v13
	v_add_co_ci_u32_e64 v14, null, s19, v14, vcc_lo
	global_load_dword v15, v[15:16], off
	global_load_dword v13, v[13:14], off
	s_waitcnt vmcnt(1)
	v_mul_f32_e32 v14, 0x3fb8aa3b, v15
	v_cmp_ngt_f32_e32 vcc_lo, 0xc2ce8ed0, v15
	v_fma_f32 v16, 0x3fb8aa3b, v15, -v14
	v_rndne_f32_e32 v17, v14
	v_fmac_f32_e32 v16, 0x32a5705f, v15
	v_sub_f32_e32 v14, v14, v17
	v_add_f32_e32 v14, v14, v16
	v_cvt_i32_f32_e32 v16, v17
	v_exp_f32_e32 v14, v14
	v_ldexp_f32 v14, v14, v16
	v_cndmask_b32_e32 v14, 0, v14, vcc_lo
	v_cmp_nlt_f32_e32 vcc_lo, 0x42b17218, v15
	v_cndmask_b32_e32 v14, 0x7f800000, v14, vcc_lo
	s_waitcnt vmcnt(0)
	v_fma_f32 v15, -v12, v14, v13
	v_bfe_u32 v13, v15, 16, 1
	v_add3_u32 v16, v15, v13, 0x7fff
	v_lshlrev_b64 v[13:14], 1, v[2:3]
	v_add_nc_u32_e32 v2, s10, v2
	v_lshrrev_b32_e32 v16, 16, v16
	v_add_co_u32 v13, vcc_lo, s12, v13
	v_add_co_ci_u32_e64 v14, null, s13, v14, vcc_lo
	v_cmp_o_f32_e32 vcc_lo, v15, v15
	v_cndmask_b32_e32 v15, 0x7fc0, v16, vcc_lo
	global_store_short v[13:14], v15, off
	s_cbranch_scc1 .LBB353_12
.LBB353_13:                             ;   in Loop: Header=BB353_7 Depth=2
	s_mov_b32 s2, 0
.LBB353_14:                             ;   in Loop: Header=BB353_7 Depth=2
	s_andn2_b32 vcc_lo, exec_lo, s2
	s_cbranch_vccnz .LBB353_6
; %bb.15:                               ;   in Loop: Header=BB353_7 Depth=2
	v_mov_b32_e32 v12, 0
	s_and_saveexec_b32 s2, s0
	s_cbranch_execz .LBB353_19
; %bb.16:                               ;   in Loop: Header=BB353_7 Depth=2
	v_mov_b32_e32 v12, 0
	v_mov_b32_e32 v2, v7
	;; [unrolled: 1-line block ×3, first 2 shown]
	s_mov_b32 s24, 0
.LBB353_17:                             ;   Parent Loop BB353_3 Depth=1
                                        ;     Parent Loop BB353_7 Depth=2
                                        ; =>    This Inner Loop Header: Depth=3
	v_lshlrev_b64 v[14:15], 2, v[2:3]
	v_add_nc_u32_e32 v13, s20, v13
	v_add_nc_u32_e32 v2, s22, v2
	v_add_co_u32 v14, vcc_lo, s18, v14
	v_add_co_ci_u32_e64 v15, null, s19, v15, vcc_lo
	v_cmp_le_u32_e32 vcc_lo, s9, v13
	global_load_dword v14, v[14:15], off
	s_or_b32 s24, vcc_lo, s24
	s_waitcnt vmcnt(0)
	v_add_f32_e32 v12, v12, v14
	s_andn2_b32 exec_lo, exec_lo, s24
	s_cbranch_execnz .LBB353_17
; %bb.18:                               ;   in Loop: Header=BB353_7 Depth=2
	s_or_b32 exec_lo, exec_lo, s24
.LBB353_19:                             ;   in Loop: Header=BB353_7 Depth=2
	s_or_b32 exec_lo, exec_lo, s2
	s_mov_b32 s2, s20
	s_waitcnt_vscnt null, 0x0
	s_barrier
	buffer_gl0_inv
	ds_write_b32 v10, v12
	s_branch .LBB353_21
	.p2align	6
.LBB353_20:                             ;   in Loop: Header=BB353_21 Depth=3
	s_or_b32 exec_lo, exec_lo, s25
	s_cmp_gt_u32 s2, 3
	s_mov_b32 s2, s24
	s_cbranch_scc0 .LBB353_23
.LBB353_21:                             ;   Parent Loop BB353_3 Depth=1
                                        ;     Parent Loop BB353_7 Depth=2
                                        ; =>    This Inner Loop Header: Depth=3
	s_lshr_b32 s24, s2, 1
	s_mov_b32 s25, exec_lo
	s_waitcnt lgkmcnt(0)
	s_barrier
	buffer_gl0_inv
	v_cmpx_gt_u32_e64 s24, v0
	s_cbranch_execz .LBB353_20
; %bb.22:                               ;   in Loop: Header=BB353_21 Depth=3
	v_lshl_add_u32 v2, s24, 2, v10
	ds_read_b32 v12, v10
	ds_read_b32 v2, v2
	s_waitcnt lgkmcnt(0)
	v_add_f32_e32 v2, v12, v2
	ds_write_b32 v10, v2
	s_branch .LBB353_20
.LBB353_23:                             ;   in Loop: Header=BB353_7 Depth=2
	s_waitcnt lgkmcnt(0)
	s_barrier
	buffer_gl0_inv
	s_and_saveexec_b32 s24, s0
	s_cbranch_execz .LBB353_5
; %bb.24:                               ;   in Loop: Header=BB353_7 Depth=2
	ds_read_b32 v12, v8
	v_mov_b32_e32 v2, v7
	v_mov_b32_e32 v13, v0
	s_mov_b32 s25, 0
.LBB353_25:                             ;   Parent Loop BB353_3 Depth=1
                                        ;     Parent Loop BB353_7 Depth=2
                                        ; =>    This Inner Loop Header: Depth=3
	v_lshlrev_b64 v[14:15], 2, v[2:3]
	v_add_nc_u32_e32 v13, s20, v13
	v_add_co_u32 v16, vcc_lo, s14, v14
	v_add_co_ci_u32_e64 v17, null, s15, v15, vcc_lo
	v_add_co_u32 v14, vcc_lo, s18, v14
	v_add_co_ci_u32_e64 v15, null, s19, v15, vcc_lo
	global_load_dword v16, v[16:17], off
	global_load_dword v14, v[14:15], off
	s_waitcnt vmcnt(1)
	v_mul_f32_e32 v15, 0x3fb8aa3b, v16
	v_cmp_ngt_f32_e32 vcc_lo, 0xc2ce8ed0, v16
	v_fma_f32 v17, 0x3fb8aa3b, v16, -v15
	v_rndne_f32_e32 v18, v15
	v_fmac_f32_e32 v17, 0x32a5705f, v16
	v_sub_f32_e32 v15, v15, v18
	v_add_f32_e32 v15, v15, v17
	v_cvt_i32_f32_e32 v17, v18
	v_exp_f32_e32 v15, v15
	v_ldexp_f32 v15, v15, v17
	v_cndmask_b32_e32 v15, 0, v15, vcc_lo
	v_cmp_nlt_f32_e32 vcc_lo, 0x42b17218, v16
	v_cndmask_b32_e32 v15, 0x7f800000, v15, vcc_lo
	v_cmp_le_u32_e32 vcc_lo, s9, v13
	s_waitcnt vmcnt(0) lgkmcnt(0)
	v_fma_f32 v16, -v12, v15, v14
	s_or_b32 s25, vcc_lo, s25
	v_bfe_u32 v14, v16, 16, 1
	v_add3_u32 v17, v16, v14, 0x7fff
	v_lshlrev_b64 v[14:15], 1, v[2:3]
	v_add_nc_u32_e32 v2, s22, v2
	v_lshrrev_b32_e32 v17, 16, v17
	v_add_co_u32 v14, s2, s12, v14
	v_add_co_ci_u32_e64 v15, null, s13, v15, s2
	v_cmp_o_f32_e64 s2, v16, v16
	v_cndmask_b32_e64 v16, 0x7fc0, v17, s2
	global_store_short v[14:15], v16, off
	s_andn2_b32 exec_lo, exec_lo, s25
	s_cbranch_execnz .LBB353_25
	s_branch .LBB353_5
.LBB353_26:
	s_endpgm
	.section	.rodata,"a",@progbits
	.p2align	6, 0x0
	.amdhsa_kernel _ZN2at6native12_GLOBAL__N_127cunn_SpatialSoftMaxBackwardIN3c108BFloat16EffNS1_26LogSoftMaxBackwardEpilogueEEEvPT_PKT1_SA_jjj
		.amdhsa_group_segment_fixed_size 0
		.amdhsa_private_segment_fixed_size 0
		.amdhsa_kernarg_size 296
		.amdhsa_user_sgpr_count 6
		.amdhsa_user_sgpr_private_segment_buffer 1
		.amdhsa_user_sgpr_dispatch_ptr 0
		.amdhsa_user_sgpr_queue_ptr 0
		.amdhsa_user_sgpr_kernarg_segment_ptr 1
		.amdhsa_user_sgpr_dispatch_id 0
		.amdhsa_user_sgpr_flat_scratch_init 0
		.amdhsa_user_sgpr_private_segment_size 0
		.amdhsa_wavefront_size32 1
		.amdhsa_uses_dynamic_stack 0
		.amdhsa_system_sgpr_private_segment_wavefront_offset 0
		.amdhsa_system_sgpr_workgroup_id_x 1
		.amdhsa_system_sgpr_workgroup_id_y 1
		.amdhsa_system_sgpr_workgroup_id_z 0
		.amdhsa_system_sgpr_workgroup_info 0
		.amdhsa_system_vgpr_workitem_id 1
		.amdhsa_next_free_vgpr 19
		.amdhsa_next_free_sgpr 26
		.amdhsa_reserve_vcc 1
		.amdhsa_reserve_flat_scratch 0
		.amdhsa_float_round_mode_32 0
		.amdhsa_float_round_mode_16_64 0
		.amdhsa_float_denorm_mode_32 3
		.amdhsa_float_denorm_mode_16_64 3
		.amdhsa_dx10_clamp 1
		.amdhsa_ieee_mode 1
		.amdhsa_fp16_overflow 0
		.amdhsa_workgroup_processor_mode 1
		.amdhsa_memory_ordered 1
		.amdhsa_forward_progress 1
		.amdhsa_shared_vgpr_count 0
		.amdhsa_exception_fp_ieee_invalid_op 0
		.amdhsa_exception_fp_denorm_src 0
		.amdhsa_exception_fp_ieee_div_zero 0
		.amdhsa_exception_fp_ieee_overflow 0
		.amdhsa_exception_fp_ieee_underflow 0
		.amdhsa_exception_fp_ieee_inexact 0
		.amdhsa_exception_int_div_zero 0
	.end_amdhsa_kernel
	.section	.text._ZN2at6native12_GLOBAL__N_127cunn_SpatialSoftMaxBackwardIN3c108BFloat16EffNS1_26LogSoftMaxBackwardEpilogueEEEvPT_PKT1_SA_jjj,"axG",@progbits,_ZN2at6native12_GLOBAL__N_127cunn_SpatialSoftMaxBackwardIN3c108BFloat16EffNS1_26LogSoftMaxBackwardEpilogueEEEvPT_PKT1_SA_jjj,comdat
.Lfunc_end353:
	.size	_ZN2at6native12_GLOBAL__N_127cunn_SpatialSoftMaxBackwardIN3c108BFloat16EffNS1_26LogSoftMaxBackwardEpilogueEEEvPT_PKT1_SA_jjj, .Lfunc_end353-_ZN2at6native12_GLOBAL__N_127cunn_SpatialSoftMaxBackwardIN3c108BFloat16EffNS1_26LogSoftMaxBackwardEpilogueEEEvPT_PKT1_SA_jjj
                                        ; -- End function
	.set _ZN2at6native12_GLOBAL__N_127cunn_SpatialSoftMaxBackwardIN3c108BFloat16EffNS1_26LogSoftMaxBackwardEpilogueEEEvPT_PKT1_SA_jjj.num_vgpr, 19
	.set _ZN2at6native12_GLOBAL__N_127cunn_SpatialSoftMaxBackwardIN3c108BFloat16EffNS1_26LogSoftMaxBackwardEpilogueEEEvPT_PKT1_SA_jjj.num_agpr, 0
	.set _ZN2at6native12_GLOBAL__N_127cunn_SpatialSoftMaxBackwardIN3c108BFloat16EffNS1_26LogSoftMaxBackwardEpilogueEEEvPT_PKT1_SA_jjj.numbered_sgpr, 26
	.set _ZN2at6native12_GLOBAL__N_127cunn_SpatialSoftMaxBackwardIN3c108BFloat16EffNS1_26LogSoftMaxBackwardEpilogueEEEvPT_PKT1_SA_jjj.num_named_barrier, 0
	.set _ZN2at6native12_GLOBAL__N_127cunn_SpatialSoftMaxBackwardIN3c108BFloat16EffNS1_26LogSoftMaxBackwardEpilogueEEEvPT_PKT1_SA_jjj.private_seg_size, 0
	.set _ZN2at6native12_GLOBAL__N_127cunn_SpatialSoftMaxBackwardIN3c108BFloat16EffNS1_26LogSoftMaxBackwardEpilogueEEEvPT_PKT1_SA_jjj.uses_vcc, 1
	.set _ZN2at6native12_GLOBAL__N_127cunn_SpatialSoftMaxBackwardIN3c108BFloat16EffNS1_26LogSoftMaxBackwardEpilogueEEEvPT_PKT1_SA_jjj.uses_flat_scratch, 0
	.set _ZN2at6native12_GLOBAL__N_127cunn_SpatialSoftMaxBackwardIN3c108BFloat16EffNS1_26LogSoftMaxBackwardEpilogueEEEvPT_PKT1_SA_jjj.has_dyn_sized_stack, 0
	.set _ZN2at6native12_GLOBAL__N_127cunn_SpatialSoftMaxBackwardIN3c108BFloat16EffNS1_26LogSoftMaxBackwardEpilogueEEEvPT_PKT1_SA_jjj.has_recursion, 0
	.set _ZN2at6native12_GLOBAL__N_127cunn_SpatialSoftMaxBackwardIN3c108BFloat16EffNS1_26LogSoftMaxBackwardEpilogueEEEvPT_PKT1_SA_jjj.has_indirect_call, 0
	.section	.AMDGPU.csdata,"",@progbits
; Kernel info:
; codeLenInByte = 1236
; TotalNumSgprs: 28
; NumVgprs: 19
; ScratchSize: 0
; MemoryBound: 0
; FloatMode: 240
; IeeeMode: 1
; LDSByteSize: 0 bytes/workgroup (compile time only)
; SGPRBlocks: 0
; VGPRBlocks: 2
; NumSGPRsForWavesPerEU: 28
; NumVGPRsForWavesPerEU: 19
; Occupancy: 16
; WaveLimiterHint : 0
; COMPUTE_PGM_RSRC2:SCRATCH_EN: 0
; COMPUTE_PGM_RSRC2:USER_SGPR: 6
; COMPUTE_PGM_RSRC2:TRAP_HANDLER: 0
; COMPUTE_PGM_RSRC2:TGID_X_EN: 1
; COMPUTE_PGM_RSRC2:TGID_Y_EN: 1
; COMPUTE_PGM_RSRC2:TGID_Z_EN: 0
; COMPUTE_PGM_RSRC2:TIDIG_COMP_CNT: 1
	.section	.text._ZN12_GLOBAL__N_120softmax_warp_forwardIdddLi0ELb0ELb0ELi64EEEvPT0_PKT_iiiPKbib,"axG",@progbits,_ZN12_GLOBAL__N_120softmax_warp_forwardIdddLi0ELb0ELb0ELi64EEEvPT0_PKT_iiiPKbib,comdat
	.globl	_ZN12_GLOBAL__N_120softmax_warp_forwardIdddLi0ELb0ELb0ELi64EEEvPT0_PKT_iiiPKbib ; -- Begin function _ZN12_GLOBAL__N_120softmax_warp_forwardIdddLi0ELb0ELb0ELi64EEEvPT0_PKT_iiiPKbib
	.p2align	8
	.type	_ZN12_GLOBAL__N_120softmax_warp_forwardIdddLi0ELb0ELb0ELi64EEEvPT0_PKT_iiiPKbib,@function
_ZN12_GLOBAL__N_120softmax_warp_forwardIdddLi0ELb0ELb0ELi64EEEvPT0_PKT_iiiPKbib: ; @_ZN12_GLOBAL__N_120softmax_warp_forwardIdddLi0ELb0ELb0ELi64EEEvPT0_PKT_iiiPKbib
; %bb.0:
	s_clause 0x1
	s_load_dword s0, s[4:5], 0x3c
	s_load_dwordx8 s[8:15], s[4:5], 0x0
	v_mov_b32_e32 v6, 0
	v_mov_b32_e32 v7, 0xfff00000
	s_waitcnt lgkmcnt(0)
	s_lshr_b32 s0, s0, 16
	s_and_b32 s0, s0, 0xffff
	s_mul_i32 s6, s6, s0
	v_cmp_gt_i32_e64 s0, s14, v0
	v_add_lshl_u32 v3, s6, v1, 1
	v_mad_u64_u32 v[1:2], null, v3, s13, v[0:1]
	v_sub_nc_u32_e32 v8, s12, v3
	v_cmp_lt_i32_e32 vcc_lo, 0, v8
	v_ashrrev_i32_e32 v2, 31, v1
	s_and_b32 s2, s0, vcc_lo
	v_lshlrev_b64 v[4:5], 3, v[1:2]
	v_mov_b32_e32 v2, 0
	v_mov_b32_e32 v3, 0xfff00000
	v_add_co_u32 v0, s1, s10, v4
	v_add_co_ci_u32_e64 v1, null, s11, v5, s1
	s_and_saveexec_b32 s1, s2
	s_cbranch_execz .LBB354_2
; %bb.1:
	global_load_dwordx2 v[6:7], v[0:1], off
.LBB354_2:
	s_or_b32 exec_lo, exec_lo, s1
	v_cmp_lt_i32_e64 s1, 1, v8
	s_and_b32 s1, s0, s1
	s_and_saveexec_b32 s2, s1
	s_cbranch_execz .LBB354_4
; %bb.3:
	s_mov_b32 s15, 0
	s_lshl_b64 s[4:5], s[14:15], 3
	v_add_co_u32 v0, s1, v0, s4
	v_add_co_ci_u32_e64 v1, null, s5, v1, s1
	global_load_dwordx2 v[2:3], v[0:1], off
.LBB354_4:
	s_or_b32 exec_lo, exec_lo, s2
	s_and_saveexec_b32 s1, vcc_lo
	s_cbranch_execz .LBB354_9
; %bb.5:
	v_add_co_u32 v0, vcc_lo, s8, v4
	v_add_co_ci_u32_e64 v1, null, s9, v5, vcc_lo
	s_and_saveexec_b32 s2, s0
	s_cbranch_execz .LBB354_7
; %bb.6:
	s_waitcnt vmcnt(0)
	v_add_f64 v[4:5], v[6:7], -v[6:7]
	s_mov_b32 s4, 0x652b82fe
	s_mov_b32 s5, 0x3ff71547
	;; [unrolled: 1-line block ×4, first 2 shown]
	v_mul_f64 v[6:7], v[4:5], s[4:5]
	s_mov_b32 s4, 0xfefa39ef
	s_mov_b32 s5, 0xbfe62e42
	v_cmp_nlt_f64_e32 vcc_lo, 0x40900000, v[4:5]
	v_cmp_ngt_f64_e64 s1, 0xc090cc00, v[4:5]
	v_rndne_f64_e32 v[6:7], v[6:7]
	v_fma_f64 v[9:10], v[6:7], s[4:5], v[4:5]
	s_mov_b32 s4, 0x3b39803f
	s_mov_b32 s5, 0xbc7abc9e
	v_cvt_i32_f64_e32 v13, v[6:7]
	v_fma_f64 v[9:10], v[6:7], s[4:5], v[9:10]
	s_mov_b32 s4, 0xfca7ab0c
	s_mov_b32 s5, 0x3e928af3
	v_fma_f64 v[11:12], v[9:10], s[6:7], s[4:5]
	s_mov_b32 s4, 0x623fde64
	s_mov_b32 s5, 0x3ec71dee
	;; [unrolled: 3-line block ×9, first 2 shown]
	v_fma_f64 v[11:12], v[9:10], v[11:12], s[4:5]
	v_fma_f64 v[11:12], v[9:10], v[11:12], 1.0
	v_fma_f64 v[6:7], v[9:10], v[11:12], 1.0
	v_ldexp_f64 v[6:7], v[6:7], v13
	v_cndmask_b32_e32 v7, 0x7ff00000, v7, vcc_lo
	s_and_b32 vcc_lo, s1, vcc_lo
	v_cndmask_b32_e32 v4, 0, v6, vcc_lo
	v_cndmask_b32_e64 v5, 0, v7, s1
	v_add_f64 v[6:7], v[4:5], 0
	v_div_scale_f64 v[9:10], null, v[6:7], v[6:7], v[4:5]
	v_div_scale_f64 v[15:16], vcc_lo, v[4:5], v[6:7], v[4:5]
	v_rcp_f64_e32 v[11:12], v[9:10]
	v_fma_f64 v[13:14], -v[9:10], v[11:12], 1.0
	v_fma_f64 v[11:12], v[11:12], v[13:14], v[11:12]
	v_fma_f64 v[13:14], -v[9:10], v[11:12], 1.0
	v_fma_f64 v[11:12], v[11:12], v[13:14], v[11:12]
	v_mul_f64 v[13:14], v[15:16], v[11:12]
	v_fma_f64 v[9:10], -v[9:10], v[13:14], v[15:16]
	v_div_fmas_f64 v[9:10], v[9:10], v[11:12], v[13:14]
	v_cmp_neq_f64_e32 vcc_lo, 0, v[4:5]
	v_div_fixup_f64 v[6:7], v[9:10], v[6:7], v[4:5]
	v_cndmask_b32_e32 v5, 0x7ff80000, v7, vcc_lo
	v_cndmask_b32_e32 v4, 0, v6, vcc_lo
	global_store_dwordx2 v[0:1], v[4:5], off
.LBB354_7:
	s_or_b32 exec_lo, exec_lo, s2
	v_cmp_ne_u32_e32 vcc_lo, 1, v8
	s_and_b32 s0, vcc_lo, s0
	s_and_b32 exec_lo, exec_lo, s0
	s_cbranch_execz .LBB354_9
; %bb.8:
	s_waitcnt vmcnt(0)
	v_add_f64 v[2:3], v[2:3], -v[2:3]
	s_mov_b32 s0, 0x652b82fe
	s_mov_b32 s1, 0x3ff71547
	;; [unrolled: 1-line block ×5, first 2 shown]
	v_mul_f64 v[4:5], v[2:3], s[0:1]
	s_mov_b32 s0, 0xfefa39ef
	s_mov_b32 s1, 0xbfe62e42
	v_cmp_nlt_f64_e32 vcc_lo, 0x40900000, v[2:3]
	v_rndne_f64_e32 v[4:5], v[4:5]
	v_fma_f64 v[6:7], v[4:5], s[0:1], v[2:3]
	s_mov_b32 s0, 0x3b39803f
	s_mov_b32 s1, 0xbc7abc9e
	v_cvt_i32_f64_e32 v10, v[4:5]
	v_fma_f64 v[6:7], v[4:5], s[0:1], v[6:7]
	s_mov_b32 s0, 0xfca7ab0c
	s_mov_b32 s1, 0x3e928af3
	v_fma_f64 v[8:9], v[6:7], s[2:3], s[0:1]
	s_mov_b32 s0, 0x623fde64
	s_mov_b32 s1, 0x3ec71dee
	;; [unrolled: 3-line block ×9, first 2 shown]
	v_fma_f64 v[8:9], v[6:7], v[8:9], s[0:1]
	v_cmp_ngt_f64_e64 s0, 0xc090cc00, v[2:3]
	v_fma_f64 v[8:9], v[6:7], v[8:9], 1.0
	v_fma_f64 v[4:5], v[6:7], v[8:9], 1.0
	v_ldexp_f64 v[4:5], v[4:5], v10
	v_cndmask_b32_e32 v5, 0x7ff00000, v5, vcc_lo
	s_and_b32 vcc_lo, s0, vcc_lo
	v_cndmask_b32_e32 v2, 0, v4, vcc_lo
	v_cndmask_b32_e64 v3, 0, v5, s0
	s_lshl_b64 s[0:1], s[14:15], 3
	v_add_co_u32 v0, s0, v0, s0
	v_add_f64 v[4:5], v[2:3], 0
	v_add_co_ci_u32_e64 v1, null, s1, v1, s0
	v_div_scale_f64 v[6:7], null, v[4:5], v[4:5], v[2:3]
	v_div_scale_f64 v[12:13], vcc_lo, v[2:3], v[4:5], v[2:3]
	v_rcp_f64_e32 v[8:9], v[6:7]
	v_fma_f64 v[10:11], -v[6:7], v[8:9], 1.0
	v_fma_f64 v[8:9], v[8:9], v[10:11], v[8:9]
	v_fma_f64 v[10:11], -v[6:7], v[8:9], 1.0
	v_fma_f64 v[8:9], v[8:9], v[10:11], v[8:9]
	v_mul_f64 v[10:11], v[12:13], v[8:9]
	v_fma_f64 v[6:7], -v[6:7], v[10:11], v[12:13]
	v_div_fmas_f64 v[6:7], v[6:7], v[8:9], v[10:11]
	v_cmp_neq_f64_e32 vcc_lo, 0, v[2:3]
	v_div_fixup_f64 v[4:5], v[6:7], v[4:5], v[2:3]
	v_cndmask_b32_e32 v3, 0x7ff80000, v5, vcc_lo
	v_cndmask_b32_e32 v2, 0, v4, vcc_lo
	global_store_dwordx2 v[0:1], v[2:3], off
.LBB354_9:
	s_endpgm
	.section	.rodata,"a",@progbits
	.p2align	6, 0x0
	.amdhsa_kernel _ZN12_GLOBAL__N_120softmax_warp_forwardIdddLi0ELb0ELb0ELi64EEEvPT0_PKT_iiiPKbib
		.amdhsa_group_segment_fixed_size 0
		.amdhsa_private_segment_fixed_size 0
		.amdhsa_kernarg_size 304
		.amdhsa_user_sgpr_count 6
		.amdhsa_user_sgpr_private_segment_buffer 1
		.amdhsa_user_sgpr_dispatch_ptr 0
		.amdhsa_user_sgpr_queue_ptr 0
		.amdhsa_user_sgpr_kernarg_segment_ptr 1
		.amdhsa_user_sgpr_dispatch_id 0
		.amdhsa_user_sgpr_flat_scratch_init 0
		.amdhsa_user_sgpr_private_segment_size 0
		.amdhsa_wavefront_size32 1
		.amdhsa_uses_dynamic_stack 0
		.amdhsa_system_sgpr_private_segment_wavefront_offset 0
		.amdhsa_system_sgpr_workgroup_id_x 1
		.amdhsa_system_sgpr_workgroup_id_y 0
		.amdhsa_system_sgpr_workgroup_id_z 0
		.amdhsa_system_sgpr_workgroup_info 0
		.amdhsa_system_vgpr_workitem_id 1
		.amdhsa_next_free_vgpr 17
		.amdhsa_next_free_sgpr 16
		.amdhsa_reserve_vcc 1
		.amdhsa_reserve_flat_scratch 0
		.amdhsa_float_round_mode_32 0
		.amdhsa_float_round_mode_16_64 0
		.amdhsa_float_denorm_mode_32 3
		.amdhsa_float_denorm_mode_16_64 3
		.amdhsa_dx10_clamp 1
		.amdhsa_ieee_mode 1
		.amdhsa_fp16_overflow 0
		.amdhsa_workgroup_processor_mode 1
		.amdhsa_memory_ordered 1
		.amdhsa_forward_progress 1
		.amdhsa_shared_vgpr_count 0
		.amdhsa_exception_fp_ieee_invalid_op 0
		.amdhsa_exception_fp_denorm_src 0
		.amdhsa_exception_fp_ieee_div_zero 0
		.amdhsa_exception_fp_ieee_overflow 0
		.amdhsa_exception_fp_ieee_underflow 0
		.amdhsa_exception_fp_ieee_inexact 0
		.amdhsa_exception_int_div_zero 0
	.end_amdhsa_kernel
	.section	.text._ZN12_GLOBAL__N_120softmax_warp_forwardIdddLi0ELb0ELb0ELi64EEEvPT0_PKT_iiiPKbib,"axG",@progbits,_ZN12_GLOBAL__N_120softmax_warp_forwardIdddLi0ELb0ELb0ELi64EEEvPT0_PKT_iiiPKbib,comdat
.Lfunc_end354:
	.size	_ZN12_GLOBAL__N_120softmax_warp_forwardIdddLi0ELb0ELb0ELi64EEEvPT0_PKT_iiiPKbib, .Lfunc_end354-_ZN12_GLOBAL__N_120softmax_warp_forwardIdddLi0ELb0ELb0ELi64EEEvPT0_PKT_iiiPKbib
                                        ; -- End function
	.set _ZN12_GLOBAL__N_120softmax_warp_forwardIdddLi0ELb0ELb0ELi64EEEvPT0_PKT_iiiPKbib.num_vgpr, 17
	.set _ZN12_GLOBAL__N_120softmax_warp_forwardIdddLi0ELb0ELb0ELi64EEEvPT0_PKT_iiiPKbib.num_agpr, 0
	.set _ZN12_GLOBAL__N_120softmax_warp_forwardIdddLi0ELb0ELb0ELi64EEEvPT0_PKT_iiiPKbib.numbered_sgpr, 16
	.set _ZN12_GLOBAL__N_120softmax_warp_forwardIdddLi0ELb0ELb0ELi64EEEvPT0_PKT_iiiPKbib.num_named_barrier, 0
	.set _ZN12_GLOBAL__N_120softmax_warp_forwardIdddLi0ELb0ELb0ELi64EEEvPT0_PKT_iiiPKbib.private_seg_size, 0
	.set _ZN12_GLOBAL__N_120softmax_warp_forwardIdddLi0ELb0ELb0ELi64EEEvPT0_PKT_iiiPKbib.uses_vcc, 1
	.set _ZN12_GLOBAL__N_120softmax_warp_forwardIdddLi0ELb0ELb0ELi64EEEvPT0_PKT_iiiPKbib.uses_flat_scratch, 0
	.set _ZN12_GLOBAL__N_120softmax_warp_forwardIdddLi0ELb0ELb0ELi64EEEvPT0_PKT_iiiPKbib.has_dyn_sized_stack, 0
	.set _ZN12_GLOBAL__N_120softmax_warp_forwardIdddLi0ELb0ELb0ELi64EEEvPT0_PKT_iiiPKbib.has_recursion, 0
	.set _ZN12_GLOBAL__N_120softmax_warp_forwardIdddLi0ELb0ELb0ELi64EEEvPT0_PKT_iiiPKbib.has_indirect_call, 0
	.section	.AMDGPU.csdata,"",@progbits
; Kernel info:
; codeLenInByte = 1292
; TotalNumSgprs: 18
; NumVgprs: 17
; ScratchSize: 0
; MemoryBound: 1
; FloatMode: 240
; IeeeMode: 1
; LDSByteSize: 0 bytes/workgroup (compile time only)
; SGPRBlocks: 0
; VGPRBlocks: 2
; NumSGPRsForWavesPerEU: 18
; NumVGPRsForWavesPerEU: 17
; Occupancy: 16
; WaveLimiterHint : 0
; COMPUTE_PGM_RSRC2:SCRATCH_EN: 0
; COMPUTE_PGM_RSRC2:USER_SGPR: 6
; COMPUTE_PGM_RSRC2:TRAP_HANDLER: 0
; COMPUTE_PGM_RSRC2:TGID_X_EN: 1
; COMPUTE_PGM_RSRC2:TGID_Y_EN: 0
; COMPUTE_PGM_RSRC2:TGID_Z_EN: 0
; COMPUTE_PGM_RSRC2:TIDIG_COMP_CNT: 1
	.section	.text._ZN12_GLOBAL__N_120softmax_warp_forwardIdddLi0ELb0ELb0ELi32EEEvPT0_PKT_iiiPKbib,"axG",@progbits,_ZN12_GLOBAL__N_120softmax_warp_forwardIdddLi0ELb0ELb0ELi32EEEvPT0_PKT_iiiPKbib,comdat
	.globl	_ZN12_GLOBAL__N_120softmax_warp_forwardIdddLi0ELb0ELb0ELi32EEEvPT0_PKT_iiiPKbib ; -- Begin function _ZN12_GLOBAL__N_120softmax_warp_forwardIdddLi0ELb0ELb0ELi32EEEvPT0_PKT_iiiPKbib
	.p2align	8
	.type	_ZN12_GLOBAL__N_120softmax_warp_forwardIdddLi0ELb0ELb0ELi32EEEvPT0_PKT_iiiPKbib,@function
_ZN12_GLOBAL__N_120softmax_warp_forwardIdddLi0ELb0ELb0ELi32EEEvPT0_PKT_iiiPKbib: ; @_ZN12_GLOBAL__N_120softmax_warp_forwardIdddLi0ELb0ELb0ELi32EEEvPT0_PKT_iiiPKbib
; %bb.0:
	s_clause 0x1
	s_load_dword s0, s[4:5], 0x3c
	s_load_dwordx8 s[8:15], s[4:5], 0x0
	v_mov_b32_e32 v6, 0
	v_mov_b32_e32 v7, 0xfff00000
	s_waitcnt lgkmcnt(0)
	s_lshr_b32 s0, s0, 16
	s_and_b32 s0, s0, 0xffff
	s_mul_i32 s6, s6, s0
	v_cmp_gt_i32_e64 s0, s14, v0
	v_add_lshl_u32 v3, s6, v1, 1
	v_mad_u64_u32 v[1:2], null, v3, s13, v[0:1]
	v_sub_nc_u32_e32 v8, s12, v3
	v_cmp_lt_i32_e32 vcc_lo, 0, v8
	v_ashrrev_i32_e32 v2, 31, v1
	s_and_b32 s2, s0, vcc_lo
	v_lshlrev_b64 v[4:5], 3, v[1:2]
	v_mov_b32_e32 v2, 0
	v_mov_b32_e32 v3, 0xfff00000
	v_add_co_u32 v0, s1, s10, v4
	v_add_co_ci_u32_e64 v1, null, s11, v5, s1
	s_and_saveexec_b32 s1, s2
	s_cbranch_execz .LBB355_2
; %bb.1:
	global_load_dwordx2 v[6:7], v[0:1], off
.LBB355_2:
	s_or_b32 exec_lo, exec_lo, s1
	v_cmp_lt_i32_e64 s1, 1, v8
	s_and_b32 s1, s0, s1
	s_and_saveexec_b32 s2, s1
	s_cbranch_execz .LBB355_4
; %bb.3:
	s_mov_b32 s15, 0
	s_lshl_b64 s[4:5], s[14:15], 3
	v_add_co_u32 v0, s1, v0, s4
	v_add_co_ci_u32_e64 v1, null, s5, v1, s1
	global_load_dwordx2 v[2:3], v[0:1], off
.LBB355_4:
	s_or_b32 exec_lo, exec_lo, s2
	s_and_saveexec_b32 s1, vcc_lo
	s_cbranch_execz .LBB355_9
; %bb.5:
	v_add_co_u32 v0, vcc_lo, s8, v4
	v_add_co_ci_u32_e64 v1, null, s9, v5, vcc_lo
	s_and_saveexec_b32 s2, s0
	s_cbranch_execz .LBB355_7
; %bb.6:
	s_waitcnt vmcnt(0)
	v_add_f64 v[4:5], v[6:7], -v[6:7]
	s_mov_b32 s4, 0x652b82fe
	s_mov_b32 s5, 0x3ff71547
	;; [unrolled: 1-line block ×4, first 2 shown]
	v_mul_f64 v[6:7], v[4:5], s[4:5]
	s_mov_b32 s4, 0xfefa39ef
	s_mov_b32 s5, 0xbfe62e42
	v_cmp_nlt_f64_e32 vcc_lo, 0x40900000, v[4:5]
	v_cmp_ngt_f64_e64 s1, 0xc090cc00, v[4:5]
	v_rndne_f64_e32 v[6:7], v[6:7]
	v_fma_f64 v[9:10], v[6:7], s[4:5], v[4:5]
	s_mov_b32 s4, 0x3b39803f
	s_mov_b32 s5, 0xbc7abc9e
	v_cvt_i32_f64_e32 v13, v[6:7]
	v_fma_f64 v[9:10], v[6:7], s[4:5], v[9:10]
	s_mov_b32 s4, 0xfca7ab0c
	s_mov_b32 s5, 0x3e928af3
	v_fma_f64 v[11:12], v[9:10], s[6:7], s[4:5]
	s_mov_b32 s4, 0x623fde64
	s_mov_b32 s5, 0x3ec71dee
	;; [unrolled: 3-line block ×9, first 2 shown]
	v_fma_f64 v[11:12], v[9:10], v[11:12], s[4:5]
	v_fma_f64 v[11:12], v[9:10], v[11:12], 1.0
	v_fma_f64 v[6:7], v[9:10], v[11:12], 1.0
	v_ldexp_f64 v[6:7], v[6:7], v13
	v_cndmask_b32_e32 v7, 0x7ff00000, v7, vcc_lo
	s_and_b32 vcc_lo, s1, vcc_lo
	v_cndmask_b32_e32 v4, 0, v6, vcc_lo
	v_cndmask_b32_e64 v5, 0, v7, s1
	v_add_f64 v[6:7], v[4:5], 0
	v_div_scale_f64 v[9:10], null, v[6:7], v[6:7], v[4:5]
	v_div_scale_f64 v[15:16], vcc_lo, v[4:5], v[6:7], v[4:5]
	v_rcp_f64_e32 v[11:12], v[9:10]
	v_fma_f64 v[13:14], -v[9:10], v[11:12], 1.0
	v_fma_f64 v[11:12], v[11:12], v[13:14], v[11:12]
	v_fma_f64 v[13:14], -v[9:10], v[11:12], 1.0
	v_fma_f64 v[11:12], v[11:12], v[13:14], v[11:12]
	v_mul_f64 v[13:14], v[15:16], v[11:12]
	v_fma_f64 v[9:10], -v[9:10], v[13:14], v[15:16]
	v_div_fmas_f64 v[9:10], v[9:10], v[11:12], v[13:14]
	v_cmp_neq_f64_e32 vcc_lo, 0, v[4:5]
	v_div_fixup_f64 v[6:7], v[9:10], v[6:7], v[4:5]
	v_cndmask_b32_e32 v5, 0x7ff80000, v7, vcc_lo
	v_cndmask_b32_e32 v4, 0, v6, vcc_lo
	global_store_dwordx2 v[0:1], v[4:5], off
.LBB355_7:
	s_or_b32 exec_lo, exec_lo, s2
	v_cmp_ne_u32_e32 vcc_lo, 1, v8
	s_and_b32 s0, vcc_lo, s0
	s_and_b32 exec_lo, exec_lo, s0
	s_cbranch_execz .LBB355_9
; %bb.8:
	s_waitcnt vmcnt(0)
	v_add_f64 v[2:3], v[2:3], -v[2:3]
	s_mov_b32 s0, 0x652b82fe
	s_mov_b32 s1, 0x3ff71547
	;; [unrolled: 1-line block ×5, first 2 shown]
	v_mul_f64 v[4:5], v[2:3], s[0:1]
	s_mov_b32 s0, 0xfefa39ef
	s_mov_b32 s1, 0xbfe62e42
	v_cmp_nlt_f64_e32 vcc_lo, 0x40900000, v[2:3]
	v_rndne_f64_e32 v[4:5], v[4:5]
	v_fma_f64 v[6:7], v[4:5], s[0:1], v[2:3]
	s_mov_b32 s0, 0x3b39803f
	s_mov_b32 s1, 0xbc7abc9e
	v_cvt_i32_f64_e32 v10, v[4:5]
	v_fma_f64 v[6:7], v[4:5], s[0:1], v[6:7]
	s_mov_b32 s0, 0xfca7ab0c
	s_mov_b32 s1, 0x3e928af3
	v_fma_f64 v[8:9], v[6:7], s[2:3], s[0:1]
	s_mov_b32 s0, 0x623fde64
	s_mov_b32 s1, 0x3ec71dee
	;; [unrolled: 3-line block ×9, first 2 shown]
	v_fma_f64 v[8:9], v[6:7], v[8:9], s[0:1]
	v_cmp_ngt_f64_e64 s0, 0xc090cc00, v[2:3]
	v_fma_f64 v[8:9], v[6:7], v[8:9], 1.0
	v_fma_f64 v[4:5], v[6:7], v[8:9], 1.0
	v_ldexp_f64 v[4:5], v[4:5], v10
	v_cndmask_b32_e32 v5, 0x7ff00000, v5, vcc_lo
	s_and_b32 vcc_lo, s0, vcc_lo
	v_cndmask_b32_e32 v2, 0, v4, vcc_lo
	v_cndmask_b32_e64 v3, 0, v5, s0
	s_lshl_b64 s[0:1], s[14:15], 3
	v_add_co_u32 v0, s0, v0, s0
	v_add_f64 v[4:5], v[2:3], 0
	v_add_co_ci_u32_e64 v1, null, s1, v1, s0
	v_div_scale_f64 v[6:7], null, v[4:5], v[4:5], v[2:3]
	v_div_scale_f64 v[12:13], vcc_lo, v[2:3], v[4:5], v[2:3]
	v_rcp_f64_e32 v[8:9], v[6:7]
	v_fma_f64 v[10:11], -v[6:7], v[8:9], 1.0
	v_fma_f64 v[8:9], v[8:9], v[10:11], v[8:9]
	v_fma_f64 v[10:11], -v[6:7], v[8:9], 1.0
	v_fma_f64 v[8:9], v[8:9], v[10:11], v[8:9]
	v_mul_f64 v[10:11], v[12:13], v[8:9]
	v_fma_f64 v[6:7], -v[6:7], v[10:11], v[12:13]
	v_div_fmas_f64 v[6:7], v[6:7], v[8:9], v[10:11]
	v_cmp_neq_f64_e32 vcc_lo, 0, v[2:3]
	v_div_fixup_f64 v[4:5], v[6:7], v[4:5], v[2:3]
	v_cndmask_b32_e32 v3, 0x7ff80000, v5, vcc_lo
	v_cndmask_b32_e32 v2, 0, v4, vcc_lo
	global_store_dwordx2 v[0:1], v[2:3], off
.LBB355_9:
	s_endpgm
	.section	.rodata,"a",@progbits
	.p2align	6, 0x0
	.amdhsa_kernel _ZN12_GLOBAL__N_120softmax_warp_forwardIdddLi0ELb0ELb0ELi32EEEvPT0_PKT_iiiPKbib
		.amdhsa_group_segment_fixed_size 0
		.amdhsa_private_segment_fixed_size 0
		.amdhsa_kernarg_size 304
		.amdhsa_user_sgpr_count 6
		.amdhsa_user_sgpr_private_segment_buffer 1
		.amdhsa_user_sgpr_dispatch_ptr 0
		.amdhsa_user_sgpr_queue_ptr 0
		.amdhsa_user_sgpr_kernarg_segment_ptr 1
		.amdhsa_user_sgpr_dispatch_id 0
		.amdhsa_user_sgpr_flat_scratch_init 0
		.amdhsa_user_sgpr_private_segment_size 0
		.amdhsa_wavefront_size32 1
		.amdhsa_uses_dynamic_stack 0
		.amdhsa_system_sgpr_private_segment_wavefront_offset 0
		.amdhsa_system_sgpr_workgroup_id_x 1
		.amdhsa_system_sgpr_workgroup_id_y 0
		.amdhsa_system_sgpr_workgroup_id_z 0
		.amdhsa_system_sgpr_workgroup_info 0
		.amdhsa_system_vgpr_workitem_id 1
		.amdhsa_next_free_vgpr 17
		.amdhsa_next_free_sgpr 16
		.amdhsa_reserve_vcc 1
		.amdhsa_reserve_flat_scratch 0
		.amdhsa_float_round_mode_32 0
		.amdhsa_float_round_mode_16_64 0
		.amdhsa_float_denorm_mode_32 3
		.amdhsa_float_denorm_mode_16_64 3
		.amdhsa_dx10_clamp 1
		.amdhsa_ieee_mode 1
		.amdhsa_fp16_overflow 0
		.amdhsa_workgroup_processor_mode 1
		.amdhsa_memory_ordered 1
		.amdhsa_forward_progress 1
		.amdhsa_shared_vgpr_count 0
		.amdhsa_exception_fp_ieee_invalid_op 0
		.amdhsa_exception_fp_denorm_src 0
		.amdhsa_exception_fp_ieee_div_zero 0
		.amdhsa_exception_fp_ieee_overflow 0
		.amdhsa_exception_fp_ieee_underflow 0
		.amdhsa_exception_fp_ieee_inexact 0
		.amdhsa_exception_int_div_zero 0
	.end_amdhsa_kernel
	.section	.text._ZN12_GLOBAL__N_120softmax_warp_forwardIdddLi0ELb0ELb0ELi32EEEvPT0_PKT_iiiPKbib,"axG",@progbits,_ZN12_GLOBAL__N_120softmax_warp_forwardIdddLi0ELb0ELb0ELi32EEEvPT0_PKT_iiiPKbib,comdat
.Lfunc_end355:
	.size	_ZN12_GLOBAL__N_120softmax_warp_forwardIdddLi0ELb0ELb0ELi32EEEvPT0_PKT_iiiPKbib, .Lfunc_end355-_ZN12_GLOBAL__N_120softmax_warp_forwardIdddLi0ELb0ELb0ELi32EEEvPT0_PKT_iiiPKbib
                                        ; -- End function
	.set _ZN12_GLOBAL__N_120softmax_warp_forwardIdddLi0ELb0ELb0ELi32EEEvPT0_PKT_iiiPKbib.num_vgpr, 17
	.set _ZN12_GLOBAL__N_120softmax_warp_forwardIdddLi0ELb0ELb0ELi32EEEvPT0_PKT_iiiPKbib.num_agpr, 0
	.set _ZN12_GLOBAL__N_120softmax_warp_forwardIdddLi0ELb0ELb0ELi32EEEvPT0_PKT_iiiPKbib.numbered_sgpr, 16
	.set _ZN12_GLOBAL__N_120softmax_warp_forwardIdddLi0ELb0ELb0ELi32EEEvPT0_PKT_iiiPKbib.num_named_barrier, 0
	.set _ZN12_GLOBAL__N_120softmax_warp_forwardIdddLi0ELb0ELb0ELi32EEEvPT0_PKT_iiiPKbib.private_seg_size, 0
	.set _ZN12_GLOBAL__N_120softmax_warp_forwardIdddLi0ELb0ELb0ELi32EEEvPT0_PKT_iiiPKbib.uses_vcc, 1
	.set _ZN12_GLOBAL__N_120softmax_warp_forwardIdddLi0ELb0ELb0ELi32EEEvPT0_PKT_iiiPKbib.uses_flat_scratch, 0
	.set _ZN12_GLOBAL__N_120softmax_warp_forwardIdddLi0ELb0ELb0ELi32EEEvPT0_PKT_iiiPKbib.has_dyn_sized_stack, 0
	.set _ZN12_GLOBAL__N_120softmax_warp_forwardIdddLi0ELb0ELb0ELi32EEEvPT0_PKT_iiiPKbib.has_recursion, 0
	.set _ZN12_GLOBAL__N_120softmax_warp_forwardIdddLi0ELb0ELb0ELi32EEEvPT0_PKT_iiiPKbib.has_indirect_call, 0
	.section	.AMDGPU.csdata,"",@progbits
; Kernel info:
; codeLenInByte = 1292
; TotalNumSgprs: 18
; NumVgprs: 17
; ScratchSize: 0
; MemoryBound: 1
; FloatMode: 240
; IeeeMode: 1
; LDSByteSize: 0 bytes/workgroup (compile time only)
; SGPRBlocks: 0
; VGPRBlocks: 2
; NumSGPRsForWavesPerEU: 18
; NumVGPRsForWavesPerEU: 17
; Occupancy: 16
; WaveLimiterHint : 0
; COMPUTE_PGM_RSRC2:SCRATCH_EN: 0
; COMPUTE_PGM_RSRC2:USER_SGPR: 6
; COMPUTE_PGM_RSRC2:TRAP_HANDLER: 0
; COMPUTE_PGM_RSRC2:TGID_X_EN: 1
; COMPUTE_PGM_RSRC2:TGID_Y_EN: 0
; COMPUTE_PGM_RSRC2:TGID_Z_EN: 0
; COMPUTE_PGM_RSRC2:TIDIG_COMP_CNT: 1
	.section	.text._ZN12_GLOBAL__N_120softmax_warp_forwardIdddLi1ELb0ELb0ELi64EEEvPT0_PKT_iiiPKbib,"axG",@progbits,_ZN12_GLOBAL__N_120softmax_warp_forwardIdddLi1ELb0ELb0ELi64EEEvPT0_PKT_iiiPKbib,comdat
	.globl	_ZN12_GLOBAL__N_120softmax_warp_forwardIdddLi1ELb0ELb0ELi64EEEvPT0_PKT_iiiPKbib ; -- Begin function _ZN12_GLOBAL__N_120softmax_warp_forwardIdddLi1ELb0ELb0ELi64EEEvPT0_PKT_iiiPKbib
	.p2align	8
	.type	_ZN12_GLOBAL__N_120softmax_warp_forwardIdddLi1ELb0ELb0ELi64EEEvPT0_PKT_iiiPKbib,@function
_ZN12_GLOBAL__N_120softmax_warp_forwardIdddLi1ELb0ELb0ELi64EEEvPT0_PKT_iiiPKbib: ; @_ZN12_GLOBAL__N_120softmax_warp_forwardIdddLi1ELb0ELb0ELi64EEEvPT0_PKT_iiiPKbib
; %bb.0:
	s_clause 0x1
	s_load_dword s0, s[4:5], 0x3c
	s_load_dwordx8 s[8:15], s[4:5], 0x0
	v_mov_b32_e32 v5, 0
	v_mov_b32_e32 v6, 0xfff00000
	s_waitcnt lgkmcnt(0)
	s_lshr_b32 s0, s0, 16
	s_and_b32 s0, s0, 0xffff
	s_mul_i32 s6, s6, s0
	v_cmp_gt_i32_e64 s0, s14, v0
	v_add_lshl_u32 v3, s6, v1, 1
	v_mad_u64_u32 v[1:2], null, v3, s13, v[0:1]
	v_sub_nc_u32_e32 v14, s12, v3
	v_mov_b32_e32 v3, 0
	v_mov_b32_e32 v4, 0xfff00000
	v_cmp_lt_i32_e32 vcc_lo, 0, v14
	v_ashrrev_i32_e32 v2, 31, v1
	s_and_b32 s2, s0, vcc_lo
	v_lshlrev_b64 v[1:2], 3, v[1:2]
	v_add_co_u32 v7, s1, s10, v1
	v_add_co_ci_u32_e64 v8, null, s11, v2, s1
	s_and_saveexec_b32 s1, s2
	s_cbranch_execz .LBB356_2
; %bb.1:
	global_load_dwordx2 v[5:6], v[7:8], off
.LBB356_2:
	s_or_b32 exec_lo, exec_lo, s1
	v_cmp_lt_i32_e64 s1, 1, v14
	s_and_b32 s1, s0, s1
	s_and_saveexec_b32 s2, s1
	s_cbranch_execz .LBB356_4
; %bb.3:
	s_mov_b32 s15, 0
	s_lshl_b64 s[4:5], s[14:15], 3
	v_add_co_u32 v3, s1, v7, s4
	v_add_co_ci_u32_e64 v4, null, s5, v8, s1
	global_load_dwordx2 v[3:4], v[3:4], off
.LBB356_4:
	s_or_b32 exec_lo, exec_lo, s2
	v_mbcnt_lo_u32_b32 v0, -1, 0
	s_mov_b32 s4, 0x6a5dcb37
	s_mov_b32 s5, 0x3e5ade15
	v_and_b32_e32 v7, 30, v0
	v_xor_b32_e32 v8, 1, v0
	v_add_nc_u32_e32 v7, 2, v7
	v_cmp_lt_i32_e64 s1, v8, v7
	v_cndmask_b32_e64 v0, v0, v8, s1
	v_lshlrev_b32_e32 v0, 2, v0
	s_waitcnt vmcnt(0)
	ds_bpermute_b32 v7, v0, v5
	ds_bpermute_b32 v8, v0, v6
	;; [unrolled: 1-line block ×4, first 2 shown]
	s_waitcnt lgkmcnt(2)
	v_cmp_lt_f64_e64 s1, v[5:6], v[7:8]
	s_waitcnt lgkmcnt(0)
	v_cmp_lt_f64_e64 s2, v[3:4], v[9:10]
	v_cndmask_b32_e64 v8, v6, v8, s1
	v_cndmask_b32_e64 v7, v5, v7, s1
	v_cndmask_b32_e64 v10, v4, v10, s2
	v_cndmask_b32_e64 v9, v3, v9, s2
	s_mov_b32 s2, 0x652b82fe
	s_mov_b32 s3, 0x3ff71547
	v_add_f64 v[5:6], v[5:6], -v[7:8]
	v_add_f64 v[3:4], v[3:4], -v[9:10]
	v_mul_f64 v[7:8], v[5:6], s[2:3]
	v_cmp_nlt_f64_e64 s1, 0x40900000, v[5:6]
	v_mul_f64 v[9:10], v[3:4], s[2:3]
	s_mov_b32 s2, 0xfefa39ef
	s_mov_b32 s3, 0xbfe62e42
	v_rndne_f64_e32 v[7:8], v[7:8]
	v_rndne_f64_e32 v[9:10], v[9:10]
	v_fma_f64 v[11:12], v[7:8], s[2:3], v[5:6]
	v_cvt_i32_f64_e32 v13, v[7:8]
	v_fma_f64 v[15:16], v[9:10], s[2:3], v[3:4]
	s_mov_b32 s2, 0x3b39803f
	s_mov_b32 s3, 0xbc7abc9e
	v_fma_f64 v[11:12], v[7:8], s[2:3], v[11:12]
	v_fma_f64 v[15:16], v[9:10], s[2:3], v[15:16]
	s_mov_b32 s2, 0xfca7ab0c
	s_mov_b32 s3, 0x3e928af3
	v_fma_f64 v[17:18], v[11:12], s[4:5], s[2:3]
	v_fma_f64 v[19:20], v[15:16], s[4:5], s[2:3]
	s_mov_b32 s2, 0x623fde64
	s_mov_b32 s3, 0x3ec71dee
	v_cmp_ngt_f64_e64 s4, 0xc090cc00, v[3:4]
	v_fma_f64 v[17:18], v[11:12], v[17:18], s[2:3]
	v_fma_f64 v[19:20], v[15:16], v[19:20], s[2:3]
	s_mov_b32 s2, 0x7c89e6b0
	s_mov_b32 s3, 0x3efa0199
	v_fma_f64 v[17:18], v[11:12], v[17:18], s[2:3]
	v_fma_f64 v[19:20], v[15:16], v[19:20], s[2:3]
	s_mov_b32 s2, 0x14761f6e
	s_mov_b32 s3, 0x3f2a01a0
	;; [unrolled: 4-line block ×7, first 2 shown]
	v_fma_f64 v[17:18], v[11:12], v[17:18], s[2:3]
	v_fma_f64 v[19:20], v[15:16], v[19:20], s[2:3]
	v_cmp_nlt_f64_e64 s3, 0x40900000, v[3:4]
	v_cmp_ngt_f64_e64 s2, 0xc090cc00, v[5:6]
	v_fma_f64 v[17:18], v[11:12], v[17:18], 1.0
	v_fma_f64 v[19:20], v[15:16], v[19:20], 1.0
	;; [unrolled: 1-line block ×3, first 2 shown]
	v_cvt_i32_f64_e32 v11, v[9:10]
	v_fma_f64 v[9:10], v[15:16], v[19:20], 1.0
	v_ldexp_f64 v[7:8], v[7:8], v13
	v_ldexp_f64 v[10:11], v[9:10], v11
	v_cndmask_b32_e64 v8, 0x7ff00000, v8, s1
	s_and_b32 s1, s2, s1
	v_cndmask_b32_e64 v5, 0x7ff00000, v11, s3
	v_cndmask_b32_e64 v9, 0, v8, s2
	;; [unrolled: 1-line block ×3, first 2 shown]
	s_and_b32 s1, s4, s3
	v_cndmask_b32_e64 v4, 0, v5, s4
	v_cndmask_b32_e64 v3, 0, v10, s1
	v_add_f64 v[10:11], v[8:9], 0
	v_add_f64 v[5:6], v[3:4], 0
	ds_bpermute_b32 v12, v0, v10
	ds_bpermute_b32 v13, v0, v11
	;; [unrolled: 1-line block ×4, first 2 shown]
	s_and_saveexec_b32 s1, vcc_lo
	s_cbranch_execz .LBB356_9
; %bb.5:
	v_add_co_u32 v0, vcc_lo, s8, v1
	v_add_co_ci_u32_e64 v1, null, s9, v2, vcc_lo
	s_and_saveexec_b32 s1, s0
	s_cbranch_execz .LBB356_7
; %bb.6:
	s_waitcnt lgkmcnt(2)
	v_add_f64 v[10:11], v[10:11], v[12:13]
	v_div_scale_f64 v[12:13], null, v[10:11], v[10:11], v[8:9]
	v_div_scale_f64 v[20:21], vcc_lo, v[8:9], v[10:11], v[8:9]
	v_rcp_f64_e32 v[16:17], v[12:13]
	v_fma_f64 v[18:19], -v[12:13], v[16:17], 1.0
	v_fma_f64 v[16:17], v[16:17], v[18:19], v[16:17]
	v_fma_f64 v[18:19], -v[12:13], v[16:17], 1.0
	v_fma_f64 v[16:17], v[16:17], v[18:19], v[16:17]
	v_mul_f64 v[18:19], v[20:21], v[16:17]
	v_fma_f64 v[12:13], -v[12:13], v[18:19], v[20:21]
	v_div_fmas_f64 v[12:13], v[12:13], v[16:17], v[18:19]
	v_cmp_neq_f64_e32 vcc_lo, 0, v[10:11]
	v_div_fixup_f64 v[8:9], v[12:13], v[10:11], v[8:9]
	v_cndmask_b32_e32 v9, 0x7ff80000, v9, vcc_lo
	v_cndmask_b32_e32 v8, 0, v8, vcc_lo
	global_store_dwordx2 v[0:1], v[8:9], off
.LBB356_7:
	s_or_b32 exec_lo, exec_lo, s1
	v_cmp_ne_u32_e32 vcc_lo, 1, v14
	s_and_b32 s0, vcc_lo, s0
	s_and_b32 exec_lo, exec_lo, s0
	s_cbranch_execz .LBB356_9
; %bb.8:
	s_waitcnt lgkmcnt(0)
	v_mov_b32_e32 v8, v15
	s_mov_b32 s15, 0
	s_lshl_b64 s[0:1], s[14:15], 3
	v_add_co_u32 v0, s0, v0, s0
	v_add_f64 v[5:6], v[5:6], v[7:8]
	v_add_co_ci_u32_e64 v1, null, s1, v1, s0
	v_div_scale_f64 v[7:8], null, v[5:6], v[5:6], v[3:4]
	v_div_scale_f64 v[13:14], vcc_lo, v[3:4], v[5:6], v[3:4]
	v_rcp_f64_e32 v[9:10], v[7:8]
	v_fma_f64 v[11:12], -v[7:8], v[9:10], 1.0
	v_fma_f64 v[9:10], v[9:10], v[11:12], v[9:10]
	v_fma_f64 v[11:12], -v[7:8], v[9:10], 1.0
	v_fma_f64 v[9:10], v[9:10], v[11:12], v[9:10]
	v_mul_f64 v[11:12], v[13:14], v[9:10]
	v_fma_f64 v[7:8], -v[7:8], v[11:12], v[13:14]
	v_div_fmas_f64 v[7:8], v[7:8], v[9:10], v[11:12]
	v_cmp_neq_f64_e32 vcc_lo, 0, v[5:6]
	v_div_fixup_f64 v[2:3], v[7:8], v[5:6], v[3:4]
	v_cndmask_b32_e32 v3, 0x7ff80000, v3, vcc_lo
	v_cndmask_b32_e32 v2, 0, v2, vcc_lo
	global_store_dwordx2 v[0:1], v[2:3], off
.LBB356_9:
	s_endpgm
	.section	.rodata,"a",@progbits
	.p2align	6, 0x0
	.amdhsa_kernel _ZN12_GLOBAL__N_120softmax_warp_forwardIdddLi1ELb0ELb0ELi64EEEvPT0_PKT_iiiPKbib
		.amdhsa_group_segment_fixed_size 0
		.amdhsa_private_segment_fixed_size 0
		.amdhsa_kernarg_size 304
		.amdhsa_user_sgpr_count 6
		.amdhsa_user_sgpr_private_segment_buffer 1
		.amdhsa_user_sgpr_dispatch_ptr 0
		.amdhsa_user_sgpr_queue_ptr 0
		.amdhsa_user_sgpr_kernarg_segment_ptr 1
		.amdhsa_user_sgpr_dispatch_id 0
		.amdhsa_user_sgpr_flat_scratch_init 0
		.amdhsa_user_sgpr_private_segment_size 0
		.amdhsa_wavefront_size32 1
		.amdhsa_uses_dynamic_stack 0
		.amdhsa_system_sgpr_private_segment_wavefront_offset 0
		.amdhsa_system_sgpr_workgroup_id_x 1
		.amdhsa_system_sgpr_workgroup_id_y 0
		.amdhsa_system_sgpr_workgroup_id_z 0
		.amdhsa_system_sgpr_workgroup_info 0
		.amdhsa_system_vgpr_workitem_id 1
		.amdhsa_next_free_vgpr 22
		.amdhsa_next_free_sgpr 16
		.amdhsa_reserve_vcc 1
		.amdhsa_reserve_flat_scratch 0
		.amdhsa_float_round_mode_32 0
		.amdhsa_float_round_mode_16_64 0
		.amdhsa_float_denorm_mode_32 3
		.amdhsa_float_denorm_mode_16_64 3
		.amdhsa_dx10_clamp 1
		.amdhsa_ieee_mode 1
		.amdhsa_fp16_overflow 0
		.amdhsa_workgroup_processor_mode 1
		.amdhsa_memory_ordered 1
		.amdhsa_forward_progress 1
		.amdhsa_shared_vgpr_count 0
		.amdhsa_exception_fp_ieee_invalid_op 0
		.amdhsa_exception_fp_denorm_src 0
		.amdhsa_exception_fp_ieee_div_zero 0
		.amdhsa_exception_fp_ieee_overflow 0
		.amdhsa_exception_fp_ieee_underflow 0
		.amdhsa_exception_fp_ieee_inexact 0
		.amdhsa_exception_int_div_zero 0
	.end_amdhsa_kernel
	.section	.text._ZN12_GLOBAL__N_120softmax_warp_forwardIdddLi1ELb0ELb0ELi64EEEvPT0_PKT_iiiPKbib,"axG",@progbits,_ZN12_GLOBAL__N_120softmax_warp_forwardIdddLi1ELb0ELb0ELi64EEEvPT0_PKT_iiiPKbib,comdat
.Lfunc_end356:
	.size	_ZN12_GLOBAL__N_120softmax_warp_forwardIdddLi1ELb0ELb0ELi64EEEvPT0_PKT_iiiPKbib, .Lfunc_end356-_ZN12_GLOBAL__N_120softmax_warp_forwardIdddLi1ELb0ELb0ELi64EEEvPT0_PKT_iiiPKbib
                                        ; -- End function
	.set _ZN12_GLOBAL__N_120softmax_warp_forwardIdddLi1ELb0ELb0ELi64EEEvPT0_PKT_iiiPKbib.num_vgpr, 22
	.set _ZN12_GLOBAL__N_120softmax_warp_forwardIdddLi1ELb0ELb0ELi64EEEvPT0_PKT_iiiPKbib.num_agpr, 0
	.set _ZN12_GLOBAL__N_120softmax_warp_forwardIdddLi1ELb0ELb0ELi64EEEvPT0_PKT_iiiPKbib.numbered_sgpr, 16
	.set _ZN12_GLOBAL__N_120softmax_warp_forwardIdddLi1ELb0ELb0ELi64EEEvPT0_PKT_iiiPKbib.num_named_barrier, 0
	.set _ZN12_GLOBAL__N_120softmax_warp_forwardIdddLi1ELb0ELb0ELi64EEEvPT0_PKT_iiiPKbib.private_seg_size, 0
	.set _ZN12_GLOBAL__N_120softmax_warp_forwardIdddLi1ELb0ELb0ELi64EEEvPT0_PKT_iiiPKbib.uses_vcc, 1
	.set _ZN12_GLOBAL__N_120softmax_warp_forwardIdddLi1ELb0ELb0ELi64EEEvPT0_PKT_iiiPKbib.uses_flat_scratch, 0
	.set _ZN12_GLOBAL__N_120softmax_warp_forwardIdddLi1ELb0ELb0ELi64EEEvPT0_PKT_iiiPKbib.has_dyn_sized_stack, 0
	.set _ZN12_GLOBAL__N_120softmax_warp_forwardIdddLi1ELb0ELb0ELi64EEEvPT0_PKT_iiiPKbib.has_recursion, 0
	.set _ZN12_GLOBAL__N_120softmax_warp_forwardIdddLi1ELb0ELb0ELi64EEEvPT0_PKT_iiiPKbib.has_indirect_call, 0
	.section	.AMDGPU.csdata,"",@progbits
; Kernel info:
; codeLenInByte = 1296
; TotalNumSgprs: 18
; NumVgprs: 22
; ScratchSize: 0
; MemoryBound: 1
; FloatMode: 240
; IeeeMode: 1
; LDSByteSize: 0 bytes/workgroup (compile time only)
; SGPRBlocks: 0
; VGPRBlocks: 2
; NumSGPRsForWavesPerEU: 18
; NumVGPRsForWavesPerEU: 22
; Occupancy: 16
; WaveLimiterHint : 0
; COMPUTE_PGM_RSRC2:SCRATCH_EN: 0
; COMPUTE_PGM_RSRC2:USER_SGPR: 6
; COMPUTE_PGM_RSRC2:TRAP_HANDLER: 0
; COMPUTE_PGM_RSRC2:TGID_X_EN: 1
; COMPUTE_PGM_RSRC2:TGID_Y_EN: 0
; COMPUTE_PGM_RSRC2:TGID_Z_EN: 0
; COMPUTE_PGM_RSRC2:TIDIG_COMP_CNT: 1
	.section	.text._ZN12_GLOBAL__N_120softmax_warp_forwardIdddLi1ELb0ELb0ELi32EEEvPT0_PKT_iiiPKbib,"axG",@progbits,_ZN12_GLOBAL__N_120softmax_warp_forwardIdddLi1ELb0ELb0ELi32EEEvPT0_PKT_iiiPKbib,comdat
	.globl	_ZN12_GLOBAL__N_120softmax_warp_forwardIdddLi1ELb0ELb0ELi32EEEvPT0_PKT_iiiPKbib ; -- Begin function _ZN12_GLOBAL__N_120softmax_warp_forwardIdddLi1ELb0ELb0ELi32EEEvPT0_PKT_iiiPKbib
	.p2align	8
	.type	_ZN12_GLOBAL__N_120softmax_warp_forwardIdddLi1ELb0ELb0ELi32EEEvPT0_PKT_iiiPKbib,@function
_ZN12_GLOBAL__N_120softmax_warp_forwardIdddLi1ELb0ELb0ELi32EEEvPT0_PKT_iiiPKbib: ; @_ZN12_GLOBAL__N_120softmax_warp_forwardIdddLi1ELb0ELb0ELi32EEEvPT0_PKT_iiiPKbib
; %bb.0:
	s_clause 0x1
	s_load_dword s0, s[4:5], 0x3c
	s_load_dwordx8 s[8:15], s[4:5], 0x0
	v_mov_b32_e32 v5, 0
	v_mov_b32_e32 v6, 0xfff00000
	s_waitcnt lgkmcnt(0)
	s_lshr_b32 s0, s0, 16
	s_and_b32 s0, s0, 0xffff
	s_mul_i32 s6, s6, s0
	v_cmp_gt_i32_e64 s0, s14, v0
	v_add_lshl_u32 v3, s6, v1, 1
	v_mad_u64_u32 v[1:2], null, v3, s13, v[0:1]
	v_sub_nc_u32_e32 v14, s12, v3
	v_mov_b32_e32 v3, 0
	v_mov_b32_e32 v4, 0xfff00000
	v_cmp_lt_i32_e32 vcc_lo, 0, v14
	v_ashrrev_i32_e32 v2, 31, v1
	s_and_b32 s2, s0, vcc_lo
	v_lshlrev_b64 v[1:2], 3, v[1:2]
	v_add_co_u32 v7, s1, s10, v1
	v_add_co_ci_u32_e64 v8, null, s11, v2, s1
	s_and_saveexec_b32 s1, s2
	s_cbranch_execz .LBB357_2
; %bb.1:
	global_load_dwordx2 v[5:6], v[7:8], off
.LBB357_2:
	s_or_b32 exec_lo, exec_lo, s1
	v_cmp_lt_i32_e64 s1, 1, v14
	s_and_b32 s1, s0, s1
	s_and_saveexec_b32 s2, s1
	s_cbranch_execz .LBB357_4
; %bb.3:
	s_mov_b32 s15, 0
	s_lshl_b64 s[4:5], s[14:15], 3
	v_add_co_u32 v3, s1, v7, s4
	v_add_co_ci_u32_e64 v4, null, s5, v8, s1
	global_load_dwordx2 v[3:4], v[3:4], off
.LBB357_4:
	s_or_b32 exec_lo, exec_lo, s2
	v_mbcnt_lo_u32_b32 v0, -1, 0
	s_mov_b32 s4, 0x6a5dcb37
	s_mov_b32 s5, 0x3e5ade15
	v_and_b32_e32 v7, 30, v0
	v_xor_b32_e32 v8, 1, v0
	v_add_nc_u32_e32 v7, 2, v7
	v_cmp_lt_i32_e64 s1, v8, v7
	v_cndmask_b32_e64 v0, v0, v8, s1
	v_lshlrev_b32_e32 v0, 2, v0
	s_waitcnt vmcnt(0)
	ds_bpermute_b32 v7, v0, v5
	ds_bpermute_b32 v8, v0, v6
	;; [unrolled: 1-line block ×4, first 2 shown]
	s_waitcnt lgkmcnt(2)
	v_cmp_lt_f64_e64 s1, v[5:6], v[7:8]
	s_waitcnt lgkmcnt(0)
	v_cmp_lt_f64_e64 s2, v[3:4], v[9:10]
	v_cndmask_b32_e64 v8, v6, v8, s1
	v_cndmask_b32_e64 v7, v5, v7, s1
	;; [unrolled: 1-line block ×4, first 2 shown]
	s_mov_b32 s2, 0x652b82fe
	s_mov_b32 s3, 0x3ff71547
	v_add_f64 v[5:6], v[5:6], -v[7:8]
	v_add_f64 v[3:4], v[3:4], -v[9:10]
	v_mul_f64 v[7:8], v[5:6], s[2:3]
	v_cmp_nlt_f64_e64 s1, 0x40900000, v[5:6]
	v_mul_f64 v[9:10], v[3:4], s[2:3]
	s_mov_b32 s2, 0xfefa39ef
	s_mov_b32 s3, 0xbfe62e42
	v_rndne_f64_e32 v[7:8], v[7:8]
	v_rndne_f64_e32 v[9:10], v[9:10]
	v_fma_f64 v[11:12], v[7:8], s[2:3], v[5:6]
	v_cvt_i32_f64_e32 v13, v[7:8]
	v_fma_f64 v[15:16], v[9:10], s[2:3], v[3:4]
	s_mov_b32 s2, 0x3b39803f
	s_mov_b32 s3, 0xbc7abc9e
	v_fma_f64 v[11:12], v[7:8], s[2:3], v[11:12]
	v_fma_f64 v[15:16], v[9:10], s[2:3], v[15:16]
	s_mov_b32 s2, 0xfca7ab0c
	s_mov_b32 s3, 0x3e928af3
	v_fma_f64 v[17:18], v[11:12], s[4:5], s[2:3]
	v_fma_f64 v[19:20], v[15:16], s[4:5], s[2:3]
	s_mov_b32 s2, 0x623fde64
	s_mov_b32 s3, 0x3ec71dee
	v_cmp_ngt_f64_e64 s4, 0xc090cc00, v[3:4]
	v_fma_f64 v[17:18], v[11:12], v[17:18], s[2:3]
	v_fma_f64 v[19:20], v[15:16], v[19:20], s[2:3]
	s_mov_b32 s2, 0x7c89e6b0
	s_mov_b32 s3, 0x3efa0199
	v_fma_f64 v[17:18], v[11:12], v[17:18], s[2:3]
	v_fma_f64 v[19:20], v[15:16], v[19:20], s[2:3]
	s_mov_b32 s2, 0x14761f6e
	s_mov_b32 s3, 0x3f2a01a0
	;; [unrolled: 4-line block ×7, first 2 shown]
	v_fma_f64 v[17:18], v[11:12], v[17:18], s[2:3]
	v_fma_f64 v[19:20], v[15:16], v[19:20], s[2:3]
	v_cmp_nlt_f64_e64 s3, 0x40900000, v[3:4]
	v_cmp_ngt_f64_e64 s2, 0xc090cc00, v[5:6]
	v_fma_f64 v[17:18], v[11:12], v[17:18], 1.0
	v_fma_f64 v[19:20], v[15:16], v[19:20], 1.0
	;; [unrolled: 1-line block ×3, first 2 shown]
	v_cvt_i32_f64_e32 v11, v[9:10]
	v_fma_f64 v[9:10], v[15:16], v[19:20], 1.0
	v_ldexp_f64 v[7:8], v[7:8], v13
	v_ldexp_f64 v[10:11], v[9:10], v11
	v_cndmask_b32_e64 v8, 0x7ff00000, v8, s1
	s_and_b32 s1, s2, s1
	v_cndmask_b32_e64 v5, 0x7ff00000, v11, s3
	v_cndmask_b32_e64 v9, 0, v8, s2
	;; [unrolled: 1-line block ×3, first 2 shown]
	s_and_b32 s1, s4, s3
	v_cndmask_b32_e64 v4, 0, v5, s4
	v_cndmask_b32_e64 v3, 0, v10, s1
	v_add_f64 v[10:11], v[8:9], 0
	v_add_f64 v[5:6], v[3:4], 0
	ds_bpermute_b32 v12, v0, v10
	ds_bpermute_b32 v13, v0, v11
	;; [unrolled: 1-line block ×4, first 2 shown]
	s_and_saveexec_b32 s1, vcc_lo
	s_cbranch_execz .LBB357_9
; %bb.5:
	v_add_co_u32 v0, vcc_lo, s8, v1
	v_add_co_ci_u32_e64 v1, null, s9, v2, vcc_lo
	s_and_saveexec_b32 s1, s0
	s_cbranch_execz .LBB357_7
; %bb.6:
	s_waitcnt lgkmcnt(2)
	v_add_f64 v[10:11], v[10:11], v[12:13]
	v_div_scale_f64 v[12:13], null, v[10:11], v[10:11], v[8:9]
	v_div_scale_f64 v[20:21], vcc_lo, v[8:9], v[10:11], v[8:9]
	v_rcp_f64_e32 v[16:17], v[12:13]
	v_fma_f64 v[18:19], -v[12:13], v[16:17], 1.0
	v_fma_f64 v[16:17], v[16:17], v[18:19], v[16:17]
	v_fma_f64 v[18:19], -v[12:13], v[16:17], 1.0
	v_fma_f64 v[16:17], v[16:17], v[18:19], v[16:17]
	v_mul_f64 v[18:19], v[20:21], v[16:17]
	v_fma_f64 v[12:13], -v[12:13], v[18:19], v[20:21]
	v_div_fmas_f64 v[12:13], v[12:13], v[16:17], v[18:19]
	v_cmp_neq_f64_e32 vcc_lo, 0, v[10:11]
	v_div_fixup_f64 v[8:9], v[12:13], v[10:11], v[8:9]
	v_cndmask_b32_e32 v9, 0x7ff80000, v9, vcc_lo
	v_cndmask_b32_e32 v8, 0, v8, vcc_lo
	global_store_dwordx2 v[0:1], v[8:9], off
.LBB357_7:
	s_or_b32 exec_lo, exec_lo, s1
	v_cmp_ne_u32_e32 vcc_lo, 1, v14
	s_and_b32 s0, vcc_lo, s0
	s_and_b32 exec_lo, exec_lo, s0
	s_cbranch_execz .LBB357_9
; %bb.8:
	s_waitcnt lgkmcnt(0)
	v_mov_b32_e32 v8, v15
	s_mov_b32 s15, 0
	s_lshl_b64 s[0:1], s[14:15], 3
	v_add_co_u32 v0, s0, v0, s0
	v_add_f64 v[5:6], v[5:6], v[7:8]
	v_add_co_ci_u32_e64 v1, null, s1, v1, s0
	v_div_scale_f64 v[7:8], null, v[5:6], v[5:6], v[3:4]
	v_div_scale_f64 v[13:14], vcc_lo, v[3:4], v[5:6], v[3:4]
	v_rcp_f64_e32 v[9:10], v[7:8]
	v_fma_f64 v[11:12], -v[7:8], v[9:10], 1.0
	v_fma_f64 v[9:10], v[9:10], v[11:12], v[9:10]
	v_fma_f64 v[11:12], -v[7:8], v[9:10], 1.0
	v_fma_f64 v[9:10], v[9:10], v[11:12], v[9:10]
	v_mul_f64 v[11:12], v[13:14], v[9:10]
	v_fma_f64 v[7:8], -v[7:8], v[11:12], v[13:14]
	v_div_fmas_f64 v[7:8], v[7:8], v[9:10], v[11:12]
	v_cmp_neq_f64_e32 vcc_lo, 0, v[5:6]
	v_div_fixup_f64 v[2:3], v[7:8], v[5:6], v[3:4]
	v_cndmask_b32_e32 v3, 0x7ff80000, v3, vcc_lo
	v_cndmask_b32_e32 v2, 0, v2, vcc_lo
	global_store_dwordx2 v[0:1], v[2:3], off
.LBB357_9:
	s_endpgm
	.section	.rodata,"a",@progbits
	.p2align	6, 0x0
	.amdhsa_kernel _ZN12_GLOBAL__N_120softmax_warp_forwardIdddLi1ELb0ELb0ELi32EEEvPT0_PKT_iiiPKbib
		.amdhsa_group_segment_fixed_size 0
		.amdhsa_private_segment_fixed_size 0
		.amdhsa_kernarg_size 304
		.amdhsa_user_sgpr_count 6
		.amdhsa_user_sgpr_private_segment_buffer 1
		.amdhsa_user_sgpr_dispatch_ptr 0
		.amdhsa_user_sgpr_queue_ptr 0
		.amdhsa_user_sgpr_kernarg_segment_ptr 1
		.amdhsa_user_sgpr_dispatch_id 0
		.amdhsa_user_sgpr_flat_scratch_init 0
		.amdhsa_user_sgpr_private_segment_size 0
		.amdhsa_wavefront_size32 1
		.amdhsa_uses_dynamic_stack 0
		.amdhsa_system_sgpr_private_segment_wavefront_offset 0
		.amdhsa_system_sgpr_workgroup_id_x 1
		.amdhsa_system_sgpr_workgroup_id_y 0
		.amdhsa_system_sgpr_workgroup_id_z 0
		.amdhsa_system_sgpr_workgroup_info 0
		.amdhsa_system_vgpr_workitem_id 1
		.amdhsa_next_free_vgpr 22
		.amdhsa_next_free_sgpr 16
		.amdhsa_reserve_vcc 1
		.amdhsa_reserve_flat_scratch 0
		.amdhsa_float_round_mode_32 0
		.amdhsa_float_round_mode_16_64 0
		.amdhsa_float_denorm_mode_32 3
		.amdhsa_float_denorm_mode_16_64 3
		.amdhsa_dx10_clamp 1
		.amdhsa_ieee_mode 1
		.amdhsa_fp16_overflow 0
		.amdhsa_workgroup_processor_mode 1
		.amdhsa_memory_ordered 1
		.amdhsa_forward_progress 1
		.amdhsa_shared_vgpr_count 0
		.amdhsa_exception_fp_ieee_invalid_op 0
		.amdhsa_exception_fp_denorm_src 0
		.amdhsa_exception_fp_ieee_div_zero 0
		.amdhsa_exception_fp_ieee_overflow 0
		.amdhsa_exception_fp_ieee_underflow 0
		.amdhsa_exception_fp_ieee_inexact 0
		.amdhsa_exception_int_div_zero 0
	.end_amdhsa_kernel
	.section	.text._ZN12_GLOBAL__N_120softmax_warp_forwardIdddLi1ELb0ELb0ELi32EEEvPT0_PKT_iiiPKbib,"axG",@progbits,_ZN12_GLOBAL__N_120softmax_warp_forwardIdddLi1ELb0ELb0ELi32EEEvPT0_PKT_iiiPKbib,comdat
.Lfunc_end357:
	.size	_ZN12_GLOBAL__N_120softmax_warp_forwardIdddLi1ELb0ELb0ELi32EEEvPT0_PKT_iiiPKbib, .Lfunc_end357-_ZN12_GLOBAL__N_120softmax_warp_forwardIdddLi1ELb0ELb0ELi32EEEvPT0_PKT_iiiPKbib
                                        ; -- End function
	.set _ZN12_GLOBAL__N_120softmax_warp_forwardIdddLi1ELb0ELb0ELi32EEEvPT0_PKT_iiiPKbib.num_vgpr, 22
	.set _ZN12_GLOBAL__N_120softmax_warp_forwardIdddLi1ELb0ELb0ELi32EEEvPT0_PKT_iiiPKbib.num_agpr, 0
	.set _ZN12_GLOBAL__N_120softmax_warp_forwardIdddLi1ELb0ELb0ELi32EEEvPT0_PKT_iiiPKbib.numbered_sgpr, 16
	.set _ZN12_GLOBAL__N_120softmax_warp_forwardIdddLi1ELb0ELb0ELi32EEEvPT0_PKT_iiiPKbib.num_named_barrier, 0
	.set _ZN12_GLOBAL__N_120softmax_warp_forwardIdddLi1ELb0ELb0ELi32EEEvPT0_PKT_iiiPKbib.private_seg_size, 0
	.set _ZN12_GLOBAL__N_120softmax_warp_forwardIdddLi1ELb0ELb0ELi32EEEvPT0_PKT_iiiPKbib.uses_vcc, 1
	.set _ZN12_GLOBAL__N_120softmax_warp_forwardIdddLi1ELb0ELb0ELi32EEEvPT0_PKT_iiiPKbib.uses_flat_scratch, 0
	.set _ZN12_GLOBAL__N_120softmax_warp_forwardIdddLi1ELb0ELb0ELi32EEEvPT0_PKT_iiiPKbib.has_dyn_sized_stack, 0
	.set _ZN12_GLOBAL__N_120softmax_warp_forwardIdddLi1ELb0ELb0ELi32EEEvPT0_PKT_iiiPKbib.has_recursion, 0
	.set _ZN12_GLOBAL__N_120softmax_warp_forwardIdddLi1ELb0ELb0ELi32EEEvPT0_PKT_iiiPKbib.has_indirect_call, 0
	.section	.AMDGPU.csdata,"",@progbits
; Kernel info:
; codeLenInByte = 1296
; TotalNumSgprs: 18
; NumVgprs: 22
; ScratchSize: 0
; MemoryBound: 1
; FloatMode: 240
; IeeeMode: 1
; LDSByteSize: 0 bytes/workgroup (compile time only)
; SGPRBlocks: 0
; VGPRBlocks: 2
; NumSGPRsForWavesPerEU: 18
; NumVGPRsForWavesPerEU: 22
; Occupancy: 16
; WaveLimiterHint : 0
; COMPUTE_PGM_RSRC2:SCRATCH_EN: 0
; COMPUTE_PGM_RSRC2:USER_SGPR: 6
; COMPUTE_PGM_RSRC2:TRAP_HANDLER: 0
; COMPUTE_PGM_RSRC2:TGID_X_EN: 1
; COMPUTE_PGM_RSRC2:TGID_Y_EN: 0
; COMPUTE_PGM_RSRC2:TGID_Z_EN: 0
; COMPUTE_PGM_RSRC2:TIDIG_COMP_CNT: 1
	.section	.text._ZN12_GLOBAL__N_120softmax_warp_forwardIdddLi2ELb0ELb0ELi64EEEvPT0_PKT_iiiPKbib,"axG",@progbits,_ZN12_GLOBAL__N_120softmax_warp_forwardIdddLi2ELb0ELb0ELi64EEEvPT0_PKT_iiiPKbib,comdat
	.globl	_ZN12_GLOBAL__N_120softmax_warp_forwardIdddLi2ELb0ELb0ELi64EEEvPT0_PKT_iiiPKbib ; -- Begin function _ZN12_GLOBAL__N_120softmax_warp_forwardIdddLi2ELb0ELb0ELi64EEEvPT0_PKT_iiiPKbib
	.p2align	8
	.type	_ZN12_GLOBAL__N_120softmax_warp_forwardIdddLi2ELb0ELb0ELi64EEEvPT0_PKT_iiiPKbib,@function
_ZN12_GLOBAL__N_120softmax_warp_forwardIdddLi2ELb0ELb0ELi64EEEvPT0_PKT_iiiPKbib: ; @_ZN12_GLOBAL__N_120softmax_warp_forwardIdddLi2ELb0ELb0ELi64EEEvPT0_PKT_iiiPKbib
; %bb.0:
	s_clause 0x1
	s_load_dword s0, s[4:5], 0x3c
	s_load_dwordx8 s[8:15], s[4:5], 0x0
	v_mov_b32_e32 v5, 0
	v_mov_b32_e32 v6, 0xfff00000
	s_waitcnt lgkmcnt(0)
	s_lshr_b32 s0, s0, 16
	s_and_b32 s0, s0, 0xffff
	s_mul_i32 s6, s6, s0
	v_cmp_gt_i32_e64 s0, s14, v0
	v_add_lshl_u32 v3, s6, v1, 1
	v_mad_u64_u32 v[1:2], null, v3, s13, v[0:1]
	v_sub_nc_u32_e32 v14, s12, v3
	v_mov_b32_e32 v3, 0
	v_mov_b32_e32 v4, 0xfff00000
	v_cmp_lt_i32_e32 vcc_lo, 0, v14
	v_ashrrev_i32_e32 v2, 31, v1
	s_and_b32 s2, s0, vcc_lo
	v_lshlrev_b64 v[1:2], 3, v[1:2]
	v_add_co_u32 v7, s1, s10, v1
	v_add_co_ci_u32_e64 v8, null, s11, v2, s1
	s_and_saveexec_b32 s1, s2
	s_cbranch_execz .LBB358_2
; %bb.1:
	global_load_dwordx2 v[5:6], v[7:8], off
.LBB358_2:
	s_or_b32 exec_lo, exec_lo, s1
	v_cmp_lt_i32_e64 s1, 1, v14
	s_and_b32 s1, s0, s1
	s_and_saveexec_b32 s2, s1
	s_cbranch_execz .LBB358_4
; %bb.3:
	s_mov_b32 s15, 0
	s_lshl_b64 s[4:5], s[14:15], 3
	v_add_co_u32 v3, s1, v7, s4
	v_add_co_ci_u32_e64 v4, null, s5, v8, s1
	global_load_dwordx2 v[3:4], v[3:4], off
.LBB358_4:
	s_or_b32 exec_lo, exec_lo, s2
	v_mbcnt_lo_u32_b32 v0, -1, 0
	s_mov_b32 s4, 0x6a5dcb37
	s_mov_b32 s5, 0x3e5ade15
	v_and_b32_e32 v7, 28, v0
	v_xor_b32_e32 v8, 2, v0
	v_xor_b32_e32 v12, 1, v0
	v_add_nc_u32_e32 v11, 4, v7
	v_cmp_lt_i32_e64 s1, v8, v11
	v_cmp_lt_i32_e64 s3, v12, v11
	v_cndmask_b32_e64 v7, v0, v8, s1
	v_cndmask_b32_e64 v0, v0, v12, s3
	v_lshlrev_b32_e32 v21, 2, v7
	v_lshlrev_b32_e32 v0, 2, v0
	s_waitcnt vmcnt(0)
	ds_bpermute_b32 v7, v21, v5
	ds_bpermute_b32 v8, v21, v6
	ds_bpermute_b32 v9, v21, v3
	ds_bpermute_b32 v10, v21, v4
	s_waitcnt lgkmcnt(2)
	v_cmp_lt_f64_e64 s1, v[5:6], v[7:8]
	s_waitcnt lgkmcnt(0)
	v_cmp_lt_f64_e64 s2, v[3:4], v[9:10]
	v_cndmask_b32_e64 v8, v6, v8, s1
	v_cndmask_b32_e64 v7, v5, v7, s1
	;; [unrolled: 1-line block ×4, first 2 shown]
	ds_bpermute_b32 v12, v0, v8
	ds_bpermute_b32 v11, v0, v7
	;; [unrolled: 1-line block ×4, first 2 shown]
	s_waitcnt lgkmcnt(2)
	v_cmp_lt_f64_e64 s1, v[7:8], v[11:12]
	s_waitcnt lgkmcnt(0)
	v_cmp_lt_f64_e64 s2, v[9:10], v[15:16]
	v_cndmask_b32_e64 v8, v8, v12, s1
	v_cndmask_b32_e64 v7, v7, v11, s1
	;; [unrolled: 1-line block ×4, first 2 shown]
	s_mov_b32 s2, 0x652b82fe
	s_mov_b32 s3, 0x3ff71547
	v_add_f64 v[5:6], v[5:6], -v[7:8]
	v_add_f64 v[3:4], v[3:4], -v[9:10]
	v_mul_f64 v[7:8], v[5:6], s[2:3]
	v_cmp_nlt_f64_e64 s1, 0x40900000, v[5:6]
	v_mul_f64 v[9:10], v[3:4], s[2:3]
	s_mov_b32 s2, 0xfefa39ef
	s_mov_b32 s3, 0xbfe62e42
	v_rndne_f64_e32 v[7:8], v[7:8]
	v_rndne_f64_e32 v[9:10], v[9:10]
	v_fma_f64 v[11:12], v[7:8], s[2:3], v[5:6]
	v_cvt_i32_f64_e32 v13, v[7:8]
	v_fma_f64 v[15:16], v[9:10], s[2:3], v[3:4]
	s_mov_b32 s2, 0x3b39803f
	s_mov_b32 s3, 0xbc7abc9e
	v_fma_f64 v[11:12], v[7:8], s[2:3], v[11:12]
	v_fma_f64 v[15:16], v[9:10], s[2:3], v[15:16]
	s_mov_b32 s2, 0xfca7ab0c
	s_mov_b32 s3, 0x3e928af3
	v_fma_f64 v[17:18], v[11:12], s[4:5], s[2:3]
	v_fma_f64 v[19:20], v[15:16], s[4:5], s[2:3]
	s_mov_b32 s2, 0x623fde64
	s_mov_b32 s3, 0x3ec71dee
	v_cmp_ngt_f64_e64 s4, 0xc090cc00, v[3:4]
	v_fma_f64 v[17:18], v[11:12], v[17:18], s[2:3]
	v_fma_f64 v[19:20], v[15:16], v[19:20], s[2:3]
	s_mov_b32 s2, 0x7c89e6b0
	s_mov_b32 s3, 0x3efa0199
	v_fma_f64 v[17:18], v[11:12], v[17:18], s[2:3]
	v_fma_f64 v[19:20], v[15:16], v[19:20], s[2:3]
	s_mov_b32 s2, 0x14761f6e
	s_mov_b32 s3, 0x3f2a01a0
	;; [unrolled: 4-line block ×7, first 2 shown]
	v_fma_f64 v[17:18], v[11:12], v[17:18], s[2:3]
	v_fma_f64 v[19:20], v[15:16], v[19:20], s[2:3]
	v_cmp_nlt_f64_e64 s3, 0x40900000, v[3:4]
	v_cmp_ngt_f64_e64 s2, 0xc090cc00, v[5:6]
	v_fma_f64 v[17:18], v[11:12], v[17:18], 1.0
	v_fma_f64 v[19:20], v[15:16], v[19:20], 1.0
	;; [unrolled: 1-line block ×3, first 2 shown]
	v_cvt_i32_f64_e32 v11, v[9:10]
	v_fma_f64 v[9:10], v[15:16], v[19:20], 1.0
	v_ldexp_f64 v[7:8], v[7:8], v13
	v_ldexp_f64 v[9:10], v[9:10], v11
	v_cndmask_b32_e64 v8, 0x7ff00000, v8, s1
	s_and_b32 s1, s2, s1
	v_cndmask_b32_e64 v5, 0x7ff00000, v10, s3
	v_cndmask_b32_e64 v6, 0, v8, s2
	v_cndmask_b32_e64 v4, 0, v5, s4
	v_cndmask_b32_e64 v5, 0, v7, s1
	s_and_b32 s1, s4, s3
	v_cndmask_b32_e64 v3, 0, v9, s1
	v_add_f64 v[7:8], v[5:6], 0
	v_add_f64 v[12:13], v[3:4], 0
	ds_bpermute_b32 v9, v21, v7
	ds_bpermute_b32 v10, v21, v8
	;; [unrolled: 1-line block ×4, first 2 shown]
	s_waitcnt lgkmcnt(2)
	v_add_f64 v[10:11], v[7:8], v[9:10]
	s_waitcnt lgkmcnt(0)
	v_add_f64 v[7:8], v[12:13], v[15:16]
	ds_bpermute_b32 v12, v0, v10
	ds_bpermute_b32 v13, v0, v11
	;; [unrolled: 1-line block ×4, first 2 shown]
	s_and_saveexec_b32 s1, vcc_lo
	s_cbranch_execz .LBB358_9
; %bb.5:
	v_add_co_u32 v0, vcc_lo, s8, v1
	v_add_co_ci_u32_e64 v1, null, s9, v2, vcc_lo
	s_and_saveexec_b32 s1, s0
	s_cbranch_execz .LBB358_7
; %bb.6:
	s_waitcnt lgkmcnt(2)
	v_add_f64 v[10:11], v[10:11], v[12:13]
	v_div_scale_f64 v[12:13], null, v[10:11], v[10:11], v[5:6]
	v_div_scale_f64 v[20:21], vcc_lo, v[5:6], v[10:11], v[5:6]
	v_rcp_f64_e32 v[16:17], v[12:13]
	v_fma_f64 v[18:19], -v[12:13], v[16:17], 1.0
	v_fma_f64 v[16:17], v[16:17], v[18:19], v[16:17]
	v_fma_f64 v[18:19], -v[12:13], v[16:17], 1.0
	v_fma_f64 v[16:17], v[16:17], v[18:19], v[16:17]
	v_mul_f64 v[18:19], v[20:21], v[16:17]
	v_fma_f64 v[12:13], -v[12:13], v[18:19], v[20:21]
	v_div_fmas_f64 v[12:13], v[12:13], v[16:17], v[18:19]
	v_cmp_neq_f64_e32 vcc_lo, 0, v[10:11]
	v_div_fixup_f64 v[5:6], v[12:13], v[10:11], v[5:6]
	v_cndmask_b32_e32 v6, 0x7ff80000, v6, vcc_lo
	v_cndmask_b32_e32 v5, 0, v5, vcc_lo
	global_store_dwordx2 v[0:1], v[5:6], off
.LBB358_7:
	s_or_b32 exec_lo, exec_lo, s1
	v_cmp_ne_u32_e32 vcc_lo, 1, v14
	s_and_b32 s0, vcc_lo, s0
	s_and_b32 exec_lo, exec_lo, s0
	s_cbranch_execz .LBB358_9
; %bb.8:
	s_waitcnt lgkmcnt(0)
	v_mov_b32_e32 v10, v15
	s_mov_b32 s15, 0
	s_lshl_b64 s[0:1], s[14:15], 3
	v_add_co_u32 v0, s0, v0, s0
	v_add_f64 v[5:6], v[7:8], v[9:10]
	v_add_co_ci_u32_e64 v1, null, s1, v1, s0
	v_div_scale_f64 v[7:8], null, v[5:6], v[5:6], v[3:4]
	v_div_scale_f64 v[13:14], vcc_lo, v[3:4], v[5:6], v[3:4]
	v_rcp_f64_e32 v[9:10], v[7:8]
	v_fma_f64 v[11:12], -v[7:8], v[9:10], 1.0
	v_fma_f64 v[9:10], v[9:10], v[11:12], v[9:10]
	v_fma_f64 v[11:12], -v[7:8], v[9:10], 1.0
	v_fma_f64 v[9:10], v[9:10], v[11:12], v[9:10]
	v_mul_f64 v[11:12], v[13:14], v[9:10]
	v_fma_f64 v[7:8], -v[7:8], v[11:12], v[13:14]
	v_div_fmas_f64 v[7:8], v[7:8], v[9:10], v[11:12]
	v_cmp_neq_f64_e32 vcc_lo, 0, v[5:6]
	v_div_fixup_f64 v[2:3], v[7:8], v[5:6], v[3:4]
	v_cndmask_b32_e32 v3, 0x7ff80000, v3, vcc_lo
	v_cndmask_b32_e32 v2, 0, v2, vcc_lo
	global_store_dwordx2 v[0:1], v[2:3], off
.LBB358_9:
	s_endpgm
	.section	.rodata,"a",@progbits
	.p2align	6, 0x0
	.amdhsa_kernel _ZN12_GLOBAL__N_120softmax_warp_forwardIdddLi2ELb0ELb0ELi64EEEvPT0_PKT_iiiPKbib
		.amdhsa_group_segment_fixed_size 0
		.amdhsa_private_segment_fixed_size 0
		.amdhsa_kernarg_size 304
		.amdhsa_user_sgpr_count 6
		.amdhsa_user_sgpr_private_segment_buffer 1
		.amdhsa_user_sgpr_dispatch_ptr 0
		.amdhsa_user_sgpr_queue_ptr 0
		.amdhsa_user_sgpr_kernarg_segment_ptr 1
		.amdhsa_user_sgpr_dispatch_id 0
		.amdhsa_user_sgpr_flat_scratch_init 0
		.amdhsa_user_sgpr_private_segment_size 0
		.amdhsa_wavefront_size32 1
		.amdhsa_uses_dynamic_stack 0
		.amdhsa_system_sgpr_private_segment_wavefront_offset 0
		.amdhsa_system_sgpr_workgroup_id_x 1
		.amdhsa_system_sgpr_workgroup_id_y 0
		.amdhsa_system_sgpr_workgroup_id_z 0
		.amdhsa_system_sgpr_workgroup_info 0
		.amdhsa_system_vgpr_workitem_id 1
		.amdhsa_next_free_vgpr 22
		.amdhsa_next_free_sgpr 16
		.amdhsa_reserve_vcc 1
		.amdhsa_reserve_flat_scratch 0
		.amdhsa_float_round_mode_32 0
		.amdhsa_float_round_mode_16_64 0
		.amdhsa_float_denorm_mode_32 3
		.amdhsa_float_denorm_mode_16_64 3
		.amdhsa_dx10_clamp 1
		.amdhsa_ieee_mode 1
		.amdhsa_fp16_overflow 0
		.amdhsa_workgroup_processor_mode 1
		.amdhsa_memory_ordered 1
		.amdhsa_forward_progress 1
		.amdhsa_shared_vgpr_count 0
		.amdhsa_exception_fp_ieee_invalid_op 0
		.amdhsa_exception_fp_denorm_src 0
		.amdhsa_exception_fp_ieee_div_zero 0
		.amdhsa_exception_fp_ieee_overflow 0
		.amdhsa_exception_fp_ieee_underflow 0
		.amdhsa_exception_fp_ieee_inexact 0
		.amdhsa_exception_int_div_zero 0
	.end_amdhsa_kernel
	.section	.text._ZN12_GLOBAL__N_120softmax_warp_forwardIdddLi2ELb0ELb0ELi64EEEvPT0_PKT_iiiPKbib,"axG",@progbits,_ZN12_GLOBAL__N_120softmax_warp_forwardIdddLi2ELb0ELb0ELi64EEEvPT0_PKT_iiiPKbib,comdat
.Lfunc_end358:
	.size	_ZN12_GLOBAL__N_120softmax_warp_forwardIdddLi2ELb0ELb0ELi64EEEvPT0_PKT_iiiPKbib, .Lfunc_end358-_ZN12_GLOBAL__N_120softmax_warp_forwardIdddLi2ELb0ELb0ELi64EEEvPT0_PKT_iiiPKbib
                                        ; -- End function
	.set _ZN12_GLOBAL__N_120softmax_warp_forwardIdddLi2ELb0ELb0ELi64EEEvPT0_PKT_iiiPKbib.num_vgpr, 22
	.set _ZN12_GLOBAL__N_120softmax_warp_forwardIdddLi2ELb0ELb0ELi64EEEvPT0_PKT_iiiPKbib.num_agpr, 0
	.set _ZN12_GLOBAL__N_120softmax_warp_forwardIdddLi2ELb0ELb0ELi64EEEvPT0_PKT_iiiPKbib.numbered_sgpr, 16
	.set _ZN12_GLOBAL__N_120softmax_warp_forwardIdddLi2ELb0ELb0ELi64EEEvPT0_PKT_iiiPKbib.num_named_barrier, 0
	.set _ZN12_GLOBAL__N_120softmax_warp_forwardIdddLi2ELb0ELb0ELi64EEEvPT0_PKT_iiiPKbib.private_seg_size, 0
	.set _ZN12_GLOBAL__N_120softmax_warp_forwardIdddLi2ELb0ELb0ELi64EEEvPT0_PKT_iiiPKbib.uses_vcc, 1
	.set _ZN12_GLOBAL__N_120softmax_warp_forwardIdddLi2ELb0ELb0ELi64EEEvPT0_PKT_iiiPKbib.uses_flat_scratch, 0
	.set _ZN12_GLOBAL__N_120softmax_warp_forwardIdddLi2ELb0ELb0ELi64EEEvPT0_PKT_iiiPKbib.has_dyn_sized_stack, 0
	.set _ZN12_GLOBAL__N_120softmax_warp_forwardIdddLi2ELb0ELb0ELi64EEEvPT0_PKT_iiiPKbib.has_recursion, 0
	.set _ZN12_GLOBAL__N_120softmax_warp_forwardIdddLi2ELb0ELb0ELi64EEEvPT0_PKT_iiiPKbib.has_indirect_call, 0
	.section	.AMDGPU.csdata,"",@progbits
; Kernel info:
; codeLenInByte = 1464
; TotalNumSgprs: 18
; NumVgprs: 22
; ScratchSize: 0
; MemoryBound: 1
; FloatMode: 240
; IeeeMode: 1
; LDSByteSize: 0 bytes/workgroup (compile time only)
; SGPRBlocks: 0
; VGPRBlocks: 2
; NumSGPRsForWavesPerEU: 18
; NumVGPRsForWavesPerEU: 22
; Occupancy: 16
; WaveLimiterHint : 0
; COMPUTE_PGM_RSRC2:SCRATCH_EN: 0
; COMPUTE_PGM_RSRC2:USER_SGPR: 6
; COMPUTE_PGM_RSRC2:TRAP_HANDLER: 0
; COMPUTE_PGM_RSRC2:TGID_X_EN: 1
; COMPUTE_PGM_RSRC2:TGID_Y_EN: 0
; COMPUTE_PGM_RSRC2:TGID_Z_EN: 0
; COMPUTE_PGM_RSRC2:TIDIG_COMP_CNT: 1
	.section	.text._ZN12_GLOBAL__N_120softmax_warp_forwardIdddLi2ELb0ELb0ELi32EEEvPT0_PKT_iiiPKbib,"axG",@progbits,_ZN12_GLOBAL__N_120softmax_warp_forwardIdddLi2ELb0ELb0ELi32EEEvPT0_PKT_iiiPKbib,comdat
	.globl	_ZN12_GLOBAL__N_120softmax_warp_forwardIdddLi2ELb0ELb0ELi32EEEvPT0_PKT_iiiPKbib ; -- Begin function _ZN12_GLOBAL__N_120softmax_warp_forwardIdddLi2ELb0ELb0ELi32EEEvPT0_PKT_iiiPKbib
	.p2align	8
	.type	_ZN12_GLOBAL__N_120softmax_warp_forwardIdddLi2ELb0ELb0ELi32EEEvPT0_PKT_iiiPKbib,@function
_ZN12_GLOBAL__N_120softmax_warp_forwardIdddLi2ELb0ELb0ELi32EEEvPT0_PKT_iiiPKbib: ; @_ZN12_GLOBAL__N_120softmax_warp_forwardIdddLi2ELb0ELb0ELi32EEEvPT0_PKT_iiiPKbib
; %bb.0:
	s_clause 0x1
	s_load_dword s0, s[4:5], 0x3c
	s_load_dwordx8 s[8:15], s[4:5], 0x0
	v_mov_b32_e32 v5, 0
	v_mov_b32_e32 v6, 0xfff00000
	s_waitcnt lgkmcnt(0)
	s_lshr_b32 s0, s0, 16
	s_and_b32 s0, s0, 0xffff
	s_mul_i32 s6, s6, s0
	v_cmp_gt_i32_e64 s0, s14, v0
	v_add_lshl_u32 v3, s6, v1, 1
	v_mad_u64_u32 v[1:2], null, v3, s13, v[0:1]
	v_sub_nc_u32_e32 v14, s12, v3
	v_mov_b32_e32 v3, 0
	v_mov_b32_e32 v4, 0xfff00000
	v_cmp_lt_i32_e32 vcc_lo, 0, v14
	v_ashrrev_i32_e32 v2, 31, v1
	s_and_b32 s2, s0, vcc_lo
	v_lshlrev_b64 v[1:2], 3, v[1:2]
	v_add_co_u32 v7, s1, s10, v1
	v_add_co_ci_u32_e64 v8, null, s11, v2, s1
	s_and_saveexec_b32 s1, s2
	s_cbranch_execz .LBB359_2
; %bb.1:
	global_load_dwordx2 v[5:6], v[7:8], off
.LBB359_2:
	s_or_b32 exec_lo, exec_lo, s1
	v_cmp_lt_i32_e64 s1, 1, v14
	s_and_b32 s1, s0, s1
	s_and_saveexec_b32 s2, s1
	s_cbranch_execz .LBB359_4
; %bb.3:
	s_mov_b32 s15, 0
	s_lshl_b64 s[4:5], s[14:15], 3
	v_add_co_u32 v3, s1, v7, s4
	v_add_co_ci_u32_e64 v4, null, s5, v8, s1
	global_load_dwordx2 v[3:4], v[3:4], off
.LBB359_4:
	s_or_b32 exec_lo, exec_lo, s2
	v_mbcnt_lo_u32_b32 v0, -1, 0
	s_mov_b32 s4, 0x6a5dcb37
	s_mov_b32 s5, 0x3e5ade15
	v_and_b32_e32 v7, 28, v0
	v_xor_b32_e32 v8, 2, v0
	v_xor_b32_e32 v12, 1, v0
	v_add_nc_u32_e32 v11, 4, v7
	v_cmp_lt_i32_e64 s1, v8, v11
	v_cmp_lt_i32_e64 s3, v12, v11
	v_cndmask_b32_e64 v7, v0, v8, s1
	v_cndmask_b32_e64 v0, v0, v12, s3
	v_lshlrev_b32_e32 v21, 2, v7
	v_lshlrev_b32_e32 v0, 2, v0
	s_waitcnt vmcnt(0)
	ds_bpermute_b32 v7, v21, v5
	ds_bpermute_b32 v8, v21, v6
	;; [unrolled: 1-line block ×4, first 2 shown]
	s_waitcnt lgkmcnt(2)
	v_cmp_lt_f64_e64 s1, v[5:6], v[7:8]
	s_waitcnt lgkmcnt(0)
	v_cmp_lt_f64_e64 s2, v[3:4], v[9:10]
	v_cndmask_b32_e64 v8, v6, v8, s1
	v_cndmask_b32_e64 v7, v5, v7, s1
	;; [unrolled: 1-line block ×4, first 2 shown]
	ds_bpermute_b32 v12, v0, v8
	ds_bpermute_b32 v11, v0, v7
	;; [unrolled: 1-line block ×4, first 2 shown]
	s_waitcnt lgkmcnt(2)
	v_cmp_lt_f64_e64 s1, v[7:8], v[11:12]
	s_waitcnt lgkmcnt(0)
	v_cmp_lt_f64_e64 s2, v[9:10], v[15:16]
	v_cndmask_b32_e64 v8, v8, v12, s1
	v_cndmask_b32_e64 v7, v7, v11, s1
	;; [unrolled: 1-line block ×4, first 2 shown]
	s_mov_b32 s2, 0x652b82fe
	s_mov_b32 s3, 0x3ff71547
	v_add_f64 v[5:6], v[5:6], -v[7:8]
	v_add_f64 v[3:4], v[3:4], -v[9:10]
	v_mul_f64 v[7:8], v[5:6], s[2:3]
	v_cmp_nlt_f64_e64 s1, 0x40900000, v[5:6]
	v_mul_f64 v[9:10], v[3:4], s[2:3]
	s_mov_b32 s2, 0xfefa39ef
	s_mov_b32 s3, 0xbfe62e42
	v_rndne_f64_e32 v[7:8], v[7:8]
	v_rndne_f64_e32 v[9:10], v[9:10]
	v_fma_f64 v[11:12], v[7:8], s[2:3], v[5:6]
	v_cvt_i32_f64_e32 v13, v[7:8]
	v_fma_f64 v[15:16], v[9:10], s[2:3], v[3:4]
	s_mov_b32 s2, 0x3b39803f
	s_mov_b32 s3, 0xbc7abc9e
	v_fma_f64 v[11:12], v[7:8], s[2:3], v[11:12]
	v_fma_f64 v[15:16], v[9:10], s[2:3], v[15:16]
	s_mov_b32 s2, 0xfca7ab0c
	s_mov_b32 s3, 0x3e928af3
	v_fma_f64 v[17:18], v[11:12], s[4:5], s[2:3]
	v_fma_f64 v[19:20], v[15:16], s[4:5], s[2:3]
	s_mov_b32 s2, 0x623fde64
	s_mov_b32 s3, 0x3ec71dee
	v_cmp_ngt_f64_e64 s4, 0xc090cc00, v[3:4]
	v_fma_f64 v[17:18], v[11:12], v[17:18], s[2:3]
	v_fma_f64 v[19:20], v[15:16], v[19:20], s[2:3]
	s_mov_b32 s2, 0x7c89e6b0
	s_mov_b32 s3, 0x3efa0199
	v_fma_f64 v[17:18], v[11:12], v[17:18], s[2:3]
	v_fma_f64 v[19:20], v[15:16], v[19:20], s[2:3]
	s_mov_b32 s2, 0x14761f6e
	s_mov_b32 s3, 0x3f2a01a0
	;; [unrolled: 4-line block ×7, first 2 shown]
	v_fma_f64 v[17:18], v[11:12], v[17:18], s[2:3]
	v_fma_f64 v[19:20], v[15:16], v[19:20], s[2:3]
	v_cmp_nlt_f64_e64 s3, 0x40900000, v[3:4]
	v_cmp_ngt_f64_e64 s2, 0xc090cc00, v[5:6]
	v_fma_f64 v[17:18], v[11:12], v[17:18], 1.0
	v_fma_f64 v[19:20], v[15:16], v[19:20], 1.0
	;; [unrolled: 1-line block ×3, first 2 shown]
	v_cvt_i32_f64_e32 v11, v[9:10]
	v_fma_f64 v[9:10], v[15:16], v[19:20], 1.0
	v_ldexp_f64 v[7:8], v[7:8], v13
	v_ldexp_f64 v[9:10], v[9:10], v11
	v_cndmask_b32_e64 v8, 0x7ff00000, v8, s1
	s_and_b32 s1, s2, s1
	v_cndmask_b32_e64 v5, 0x7ff00000, v10, s3
	v_cndmask_b32_e64 v6, 0, v8, s2
	;; [unrolled: 1-line block ×4, first 2 shown]
	s_and_b32 s1, s4, s3
	v_cndmask_b32_e64 v3, 0, v9, s1
	v_add_f64 v[7:8], v[5:6], 0
	v_add_f64 v[12:13], v[3:4], 0
	ds_bpermute_b32 v9, v21, v7
	ds_bpermute_b32 v10, v21, v8
	;; [unrolled: 1-line block ×4, first 2 shown]
	s_waitcnt lgkmcnt(2)
	v_add_f64 v[10:11], v[7:8], v[9:10]
	s_waitcnt lgkmcnt(0)
	v_add_f64 v[7:8], v[12:13], v[15:16]
	ds_bpermute_b32 v12, v0, v10
	ds_bpermute_b32 v13, v0, v11
	;; [unrolled: 1-line block ×4, first 2 shown]
	s_and_saveexec_b32 s1, vcc_lo
	s_cbranch_execz .LBB359_9
; %bb.5:
	v_add_co_u32 v0, vcc_lo, s8, v1
	v_add_co_ci_u32_e64 v1, null, s9, v2, vcc_lo
	s_and_saveexec_b32 s1, s0
	s_cbranch_execz .LBB359_7
; %bb.6:
	s_waitcnt lgkmcnt(2)
	v_add_f64 v[10:11], v[10:11], v[12:13]
	v_div_scale_f64 v[12:13], null, v[10:11], v[10:11], v[5:6]
	v_div_scale_f64 v[20:21], vcc_lo, v[5:6], v[10:11], v[5:6]
	v_rcp_f64_e32 v[16:17], v[12:13]
	v_fma_f64 v[18:19], -v[12:13], v[16:17], 1.0
	v_fma_f64 v[16:17], v[16:17], v[18:19], v[16:17]
	v_fma_f64 v[18:19], -v[12:13], v[16:17], 1.0
	v_fma_f64 v[16:17], v[16:17], v[18:19], v[16:17]
	v_mul_f64 v[18:19], v[20:21], v[16:17]
	v_fma_f64 v[12:13], -v[12:13], v[18:19], v[20:21]
	v_div_fmas_f64 v[12:13], v[12:13], v[16:17], v[18:19]
	v_cmp_neq_f64_e32 vcc_lo, 0, v[10:11]
	v_div_fixup_f64 v[5:6], v[12:13], v[10:11], v[5:6]
	v_cndmask_b32_e32 v6, 0x7ff80000, v6, vcc_lo
	v_cndmask_b32_e32 v5, 0, v5, vcc_lo
	global_store_dwordx2 v[0:1], v[5:6], off
.LBB359_7:
	s_or_b32 exec_lo, exec_lo, s1
	v_cmp_ne_u32_e32 vcc_lo, 1, v14
	s_and_b32 s0, vcc_lo, s0
	s_and_b32 exec_lo, exec_lo, s0
	s_cbranch_execz .LBB359_9
; %bb.8:
	s_waitcnt lgkmcnt(0)
	v_mov_b32_e32 v10, v15
	s_mov_b32 s15, 0
	s_lshl_b64 s[0:1], s[14:15], 3
	v_add_co_u32 v0, s0, v0, s0
	v_add_f64 v[5:6], v[7:8], v[9:10]
	v_add_co_ci_u32_e64 v1, null, s1, v1, s0
	v_div_scale_f64 v[7:8], null, v[5:6], v[5:6], v[3:4]
	v_div_scale_f64 v[13:14], vcc_lo, v[3:4], v[5:6], v[3:4]
	v_rcp_f64_e32 v[9:10], v[7:8]
	v_fma_f64 v[11:12], -v[7:8], v[9:10], 1.0
	v_fma_f64 v[9:10], v[9:10], v[11:12], v[9:10]
	v_fma_f64 v[11:12], -v[7:8], v[9:10], 1.0
	v_fma_f64 v[9:10], v[9:10], v[11:12], v[9:10]
	v_mul_f64 v[11:12], v[13:14], v[9:10]
	v_fma_f64 v[7:8], -v[7:8], v[11:12], v[13:14]
	v_div_fmas_f64 v[7:8], v[7:8], v[9:10], v[11:12]
	v_cmp_neq_f64_e32 vcc_lo, 0, v[5:6]
	v_div_fixup_f64 v[2:3], v[7:8], v[5:6], v[3:4]
	v_cndmask_b32_e32 v3, 0x7ff80000, v3, vcc_lo
	v_cndmask_b32_e32 v2, 0, v2, vcc_lo
	global_store_dwordx2 v[0:1], v[2:3], off
.LBB359_9:
	s_endpgm
	.section	.rodata,"a",@progbits
	.p2align	6, 0x0
	.amdhsa_kernel _ZN12_GLOBAL__N_120softmax_warp_forwardIdddLi2ELb0ELb0ELi32EEEvPT0_PKT_iiiPKbib
		.amdhsa_group_segment_fixed_size 0
		.amdhsa_private_segment_fixed_size 0
		.amdhsa_kernarg_size 304
		.amdhsa_user_sgpr_count 6
		.amdhsa_user_sgpr_private_segment_buffer 1
		.amdhsa_user_sgpr_dispatch_ptr 0
		.amdhsa_user_sgpr_queue_ptr 0
		.amdhsa_user_sgpr_kernarg_segment_ptr 1
		.amdhsa_user_sgpr_dispatch_id 0
		.amdhsa_user_sgpr_flat_scratch_init 0
		.amdhsa_user_sgpr_private_segment_size 0
		.amdhsa_wavefront_size32 1
		.amdhsa_uses_dynamic_stack 0
		.amdhsa_system_sgpr_private_segment_wavefront_offset 0
		.amdhsa_system_sgpr_workgroup_id_x 1
		.amdhsa_system_sgpr_workgroup_id_y 0
		.amdhsa_system_sgpr_workgroup_id_z 0
		.amdhsa_system_sgpr_workgroup_info 0
		.amdhsa_system_vgpr_workitem_id 1
		.amdhsa_next_free_vgpr 22
		.amdhsa_next_free_sgpr 16
		.amdhsa_reserve_vcc 1
		.amdhsa_reserve_flat_scratch 0
		.amdhsa_float_round_mode_32 0
		.amdhsa_float_round_mode_16_64 0
		.amdhsa_float_denorm_mode_32 3
		.amdhsa_float_denorm_mode_16_64 3
		.amdhsa_dx10_clamp 1
		.amdhsa_ieee_mode 1
		.amdhsa_fp16_overflow 0
		.amdhsa_workgroup_processor_mode 1
		.amdhsa_memory_ordered 1
		.amdhsa_forward_progress 1
		.amdhsa_shared_vgpr_count 0
		.amdhsa_exception_fp_ieee_invalid_op 0
		.amdhsa_exception_fp_denorm_src 0
		.amdhsa_exception_fp_ieee_div_zero 0
		.amdhsa_exception_fp_ieee_overflow 0
		.amdhsa_exception_fp_ieee_underflow 0
		.amdhsa_exception_fp_ieee_inexact 0
		.amdhsa_exception_int_div_zero 0
	.end_amdhsa_kernel
	.section	.text._ZN12_GLOBAL__N_120softmax_warp_forwardIdddLi2ELb0ELb0ELi32EEEvPT0_PKT_iiiPKbib,"axG",@progbits,_ZN12_GLOBAL__N_120softmax_warp_forwardIdddLi2ELb0ELb0ELi32EEEvPT0_PKT_iiiPKbib,comdat
.Lfunc_end359:
	.size	_ZN12_GLOBAL__N_120softmax_warp_forwardIdddLi2ELb0ELb0ELi32EEEvPT0_PKT_iiiPKbib, .Lfunc_end359-_ZN12_GLOBAL__N_120softmax_warp_forwardIdddLi2ELb0ELb0ELi32EEEvPT0_PKT_iiiPKbib
                                        ; -- End function
	.set _ZN12_GLOBAL__N_120softmax_warp_forwardIdddLi2ELb0ELb0ELi32EEEvPT0_PKT_iiiPKbib.num_vgpr, 22
	.set _ZN12_GLOBAL__N_120softmax_warp_forwardIdddLi2ELb0ELb0ELi32EEEvPT0_PKT_iiiPKbib.num_agpr, 0
	.set _ZN12_GLOBAL__N_120softmax_warp_forwardIdddLi2ELb0ELb0ELi32EEEvPT0_PKT_iiiPKbib.numbered_sgpr, 16
	.set _ZN12_GLOBAL__N_120softmax_warp_forwardIdddLi2ELb0ELb0ELi32EEEvPT0_PKT_iiiPKbib.num_named_barrier, 0
	.set _ZN12_GLOBAL__N_120softmax_warp_forwardIdddLi2ELb0ELb0ELi32EEEvPT0_PKT_iiiPKbib.private_seg_size, 0
	.set _ZN12_GLOBAL__N_120softmax_warp_forwardIdddLi2ELb0ELb0ELi32EEEvPT0_PKT_iiiPKbib.uses_vcc, 1
	.set _ZN12_GLOBAL__N_120softmax_warp_forwardIdddLi2ELb0ELb0ELi32EEEvPT0_PKT_iiiPKbib.uses_flat_scratch, 0
	.set _ZN12_GLOBAL__N_120softmax_warp_forwardIdddLi2ELb0ELb0ELi32EEEvPT0_PKT_iiiPKbib.has_dyn_sized_stack, 0
	.set _ZN12_GLOBAL__N_120softmax_warp_forwardIdddLi2ELb0ELb0ELi32EEEvPT0_PKT_iiiPKbib.has_recursion, 0
	.set _ZN12_GLOBAL__N_120softmax_warp_forwardIdddLi2ELb0ELb0ELi32EEEvPT0_PKT_iiiPKbib.has_indirect_call, 0
	.section	.AMDGPU.csdata,"",@progbits
; Kernel info:
; codeLenInByte = 1464
; TotalNumSgprs: 18
; NumVgprs: 22
; ScratchSize: 0
; MemoryBound: 1
; FloatMode: 240
; IeeeMode: 1
; LDSByteSize: 0 bytes/workgroup (compile time only)
; SGPRBlocks: 0
; VGPRBlocks: 2
; NumSGPRsForWavesPerEU: 18
; NumVGPRsForWavesPerEU: 22
; Occupancy: 16
; WaveLimiterHint : 0
; COMPUTE_PGM_RSRC2:SCRATCH_EN: 0
; COMPUTE_PGM_RSRC2:USER_SGPR: 6
; COMPUTE_PGM_RSRC2:TRAP_HANDLER: 0
; COMPUTE_PGM_RSRC2:TGID_X_EN: 1
; COMPUTE_PGM_RSRC2:TGID_Y_EN: 0
; COMPUTE_PGM_RSRC2:TGID_Z_EN: 0
; COMPUTE_PGM_RSRC2:TIDIG_COMP_CNT: 1
	.section	.text._ZN12_GLOBAL__N_120softmax_warp_forwardIdddLi3ELb0ELb0ELi64EEEvPT0_PKT_iiiPKbib,"axG",@progbits,_ZN12_GLOBAL__N_120softmax_warp_forwardIdddLi3ELb0ELb0ELi64EEEvPT0_PKT_iiiPKbib,comdat
	.globl	_ZN12_GLOBAL__N_120softmax_warp_forwardIdddLi3ELb0ELb0ELi64EEEvPT0_PKT_iiiPKbib ; -- Begin function _ZN12_GLOBAL__N_120softmax_warp_forwardIdddLi3ELb0ELb0ELi64EEEvPT0_PKT_iiiPKbib
	.p2align	8
	.type	_ZN12_GLOBAL__N_120softmax_warp_forwardIdddLi3ELb0ELb0ELi64EEEvPT0_PKT_iiiPKbib,@function
_ZN12_GLOBAL__N_120softmax_warp_forwardIdddLi3ELb0ELb0ELi64EEEvPT0_PKT_iiiPKbib: ; @_ZN12_GLOBAL__N_120softmax_warp_forwardIdddLi3ELb0ELb0ELi64EEEvPT0_PKT_iiiPKbib
; %bb.0:
	s_clause 0x1
	s_load_dword s0, s[4:5], 0x3c
	s_load_dwordx8 s[8:15], s[4:5], 0x0
	v_mov_b32_e32 v5, 0
	v_mov_b32_e32 v6, 0xfff00000
	s_waitcnt lgkmcnt(0)
	s_lshr_b32 s0, s0, 16
	s_and_b32 s0, s0, 0xffff
	s_mul_i32 s6, s6, s0
	v_cmp_gt_i32_e64 s0, s14, v0
	v_add_lshl_u32 v3, s6, v1, 1
	v_mad_u64_u32 v[1:2], null, v3, s13, v[0:1]
	v_sub_nc_u32_e32 v14, s12, v3
	v_mov_b32_e32 v3, 0
	v_mov_b32_e32 v4, 0xfff00000
	v_cmp_lt_i32_e32 vcc_lo, 0, v14
	v_ashrrev_i32_e32 v2, 31, v1
	s_and_b32 s2, s0, vcc_lo
	v_lshlrev_b64 v[1:2], 3, v[1:2]
	v_add_co_u32 v7, s1, s10, v1
	v_add_co_ci_u32_e64 v8, null, s11, v2, s1
	s_and_saveexec_b32 s1, s2
	s_cbranch_execz .LBB360_2
; %bb.1:
	global_load_dwordx2 v[5:6], v[7:8], off
.LBB360_2:
	s_or_b32 exec_lo, exec_lo, s1
	v_cmp_lt_i32_e64 s1, 1, v14
	s_and_b32 s1, s0, s1
	s_and_saveexec_b32 s2, s1
	s_cbranch_execz .LBB360_4
; %bb.3:
	s_mov_b32 s15, 0
	s_lshl_b64 s[4:5], s[14:15], 3
	v_add_co_u32 v3, s1, v7, s4
	v_add_co_ci_u32_e64 v4, null, s5, v8, s1
	global_load_dwordx2 v[3:4], v[3:4], off
.LBB360_4:
	s_or_b32 exec_lo, exec_lo, s2
	v_mbcnt_lo_u32_b32 v13, -1, 0
	s_mov_b32 s4, 0x6a5dcb37
	s_mov_b32 s5, 0x3e5ade15
	v_and_b32_e32 v0, 24, v13
	v_xor_b32_e32 v7, 4, v13
	v_xor_b32_e32 v11, 2, v13
	;; [unrolled: 1-line block ×3, first 2 shown]
	v_add_nc_u32_e32 v17, 8, v0
	v_cmp_lt_i32_e64 s1, v7, v17
	v_cmp_lt_i32_e64 s3, v11, v17
	v_cndmask_b32_e64 v0, v13, v7, s1
	v_cndmask_b32_e64 v11, v13, v11, s3
	v_cmp_lt_i32_e64 s3, v18, v17
	v_lshlrev_b32_e32 v0, 2, v0
	v_lshlrev_b32_e32 v21, 2, v11
	v_cndmask_b32_e64 v13, v13, v18, s3
	s_waitcnt vmcnt(0)
	ds_bpermute_b32 v7, v0, v5
	ds_bpermute_b32 v8, v0, v6
	;; [unrolled: 1-line block ×4, first 2 shown]
	v_lshlrev_b32_e32 v22, 2, v13
	s_waitcnt lgkmcnt(2)
	v_cmp_lt_f64_e64 s1, v[5:6], v[7:8]
	s_waitcnt lgkmcnt(0)
	v_cmp_lt_f64_e64 s2, v[3:4], v[9:10]
	v_cndmask_b32_e64 v8, v6, v8, s1
	v_cndmask_b32_e64 v7, v5, v7, s1
	;; [unrolled: 1-line block ×4, first 2 shown]
	ds_bpermute_b32 v12, v21, v8
	ds_bpermute_b32 v11, v21, v7
	;; [unrolled: 1-line block ×4, first 2 shown]
	s_waitcnt lgkmcnt(2)
	v_cmp_lt_f64_e64 s1, v[7:8], v[11:12]
	s_waitcnt lgkmcnt(0)
	v_cmp_lt_f64_e64 s2, v[9:10], v[15:16]
	v_cndmask_b32_e64 v8, v8, v12, s1
	v_cndmask_b32_e64 v7, v7, v11, s1
	;; [unrolled: 1-line block ×4, first 2 shown]
	ds_bpermute_b32 v12, v22, v8
	ds_bpermute_b32 v11, v22, v7
	;; [unrolled: 1-line block ×4, first 2 shown]
	s_waitcnt lgkmcnt(2)
	v_cmp_lt_f64_e64 s1, v[7:8], v[11:12]
	s_waitcnt lgkmcnt(0)
	v_cmp_lt_f64_e64 s2, v[9:10], v[15:16]
	v_cndmask_b32_e64 v8, v8, v12, s1
	v_cndmask_b32_e64 v7, v7, v11, s1
	;; [unrolled: 1-line block ×4, first 2 shown]
	s_mov_b32 s2, 0x652b82fe
	s_mov_b32 s3, 0x3ff71547
	v_add_f64 v[5:6], v[5:6], -v[7:8]
	v_add_f64 v[3:4], v[3:4], -v[9:10]
	v_mul_f64 v[7:8], v[5:6], s[2:3]
	v_cmp_nlt_f64_e64 s1, 0x40900000, v[5:6]
	v_mul_f64 v[9:10], v[3:4], s[2:3]
	s_mov_b32 s2, 0xfefa39ef
	s_mov_b32 s3, 0xbfe62e42
	v_rndne_f64_e32 v[7:8], v[7:8]
	v_rndne_f64_e32 v[9:10], v[9:10]
	v_fma_f64 v[11:12], v[7:8], s[2:3], v[5:6]
	v_cvt_i32_f64_e32 v13, v[7:8]
	v_fma_f64 v[15:16], v[9:10], s[2:3], v[3:4]
	s_mov_b32 s2, 0x3b39803f
	s_mov_b32 s3, 0xbc7abc9e
	v_fma_f64 v[11:12], v[7:8], s[2:3], v[11:12]
	v_fma_f64 v[15:16], v[9:10], s[2:3], v[15:16]
	s_mov_b32 s2, 0xfca7ab0c
	s_mov_b32 s3, 0x3e928af3
	v_fma_f64 v[17:18], v[11:12], s[4:5], s[2:3]
	v_fma_f64 v[19:20], v[15:16], s[4:5], s[2:3]
	s_mov_b32 s2, 0x623fde64
	s_mov_b32 s3, 0x3ec71dee
	v_cmp_ngt_f64_e64 s4, 0xc090cc00, v[3:4]
	v_fma_f64 v[17:18], v[11:12], v[17:18], s[2:3]
	v_fma_f64 v[19:20], v[15:16], v[19:20], s[2:3]
	s_mov_b32 s2, 0x7c89e6b0
	s_mov_b32 s3, 0x3efa0199
	v_fma_f64 v[17:18], v[11:12], v[17:18], s[2:3]
	v_fma_f64 v[19:20], v[15:16], v[19:20], s[2:3]
	s_mov_b32 s2, 0x14761f6e
	s_mov_b32 s3, 0x3f2a01a0
	;; [unrolled: 4-line block ×7, first 2 shown]
	v_fma_f64 v[17:18], v[11:12], v[17:18], s[2:3]
	v_fma_f64 v[19:20], v[15:16], v[19:20], s[2:3]
	v_cmp_nlt_f64_e64 s3, 0x40900000, v[3:4]
	v_cmp_ngt_f64_e64 s2, 0xc090cc00, v[5:6]
	v_fma_f64 v[17:18], v[11:12], v[17:18], 1.0
	v_fma_f64 v[19:20], v[15:16], v[19:20], 1.0
	;; [unrolled: 1-line block ×3, first 2 shown]
	v_cvt_i32_f64_e32 v11, v[9:10]
	v_fma_f64 v[9:10], v[15:16], v[19:20], 1.0
	v_ldexp_f64 v[7:8], v[7:8], v13
	v_ldexp_f64 v[9:10], v[9:10], v11
	v_cndmask_b32_e64 v8, 0x7ff00000, v8, s1
	s_and_b32 s1, s2, s1
	v_cndmask_b32_e64 v5, 0x7ff00000, v10, s3
	v_cndmask_b32_e64 v6, 0, v8, s2
	v_cndmask_b32_e64 v4, 0, v5, s4
	v_cndmask_b32_e64 v5, 0, v7, s1
	s_and_b32 s1, s4, s3
	v_cndmask_b32_e64 v3, 0, v9, s1
	v_add_f64 v[7:8], v[5:6], 0
	v_add_f64 v[9:10], v[3:4], 0
	ds_bpermute_b32 v11, v0, v7
	ds_bpermute_b32 v12, v0, v8
	;; [unrolled: 1-line block ×4, first 2 shown]
	s_waitcnt lgkmcnt(2)
	v_add_f64 v[7:8], v[7:8], v[11:12]
	s_waitcnt lgkmcnt(0)
	v_add_f64 v[12:13], v[9:10], v[15:16]
	ds_bpermute_b32 v9, v21, v7
	ds_bpermute_b32 v10, v21, v8
	;; [unrolled: 1-line block ×4, first 2 shown]
	s_waitcnt lgkmcnt(2)
	v_add_f64 v[10:11], v[7:8], v[9:10]
	s_waitcnt lgkmcnt(0)
	v_add_f64 v[7:8], v[12:13], v[15:16]
	ds_bpermute_b32 v12, v22, v10
	ds_bpermute_b32 v13, v22, v11
	;; [unrolled: 1-line block ×4, first 2 shown]
	s_and_saveexec_b32 s1, vcc_lo
	s_cbranch_execz .LBB360_9
; %bb.5:
	v_add_co_u32 v0, vcc_lo, s8, v1
	v_add_co_ci_u32_e64 v1, null, s9, v2, vcc_lo
	s_and_saveexec_b32 s1, s0
	s_cbranch_execz .LBB360_7
; %bb.6:
	s_waitcnt lgkmcnt(2)
	v_add_f64 v[10:11], v[10:11], v[12:13]
	v_div_scale_f64 v[12:13], null, v[10:11], v[10:11], v[5:6]
	v_div_scale_f64 v[20:21], vcc_lo, v[5:6], v[10:11], v[5:6]
	v_rcp_f64_e32 v[16:17], v[12:13]
	v_fma_f64 v[18:19], -v[12:13], v[16:17], 1.0
	v_fma_f64 v[16:17], v[16:17], v[18:19], v[16:17]
	v_fma_f64 v[18:19], -v[12:13], v[16:17], 1.0
	v_fma_f64 v[16:17], v[16:17], v[18:19], v[16:17]
	v_mul_f64 v[18:19], v[20:21], v[16:17]
	v_fma_f64 v[12:13], -v[12:13], v[18:19], v[20:21]
	v_div_fmas_f64 v[12:13], v[12:13], v[16:17], v[18:19]
	v_cmp_neq_f64_e32 vcc_lo, 0, v[10:11]
	v_div_fixup_f64 v[5:6], v[12:13], v[10:11], v[5:6]
	v_cndmask_b32_e32 v6, 0x7ff80000, v6, vcc_lo
	v_cndmask_b32_e32 v5, 0, v5, vcc_lo
	global_store_dwordx2 v[0:1], v[5:6], off
.LBB360_7:
	s_or_b32 exec_lo, exec_lo, s1
	v_cmp_ne_u32_e32 vcc_lo, 1, v14
	s_and_b32 s0, vcc_lo, s0
	s_and_b32 exec_lo, exec_lo, s0
	s_cbranch_execz .LBB360_9
; %bb.8:
	s_waitcnt lgkmcnt(0)
	v_mov_b32_e32 v10, v15
	s_mov_b32 s15, 0
	s_lshl_b64 s[0:1], s[14:15], 3
	v_add_co_u32 v0, s0, v0, s0
	v_add_f64 v[5:6], v[7:8], v[9:10]
	v_add_co_ci_u32_e64 v1, null, s1, v1, s0
	v_div_scale_f64 v[7:8], null, v[5:6], v[5:6], v[3:4]
	v_div_scale_f64 v[13:14], vcc_lo, v[3:4], v[5:6], v[3:4]
	v_rcp_f64_e32 v[9:10], v[7:8]
	v_fma_f64 v[11:12], -v[7:8], v[9:10], 1.0
	v_fma_f64 v[9:10], v[9:10], v[11:12], v[9:10]
	v_fma_f64 v[11:12], -v[7:8], v[9:10], 1.0
	v_fma_f64 v[9:10], v[9:10], v[11:12], v[9:10]
	v_mul_f64 v[11:12], v[13:14], v[9:10]
	v_fma_f64 v[7:8], -v[7:8], v[11:12], v[13:14]
	v_div_fmas_f64 v[7:8], v[7:8], v[9:10], v[11:12]
	v_cmp_neq_f64_e32 vcc_lo, 0, v[5:6]
	v_div_fixup_f64 v[2:3], v[7:8], v[5:6], v[3:4]
	v_cndmask_b32_e32 v3, 0x7ff80000, v3, vcc_lo
	v_cndmask_b32_e32 v2, 0, v2, vcc_lo
	global_store_dwordx2 v[0:1], v[2:3], off
.LBB360_9:
	s_endpgm
	.section	.rodata,"a",@progbits
	.p2align	6, 0x0
	.amdhsa_kernel _ZN12_GLOBAL__N_120softmax_warp_forwardIdddLi3ELb0ELb0ELi64EEEvPT0_PKT_iiiPKbib
		.amdhsa_group_segment_fixed_size 0
		.amdhsa_private_segment_fixed_size 0
		.amdhsa_kernarg_size 304
		.amdhsa_user_sgpr_count 6
		.amdhsa_user_sgpr_private_segment_buffer 1
		.amdhsa_user_sgpr_dispatch_ptr 0
		.amdhsa_user_sgpr_queue_ptr 0
		.amdhsa_user_sgpr_kernarg_segment_ptr 1
		.amdhsa_user_sgpr_dispatch_id 0
		.amdhsa_user_sgpr_flat_scratch_init 0
		.amdhsa_user_sgpr_private_segment_size 0
		.amdhsa_wavefront_size32 1
		.amdhsa_uses_dynamic_stack 0
		.amdhsa_system_sgpr_private_segment_wavefront_offset 0
		.amdhsa_system_sgpr_workgroup_id_x 1
		.amdhsa_system_sgpr_workgroup_id_y 0
		.amdhsa_system_sgpr_workgroup_id_z 0
		.amdhsa_system_sgpr_workgroup_info 0
		.amdhsa_system_vgpr_workitem_id 1
		.amdhsa_next_free_vgpr 23
		.amdhsa_next_free_sgpr 16
		.amdhsa_reserve_vcc 1
		.amdhsa_reserve_flat_scratch 0
		.amdhsa_float_round_mode_32 0
		.amdhsa_float_round_mode_16_64 0
		.amdhsa_float_denorm_mode_32 3
		.amdhsa_float_denorm_mode_16_64 3
		.amdhsa_dx10_clamp 1
		.amdhsa_ieee_mode 1
		.amdhsa_fp16_overflow 0
		.amdhsa_workgroup_processor_mode 1
		.amdhsa_memory_ordered 1
		.amdhsa_forward_progress 1
		.amdhsa_shared_vgpr_count 0
		.amdhsa_exception_fp_ieee_invalid_op 0
		.amdhsa_exception_fp_denorm_src 0
		.amdhsa_exception_fp_ieee_div_zero 0
		.amdhsa_exception_fp_ieee_overflow 0
		.amdhsa_exception_fp_ieee_underflow 0
		.amdhsa_exception_fp_ieee_inexact 0
		.amdhsa_exception_int_div_zero 0
	.end_amdhsa_kernel
	.section	.text._ZN12_GLOBAL__N_120softmax_warp_forwardIdddLi3ELb0ELb0ELi64EEEvPT0_PKT_iiiPKbib,"axG",@progbits,_ZN12_GLOBAL__N_120softmax_warp_forwardIdddLi3ELb0ELb0ELi64EEEvPT0_PKT_iiiPKbib,comdat
.Lfunc_end360:
	.size	_ZN12_GLOBAL__N_120softmax_warp_forwardIdddLi3ELb0ELb0ELi64EEEvPT0_PKT_iiiPKbib, .Lfunc_end360-_ZN12_GLOBAL__N_120softmax_warp_forwardIdddLi3ELb0ELb0ELi64EEEvPT0_PKT_iiiPKbib
                                        ; -- End function
	.set _ZN12_GLOBAL__N_120softmax_warp_forwardIdddLi3ELb0ELb0ELi64EEEvPT0_PKT_iiiPKbib.num_vgpr, 23
	.set _ZN12_GLOBAL__N_120softmax_warp_forwardIdddLi3ELb0ELb0ELi64EEEvPT0_PKT_iiiPKbib.num_agpr, 0
	.set _ZN12_GLOBAL__N_120softmax_warp_forwardIdddLi3ELb0ELb0ELi64EEEvPT0_PKT_iiiPKbib.numbered_sgpr, 16
	.set _ZN12_GLOBAL__N_120softmax_warp_forwardIdddLi3ELb0ELb0ELi64EEEvPT0_PKT_iiiPKbib.num_named_barrier, 0
	.set _ZN12_GLOBAL__N_120softmax_warp_forwardIdddLi3ELb0ELb0ELi64EEEvPT0_PKT_iiiPKbib.private_seg_size, 0
	.set _ZN12_GLOBAL__N_120softmax_warp_forwardIdddLi3ELb0ELb0ELi64EEEvPT0_PKT_iiiPKbib.uses_vcc, 1
	.set _ZN12_GLOBAL__N_120softmax_warp_forwardIdddLi3ELb0ELb0ELi64EEEvPT0_PKT_iiiPKbib.uses_flat_scratch, 0
	.set _ZN12_GLOBAL__N_120softmax_warp_forwardIdddLi3ELb0ELb0ELi64EEEvPT0_PKT_iiiPKbib.has_dyn_sized_stack, 0
	.set _ZN12_GLOBAL__N_120softmax_warp_forwardIdddLi3ELb0ELb0ELi64EEEvPT0_PKT_iiiPKbib.has_recursion, 0
	.set _ZN12_GLOBAL__N_120softmax_warp_forwardIdddLi3ELb0ELb0ELi64EEEvPT0_PKT_iiiPKbib.has_indirect_call, 0
	.section	.AMDGPU.csdata,"",@progbits
; Kernel info:
; codeLenInByte = 1632
; TotalNumSgprs: 18
; NumVgprs: 23
; ScratchSize: 0
; MemoryBound: 1
; FloatMode: 240
; IeeeMode: 1
; LDSByteSize: 0 bytes/workgroup (compile time only)
; SGPRBlocks: 0
; VGPRBlocks: 2
; NumSGPRsForWavesPerEU: 18
; NumVGPRsForWavesPerEU: 23
; Occupancy: 16
; WaveLimiterHint : 0
; COMPUTE_PGM_RSRC2:SCRATCH_EN: 0
; COMPUTE_PGM_RSRC2:USER_SGPR: 6
; COMPUTE_PGM_RSRC2:TRAP_HANDLER: 0
; COMPUTE_PGM_RSRC2:TGID_X_EN: 1
; COMPUTE_PGM_RSRC2:TGID_Y_EN: 0
; COMPUTE_PGM_RSRC2:TGID_Z_EN: 0
; COMPUTE_PGM_RSRC2:TIDIG_COMP_CNT: 1
	.section	.text._ZN12_GLOBAL__N_120softmax_warp_forwardIdddLi3ELb0ELb0ELi32EEEvPT0_PKT_iiiPKbib,"axG",@progbits,_ZN12_GLOBAL__N_120softmax_warp_forwardIdddLi3ELb0ELb0ELi32EEEvPT0_PKT_iiiPKbib,comdat
	.globl	_ZN12_GLOBAL__N_120softmax_warp_forwardIdddLi3ELb0ELb0ELi32EEEvPT0_PKT_iiiPKbib ; -- Begin function _ZN12_GLOBAL__N_120softmax_warp_forwardIdddLi3ELb0ELb0ELi32EEEvPT0_PKT_iiiPKbib
	.p2align	8
	.type	_ZN12_GLOBAL__N_120softmax_warp_forwardIdddLi3ELb0ELb0ELi32EEEvPT0_PKT_iiiPKbib,@function
_ZN12_GLOBAL__N_120softmax_warp_forwardIdddLi3ELb0ELb0ELi32EEEvPT0_PKT_iiiPKbib: ; @_ZN12_GLOBAL__N_120softmax_warp_forwardIdddLi3ELb0ELb0ELi32EEEvPT0_PKT_iiiPKbib
; %bb.0:
	s_clause 0x1
	s_load_dword s0, s[4:5], 0x3c
	s_load_dwordx8 s[8:15], s[4:5], 0x0
	v_mov_b32_e32 v5, 0
	v_mov_b32_e32 v6, 0xfff00000
	s_waitcnt lgkmcnt(0)
	s_lshr_b32 s0, s0, 16
	s_and_b32 s0, s0, 0xffff
	s_mul_i32 s6, s6, s0
	v_cmp_gt_i32_e64 s0, s14, v0
	v_add_lshl_u32 v3, s6, v1, 1
	v_mad_u64_u32 v[1:2], null, v3, s13, v[0:1]
	v_sub_nc_u32_e32 v14, s12, v3
	v_mov_b32_e32 v3, 0
	v_mov_b32_e32 v4, 0xfff00000
	v_cmp_lt_i32_e32 vcc_lo, 0, v14
	v_ashrrev_i32_e32 v2, 31, v1
	s_and_b32 s2, s0, vcc_lo
	v_lshlrev_b64 v[1:2], 3, v[1:2]
	v_add_co_u32 v7, s1, s10, v1
	v_add_co_ci_u32_e64 v8, null, s11, v2, s1
	s_and_saveexec_b32 s1, s2
	s_cbranch_execz .LBB361_2
; %bb.1:
	global_load_dwordx2 v[5:6], v[7:8], off
.LBB361_2:
	s_or_b32 exec_lo, exec_lo, s1
	v_cmp_lt_i32_e64 s1, 1, v14
	s_and_b32 s1, s0, s1
	s_and_saveexec_b32 s2, s1
	s_cbranch_execz .LBB361_4
; %bb.3:
	s_mov_b32 s15, 0
	s_lshl_b64 s[4:5], s[14:15], 3
	v_add_co_u32 v3, s1, v7, s4
	v_add_co_ci_u32_e64 v4, null, s5, v8, s1
	global_load_dwordx2 v[3:4], v[3:4], off
.LBB361_4:
	s_or_b32 exec_lo, exec_lo, s2
	v_mbcnt_lo_u32_b32 v13, -1, 0
	s_mov_b32 s4, 0x6a5dcb37
	s_mov_b32 s5, 0x3e5ade15
	v_and_b32_e32 v0, 24, v13
	v_xor_b32_e32 v7, 4, v13
	v_xor_b32_e32 v11, 2, v13
	;; [unrolled: 1-line block ×3, first 2 shown]
	v_add_nc_u32_e32 v17, 8, v0
	v_cmp_lt_i32_e64 s1, v7, v17
	v_cmp_lt_i32_e64 s3, v11, v17
	v_cndmask_b32_e64 v0, v13, v7, s1
	v_cndmask_b32_e64 v11, v13, v11, s3
	v_cmp_lt_i32_e64 s3, v18, v17
	v_lshlrev_b32_e32 v0, 2, v0
	v_lshlrev_b32_e32 v21, 2, v11
	v_cndmask_b32_e64 v13, v13, v18, s3
	s_waitcnt vmcnt(0)
	ds_bpermute_b32 v7, v0, v5
	ds_bpermute_b32 v8, v0, v6
	;; [unrolled: 1-line block ×4, first 2 shown]
	v_lshlrev_b32_e32 v22, 2, v13
	s_waitcnt lgkmcnt(2)
	v_cmp_lt_f64_e64 s1, v[5:6], v[7:8]
	s_waitcnt lgkmcnt(0)
	v_cmp_lt_f64_e64 s2, v[3:4], v[9:10]
	v_cndmask_b32_e64 v8, v6, v8, s1
	v_cndmask_b32_e64 v7, v5, v7, s1
	;; [unrolled: 1-line block ×4, first 2 shown]
	ds_bpermute_b32 v12, v21, v8
	ds_bpermute_b32 v11, v21, v7
	;; [unrolled: 1-line block ×4, first 2 shown]
	s_waitcnt lgkmcnt(2)
	v_cmp_lt_f64_e64 s1, v[7:8], v[11:12]
	s_waitcnt lgkmcnt(0)
	v_cmp_lt_f64_e64 s2, v[9:10], v[15:16]
	v_cndmask_b32_e64 v8, v8, v12, s1
	v_cndmask_b32_e64 v7, v7, v11, s1
	;; [unrolled: 1-line block ×4, first 2 shown]
	ds_bpermute_b32 v12, v22, v8
	ds_bpermute_b32 v11, v22, v7
	;; [unrolled: 1-line block ×4, first 2 shown]
	s_waitcnt lgkmcnt(2)
	v_cmp_lt_f64_e64 s1, v[7:8], v[11:12]
	s_waitcnt lgkmcnt(0)
	v_cmp_lt_f64_e64 s2, v[9:10], v[15:16]
	v_cndmask_b32_e64 v8, v8, v12, s1
	v_cndmask_b32_e64 v7, v7, v11, s1
	;; [unrolled: 1-line block ×4, first 2 shown]
	s_mov_b32 s2, 0x652b82fe
	s_mov_b32 s3, 0x3ff71547
	v_add_f64 v[5:6], v[5:6], -v[7:8]
	v_add_f64 v[3:4], v[3:4], -v[9:10]
	v_mul_f64 v[7:8], v[5:6], s[2:3]
	v_cmp_nlt_f64_e64 s1, 0x40900000, v[5:6]
	v_mul_f64 v[9:10], v[3:4], s[2:3]
	s_mov_b32 s2, 0xfefa39ef
	s_mov_b32 s3, 0xbfe62e42
	v_rndne_f64_e32 v[7:8], v[7:8]
	v_rndne_f64_e32 v[9:10], v[9:10]
	v_fma_f64 v[11:12], v[7:8], s[2:3], v[5:6]
	v_cvt_i32_f64_e32 v13, v[7:8]
	v_fma_f64 v[15:16], v[9:10], s[2:3], v[3:4]
	s_mov_b32 s2, 0x3b39803f
	s_mov_b32 s3, 0xbc7abc9e
	v_fma_f64 v[11:12], v[7:8], s[2:3], v[11:12]
	v_fma_f64 v[15:16], v[9:10], s[2:3], v[15:16]
	s_mov_b32 s2, 0xfca7ab0c
	s_mov_b32 s3, 0x3e928af3
	v_fma_f64 v[17:18], v[11:12], s[4:5], s[2:3]
	v_fma_f64 v[19:20], v[15:16], s[4:5], s[2:3]
	s_mov_b32 s2, 0x623fde64
	s_mov_b32 s3, 0x3ec71dee
	v_cmp_ngt_f64_e64 s4, 0xc090cc00, v[3:4]
	v_fma_f64 v[17:18], v[11:12], v[17:18], s[2:3]
	v_fma_f64 v[19:20], v[15:16], v[19:20], s[2:3]
	s_mov_b32 s2, 0x7c89e6b0
	s_mov_b32 s3, 0x3efa0199
	v_fma_f64 v[17:18], v[11:12], v[17:18], s[2:3]
	v_fma_f64 v[19:20], v[15:16], v[19:20], s[2:3]
	s_mov_b32 s2, 0x14761f6e
	s_mov_b32 s3, 0x3f2a01a0
	;; [unrolled: 4-line block ×7, first 2 shown]
	v_fma_f64 v[17:18], v[11:12], v[17:18], s[2:3]
	v_fma_f64 v[19:20], v[15:16], v[19:20], s[2:3]
	v_cmp_nlt_f64_e64 s3, 0x40900000, v[3:4]
	v_cmp_ngt_f64_e64 s2, 0xc090cc00, v[5:6]
	v_fma_f64 v[17:18], v[11:12], v[17:18], 1.0
	v_fma_f64 v[19:20], v[15:16], v[19:20], 1.0
	;; [unrolled: 1-line block ×3, first 2 shown]
	v_cvt_i32_f64_e32 v11, v[9:10]
	v_fma_f64 v[9:10], v[15:16], v[19:20], 1.0
	v_ldexp_f64 v[7:8], v[7:8], v13
	v_ldexp_f64 v[9:10], v[9:10], v11
	v_cndmask_b32_e64 v8, 0x7ff00000, v8, s1
	s_and_b32 s1, s2, s1
	v_cndmask_b32_e64 v5, 0x7ff00000, v10, s3
	v_cndmask_b32_e64 v6, 0, v8, s2
	;; [unrolled: 1-line block ×4, first 2 shown]
	s_and_b32 s1, s4, s3
	v_cndmask_b32_e64 v3, 0, v9, s1
	v_add_f64 v[7:8], v[5:6], 0
	v_add_f64 v[9:10], v[3:4], 0
	ds_bpermute_b32 v11, v0, v7
	ds_bpermute_b32 v12, v0, v8
	ds_bpermute_b32 v15, v0, v9
	ds_bpermute_b32 v16, v0, v10
	s_waitcnt lgkmcnt(2)
	v_add_f64 v[7:8], v[7:8], v[11:12]
	s_waitcnt lgkmcnt(0)
	v_add_f64 v[12:13], v[9:10], v[15:16]
	ds_bpermute_b32 v9, v21, v7
	ds_bpermute_b32 v10, v21, v8
	ds_bpermute_b32 v15, v21, v12
	ds_bpermute_b32 v16, v21, v13
	s_waitcnt lgkmcnt(2)
	v_add_f64 v[10:11], v[7:8], v[9:10]
	s_waitcnt lgkmcnt(0)
	v_add_f64 v[7:8], v[12:13], v[15:16]
	ds_bpermute_b32 v12, v22, v10
	ds_bpermute_b32 v13, v22, v11
	;; [unrolled: 1-line block ×4, first 2 shown]
	s_and_saveexec_b32 s1, vcc_lo
	s_cbranch_execz .LBB361_9
; %bb.5:
	v_add_co_u32 v0, vcc_lo, s8, v1
	v_add_co_ci_u32_e64 v1, null, s9, v2, vcc_lo
	s_and_saveexec_b32 s1, s0
	s_cbranch_execz .LBB361_7
; %bb.6:
	s_waitcnt lgkmcnt(2)
	v_add_f64 v[10:11], v[10:11], v[12:13]
	v_div_scale_f64 v[12:13], null, v[10:11], v[10:11], v[5:6]
	v_div_scale_f64 v[20:21], vcc_lo, v[5:6], v[10:11], v[5:6]
	v_rcp_f64_e32 v[16:17], v[12:13]
	v_fma_f64 v[18:19], -v[12:13], v[16:17], 1.0
	v_fma_f64 v[16:17], v[16:17], v[18:19], v[16:17]
	v_fma_f64 v[18:19], -v[12:13], v[16:17], 1.0
	v_fma_f64 v[16:17], v[16:17], v[18:19], v[16:17]
	v_mul_f64 v[18:19], v[20:21], v[16:17]
	v_fma_f64 v[12:13], -v[12:13], v[18:19], v[20:21]
	v_div_fmas_f64 v[12:13], v[12:13], v[16:17], v[18:19]
	v_cmp_neq_f64_e32 vcc_lo, 0, v[10:11]
	v_div_fixup_f64 v[5:6], v[12:13], v[10:11], v[5:6]
	v_cndmask_b32_e32 v6, 0x7ff80000, v6, vcc_lo
	v_cndmask_b32_e32 v5, 0, v5, vcc_lo
	global_store_dwordx2 v[0:1], v[5:6], off
.LBB361_7:
	s_or_b32 exec_lo, exec_lo, s1
	v_cmp_ne_u32_e32 vcc_lo, 1, v14
	s_and_b32 s0, vcc_lo, s0
	s_and_b32 exec_lo, exec_lo, s0
	s_cbranch_execz .LBB361_9
; %bb.8:
	s_waitcnt lgkmcnt(0)
	v_mov_b32_e32 v10, v15
	s_mov_b32 s15, 0
	s_lshl_b64 s[0:1], s[14:15], 3
	v_add_co_u32 v0, s0, v0, s0
	v_add_f64 v[5:6], v[7:8], v[9:10]
	v_add_co_ci_u32_e64 v1, null, s1, v1, s0
	v_div_scale_f64 v[7:8], null, v[5:6], v[5:6], v[3:4]
	v_div_scale_f64 v[13:14], vcc_lo, v[3:4], v[5:6], v[3:4]
	v_rcp_f64_e32 v[9:10], v[7:8]
	v_fma_f64 v[11:12], -v[7:8], v[9:10], 1.0
	v_fma_f64 v[9:10], v[9:10], v[11:12], v[9:10]
	v_fma_f64 v[11:12], -v[7:8], v[9:10], 1.0
	v_fma_f64 v[9:10], v[9:10], v[11:12], v[9:10]
	v_mul_f64 v[11:12], v[13:14], v[9:10]
	v_fma_f64 v[7:8], -v[7:8], v[11:12], v[13:14]
	v_div_fmas_f64 v[7:8], v[7:8], v[9:10], v[11:12]
	v_cmp_neq_f64_e32 vcc_lo, 0, v[5:6]
	v_div_fixup_f64 v[2:3], v[7:8], v[5:6], v[3:4]
	v_cndmask_b32_e32 v3, 0x7ff80000, v3, vcc_lo
	v_cndmask_b32_e32 v2, 0, v2, vcc_lo
	global_store_dwordx2 v[0:1], v[2:3], off
.LBB361_9:
	s_endpgm
	.section	.rodata,"a",@progbits
	.p2align	6, 0x0
	.amdhsa_kernel _ZN12_GLOBAL__N_120softmax_warp_forwardIdddLi3ELb0ELb0ELi32EEEvPT0_PKT_iiiPKbib
		.amdhsa_group_segment_fixed_size 0
		.amdhsa_private_segment_fixed_size 0
		.amdhsa_kernarg_size 304
		.amdhsa_user_sgpr_count 6
		.amdhsa_user_sgpr_private_segment_buffer 1
		.amdhsa_user_sgpr_dispatch_ptr 0
		.amdhsa_user_sgpr_queue_ptr 0
		.amdhsa_user_sgpr_kernarg_segment_ptr 1
		.amdhsa_user_sgpr_dispatch_id 0
		.amdhsa_user_sgpr_flat_scratch_init 0
		.amdhsa_user_sgpr_private_segment_size 0
		.amdhsa_wavefront_size32 1
		.amdhsa_uses_dynamic_stack 0
		.amdhsa_system_sgpr_private_segment_wavefront_offset 0
		.amdhsa_system_sgpr_workgroup_id_x 1
		.amdhsa_system_sgpr_workgroup_id_y 0
		.amdhsa_system_sgpr_workgroup_id_z 0
		.amdhsa_system_sgpr_workgroup_info 0
		.amdhsa_system_vgpr_workitem_id 1
		.amdhsa_next_free_vgpr 23
		.amdhsa_next_free_sgpr 16
		.amdhsa_reserve_vcc 1
		.amdhsa_reserve_flat_scratch 0
		.amdhsa_float_round_mode_32 0
		.amdhsa_float_round_mode_16_64 0
		.amdhsa_float_denorm_mode_32 3
		.amdhsa_float_denorm_mode_16_64 3
		.amdhsa_dx10_clamp 1
		.amdhsa_ieee_mode 1
		.amdhsa_fp16_overflow 0
		.amdhsa_workgroup_processor_mode 1
		.amdhsa_memory_ordered 1
		.amdhsa_forward_progress 1
		.amdhsa_shared_vgpr_count 0
		.amdhsa_exception_fp_ieee_invalid_op 0
		.amdhsa_exception_fp_denorm_src 0
		.amdhsa_exception_fp_ieee_div_zero 0
		.amdhsa_exception_fp_ieee_overflow 0
		.amdhsa_exception_fp_ieee_underflow 0
		.amdhsa_exception_fp_ieee_inexact 0
		.amdhsa_exception_int_div_zero 0
	.end_amdhsa_kernel
	.section	.text._ZN12_GLOBAL__N_120softmax_warp_forwardIdddLi3ELb0ELb0ELi32EEEvPT0_PKT_iiiPKbib,"axG",@progbits,_ZN12_GLOBAL__N_120softmax_warp_forwardIdddLi3ELb0ELb0ELi32EEEvPT0_PKT_iiiPKbib,comdat
.Lfunc_end361:
	.size	_ZN12_GLOBAL__N_120softmax_warp_forwardIdddLi3ELb0ELb0ELi32EEEvPT0_PKT_iiiPKbib, .Lfunc_end361-_ZN12_GLOBAL__N_120softmax_warp_forwardIdddLi3ELb0ELb0ELi32EEEvPT0_PKT_iiiPKbib
                                        ; -- End function
	.set _ZN12_GLOBAL__N_120softmax_warp_forwardIdddLi3ELb0ELb0ELi32EEEvPT0_PKT_iiiPKbib.num_vgpr, 23
	.set _ZN12_GLOBAL__N_120softmax_warp_forwardIdddLi3ELb0ELb0ELi32EEEvPT0_PKT_iiiPKbib.num_agpr, 0
	.set _ZN12_GLOBAL__N_120softmax_warp_forwardIdddLi3ELb0ELb0ELi32EEEvPT0_PKT_iiiPKbib.numbered_sgpr, 16
	.set _ZN12_GLOBAL__N_120softmax_warp_forwardIdddLi3ELb0ELb0ELi32EEEvPT0_PKT_iiiPKbib.num_named_barrier, 0
	.set _ZN12_GLOBAL__N_120softmax_warp_forwardIdddLi3ELb0ELb0ELi32EEEvPT0_PKT_iiiPKbib.private_seg_size, 0
	.set _ZN12_GLOBAL__N_120softmax_warp_forwardIdddLi3ELb0ELb0ELi32EEEvPT0_PKT_iiiPKbib.uses_vcc, 1
	.set _ZN12_GLOBAL__N_120softmax_warp_forwardIdddLi3ELb0ELb0ELi32EEEvPT0_PKT_iiiPKbib.uses_flat_scratch, 0
	.set _ZN12_GLOBAL__N_120softmax_warp_forwardIdddLi3ELb0ELb0ELi32EEEvPT0_PKT_iiiPKbib.has_dyn_sized_stack, 0
	.set _ZN12_GLOBAL__N_120softmax_warp_forwardIdddLi3ELb0ELb0ELi32EEEvPT0_PKT_iiiPKbib.has_recursion, 0
	.set _ZN12_GLOBAL__N_120softmax_warp_forwardIdddLi3ELb0ELb0ELi32EEEvPT0_PKT_iiiPKbib.has_indirect_call, 0
	.section	.AMDGPU.csdata,"",@progbits
; Kernel info:
; codeLenInByte = 1632
; TotalNumSgprs: 18
; NumVgprs: 23
; ScratchSize: 0
; MemoryBound: 1
; FloatMode: 240
; IeeeMode: 1
; LDSByteSize: 0 bytes/workgroup (compile time only)
; SGPRBlocks: 0
; VGPRBlocks: 2
; NumSGPRsForWavesPerEU: 18
; NumVGPRsForWavesPerEU: 23
; Occupancy: 16
; WaveLimiterHint : 0
; COMPUTE_PGM_RSRC2:SCRATCH_EN: 0
; COMPUTE_PGM_RSRC2:USER_SGPR: 6
; COMPUTE_PGM_RSRC2:TRAP_HANDLER: 0
; COMPUTE_PGM_RSRC2:TGID_X_EN: 1
; COMPUTE_PGM_RSRC2:TGID_Y_EN: 0
; COMPUTE_PGM_RSRC2:TGID_Z_EN: 0
; COMPUTE_PGM_RSRC2:TIDIG_COMP_CNT: 1
	.section	.text._ZN12_GLOBAL__N_120softmax_warp_forwardIdddLi4ELb0ELb0ELi64EEEvPT0_PKT_iiiPKbib,"axG",@progbits,_ZN12_GLOBAL__N_120softmax_warp_forwardIdddLi4ELb0ELb0ELi64EEEvPT0_PKT_iiiPKbib,comdat
	.globl	_ZN12_GLOBAL__N_120softmax_warp_forwardIdddLi4ELb0ELb0ELi64EEEvPT0_PKT_iiiPKbib ; -- Begin function _ZN12_GLOBAL__N_120softmax_warp_forwardIdddLi4ELb0ELb0ELi64EEEvPT0_PKT_iiiPKbib
	.p2align	8
	.type	_ZN12_GLOBAL__N_120softmax_warp_forwardIdddLi4ELb0ELb0ELi64EEEvPT0_PKT_iiiPKbib,@function
_ZN12_GLOBAL__N_120softmax_warp_forwardIdddLi4ELb0ELb0ELi64EEEvPT0_PKT_iiiPKbib: ; @_ZN12_GLOBAL__N_120softmax_warp_forwardIdddLi4ELb0ELb0ELi64EEEvPT0_PKT_iiiPKbib
; %bb.0:
	s_clause 0x1
	s_load_dword s0, s[4:5], 0x3c
	s_load_dwordx8 s[8:15], s[4:5], 0x0
	v_mov_b32_e32 v5, 0
	v_mov_b32_e32 v6, 0xfff00000
	s_waitcnt lgkmcnt(0)
	s_lshr_b32 s0, s0, 16
	s_and_b32 s0, s0, 0xffff
	s_mul_i32 s6, s6, s0
	v_cmp_gt_i32_e64 s0, s14, v0
	v_add_lshl_u32 v3, s6, v1, 1
	v_mad_u64_u32 v[1:2], null, v3, s13, v[0:1]
	v_sub_nc_u32_e32 v14, s12, v3
	v_mov_b32_e32 v3, 0
	v_mov_b32_e32 v4, 0xfff00000
	v_cmp_lt_i32_e32 vcc_lo, 0, v14
	v_ashrrev_i32_e32 v2, 31, v1
	s_and_b32 s2, s0, vcc_lo
	v_lshlrev_b64 v[1:2], 3, v[1:2]
	v_add_co_u32 v7, s1, s10, v1
	v_add_co_ci_u32_e64 v8, null, s11, v2, s1
	s_and_saveexec_b32 s1, s2
	s_cbranch_execz .LBB362_2
; %bb.1:
	global_load_dwordx2 v[5:6], v[7:8], off
.LBB362_2:
	s_or_b32 exec_lo, exec_lo, s1
	v_cmp_lt_i32_e64 s1, 1, v14
	s_and_b32 s1, s0, s1
	s_and_saveexec_b32 s2, s1
	s_cbranch_execz .LBB362_4
; %bb.3:
	s_mov_b32 s15, 0
	s_lshl_b64 s[4:5], s[14:15], 3
	v_add_co_u32 v3, s1, v7, s4
	v_add_co_ci_u32_e64 v4, null, s5, v8, s1
	global_load_dwordx2 v[3:4], v[3:4], off
.LBB362_4:
	s_or_b32 exec_lo, exec_lo, s2
	v_mbcnt_lo_u32_b32 v19, -1, 0
	s_mov_b32 s4, 0x6a5dcb37
	s_mov_b32 s5, 0x3e5ade15
	v_and_b32_e32 v0, 16, v19
	v_xor_b32_e32 v7, 8, v19
	v_add_nc_u32_e32 v20, 16, v0
	v_cmp_lt_i32_e64 s1, v7, v20
	v_cndmask_b32_e64 v0, v19, v7, s1
	v_xor_b32_e32 v7, 4, v19
	v_lshlrev_b32_e32 v0, 2, v0
	v_cmp_lt_i32_e64 s3, v7, v20
	s_waitcnt vmcnt(0)
	ds_bpermute_b32 v8, v0, v5
	ds_bpermute_b32 v9, v0, v6
	;; [unrolled: 1-line block ×4, first 2 shown]
	v_cndmask_b32_e64 v7, v19, v7, s3
	v_lshlrev_b32_e32 v7, 2, v7
	s_waitcnt lgkmcnt(2)
	v_cmp_lt_f64_e64 s1, v[5:6], v[8:9]
	s_waitcnt lgkmcnt(0)
	v_cmp_lt_f64_e64 s2, v[3:4], v[10:11]
	v_cndmask_b32_e64 v13, v6, v9, s1
	v_cndmask_b32_e64 v12, v5, v8, s1
	;; [unrolled: 1-line block ×4, first 2 shown]
	v_xor_b32_e32 v8, 2, v19
	ds_bpermute_b32 v16, v7, v13
	ds_bpermute_b32 v15, v7, v12
	ds_bpermute_b32 v18, v7, v11
	ds_bpermute_b32 v17, v7, v10
	v_cmp_lt_i32_e64 s3, v8, v20
	v_xor_b32_e32 v9, 1, v19
	v_cndmask_b32_e64 v8, v19, v8, s3
	v_cmp_lt_i32_e64 s3, v9, v20
	v_lshlrev_b32_e32 v8, 2, v8
	v_cndmask_b32_e64 v9, v19, v9, s3
	v_lshlrev_b32_e32 v23, 2, v9
	s_waitcnt lgkmcnt(2)
	v_cmp_lt_f64_e64 s1, v[12:13], v[15:16]
	s_waitcnt lgkmcnt(0)
	v_cmp_lt_f64_e64 s2, v[10:11], v[17:18]
	v_cndmask_b32_e64 v13, v13, v16, s1
	v_cndmask_b32_e64 v12, v12, v15, s1
	;; [unrolled: 1-line block ×4, first 2 shown]
	ds_bpermute_b32 v16, v8, v13
	ds_bpermute_b32 v15, v8, v12
	;; [unrolled: 1-line block ×4, first 2 shown]
	s_waitcnt lgkmcnt(2)
	v_cmp_lt_f64_e64 s1, v[12:13], v[15:16]
	s_waitcnt lgkmcnt(0)
	v_cmp_lt_f64_e64 s2, v[10:11], v[17:18]
	v_cndmask_b32_e64 v13, v13, v16, s1
	v_cndmask_b32_e64 v12, v12, v15, s1
	;; [unrolled: 1-line block ×4, first 2 shown]
	ds_bpermute_b32 v16, v23, v13
	ds_bpermute_b32 v15, v23, v12
	ds_bpermute_b32 v18, v23, v11
	ds_bpermute_b32 v17, v23, v10
	s_waitcnt lgkmcnt(2)
	v_cmp_lt_f64_e64 s1, v[12:13], v[15:16]
	s_waitcnt lgkmcnt(0)
	v_cmp_lt_f64_e64 s2, v[10:11], v[17:18]
	v_cndmask_b32_e64 v13, v13, v16, s1
	v_cndmask_b32_e64 v12, v12, v15, s1
	v_cndmask_b32_e64 v11, v11, v18, s2
	v_cndmask_b32_e64 v10, v10, v17, s2
	s_mov_b32 s2, 0x652b82fe
	s_mov_b32 s3, 0x3ff71547
	v_add_f64 v[5:6], v[5:6], -v[12:13]
	v_add_f64 v[3:4], v[3:4], -v[10:11]
	v_mul_f64 v[9:10], v[5:6], s[2:3]
	v_cmp_nlt_f64_e64 s1, 0x40900000, v[5:6]
	v_mul_f64 v[11:12], v[3:4], s[2:3]
	s_mov_b32 s2, 0xfefa39ef
	s_mov_b32 s3, 0xbfe62e42
	v_rndne_f64_e32 v[9:10], v[9:10]
	v_rndne_f64_e32 v[11:12], v[11:12]
	v_fma_f64 v[15:16], v[9:10], s[2:3], v[5:6]
	v_cvt_i32_f64_e32 v13, v[9:10]
	v_fma_f64 v[17:18], v[11:12], s[2:3], v[3:4]
	s_mov_b32 s2, 0x3b39803f
	s_mov_b32 s3, 0xbc7abc9e
	v_fma_f64 v[15:16], v[9:10], s[2:3], v[15:16]
	v_fma_f64 v[17:18], v[11:12], s[2:3], v[17:18]
	s_mov_b32 s2, 0xfca7ab0c
	s_mov_b32 s3, 0x3e928af3
	v_fma_f64 v[19:20], v[15:16], s[4:5], s[2:3]
	v_fma_f64 v[21:22], v[17:18], s[4:5], s[2:3]
	s_mov_b32 s2, 0x623fde64
	s_mov_b32 s3, 0x3ec71dee
	v_cmp_ngt_f64_e64 s4, 0xc090cc00, v[3:4]
	v_fma_f64 v[19:20], v[15:16], v[19:20], s[2:3]
	v_fma_f64 v[21:22], v[17:18], v[21:22], s[2:3]
	s_mov_b32 s2, 0x7c89e6b0
	s_mov_b32 s3, 0x3efa0199
	v_fma_f64 v[19:20], v[15:16], v[19:20], s[2:3]
	v_fma_f64 v[21:22], v[17:18], v[21:22], s[2:3]
	s_mov_b32 s2, 0x14761f6e
	s_mov_b32 s3, 0x3f2a01a0
	;; [unrolled: 4-line block ×7, first 2 shown]
	v_fma_f64 v[19:20], v[15:16], v[19:20], s[2:3]
	v_fma_f64 v[21:22], v[17:18], v[21:22], s[2:3]
	v_cmp_nlt_f64_e64 s3, 0x40900000, v[3:4]
	v_cmp_ngt_f64_e64 s2, 0xc090cc00, v[5:6]
	v_fma_f64 v[19:20], v[15:16], v[19:20], 1.0
	v_fma_f64 v[21:22], v[17:18], v[21:22], 1.0
	;; [unrolled: 1-line block ×3, first 2 shown]
	v_cvt_i32_f64_e32 v15, v[11:12]
	v_fma_f64 v[11:12], v[17:18], v[21:22], 1.0
	v_ldexp_f64 v[9:10], v[9:10], v13
	v_ldexp_f64 v[11:12], v[11:12], v15
	v_cndmask_b32_e64 v10, 0x7ff00000, v10, s1
	s_and_b32 s1, s2, s1
	v_cndmask_b32_e64 v5, 0x7ff00000, v12, s3
	v_cndmask_b32_e64 v6, 0, v10, s2
	;; [unrolled: 1-line block ×4, first 2 shown]
	s_and_b32 s1, s4, s3
	v_cndmask_b32_e64 v3, 0, v11, s1
	v_add_f64 v[9:10], v[5:6], 0
	v_add_f64 v[11:12], v[3:4], 0
	ds_bpermute_b32 v15, v0, v9
	ds_bpermute_b32 v16, v0, v10
	ds_bpermute_b32 v17, v0, v11
	ds_bpermute_b32 v18, v0, v12
	s_waitcnt lgkmcnt(2)
	v_add_f64 v[9:10], v[9:10], v[15:16]
	s_waitcnt lgkmcnt(0)
	v_add_f64 v[11:12], v[11:12], v[17:18]
	ds_bpermute_b32 v15, v7, v9
	ds_bpermute_b32 v16, v7, v10
	ds_bpermute_b32 v17, v7, v11
	ds_bpermute_b32 v18, v7, v12
	s_waitcnt lgkmcnt(2)
	v_add_f64 v[9:10], v[9:10], v[15:16]
	s_waitcnt lgkmcnt(0)
	;; [unrolled: 8-line block ×3, first 2 shown]
	v_add_f64 v[7:8], v[12:13], v[7:8]
	ds_bpermute_b32 v12, v23, v10
	ds_bpermute_b32 v13, v23, v11
	;; [unrolled: 1-line block ×4, first 2 shown]
	s_and_saveexec_b32 s1, vcc_lo
	s_cbranch_execz .LBB362_9
; %bb.5:
	v_add_co_u32 v0, vcc_lo, s8, v1
	v_add_co_ci_u32_e64 v1, null, s9, v2, vcc_lo
	s_and_saveexec_b32 s1, s0
	s_cbranch_execz .LBB362_7
; %bb.6:
	s_waitcnt lgkmcnt(2)
	v_add_f64 v[10:11], v[10:11], v[12:13]
	v_div_scale_f64 v[12:13], null, v[10:11], v[10:11], v[5:6]
	v_div_scale_f64 v[20:21], vcc_lo, v[5:6], v[10:11], v[5:6]
	v_rcp_f64_e32 v[16:17], v[12:13]
	v_fma_f64 v[18:19], -v[12:13], v[16:17], 1.0
	v_fma_f64 v[16:17], v[16:17], v[18:19], v[16:17]
	v_fma_f64 v[18:19], -v[12:13], v[16:17], 1.0
	v_fma_f64 v[16:17], v[16:17], v[18:19], v[16:17]
	v_mul_f64 v[18:19], v[20:21], v[16:17]
	v_fma_f64 v[12:13], -v[12:13], v[18:19], v[20:21]
	v_div_fmas_f64 v[12:13], v[12:13], v[16:17], v[18:19]
	v_cmp_neq_f64_e32 vcc_lo, 0, v[10:11]
	v_div_fixup_f64 v[5:6], v[12:13], v[10:11], v[5:6]
	v_cndmask_b32_e32 v6, 0x7ff80000, v6, vcc_lo
	v_cndmask_b32_e32 v5, 0, v5, vcc_lo
	global_store_dwordx2 v[0:1], v[5:6], off
.LBB362_7:
	s_or_b32 exec_lo, exec_lo, s1
	v_cmp_ne_u32_e32 vcc_lo, 1, v14
	s_and_b32 s0, vcc_lo, s0
	s_and_b32 exec_lo, exec_lo, s0
	s_cbranch_execz .LBB362_9
; %bb.8:
	s_waitcnt lgkmcnt(0)
	v_mov_b32_e32 v10, v15
	s_mov_b32 s15, 0
	s_lshl_b64 s[0:1], s[14:15], 3
	v_add_co_u32 v0, s0, v0, s0
	v_add_f64 v[5:6], v[7:8], v[9:10]
	v_add_co_ci_u32_e64 v1, null, s1, v1, s0
	v_div_scale_f64 v[7:8], null, v[5:6], v[5:6], v[3:4]
	v_div_scale_f64 v[13:14], vcc_lo, v[3:4], v[5:6], v[3:4]
	v_rcp_f64_e32 v[9:10], v[7:8]
	v_fma_f64 v[11:12], -v[7:8], v[9:10], 1.0
	v_fma_f64 v[9:10], v[9:10], v[11:12], v[9:10]
	v_fma_f64 v[11:12], -v[7:8], v[9:10], 1.0
	v_fma_f64 v[9:10], v[9:10], v[11:12], v[9:10]
	v_mul_f64 v[11:12], v[13:14], v[9:10]
	v_fma_f64 v[7:8], -v[7:8], v[11:12], v[13:14]
	v_div_fmas_f64 v[7:8], v[7:8], v[9:10], v[11:12]
	v_cmp_neq_f64_e32 vcc_lo, 0, v[5:6]
	v_div_fixup_f64 v[2:3], v[7:8], v[5:6], v[3:4]
	v_cndmask_b32_e32 v3, 0x7ff80000, v3, vcc_lo
	v_cndmask_b32_e32 v2, 0, v2, vcc_lo
	global_store_dwordx2 v[0:1], v[2:3], off
.LBB362_9:
	s_endpgm
	.section	.rodata,"a",@progbits
	.p2align	6, 0x0
	.amdhsa_kernel _ZN12_GLOBAL__N_120softmax_warp_forwardIdddLi4ELb0ELb0ELi64EEEvPT0_PKT_iiiPKbib
		.amdhsa_group_segment_fixed_size 0
		.amdhsa_private_segment_fixed_size 0
		.amdhsa_kernarg_size 304
		.amdhsa_user_sgpr_count 6
		.amdhsa_user_sgpr_private_segment_buffer 1
		.amdhsa_user_sgpr_dispatch_ptr 0
		.amdhsa_user_sgpr_queue_ptr 0
		.amdhsa_user_sgpr_kernarg_segment_ptr 1
		.amdhsa_user_sgpr_dispatch_id 0
		.amdhsa_user_sgpr_flat_scratch_init 0
		.amdhsa_user_sgpr_private_segment_size 0
		.amdhsa_wavefront_size32 1
		.amdhsa_uses_dynamic_stack 0
		.amdhsa_system_sgpr_private_segment_wavefront_offset 0
		.amdhsa_system_sgpr_workgroup_id_x 1
		.amdhsa_system_sgpr_workgroup_id_y 0
		.amdhsa_system_sgpr_workgroup_id_z 0
		.amdhsa_system_sgpr_workgroup_info 0
		.amdhsa_system_vgpr_workitem_id 1
		.amdhsa_next_free_vgpr 24
		.amdhsa_next_free_sgpr 16
		.amdhsa_reserve_vcc 1
		.amdhsa_reserve_flat_scratch 0
		.amdhsa_float_round_mode_32 0
		.amdhsa_float_round_mode_16_64 0
		.amdhsa_float_denorm_mode_32 3
		.amdhsa_float_denorm_mode_16_64 3
		.amdhsa_dx10_clamp 1
		.amdhsa_ieee_mode 1
		.amdhsa_fp16_overflow 0
		.amdhsa_workgroup_processor_mode 1
		.amdhsa_memory_ordered 1
		.amdhsa_forward_progress 1
		.amdhsa_shared_vgpr_count 0
		.amdhsa_exception_fp_ieee_invalid_op 0
		.amdhsa_exception_fp_denorm_src 0
		.amdhsa_exception_fp_ieee_div_zero 0
		.amdhsa_exception_fp_ieee_overflow 0
		.amdhsa_exception_fp_ieee_underflow 0
		.amdhsa_exception_fp_ieee_inexact 0
		.amdhsa_exception_int_div_zero 0
	.end_amdhsa_kernel
	.section	.text._ZN12_GLOBAL__N_120softmax_warp_forwardIdddLi4ELb0ELb0ELi64EEEvPT0_PKT_iiiPKbib,"axG",@progbits,_ZN12_GLOBAL__N_120softmax_warp_forwardIdddLi4ELb0ELb0ELi64EEEvPT0_PKT_iiiPKbib,comdat
.Lfunc_end362:
	.size	_ZN12_GLOBAL__N_120softmax_warp_forwardIdddLi4ELb0ELb0ELi64EEEvPT0_PKT_iiiPKbib, .Lfunc_end362-_ZN12_GLOBAL__N_120softmax_warp_forwardIdddLi4ELb0ELb0ELi64EEEvPT0_PKT_iiiPKbib
                                        ; -- End function
	.set _ZN12_GLOBAL__N_120softmax_warp_forwardIdddLi4ELb0ELb0ELi64EEEvPT0_PKT_iiiPKbib.num_vgpr, 24
	.set _ZN12_GLOBAL__N_120softmax_warp_forwardIdddLi4ELb0ELb0ELi64EEEvPT0_PKT_iiiPKbib.num_agpr, 0
	.set _ZN12_GLOBAL__N_120softmax_warp_forwardIdddLi4ELb0ELb0ELi64EEEvPT0_PKT_iiiPKbib.numbered_sgpr, 16
	.set _ZN12_GLOBAL__N_120softmax_warp_forwardIdddLi4ELb0ELb0ELi64EEEvPT0_PKT_iiiPKbib.num_named_barrier, 0
	.set _ZN12_GLOBAL__N_120softmax_warp_forwardIdddLi4ELb0ELb0ELi64EEEvPT0_PKT_iiiPKbib.private_seg_size, 0
	.set _ZN12_GLOBAL__N_120softmax_warp_forwardIdddLi4ELb0ELb0ELi64EEEvPT0_PKT_iiiPKbib.uses_vcc, 1
	.set _ZN12_GLOBAL__N_120softmax_warp_forwardIdddLi4ELb0ELb0ELi64EEEvPT0_PKT_iiiPKbib.uses_flat_scratch, 0
	.set _ZN12_GLOBAL__N_120softmax_warp_forwardIdddLi4ELb0ELb0ELi64EEEvPT0_PKT_iiiPKbib.has_dyn_sized_stack, 0
	.set _ZN12_GLOBAL__N_120softmax_warp_forwardIdddLi4ELb0ELb0ELi64EEEvPT0_PKT_iiiPKbib.has_recursion, 0
	.set _ZN12_GLOBAL__N_120softmax_warp_forwardIdddLi4ELb0ELb0ELi64EEEvPT0_PKT_iiiPKbib.has_indirect_call, 0
	.section	.AMDGPU.csdata,"",@progbits
; Kernel info:
; codeLenInByte = 1800
; TotalNumSgprs: 18
; NumVgprs: 24
; ScratchSize: 0
; MemoryBound: 1
; FloatMode: 240
; IeeeMode: 1
; LDSByteSize: 0 bytes/workgroup (compile time only)
; SGPRBlocks: 0
; VGPRBlocks: 2
; NumSGPRsForWavesPerEU: 18
; NumVGPRsForWavesPerEU: 24
; Occupancy: 16
; WaveLimiterHint : 0
; COMPUTE_PGM_RSRC2:SCRATCH_EN: 0
; COMPUTE_PGM_RSRC2:USER_SGPR: 6
; COMPUTE_PGM_RSRC2:TRAP_HANDLER: 0
; COMPUTE_PGM_RSRC2:TGID_X_EN: 1
; COMPUTE_PGM_RSRC2:TGID_Y_EN: 0
; COMPUTE_PGM_RSRC2:TGID_Z_EN: 0
; COMPUTE_PGM_RSRC2:TIDIG_COMP_CNT: 1
	.section	.text._ZN12_GLOBAL__N_120softmax_warp_forwardIdddLi4ELb0ELb0ELi32EEEvPT0_PKT_iiiPKbib,"axG",@progbits,_ZN12_GLOBAL__N_120softmax_warp_forwardIdddLi4ELb0ELb0ELi32EEEvPT0_PKT_iiiPKbib,comdat
	.globl	_ZN12_GLOBAL__N_120softmax_warp_forwardIdddLi4ELb0ELb0ELi32EEEvPT0_PKT_iiiPKbib ; -- Begin function _ZN12_GLOBAL__N_120softmax_warp_forwardIdddLi4ELb0ELb0ELi32EEEvPT0_PKT_iiiPKbib
	.p2align	8
	.type	_ZN12_GLOBAL__N_120softmax_warp_forwardIdddLi4ELb0ELb0ELi32EEEvPT0_PKT_iiiPKbib,@function
_ZN12_GLOBAL__N_120softmax_warp_forwardIdddLi4ELb0ELb0ELi32EEEvPT0_PKT_iiiPKbib: ; @_ZN12_GLOBAL__N_120softmax_warp_forwardIdddLi4ELb0ELb0ELi32EEEvPT0_PKT_iiiPKbib
; %bb.0:
	s_clause 0x1
	s_load_dword s0, s[4:5], 0x3c
	s_load_dwordx8 s[8:15], s[4:5], 0x0
	v_mov_b32_e32 v5, 0
	v_mov_b32_e32 v6, 0xfff00000
	s_waitcnt lgkmcnt(0)
	s_lshr_b32 s0, s0, 16
	s_and_b32 s0, s0, 0xffff
	s_mul_i32 s6, s6, s0
	v_cmp_gt_i32_e64 s0, s14, v0
	v_add_lshl_u32 v3, s6, v1, 1
	v_mad_u64_u32 v[1:2], null, v3, s13, v[0:1]
	v_sub_nc_u32_e32 v14, s12, v3
	v_mov_b32_e32 v3, 0
	v_mov_b32_e32 v4, 0xfff00000
	v_cmp_lt_i32_e32 vcc_lo, 0, v14
	v_ashrrev_i32_e32 v2, 31, v1
	s_and_b32 s2, s0, vcc_lo
	v_lshlrev_b64 v[1:2], 3, v[1:2]
	v_add_co_u32 v7, s1, s10, v1
	v_add_co_ci_u32_e64 v8, null, s11, v2, s1
	s_and_saveexec_b32 s1, s2
	s_cbranch_execz .LBB363_2
; %bb.1:
	global_load_dwordx2 v[5:6], v[7:8], off
.LBB363_2:
	s_or_b32 exec_lo, exec_lo, s1
	v_cmp_lt_i32_e64 s1, 1, v14
	s_and_b32 s1, s0, s1
	s_and_saveexec_b32 s2, s1
	s_cbranch_execz .LBB363_4
; %bb.3:
	s_mov_b32 s15, 0
	s_lshl_b64 s[4:5], s[14:15], 3
	v_add_co_u32 v3, s1, v7, s4
	v_add_co_ci_u32_e64 v4, null, s5, v8, s1
	global_load_dwordx2 v[3:4], v[3:4], off
.LBB363_4:
	s_or_b32 exec_lo, exec_lo, s2
	v_mbcnt_lo_u32_b32 v19, -1, 0
	s_mov_b32 s4, 0x6a5dcb37
	s_mov_b32 s5, 0x3e5ade15
	v_and_b32_e32 v0, 16, v19
	v_xor_b32_e32 v7, 8, v19
	v_add_nc_u32_e32 v20, 16, v0
	v_cmp_lt_i32_e64 s1, v7, v20
	v_cndmask_b32_e64 v0, v19, v7, s1
	v_xor_b32_e32 v7, 4, v19
	v_lshlrev_b32_e32 v0, 2, v0
	v_cmp_lt_i32_e64 s3, v7, v20
	s_waitcnt vmcnt(0)
	ds_bpermute_b32 v8, v0, v5
	ds_bpermute_b32 v9, v0, v6
	;; [unrolled: 1-line block ×4, first 2 shown]
	v_cndmask_b32_e64 v7, v19, v7, s3
	v_lshlrev_b32_e32 v7, 2, v7
	s_waitcnt lgkmcnt(2)
	v_cmp_lt_f64_e64 s1, v[5:6], v[8:9]
	s_waitcnt lgkmcnt(0)
	v_cmp_lt_f64_e64 s2, v[3:4], v[10:11]
	v_cndmask_b32_e64 v13, v6, v9, s1
	v_cndmask_b32_e64 v12, v5, v8, s1
	;; [unrolled: 1-line block ×4, first 2 shown]
	v_xor_b32_e32 v8, 2, v19
	ds_bpermute_b32 v16, v7, v13
	ds_bpermute_b32 v15, v7, v12
	;; [unrolled: 1-line block ×4, first 2 shown]
	v_cmp_lt_i32_e64 s3, v8, v20
	v_xor_b32_e32 v9, 1, v19
	v_cndmask_b32_e64 v8, v19, v8, s3
	v_cmp_lt_i32_e64 s3, v9, v20
	v_lshlrev_b32_e32 v8, 2, v8
	v_cndmask_b32_e64 v9, v19, v9, s3
	v_lshlrev_b32_e32 v23, 2, v9
	s_waitcnt lgkmcnt(2)
	v_cmp_lt_f64_e64 s1, v[12:13], v[15:16]
	s_waitcnt lgkmcnt(0)
	v_cmp_lt_f64_e64 s2, v[10:11], v[17:18]
	v_cndmask_b32_e64 v13, v13, v16, s1
	v_cndmask_b32_e64 v12, v12, v15, s1
	;; [unrolled: 1-line block ×4, first 2 shown]
	ds_bpermute_b32 v16, v8, v13
	ds_bpermute_b32 v15, v8, v12
	;; [unrolled: 1-line block ×4, first 2 shown]
	s_waitcnt lgkmcnt(2)
	v_cmp_lt_f64_e64 s1, v[12:13], v[15:16]
	s_waitcnt lgkmcnt(0)
	v_cmp_lt_f64_e64 s2, v[10:11], v[17:18]
	v_cndmask_b32_e64 v13, v13, v16, s1
	v_cndmask_b32_e64 v12, v12, v15, s1
	;; [unrolled: 1-line block ×4, first 2 shown]
	ds_bpermute_b32 v16, v23, v13
	ds_bpermute_b32 v15, v23, v12
	;; [unrolled: 1-line block ×4, first 2 shown]
	s_waitcnt lgkmcnt(2)
	v_cmp_lt_f64_e64 s1, v[12:13], v[15:16]
	s_waitcnt lgkmcnt(0)
	v_cmp_lt_f64_e64 s2, v[10:11], v[17:18]
	v_cndmask_b32_e64 v13, v13, v16, s1
	v_cndmask_b32_e64 v12, v12, v15, s1
	;; [unrolled: 1-line block ×4, first 2 shown]
	s_mov_b32 s2, 0x652b82fe
	s_mov_b32 s3, 0x3ff71547
	v_add_f64 v[5:6], v[5:6], -v[12:13]
	v_add_f64 v[3:4], v[3:4], -v[10:11]
	v_mul_f64 v[9:10], v[5:6], s[2:3]
	v_cmp_nlt_f64_e64 s1, 0x40900000, v[5:6]
	v_mul_f64 v[11:12], v[3:4], s[2:3]
	s_mov_b32 s2, 0xfefa39ef
	s_mov_b32 s3, 0xbfe62e42
	v_rndne_f64_e32 v[9:10], v[9:10]
	v_rndne_f64_e32 v[11:12], v[11:12]
	v_fma_f64 v[15:16], v[9:10], s[2:3], v[5:6]
	v_cvt_i32_f64_e32 v13, v[9:10]
	v_fma_f64 v[17:18], v[11:12], s[2:3], v[3:4]
	s_mov_b32 s2, 0x3b39803f
	s_mov_b32 s3, 0xbc7abc9e
	v_fma_f64 v[15:16], v[9:10], s[2:3], v[15:16]
	v_fma_f64 v[17:18], v[11:12], s[2:3], v[17:18]
	s_mov_b32 s2, 0xfca7ab0c
	s_mov_b32 s3, 0x3e928af3
	v_fma_f64 v[19:20], v[15:16], s[4:5], s[2:3]
	v_fma_f64 v[21:22], v[17:18], s[4:5], s[2:3]
	s_mov_b32 s2, 0x623fde64
	s_mov_b32 s3, 0x3ec71dee
	v_cmp_ngt_f64_e64 s4, 0xc090cc00, v[3:4]
	v_fma_f64 v[19:20], v[15:16], v[19:20], s[2:3]
	v_fma_f64 v[21:22], v[17:18], v[21:22], s[2:3]
	s_mov_b32 s2, 0x7c89e6b0
	s_mov_b32 s3, 0x3efa0199
	v_fma_f64 v[19:20], v[15:16], v[19:20], s[2:3]
	v_fma_f64 v[21:22], v[17:18], v[21:22], s[2:3]
	s_mov_b32 s2, 0x14761f6e
	s_mov_b32 s3, 0x3f2a01a0
	;; [unrolled: 4-line block ×7, first 2 shown]
	v_fma_f64 v[19:20], v[15:16], v[19:20], s[2:3]
	v_fma_f64 v[21:22], v[17:18], v[21:22], s[2:3]
	v_cmp_nlt_f64_e64 s3, 0x40900000, v[3:4]
	v_cmp_ngt_f64_e64 s2, 0xc090cc00, v[5:6]
	v_fma_f64 v[19:20], v[15:16], v[19:20], 1.0
	v_fma_f64 v[21:22], v[17:18], v[21:22], 1.0
	;; [unrolled: 1-line block ×3, first 2 shown]
	v_cvt_i32_f64_e32 v15, v[11:12]
	v_fma_f64 v[11:12], v[17:18], v[21:22], 1.0
	v_ldexp_f64 v[9:10], v[9:10], v13
	v_ldexp_f64 v[11:12], v[11:12], v15
	v_cndmask_b32_e64 v10, 0x7ff00000, v10, s1
	s_and_b32 s1, s2, s1
	v_cndmask_b32_e64 v5, 0x7ff00000, v12, s3
	v_cndmask_b32_e64 v6, 0, v10, s2
	v_cndmask_b32_e64 v4, 0, v5, s4
	v_cndmask_b32_e64 v5, 0, v9, s1
	s_and_b32 s1, s4, s3
	v_cndmask_b32_e64 v3, 0, v11, s1
	v_add_f64 v[9:10], v[5:6], 0
	v_add_f64 v[11:12], v[3:4], 0
	ds_bpermute_b32 v15, v0, v9
	ds_bpermute_b32 v16, v0, v10
	ds_bpermute_b32 v17, v0, v11
	ds_bpermute_b32 v18, v0, v12
	s_waitcnt lgkmcnt(2)
	v_add_f64 v[9:10], v[9:10], v[15:16]
	s_waitcnt lgkmcnt(0)
	v_add_f64 v[11:12], v[11:12], v[17:18]
	ds_bpermute_b32 v15, v7, v9
	ds_bpermute_b32 v16, v7, v10
	ds_bpermute_b32 v17, v7, v11
	ds_bpermute_b32 v18, v7, v12
	s_waitcnt lgkmcnt(2)
	v_add_f64 v[9:10], v[9:10], v[15:16]
	s_waitcnt lgkmcnt(0)
	;; [unrolled: 8-line block ×3, first 2 shown]
	v_add_f64 v[7:8], v[12:13], v[7:8]
	ds_bpermute_b32 v12, v23, v10
	ds_bpermute_b32 v13, v23, v11
	;; [unrolled: 1-line block ×4, first 2 shown]
	s_and_saveexec_b32 s1, vcc_lo
	s_cbranch_execz .LBB363_9
; %bb.5:
	v_add_co_u32 v0, vcc_lo, s8, v1
	v_add_co_ci_u32_e64 v1, null, s9, v2, vcc_lo
	s_and_saveexec_b32 s1, s0
	s_cbranch_execz .LBB363_7
; %bb.6:
	s_waitcnt lgkmcnt(2)
	v_add_f64 v[10:11], v[10:11], v[12:13]
	v_div_scale_f64 v[12:13], null, v[10:11], v[10:11], v[5:6]
	v_div_scale_f64 v[20:21], vcc_lo, v[5:6], v[10:11], v[5:6]
	v_rcp_f64_e32 v[16:17], v[12:13]
	v_fma_f64 v[18:19], -v[12:13], v[16:17], 1.0
	v_fma_f64 v[16:17], v[16:17], v[18:19], v[16:17]
	v_fma_f64 v[18:19], -v[12:13], v[16:17], 1.0
	v_fma_f64 v[16:17], v[16:17], v[18:19], v[16:17]
	v_mul_f64 v[18:19], v[20:21], v[16:17]
	v_fma_f64 v[12:13], -v[12:13], v[18:19], v[20:21]
	v_div_fmas_f64 v[12:13], v[12:13], v[16:17], v[18:19]
	v_cmp_neq_f64_e32 vcc_lo, 0, v[10:11]
	v_div_fixup_f64 v[5:6], v[12:13], v[10:11], v[5:6]
	v_cndmask_b32_e32 v6, 0x7ff80000, v6, vcc_lo
	v_cndmask_b32_e32 v5, 0, v5, vcc_lo
	global_store_dwordx2 v[0:1], v[5:6], off
.LBB363_7:
	s_or_b32 exec_lo, exec_lo, s1
	v_cmp_ne_u32_e32 vcc_lo, 1, v14
	s_and_b32 s0, vcc_lo, s0
	s_and_b32 exec_lo, exec_lo, s0
	s_cbranch_execz .LBB363_9
; %bb.8:
	s_waitcnt lgkmcnt(0)
	v_mov_b32_e32 v10, v15
	s_mov_b32 s15, 0
	s_lshl_b64 s[0:1], s[14:15], 3
	v_add_co_u32 v0, s0, v0, s0
	v_add_f64 v[5:6], v[7:8], v[9:10]
	v_add_co_ci_u32_e64 v1, null, s1, v1, s0
	v_div_scale_f64 v[7:8], null, v[5:6], v[5:6], v[3:4]
	v_div_scale_f64 v[13:14], vcc_lo, v[3:4], v[5:6], v[3:4]
	v_rcp_f64_e32 v[9:10], v[7:8]
	v_fma_f64 v[11:12], -v[7:8], v[9:10], 1.0
	v_fma_f64 v[9:10], v[9:10], v[11:12], v[9:10]
	v_fma_f64 v[11:12], -v[7:8], v[9:10], 1.0
	v_fma_f64 v[9:10], v[9:10], v[11:12], v[9:10]
	v_mul_f64 v[11:12], v[13:14], v[9:10]
	v_fma_f64 v[7:8], -v[7:8], v[11:12], v[13:14]
	v_div_fmas_f64 v[7:8], v[7:8], v[9:10], v[11:12]
	v_cmp_neq_f64_e32 vcc_lo, 0, v[5:6]
	v_div_fixup_f64 v[2:3], v[7:8], v[5:6], v[3:4]
	v_cndmask_b32_e32 v3, 0x7ff80000, v3, vcc_lo
	v_cndmask_b32_e32 v2, 0, v2, vcc_lo
	global_store_dwordx2 v[0:1], v[2:3], off
.LBB363_9:
	s_endpgm
	.section	.rodata,"a",@progbits
	.p2align	6, 0x0
	.amdhsa_kernel _ZN12_GLOBAL__N_120softmax_warp_forwardIdddLi4ELb0ELb0ELi32EEEvPT0_PKT_iiiPKbib
		.amdhsa_group_segment_fixed_size 0
		.amdhsa_private_segment_fixed_size 0
		.amdhsa_kernarg_size 304
		.amdhsa_user_sgpr_count 6
		.amdhsa_user_sgpr_private_segment_buffer 1
		.amdhsa_user_sgpr_dispatch_ptr 0
		.amdhsa_user_sgpr_queue_ptr 0
		.amdhsa_user_sgpr_kernarg_segment_ptr 1
		.amdhsa_user_sgpr_dispatch_id 0
		.amdhsa_user_sgpr_flat_scratch_init 0
		.amdhsa_user_sgpr_private_segment_size 0
		.amdhsa_wavefront_size32 1
		.amdhsa_uses_dynamic_stack 0
		.amdhsa_system_sgpr_private_segment_wavefront_offset 0
		.amdhsa_system_sgpr_workgroup_id_x 1
		.amdhsa_system_sgpr_workgroup_id_y 0
		.amdhsa_system_sgpr_workgroup_id_z 0
		.amdhsa_system_sgpr_workgroup_info 0
		.amdhsa_system_vgpr_workitem_id 1
		.amdhsa_next_free_vgpr 24
		.amdhsa_next_free_sgpr 16
		.amdhsa_reserve_vcc 1
		.amdhsa_reserve_flat_scratch 0
		.amdhsa_float_round_mode_32 0
		.amdhsa_float_round_mode_16_64 0
		.amdhsa_float_denorm_mode_32 3
		.amdhsa_float_denorm_mode_16_64 3
		.amdhsa_dx10_clamp 1
		.amdhsa_ieee_mode 1
		.amdhsa_fp16_overflow 0
		.amdhsa_workgroup_processor_mode 1
		.amdhsa_memory_ordered 1
		.amdhsa_forward_progress 1
		.amdhsa_shared_vgpr_count 0
		.amdhsa_exception_fp_ieee_invalid_op 0
		.amdhsa_exception_fp_denorm_src 0
		.amdhsa_exception_fp_ieee_div_zero 0
		.amdhsa_exception_fp_ieee_overflow 0
		.amdhsa_exception_fp_ieee_underflow 0
		.amdhsa_exception_fp_ieee_inexact 0
		.amdhsa_exception_int_div_zero 0
	.end_amdhsa_kernel
	.section	.text._ZN12_GLOBAL__N_120softmax_warp_forwardIdddLi4ELb0ELb0ELi32EEEvPT0_PKT_iiiPKbib,"axG",@progbits,_ZN12_GLOBAL__N_120softmax_warp_forwardIdddLi4ELb0ELb0ELi32EEEvPT0_PKT_iiiPKbib,comdat
.Lfunc_end363:
	.size	_ZN12_GLOBAL__N_120softmax_warp_forwardIdddLi4ELb0ELb0ELi32EEEvPT0_PKT_iiiPKbib, .Lfunc_end363-_ZN12_GLOBAL__N_120softmax_warp_forwardIdddLi4ELb0ELb0ELi32EEEvPT0_PKT_iiiPKbib
                                        ; -- End function
	.set _ZN12_GLOBAL__N_120softmax_warp_forwardIdddLi4ELb0ELb0ELi32EEEvPT0_PKT_iiiPKbib.num_vgpr, 24
	.set _ZN12_GLOBAL__N_120softmax_warp_forwardIdddLi4ELb0ELb0ELi32EEEvPT0_PKT_iiiPKbib.num_agpr, 0
	.set _ZN12_GLOBAL__N_120softmax_warp_forwardIdddLi4ELb0ELb0ELi32EEEvPT0_PKT_iiiPKbib.numbered_sgpr, 16
	.set _ZN12_GLOBAL__N_120softmax_warp_forwardIdddLi4ELb0ELb0ELi32EEEvPT0_PKT_iiiPKbib.num_named_barrier, 0
	.set _ZN12_GLOBAL__N_120softmax_warp_forwardIdddLi4ELb0ELb0ELi32EEEvPT0_PKT_iiiPKbib.private_seg_size, 0
	.set _ZN12_GLOBAL__N_120softmax_warp_forwardIdddLi4ELb0ELb0ELi32EEEvPT0_PKT_iiiPKbib.uses_vcc, 1
	.set _ZN12_GLOBAL__N_120softmax_warp_forwardIdddLi4ELb0ELb0ELi32EEEvPT0_PKT_iiiPKbib.uses_flat_scratch, 0
	.set _ZN12_GLOBAL__N_120softmax_warp_forwardIdddLi4ELb0ELb0ELi32EEEvPT0_PKT_iiiPKbib.has_dyn_sized_stack, 0
	.set _ZN12_GLOBAL__N_120softmax_warp_forwardIdddLi4ELb0ELb0ELi32EEEvPT0_PKT_iiiPKbib.has_recursion, 0
	.set _ZN12_GLOBAL__N_120softmax_warp_forwardIdddLi4ELb0ELb0ELi32EEEvPT0_PKT_iiiPKbib.has_indirect_call, 0
	.section	.AMDGPU.csdata,"",@progbits
; Kernel info:
; codeLenInByte = 1800
; TotalNumSgprs: 18
; NumVgprs: 24
; ScratchSize: 0
; MemoryBound: 1
; FloatMode: 240
; IeeeMode: 1
; LDSByteSize: 0 bytes/workgroup (compile time only)
; SGPRBlocks: 0
; VGPRBlocks: 2
; NumSGPRsForWavesPerEU: 18
; NumVGPRsForWavesPerEU: 24
; Occupancy: 16
; WaveLimiterHint : 0
; COMPUTE_PGM_RSRC2:SCRATCH_EN: 0
; COMPUTE_PGM_RSRC2:USER_SGPR: 6
; COMPUTE_PGM_RSRC2:TRAP_HANDLER: 0
; COMPUTE_PGM_RSRC2:TGID_X_EN: 1
; COMPUTE_PGM_RSRC2:TGID_Y_EN: 0
; COMPUTE_PGM_RSRC2:TGID_Z_EN: 0
; COMPUTE_PGM_RSRC2:TIDIG_COMP_CNT: 1
	.section	.text._ZN12_GLOBAL__N_120softmax_warp_forwardIdddLi5ELb0ELb0ELi64EEEvPT0_PKT_iiiPKbib,"axG",@progbits,_ZN12_GLOBAL__N_120softmax_warp_forwardIdddLi5ELb0ELb0ELi64EEEvPT0_PKT_iiiPKbib,comdat
	.globl	_ZN12_GLOBAL__N_120softmax_warp_forwardIdddLi5ELb0ELb0ELi64EEEvPT0_PKT_iiiPKbib ; -- Begin function _ZN12_GLOBAL__N_120softmax_warp_forwardIdddLi5ELb0ELb0ELi64EEEvPT0_PKT_iiiPKbib
	.p2align	8
	.type	_ZN12_GLOBAL__N_120softmax_warp_forwardIdddLi5ELb0ELb0ELi64EEEvPT0_PKT_iiiPKbib,@function
_ZN12_GLOBAL__N_120softmax_warp_forwardIdddLi5ELb0ELb0ELi64EEEvPT0_PKT_iiiPKbib: ; @_ZN12_GLOBAL__N_120softmax_warp_forwardIdddLi5ELb0ELb0ELi64EEEvPT0_PKT_iiiPKbib
; %bb.0:
	s_clause 0x1
	s_load_dword s0, s[4:5], 0x3c
	s_load_dwordx8 s[8:15], s[4:5], 0x0
	v_mov_b32_e32 v5, 0
	v_mov_b32_e32 v6, 0xfff00000
	s_waitcnt lgkmcnt(0)
	s_lshr_b32 s0, s0, 16
	s_and_b32 s0, s0, 0xffff
	s_mul_i32 s6, s6, s0
	v_cmp_gt_i32_e64 s0, s14, v0
	v_add_lshl_u32 v3, s6, v1, 1
	v_mad_u64_u32 v[1:2], null, v3, s13, v[0:1]
	v_sub_nc_u32_e32 v14, s12, v3
	v_mov_b32_e32 v3, 0
	v_mov_b32_e32 v4, 0xfff00000
	v_cmp_lt_i32_e32 vcc_lo, 0, v14
	v_ashrrev_i32_e32 v2, 31, v1
	s_and_b32 s2, s0, vcc_lo
	v_lshlrev_b64 v[1:2], 3, v[1:2]
	v_add_co_u32 v7, s1, s10, v1
	v_add_co_ci_u32_e64 v8, null, s11, v2, s1
	s_and_saveexec_b32 s1, s2
	s_cbranch_execz .LBB364_2
; %bb.1:
	global_load_dwordx2 v[5:6], v[7:8], off
.LBB364_2:
	s_or_b32 exec_lo, exec_lo, s1
	v_cmp_lt_i32_e64 s1, 1, v14
	s_and_b32 s1, s0, s1
	s_and_saveexec_b32 s2, s1
	s_cbranch_execz .LBB364_4
; %bb.3:
	s_mov_b32 s15, 0
	s_lshl_b64 s[4:5], s[14:15], 3
	v_add_co_u32 v3, s1, v7, s4
	v_add_co_ci_u32_e64 v4, null, s5, v8, s1
	global_load_dwordx2 v[3:4], v[3:4], off
.LBB364_4:
	s_or_b32 exec_lo, exec_lo, s2
	v_mbcnt_lo_u32_b32 v19, -1, 0
	s_mov_b32 s4, 0x6a5dcb37
	s_mov_b32 s5, 0x3e5ade15
	v_xor_b32_e32 v0, 16, v19
	v_xor_b32_e32 v7, 8, v19
	v_xor_b32_e32 v20, 1, v19
	v_cmp_gt_i32_e64 s1, 32, v0
	v_cmp_gt_i32_e64 s3, 32, v7
	v_cndmask_b32_e64 v0, v19, v0, s1
	v_cndmask_b32_e64 v7, v19, v7, s3
	v_lshlrev_b32_e32 v0, 2, v0
	v_lshlrev_b32_e32 v7, 2, v7
	s_waitcnt vmcnt(0)
	ds_bpermute_b32 v8, v0, v5
	ds_bpermute_b32 v9, v0, v6
	;; [unrolled: 1-line block ×4, first 2 shown]
	s_waitcnt lgkmcnt(2)
	v_cmp_lt_f64_e64 s1, v[5:6], v[8:9]
	s_waitcnt lgkmcnt(0)
	v_cmp_lt_f64_e64 s2, v[3:4], v[10:11]
	v_cndmask_b32_e64 v13, v6, v9, s1
	v_cndmask_b32_e64 v12, v5, v8, s1
	;; [unrolled: 1-line block ×4, first 2 shown]
	v_xor_b32_e32 v8, 4, v19
	ds_bpermute_b32 v16, v7, v13
	ds_bpermute_b32 v15, v7, v12
	;; [unrolled: 1-line block ×4, first 2 shown]
	v_cmp_gt_i32_e64 s3, 32, v8
	v_xor_b32_e32 v9, 2, v19
	v_cndmask_b32_e64 v8, v19, v8, s3
	v_cmp_gt_i32_e64 s3, 32, v9
	v_lshlrev_b32_e32 v8, 2, v8
	v_cndmask_b32_e64 v9, v19, v9, s3
	v_cmp_gt_i32_e64 s3, 32, v20
	v_lshlrev_b32_e32 v9, 2, v9
	s_waitcnt lgkmcnt(2)
	v_cmp_lt_f64_e64 s1, v[12:13], v[15:16]
	v_cndmask_b32_e64 v19, v19, v20, s3
	s_waitcnt lgkmcnt(0)
	v_cmp_lt_f64_e64 s2, v[10:11], v[17:18]
	v_lshlrev_b32_e32 v23, 2, v19
	v_cndmask_b32_e64 v13, v13, v16, s1
	v_cndmask_b32_e64 v12, v12, v15, s1
	v_cndmask_b32_e64 v11, v11, v18, s2
	v_cndmask_b32_e64 v10, v10, v17, s2
	ds_bpermute_b32 v16, v8, v13
	ds_bpermute_b32 v15, v8, v12
	ds_bpermute_b32 v18, v8, v11
	ds_bpermute_b32 v17, v8, v10
	s_waitcnt lgkmcnt(2)
	v_cmp_lt_f64_e64 s1, v[12:13], v[15:16]
	s_waitcnt lgkmcnt(0)
	v_cmp_lt_f64_e64 s2, v[10:11], v[17:18]
	v_cndmask_b32_e64 v13, v13, v16, s1
	v_cndmask_b32_e64 v12, v12, v15, s1
	v_cndmask_b32_e64 v11, v11, v18, s2
	v_cndmask_b32_e64 v10, v10, v17, s2
	ds_bpermute_b32 v16, v9, v13
	ds_bpermute_b32 v15, v9, v12
	ds_bpermute_b32 v18, v9, v11
	ds_bpermute_b32 v17, v9, v10
	s_waitcnt lgkmcnt(2)
	v_cmp_lt_f64_e64 s1, v[12:13], v[15:16]
	s_waitcnt lgkmcnt(0)
	v_cmp_lt_f64_e64 s2, v[10:11], v[17:18]
	;; [unrolled: 12-line block ×3, first 2 shown]
	v_cndmask_b32_e64 v13, v13, v16, s1
	v_cndmask_b32_e64 v12, v12, v15, s1
	;; [unrolled: 1-line block ×4, first 2 shown]
	s_mov_b32 s2, 0x652b82fe
	s_mov_b32 s3, 0x3ff71547
	v_add_f64 v[5:6], v[5:6], -v[12:13]
	v_add_f64 v[3:4], v[3:4], -v[10:11]
	v_mul_f64 v[10:11], v[5:6], s[2:3]
	v_cmp_nlt_f64_e64 s1, 0x40900000, v[5:6]
	v_mul_f64 v[12:13], v[3:4], s[2:3]
	s_mov_b32 s2, 0xfefa39ef
	s_mov_b32 s3, 0xbfe62e42
	v_rndne_f64_e32 v[10:11], v[10:11]
	v_rndne_f64_e32 v[12:13], v[12:13]
	v_fma_f64 v[15:16], v[10:11], s[2:3], v[5:6]
	v_cvt_i32_f64_e32 v24, v[10:11]
	v_fma_f64 v[17:18], v[12:13], s[2:3], v[3:4]
	s_mov_b32 s2, 0x3b39803f
	s_mov_b32 s3, 0xbc7abc9e
	v_fma_f64 v[15:16], v[10:11], s[2:3], v[15:16]
	v_fma_f64 v[17:18], v[12:13], s[2:3], v[17:18]
	s_mov_b32 s2, 0xfca7ab0c
	s_mov_b32 s3, 0x3e928af3
	v_fma_f64 v[19:20], v[15:16], s[4:5], s[2:3]
	v_fma_f64 v[21:22], v[17:18], s[4:5], s[2:3]
	s_mov_b32 s2, 0x623fde64
	s_mov_b32 s3, 0x3ec71dee
	v_cmp_ngt_f64_e64 s4, 0xc090cc00, v[3:4]
	v_fma_f64 v[19:20], v[15:16], v[19:20], s[2:3]
	v_fma_f64 v[21:22], v[17:18], v[21:22], s[2:3]
	s_mov_b32 s2, 0x7c89e6b0
	s_mov_b32 s3, 0x3efa0199
	v_fma_f64 v[19:20], v[15:16], v[19:20], s[2:3]
	v_fma_f64 v[21:22], v[17:18], v[21:22], s[2:3]
	s_mov_b32 s2, 0x14761f6e
	s_mov_b32 s3, 0x3f2a01a0
	;; [unrolled: 4-line block ×7, first 2 shown]
	v_fma_f64 v[19:20], v[15:16], v[19:20], s[2:3]
	v_fma_f64 v[21:22], v[17:18], v[21:22], s[2:3]
	v_cmp_nlt_f64_e64 s3, 0x40900000, v[3:4]
	v_cmp_ngt_f64_e64 s2, 0xc090cc00, v[5:6]
	v_fma_f64 v[19:20], v[15:16], v[19:20], 1.0
	v_fma_f64 v[21:22], v[17:18], v[21:22], 1.0
	;; [unrolled: 1-line block ×3, first 2 shown]
	v_cvt_i32_f64_e32 v15, v[12:13]
	v_fma_f64 v[12:13], v[17:18], v[21:22], 1.0
	v_ldexp_f64 v[10:11], v[10:11], v24
	v_ldexp_f64 v[12:13], v[12:13], v15
	v_cndmask_b32_e64 v11, 0x7ff00000, v11, s1
	s_and_b32 s1, s2, s1
	v_cndmask_b32_e64 v5, 0x7ff00000, v13, s3
	v_cndmask_b32_e64 v6, 0, v11, s2
	;; [unrolled: 1-line block ×4, first 2 shown]
	s_and_b32 s1, s4, s3
	v_cndmask_b32_e64 v3, 0, v12, s1
	v_add_f64 v[10:11], v[5:6], 0
	v_add_f64 v[12:13], v[3:4], 0
	ds_bpermute_b32 v15, v0, v10
	ds_bpermute_b32 v16, v0, v11
	ds_bpermute_b32 v17, v0, v12
	ds_bpermute_b32 v18, v0, v13
	s_waitcnt lgkmcnt(2)
	v_add_f64 v[10:11], v[10:11], v[15:16]
	s_waitcnt lgkmcnt(0)
	v_add_f64 v[12:13], v[12:13], v[17:18]
	ds_bpermute_b32 v15, v7, v10
	ds_bpermute_b32 v16, v7, v11
	ds_bpermute_b32 v17, v7, v12
	ds_bpermute_b32 v18, v7, v13
	s_waitcnt lgkmcnt(2)
	v_add_f64 v[10:11], v[10:11], v[15:16]
	s_waitcnt lgkmcnt(0)
	;; [unrolled: 8-line block ×4, first 2 shown]
	v_add_f64 v[7:8], v[7:8], v[15:16]
	ds_bpermute_b32 v12, v23, v10
	ds_bpermute_b32 v13, v23, v11
	;; [unrolled: 1-line block ×4, first 2 shown]
	s_and_saveexec_b32 s1, vcc_lo
	s_cbranch_execz .LBB364_9
; %bb.5:
	v_add_co_u32 v0, vcc_lo, s8, v1
	v_add_co_ci_u32_e64 v1, null, s9, v2, vcc_lo
	s_and_saveexec_b32 s1, s0
	s_cbranch_execz .LBB364_7
; %bb.6:
	s_waitcnt lgkmcnt(2)
	v_add_f64 v[10:11], v[10:11], v[12:13]
	v_div_scale_f64 v[12:13], null, v[10:11], v[10:11], v[5:6]
	v_div_scale_f64 v[20:21], vcc_lo, v[5:6], v[10:11], v[5:6]
	v_rcp_f64_e32 v[16:17], v[12:13]
	v_fma_f64 v[18:19], -v[12:13], v[16:17], 1.0
	v_fma_f64 v[16:17], v[16:17], v[18:19], v[16:17]
	v_fma_f64 v[18:19], -v[12:13], v[16:17], 1.0
	v_fma_f64 v[16:17], v[16:17], v[18:19], v[16:17]
	v_mul_f64 v[18:19], v[20:21], v[16:17]
	v_fma_f64 v[12:13], -v[12:13], v[18:19], v[20:21]
	v_div_fmas_f64 v[12:13], v[12:13], v[16:17], v[18:19]
	v_cmp_neq_f64_e32 vcc_lo, 0, v[10:11]
	v_div_fixup_f64 v[5:6], v[12:13], v[10:11], v[5:6]
	v_cndmask_b32_e32 v6, 0x7ff80000, v6, vcc_lo
	v_cndmask_b32_e32 v5, 0, v5, vcc_lo
	global_store_dwordx2 v[0:1], v[5:6], off
.LBB364_7:
	s_or_b32 exec_lo, exec_lo, s1
	v_cmp_ne_u32_e32 vcc_lo, 1, v14
	s_and_b32 s0, vcc_lo, s0
	s_and_b32 exec_lo, exec_lo, s0
	s_cbranch_execz .LBB364_9
; %bb.8:
	s_waitcnt lgkmcnt(0)
	v_mov_b32_e32 v10, v15
	s_mov_b32 s15, 0
	s_lshl_b64 s[0:1], s[14:15], 3
	v_add_co_u32 v0, s0, v0, s0
	v_add_f64 v[5:6], v[7:8], v[9:10]
	v_add_co_ci_u32_e64 v1, null, s1, v1, s0
	v_div_scale_f64 v[7:8], null, v[5:6], v[5:6], v[3:4]
	v_div_scale_f64 v[13:14], vcc_lo, v[3:4], v[5:6], v[3:4]
	v_rcp_f64_e32 v[9:10], v[7:8]
	v_fma_f64 v[11:12], -v[7:8], v[9:10], 1.0
	v_fma_f64 v[9:10], v[9:10], v[11:12], v[9:10]
	v_fma_f64 v[11:12], -v[7:8], v[9:10], 1.0
	v_fma_f64 v[9:10], v[9:10], v[11:12], v[9:10]
	v_mul_f64 v[11:12], v[13:14], v[9:10]
	v_fma_f64 v[7:8], -v[7:8], v[11:12], v[13:14]
	v_div_fmas_f64 v[7:8], v[7:8], v[9:10], v[11:12]
	v_cmp_neq_f64_e32 vcc_lo, 0, v[5:6]
	v_div_fixup_f64 v[2:3], v[7:8], v[5:6], v[3:4]
	v_cndmask_b32_e32 v3, 0x7ff80000, v3, vcc_lo
	v_cndmask_b32_e32 v2, 0, v2, vcc_lo
	global_store_dwordx2 v[0:1], v[2:3], off
.LBB364_9:
	s_endpgm
	.section	.rodata,"a",@progbits
	.p2align	6, 0x0
	.amdhsa_kernel _ZN12_GLOBAL__N_120softmax_warp_forwardIdddLi5ELb0ELb0ELi64EEEvPT0_PKT_iiiPKbib
		.amdhsa_group_segment_fixed_size 0
		.amdhsa_private_segment_fixed_size 0
		.amdhsa_kernarg_size 304
		.amdhsa_user_sgpr_count 6
		.amdhsa_user_sgpr_private_segment_buffer 1
		.amdhsa_user_sgpr_dispatch_ptr 0
		.amdhsa_user_sgpr_queue_ptr 0
		.amdhsa_user_sgpr_kernarg_segment_ptr 1
		.amdhsa_user_sgpr_dispatch_id 0
		.amdhsa_user_sgpr_flat_scratch_init 0
		.amdhsa_user_sgpr_private_segment_size 0
		.amdhsa_wavefront_size32 1
		.amdhsa_uses_dynamic_stack 0
		.amdhsa_system_sgpr_private_segment_wavefront_offset 0
		.amdhsa_system_sgpr_workgroup_id_x 1
		.amdhsa_system_sgpr_workgroup_id_y 0
		.amdhsa_system_sgpr_workgroup_id_z 0
		.amdhsa_system_sgpr_workgroup_info 0
		.amdhsa_system_vgpr_workitem_id 1
		.amdhsa_next_free_vgpr 25
		.amdhsa_next_free_sgpr 16
		.amdhsa_reserve_vcc 1
		.amdhsa_reserve_flat_scratch 0
		.amdhsa_float_round_mode_32 0
		.amdhsa_float_round_mode_16_64 0
		.amdhsa_float_denorm_mode_32 3
		.amdhsa_float_denorm_mode_16_64 3
		.amdhsa_dx10_clamp 1
		.amdhsa_ieee_mode 1
		.amdhsa_fp16_overflow 0
		.amdhsa_workgroup_processor_mode 1
		.amdhsa_memory_ordered 1
		.amdhsa_forward_progress 1
		.amdhsa_shared_vgpr_count 0
		.amdhsa_exception_fp_ieee_invalid_op 0
		.amdhsa_exception_fp_denorm_src 0
		.amdhsa_exception_fp_ieee_div_zero 0
		.amdhsa_exception_fp_ieee_overflow 0
		.amdhsa_exception_fp_ieee_underflow 0
		.amdhsa_exception_fp_ieee_inexact 0
		.amdhsa_exception_int_div_zero 0
	.end_amdhsa_kernel
	.section	.text._ZN12_GLOBAL__N_120softmax_warp_forwardIdddLi5ELb0ELb0ELi64EEEvPT0_PKT_iiiPKbib,"axG",@progbits,_ZN12_GLOBAL__N_120softmax_warp_forwardIdddLi5ELb0ELb0ELi64EEEvPT0_PKT_iiiPKbib,comdat
.Lfunc_end364:
	.size	_ZN12_GLOBAL__N_120softmax_warp_forwardIdddLi5ELb0ELb0ELi64EEEvPT0_PKT_iiiPKbib, .Lfunc_end364-_ZN12_GLOBAL__N_120softmax_warp_forwardIdddLi5ELb0ELb0ELi64EEEvPT0_PKT_iiiPKbib
                                        ; -- End function
	.set _ZN12_GLOBAL__N_120softmax_warp_forwardIdddLi5ELb0ELb0ELi64EEEvPT0_PKT_iiiPKbib.num_vgpr, 25
	.set _ZN12_GLOBAL__N_120softmax_warp_forwardIdddLi5ELb0ELb0ELi64EEEvPT0_PKT_iiiPKbib.num_agpr, 0
	.set _ZN12_GLOBAL__N_120softmax_warp_forwardIdddLi5ELb0ELb0ELi64EEEvPT0_PKT_iiiPKbib.numbered_sgpr, 16
	.set _ZN12_GLOBAL__N_120softmax_warp_forwardIdddLi5ELb0ELb0ELi64EEEvPT0_PKT_iiiPKbib.num_named_barrier, 0
	.set _ZN12_GLOBAL__N_120softmax_warp_forwardIdddLi5ELb0ELb0ELi64EEEvPT0_PKT_iiiPKbib.private_seg_size, 0
	.set _ZN12_GLOBAL__N_120softmax_warp_forwardIdddLi5ELb0ELb0ELi64EEEvPT0_PKT_iiiPKbib.uses_vcc, 1
	.set _ZN12_GLOBAL__N_120softmax_warp_forwardIdddLi5ELb0ELb0ELi64EEEvPT0_PKT_iiiPKbib.uses_flat_scratch, 0
	.set _ZN12_GLOBAL__N_120softmax_warp_forwardIdddLi5ELb0ELb0ELi64EEEvPT0_PKT_iiiPKbib.has_dyn_sized_stack, 0
	.set _ZN12_GLOBAL__N_120softmax_warp_forwardIdddLi5ELb0ELb0ELi64EEEvPT0_PKT_iiiPKbib.has_recursion, 0
	.set _ZN12_GLOBAL__N_120softmax_warp_forwardIdddLi5ELb0ELb0ELi64EEEvPT0_PKT_iiiPKbib.has_indirect_call, 0
	.section	.AMDGPU.csdata,"",@progbits
; Kernel info:
; codeLenInByte = 1960
; TotalNumSgprs: 18
; NumVgprs: 25
; ScratchSize: 0
; MemoryBound: 1
; FloatMode: 240
; IeeeMode: 1
; LDSByteSize: 0 bytes/workgroup (compile time only)
; SGPRBlocks: 0
; VGPRBlocks: 3
; NumSGPRsForWavesPerEU: 18
; NumVGPRsForWavesPerEU: 25
; Occupancy: 16
; WaveLimiterHint : 0
; COMPUTE_PGM_RSRC2:SCRATCH_EN: 0
; COMPUTE_PGM_RSRC2:USER_SGPR: 6
; COMPUTE_PGM_RSRC2:TRAP_HANDLER: 0
; COMPUTE_PGM_RSRC2:TGID_X_EN: 1
; COMPUTE_PGM_RSRC2:TGID_Y_EN: 0
; COMPUTE_PGM_RSRC2:TGID_Z_EN: 0
; COMPUTE_PGM_RSRC2:TIDIG_COMP_CNT: 1
	.section	.text._ZN12_GLOBAL__N_120softmax_warp_forwardIdddLi5ELb0ELb0ELi32EEEvPT0_PKT_iiiPKbib,"axG",@progbits,_ZN12_GLOBAL__N_120softmax_warp_forwardIdddLi5ELb0ELb0ELi32EEEvPT0_PKT_iiiPKbib,comdat
	.globl	_ZN12_GLOBAL__N_120softmax_warp_forwardIdddLi5ELb0ELb0ELi32EEEvPT0_PKT_iiiPKbib ; -- Begin function _ZN12_GLOBAL__N_120softmax_warp_forwardIdddLi5ELb0ELb0ELi32EEEvPT0_PKT_iiiPKbib
	.p2align	8
	.type	_ZN12_GLOBAL__N_120softmax_warp_forwardIdddLi5ELb0ELb0ELi32EEEvPT0_PKT_iiiPKbib,@function
_ZN12_GLOBAL__N_120softmax_warp_forwardIdddLi5ELb0ELb0ELi32EEEvPT0_PKT_iiiPKbib: ; @_ZN12_GLOBAL__N_120softmax_warp_forwardIdddLi5ELb0ELb0ELi32EEEvPT0_PKT_iiiPKbib
; %bb.0:
	s_clause 0x1
	s_load_dword s0, s[4:5], 0x3c
	s_load_dwordx8 s[8:15], s[4:5], 0x0
	v_mov_b32_e32 v5, 0
	v_mov_b32_e32 v6, 0xfff00000
	s_waitcnt lgkmcnt(0)
	s_lshr_b32 s0, s0, 16
	s_and_b32 s0, s0, 0xffff
	s_mul_i32 s6, s6, s0
	v_cmp_gt_i32_e64 s0, s14, v0
	v_add_lshl_u32 v3, s6, v1, 1
	v_mad_u64_u32 v[1:2], null, v3, s13, v[0:1]
	v_sub_nc_u32_e32 v14, s12, v3
	v_mov_b32_e32 v3, 0
	v_mov_b32_e32 v4, 0xfff00000
	v_cmp_lt_i32_e32 vcc_lo, 0, v14
	v_ashrrev_i32_e32 v2, 31, v1
	s_and_b32 s2, s0, vcc_lo
	v_lshlrev_b64 v[1:2], 3, v[1:2]
	v_add_co_u32 v7, s1, s10, v1
	v_add_co_ci_u32_e64 v8, null, s11, v2, s1
	s_and_saveexec_b32 s1, s2
	s_cbranch_execz .LBB365_2
; %bb.1:
	global_load_dwordx2 v[5:6], v[7:8], off
.LBB365_2:
	s_or_b32 exec_lo, exec_lo, s1
	v_cmp_lt_i32_e64 s1, 1, v14
	s_and_b32 s1, s0, s1
	s_and_saveexec_b32 s2, s1
	s_cbranch_execz .LBB365_4
; %bb.3:
	s_mov_b32 s15, 0
	s_lshl_b64 s[4:5], s[14:15], 3
	v_add_co_u32 v3, s1, v7, s4
	v_add_co_ci_u32_e64 v4, null, s5, v8, s1
	global_load_dwordx2 v[3:4], v[3:4], off
.LBB365_4:
	s_or_b32 exec_lo, exec_lo, s2
	v_mbcnt_lo_u32_b32 v19, -1, 0
	s_mov_b32 s4, 0x6a5dcb37
	s_mov_b32 s5, 0x3e5ade15
	v_xor_b32_e32 v0, 16, v19
	v_xor_b32_e32 v7, 8, v19
	;; [unrolled: 1-line block ×3, first 2 shown]
	v_cmp_gt_i32_e64 s1, 32, v0
	v_cmp_gt_i32_e64 s3, 32, v7
	v_cndmask_b32_e64 v0, v19, v0, s1
	v_cndmask_b32_e64 v7, v19, v7, s3
	v_lshlrev_b32_e32 v0, 2, v0
	v_lshlrev_b32_e32 v7, 2, v7
	s_waitcnt vmcnt(0)
	ds_bpermute_b32 v8, v0, v5
	ds_bpermute_b32 v9, v0, v6
	;; [unrolled: 1-line block ×4, first 2 shown]
	s_waitcnt lgkmcnt(2)
	v_cmp_lt_f64_e64 s1, v[5:6], v[8:9]
	s_waitcnt lgkmcnt(0)
	v_cmp_lt_f64_e64 s2, v[3:4], v[10:11]
	v_cndmask_b32_e64 v13, v6, v9, s1
	v_cndmask_b32_e64 v12, v5, v8, s1
	;; [unrolled: 1-line block ×4, first 2 shown]
	v_xor_b32_e32 v8, 4, v19
	ds_bpermute_b32 v16, v7, v13
	ds_bpermute_b32 v15, v7, v12
	;; [unrolled: 1-line block ×4, first 2 shown]
	v_cmp_gt_i32_e64 s3, 32, v8
	v_xor_b32_e32 v9, 2, v19
	v_cndmask_b32_e64 v8, v19, v8, s3
	v_cmp_gt_i32_e64 s3, 32, v9
	v_lshlrev_b32_e32 v8, 2, v8
	v_cndmask_b32_e64 v9, v19, v9, s3
	v_cmp_gt_i32_e64 s3, 32, v20
	v_lshlrev_b32_e32 v9, 2, v9
	s_waitcnt lgkmcnt(2)
	v_cmp_lt_f64_e64 s1, v[12:13], v[15:16]
	v_cndmask_b32_e64 v19, v19, v20, s3
	s_waitcnt lgkmcnt(0)
	v_cmp_lt_f64_e64 s2, v[10:11], v[17:18]
	v_lshlrev_b32_e32 v23, 2, v19
	v_cndmask_b32_e64 v13, v13, v16, s1
	v_cndmask_b32_e64 v12, v12, v15, s1
	v_cndmask_b32_e64 v11, v11, v18, s2
	v_cndmask_b32_e64 v10, v10, v17, s2
	ds_bpermute_b32 v16, v8, v13
	ds_bpermute_b32 v15, v8, v12
	ds_bpermute_b32 v18, v8, v11
	ds_bpermute_b32 v17, v8, v10
	s_waitcnt lgkmcnt(2)
	v_cmp_lt_f64_e64 s1, v[12:13], v[15:16]
	s_waitcnt lgkmcnt(0)
	v_cmp_lt_f64_e64 s2, v[10:11], v[17:18]
	v_cndmask_b32_e64 v13, v13, v16, s1
	v_cndmask_b32_e64 v12, v12, v15, s1
	v_cndmask_b32_e64 v11, v11, v18, s2
	v_cndmask_b32_e64 v10, v10, v17, s2
	ds_bpermute_b32 v16, v9, v13
	ds_bpermute_b32 v15, v9, v12
	ds_bpermute_b32 v18, v9, v11
	ds_bpermute_b32 v17, v9, v10
	s_waitcnt lgkmcnt(2)
	v_cmp_lt_f64_e64 s1, v[12:13], v[15:16]
	s_waitcnt lgkmcnt(0)
	v_cmp_lt_f64_e64 s2, v[10:11], v[17:18]
	;; [unrolled: 12-line block ×3, first 2 shown]
	v_cndmask_b32_e64 v13, v13, v16, s1
	v_cndmask_b32_e64 v12, v12, v15, s1
	;; [unrolled: 1-line block ×4, first 2 shown]
	s_mov_b32 s2, 0x652b82fe
	s_mov_b32 s3, 0x3ff71547
	v_add_f64 v[5:6], v[5:6], -v[12:13]
	v_add_f64 v[3:4], v[3:4], -v[10:11]
	v_mul_f64 v[10:11], v[5:6], s[2:3]
	v_cmp_nlt_f64_e64 s1, 0x40900000, v[5:6]
	v_mul_f64 v[12:13], v[3:4], s[2:3]
	s_mov_b32 s2, 0xfefa39ef
	s_mov_b32 s3, 0xbfe62e42
	v_rndne_f64_e32 v[10:11], v[10:11]
	v_rndne_f64_e32 v[12:13], v[12:13]
	v_fma_f64 v[15:16], v[10:11], s[2:3], v[5:6]
	v_cvt_i32_f64_e32 v24, v[10:11]
	v_fma_f64 v[17:18], v[12:13], s[2:3], v[3:4]
	s_mov_b32 s2, 0x3b39803f
	s_mov_b32 s3, 0xbc7abc9e
	v_fma_f64 v[15:16], v[10:11], s[2:3], v[15:16]
	v_fma_f64 v[17:18], v[12:13], s[2:3], v[17:18]
	s_mov_b32 s2, 0xfca7ab0c
	s_mov_b32 s3, 0x3e928af3
	v_fma_f64 v[19:20], v[15:16], s[4:5], s[2:3]
	v_fma_f64 v[21:22], v[17:18], s[4:5], s[2:3]
	s_mov_b32 s2, 0x623fde64
	s_mov_b32 s3, 0x3ec71dee
	v_cmp_ngt_f64_e64 s4, 0xc090cc00, v[3:4]
	v_fma_f64 v[19:20], v[15:16], v[19:20], s[2:3]
	v_fma_f64 v[21:22], v[17:18], v[21:22], s[2:3]
	s_mov_b32 s2, 0x7c89e6b0
	s_mov_b32 s3, 0x3efa0199
	v_fma_f64 v[19:20], v[15:16], v[19:20], s[2:3]
	v_fma_f64 v[21:22], v[17:18], v[21:22], s[2:3]
	s_mov_b32 s2, 0x14761f6e
	s_mov_b32 s3, 0x3f2a01a0
	v_fma_f64 v[19:20], v[15:16], v[19:20], s[2:3]
	v_fma_f64 v[21:22], v[17:18], v[21:22], s[2:3]
	s_mov_b32 s2, 0x1852b7b0
	s_mov_b32 s3, 0x3f56c16c
	v_fma_f64 v[19:20], v[15:16], v[19:20], s[2:3]
	v_fma_f64 v[21:22], v[17:18], v[21:22], s[2:3]
	s_mov_b32 s2, 0x11122322
	s_mov_b32 s3, 0x3f811111
	v_fma_f64 v[19:20], v[15:16], v[19:20], s[2:3]
	v_fma_f64 v[21:22], v[17:18], v[21:22], s[2:3]
	s_mov_b32 s2, 0x555502a1
	s_mov_b32 s3, 0x3fa55555
	v_fma_f64 v[19:20], v[15:16], v[19:20], s[2:3]
	v_fma_f64 v[21:22], v[17:18], v[21:22], s[2:3]
	s_mov_b32 s2, 0x55555511
	s_mov_b32 s3, 0x3fc55555
	v_fma_f64 v[19:20], v[15:16], v[19:20], s[2:3]
	v_fma_f64 v[21:22], v[17:18], v[21:22], s[2:3]
	s_mov_b32 s2, 11
	s_mov_b32 s3, 0x3fe00000
	v_fma_f64 v[19:20], v[15:16], v[19:20], s[2:3]
	v_fma_f64 v[21:22], v[17:18], v[21:22], s[2:3]
	v_cmp_nlt_f64_e64 s3, 0x40900000, v[3:4]
	v_cmp_ngt_f64_e64 s2, 0xc090cc00, v[5:6]
	v_fma_f64 v[19:20], v[15:16], v[19:20], 1.0
	v_fma_f64 v[21:22], v[17:18], v[21:22], 1.0
	;; [unrolled: 1-line block ×3, first 2 shown]
	v_cvt_i32_f64_e32 v15, v[12:13]
	v_fma_f64 v[12:13], v[17:18], v[21:22], 1.0
	v_ldexp_f64 v[10:11], v[10:11], v24
	v_ldexp_f64 v[12:13], v[12:13], v15
	v_cndmask_b32_e64 v11, 0x7ff00000, v11, s1
	s_and_b32 s1, s2, s1
	v_cndmask_b32_e64 v5, 0x7ff00000, v13, s3
	v_cndmask_b32_e64 v6, 0, v11, s2
	;; [unrolled: 1-line block ×4, first 2 shown]
	s_and_b32 s1, s4, s3
	v_cndmask_b32_e64 v3, 0, v12, s1
	v_add_f64 v[10:11], v[5:6], 0
	v_add_f64 v[12:13], v[3:4], 0
	ds_bpermute_b32 v15, v0, v10
	ds_bpermute_b32 v16, v0, v11
	ds_bpermute_b32 v17, v0, v12
	ds_bpermute_b32 v18, v0, v13
	s_waitcnt lgkmcnt(2)
	v_add_f64 v[10:11], v[10:11], v[15:16]
	s_waitcnt lgkmcnt(0)
	v_add_f64 v[12:13], v[12:13], v[17:18]
	ds_bpermute_b32 v15, v7, v10
	ds_bpermute_b32 v16, v7, v11
	ds_bpermute_b32 v17, v7, v12
	ds_bpermute_b32 v18, v7, v13
	s_waitcnt lgkmcnt(2)
	v_add_f64 v[10:11], v[10:11], v[15:16]
	s_waitcnt lgkmcnt(0)
	;; [unrolled: 8-line block ×4, first 2 shown]
	v_add_f64 v[7:8], v[7:8], v[15:16]
	ds_bpermute_b32 v12, v23, v10
	ds_bpermute_b32 v13, v23, v11
	;; [unrolled: 1-line block ×4, first 2 shown]
	s_and_saveexec_b32 s1, vcc_lo
	s_cbranch_execz .LBB365_9
; %bb.5:
	v_add_co_u32 v0, vcc_lo, s8, v1
	v_add_co_ci_u32_e64 v1, null, s9, v2, vcc_lo
	s_and_saveexec_b32 s1, s0
	s_cbranch_execz .LBB365_7
; %bb.6:
	s_waitcnt lgkmcnt(2)
	v_add_f64 v[10:11], v[10:11], v[12:13]
	v_div_scale_f64 v[12:13], null, v[10:11], v[10:11], v[5:6]
	v_div_scale_f64 v[20:21], vcc_lo, v[5:6], v[10:11], v[5:6]
	v_rcp_f64_e32 v[16:17], v[12:13]
	v_fma_f64 v[18:19], -v[12:13], v[16:17], 1.0
	v_fma_f64 v[16:17], v[16:17], v[18:19], v[16:17]
	v_fma_f64 v[18:19], -v[12:13], v[16:17], 1.0
	v_fma_f64 v[16:17], v[16:17], v[18:19], v[16:17]
	v_mul_f64 v[18:19], v[20:21], v[16:17]
	v_fma_f64 v[12:13], -v[12:13], v[18:19], v[20:21]
	v_div_fmas_f64 v[12:13], v[12:13], v[16:17], v[18:19]
	v_cmp_neq_f64_e32 vcc_lo, 0, v[10:11]
	v_div_fixup_f64 v[5:6], v[12:13], v[10:11], v[5:6]
	v_cndmask_b32_e32 v6, 0x7ff80000, v6, vcc_lo
	v_cndmask_b32_e32 v5, 0, v5, vcc_lo
	global_store_dwordx2 v[0:1], v[5:6], off
.LBB365_7:
	s_or_b32 exec_lo, exec_lo, s1
	v_cmp_ne_u32_e32 vcc_lo, 1, v14
	s_and_b32 s0, vcc_lo, s0
	s_and_b32 exec_lo, exec_lo, s0
	s_cbranch_execz .LBB365_9
; %bb.8:
	s_waitcnt lgkmcnt(0)
	v_mov_b32_e32 v10, v15
	s_mov_b32 s15, 0
	s_lshl_b64 s[0:1], s[14:15], 3
	v_add_co_u32 v0, s0, v0, s0
	v_add_f64 v[5:6], v[7:8], v[9:10]
	v_add_co_ci_u32_e64 v1, null, s1, v1, s0
	v_div_scale_f64 v[7:8], null, v[5:6], v[5:6], v[3:4]
	v_div_scale_f64 v[13:14], vcc_lo, v[3:4], v[5:6], v[3:4]
	v_rcp_f64_e32 v[9:10], v[7:8]
	v_fma_f64 v[11:12], -v[7:8], v[9:10], 1.0
	v_fma_f64 v[9:10], v[9:10], v[11:12], v[9:10]
	v_fma_f64 v[11:12], -v[7:8], v[9:10], 1.0
	v_fma_f64 v[9:10], v[9:10], v[11:12], v[9:10]
	v_mul_f64 v[11:12], v[13:14], v[9:10]
	v_fma_f64 v[7:8], -v[7:8], v[11:12], v[13:14]
	v_div_fmas_f64 v[7:8], v[7:8], v[9:10], v[11:12]
	v_cmp_neq_f64_e32 vcc_lo, 0, v[5:6]
	v_div_fixup_f64 v[2:3], v[7:8], v[5:6], v[3:4]
	v_cndmask_b32_e32 v3, 0x7ff80000, v3, vcc_lo
	v_cndmask_b32_e32 v2, 0, v2, vcc_lo
	global_store_dwordx2 v[0:1], v[2:3], off
.LBB365_9:
	s_endpgm
	.section	.rodata,"a",@progbits
	.p2align	6, 0x0
	.amdhsa_kernel _ZN12_GLOBAL__N_120softmax_warp_forwardIdddLi5ELb0ELb0ELi32EEEvPT0_PKT_iiiPKbib
		.amdhsa_group_segment_fixed_size 0
		.amdhsa_private_segment_fixed_size 0
		.amdhsa_kernarg_size 304
		.amdhsa_user_sgpr_count 6
		.amdhsa_user_sgpr_private_segment_buffer 1
		.amdhsa_user_sgpr_dispatch_ptr 0
		.amdhsa_user_sgpr_queue_ptr 0
		.amdhsa_user_sgpr_kernarg_segment_ptr 1
		.amdhsa_user_sgpr_dispatch_id 0
		.amdhsa_user_sgpr_flat_scratch_init 0
		.amdhsa_user_sgpr_private_segment_size 0
		.amdhsa_wavefront_size32 1
		.amdhsa_uses_dynamic_stack 0
		.amdhsa_system_sgpr_private_segment_wavefront_offset 0
		.amdhsa_system_sgpr_workgroup_id_x 1
		.amdhsa_system_sgpr_workgroup_id_y 0
		.amdhsa_system_sgpr_workgroup_id_z 0
		.amdhsa_system_sgpr_workgroup_info 0
		.amdhsa_system_vgpr_workitem_id 1
		.amdhsa_next_free_vgpr 25
		.amdhsa_next_free_sgpr 16
		.amdhsa_reserve_vcc 1
		.amdhsa_reserve_flat_scratch 0
		.amdhsa_float_round_mode_32 0
		.amdhsa_float_round_mode_16_64 0
		.amdhsa_float_denorm_mode_32 3
		.amdhsa_float_denorm_mode_16_64 3
		.amdhsa_dx10_clamp 1
		.amdhsa_ieee_mode 1
		.amdhsa_fp16_overflow 0
		.amdhsa_workgroup_processor_mode 1
		.amdhsa_memory_ordered 1
		.amdhsa_forward_progress 1
		.amdhsa_shared_vgpr_count 0
		.amdhsa_exception_fp_ieee_invalid_op 0
		.amdhsa_exception_fp_denorm_src 0
		.amdhsa_exception_fp_ieee_div_zero 0
		.amdhsa_exception_fp_ieee_overflow 0
		.amdhsa_exception_fp_ieee_underflow 0
		.amdhsa_exception_fp_ieee_inexact 0
		.amdhsa_exception_int_div_zero 0
	.end_amdhsa_kernel
	.section	.text._ZN12_GLOBAL__N_120softmax_warp_forwardIdddLi5ELb0ELb0ELi32EEEvPT0_PKT_iiiPKbib,"axG",@progbits,_ZN12_GLOBAL__N_120softmax_warp_forwardIdddLi5ELb0ELb0ELi32EEEvPT0_PKT_iiiPKbib,comdat
.Lfunc_end365:
	.size	_ZN12_GLOBAL__N_120softmax_warp_forwardIdddLi5ELb0ELb0ELi32EEEvPT0_PKT_iiiPKbib, .Lfunc_end365-_ZN12_GLOBAL__N_120softmax_warp_forwardIdddLi5ELb0ELb0ELi32EEEvPT0_PKT_iiiPKbib
                                        ; -- End function
	.set _ZN12_GLOBAL__N_120softmax_warp_forwardIdddLi5ELb0ELb0ELi32EEEvPT0_PKT_iiiPKbib.num_vgpr, 25
	.set _ZN12_GLOBAL__N_120softmax_warp_forwardIdddLi5ELb0ELb0ELi32EEEvPT0_PKT_iiiPKbib.num_agpr, 0
	.set _ZN12_GLOBAL__N_120softmax_warp_forwardIdddLi5ELb0ELb0ELi32EEEvPT0_PKT_iiiPKbib.numbered_sgpr, 16
	.set _ZN12_GLOBAL__N_120softmax_warp_forwardIdddLi5ELb0ELb0ELi32EEEvPT0_PKT_iiiPKbib.num_named_barrier, 0
	.set _ZN12_GLOBAL__N_120softmax_warp_forwardIdddLi5ELb0ELb0ELi32EEEvPT0_PKT_iiiPKbib.private_seg_size, 0
	.set _ZN12_GLOBAL__N_120softmax_warp_forwardIdddLi5ELb0ELb0ELi32EEEvPT0_PKT_iiiPKbib.uses_vcc, 1
	.set _ZN12_GLOBAL__N_120softmax_warp_forwardIdddLi5ELb0ELb0ELi32EEEvPT0_PKT_iiiPKbib.uses_flat_scratch, 0
	.set _ZN12_GLOBAL__N_120softmax_warp_forwardIdddLi5ELb0ELb0ELi32EEEvPT0_PKT_iiiPKbib.has_dyn_sized_stack, 0
	.set _ZN12_GLOBAL__N_120softmax_warp_forwardIdddLi5ELb0ELb0ELi32EEEvPT0_PKT_iiiPKbib.has_recursion, 0
	.set _ZN12_GLOBAL__N_120softmax_warp_forwardIdddLi5ELb0ELb0ELi32EEEvPT0_PKT_iiiPKbib.has_indirect_call, 0
	.section	.AMDGPU.csdata,"",@progbits
; Kernel info:
; codeLenInByte = 1960
; TotalNumSgprs: 18
; NumVgprs: 25
; ScratchSize: 0
; MemoryBound: 1
; FloatMode: 240
; IeeeMode: 1
; LDSByteSize: 0 bytes/workgroup (compile time only)
; SGPRBlocks: 0
; VGPRBlocks: 3
; NumSGPRsForWavesPerEU: 18
; NumVGPRsForWavesPerEU: 25
; Occupancy: 16
; WaveLimiterHint : 0
; COMPUTE_PGM_RSRC2:SCRATCH_EN: 0
; COMPUTE_PGM_RSRC2:USER_SGPR: 6
; COMPUTE_PGM_RSRC2:TRAP_HANDLER: 0
; COMPUTE_PGM_RSRC2:TGID_X_EN: 1
; COMPUTE_PGM_RSRC2:TGID_Y_EN: 0
; COMPUTE_PGM_RSRC2:TGID_Z_EN: 0
; COMPUTE_PGM_RSRC2:TIDIG_COMP_CNT: 1
	.section	.text._ZN12_GLOBAL__N_120softmax_warp_forwardIdddLi6ELb0ELb0ELi64EEEvPT0_PKT_iiiPKbib,"axG",@progbits,_ZN12_GLOBAL__N_120softmax_warp_forwardIdddLi6ELb0ELb0ELi64EEEvPT0_PKT_iiiPKbib,comdat
	.globl	_ZN12_GLOBAL__N_120softmax_warp_forwardIdddLi6ELb0ELb0ELi64EEEvPT0_PKT_iiiPKbib ; -- Begin function _ZN12_GLOBAL__N_120softmax_warp_forwardIdddLi6ELb0ELb0ELi64EEEvPT0_PKT_iiiPKbib
	.p2align	8
	.type	_ZN12_GLOBAL__N_120softmax_warp_forwardIdddLi6ELb0ELb0ELi64EEEvPT0_PKT_iiiPKbib,@function
_ZN12_GLOBAL__N_120softmax_warp_forwardIdddLi6ELb0ELb0ELi64EEEvPT0_PKT_iiiPKbib: ; @_ZN12_GLOBAL__N_120softmax_warp_forwardIdddLi6ELb0ELb0ELi64EEEvPT0_PKT_iiiPKbib
; %bb.0:
	s_clause 0x1
	s_load_dword s0, s[4:5], 0x3c
	s_load_dwordx8 s[8:15], s[4:5], 0x0
	v_mov_b32_e32 v5, 0
	v_mov_b32_e32 v6, 0xfff00000
	s_waitcnt lgkmcnt(0)
	s_lshr_b32 s0, s0, 16
	s_and_b32 s0, s0, 0xffff
	s_mul_i32 s6, s6, s0
	v_cmp_gt_i32_e64 s0, s14, v0
	v_add_lshl_u32 v3, s6, v1, 1
	v_mad_u64_u32 v[1:2], null, v3, s13, v[0:1]
	v_sub_nc_u32_e32 v14, s12, v3
	v_mov_b32_e32 v3, 0
	v_mov_b32_e32 v4, 0xfff00000
	v_cmp_lt_i32_e32 vcc_lo, 0, v14
	v_ashrrev_i32_e32 v2, 31, v1
	s_and_b32 s2, s0, vcc_lo
	v_lshlrev_b64 v[1:2], 3, v[1:2]
	v_add_co_u32 v7, s1, s10, v1
	v_add_co_ci_u32_e64 v8, null, s11, v2, s1
	s_and_saveexec_b32 s1, s2
	s_cbranch_execz .LBB366_2
; %bb.1:
	global_load_dwordx2 v[5:6], v[7:8], off
.LBB366_2:
	s_or_b32 exec_lo, exec_lo, s1
	v_cmp_lt_i32_e64 s1, 1, v14
	s_and_b32 s1, s0, s1
	s_and_saveexec_b32 s2, s1
	s_cbranch_execz .LBB366_4
; %bb.3:
	s_mov_b32 s15, 0
	s_lshl_b64 s[4:5], s[14:15], 3
	v_add_co_u32 v3, s1, v7, s4
	v_add_co_ci_u32_e64 v4, null, s5, v8, s1
	global_load_dwordx2 v[3:4], v[3:4], off
.LBB366_4:
	s_or_b32 exec_lo, exec_lo, s2
	v_mbcnt_lo_u32_b32 v21, -1, 0
	s_mov_b32 s4, 0x6a5dcb37
	s_mov_b32 s5, 0x3e5ade15
	v_or_b32_e32 v0, 32, v21
	v_xor_b32_e32 v7, 16, v21
	v_cmp_gt_i32_e64 s1, 64, v0
	v_cmp_gt_i32_e64 s3, 64, v7
	v_cndmask_b32_e64 v0, v21, v0, s1
	v_cndmask_b32_e64 v7, v21, v7, s3
	v_lshlrev_b32_e32 v0, 2, v0
	v_lshlrev_b32_e32 v7, 2, v7
	s_waitcnt vmcnt(0)
	ds_bpermute_b32 v8, v0, v5
	ds_bpermute_b32 v9, v0, v6
	;; [unrolled: 1-line block ×4, first 2 shown]
	s_waitcnt lgkmcnt(2)
	v_cmp_lt_f64_e64 s1, v[5:6], v[8:9]
	s_waitcnt lgkmcnt(0)
	v_cmp_lt_f64_e64 s2, v[3:4], v[10:11]
	v_cndmask_b32_e64 v13, v6, v9, s1
	v_cndmask_b32_e64 v12, v5, v8, s1
	;; [unrolled: 1-line block ×4, first 2 shown]
	v_xor_b32_e32 v8, 8, v21
	ds_bpermute_b32 v16, v7, v13
	ds_bpermute_b32 v15, v7, v12
	;; [unrolled: 1-line block ×4, first 2 shown]
	v_cmp_gt_i32_e64 s3, 64, v8
	v_xor_b32_e32 v9, 4, v21
	v_cndmask_b32_e64 v8, v21, v8, s3
	v_cmp_gt_i32_e64 s3, 64, v9
	v_lshlrev_b32_e32 v8, 2, v8
	v_cndmask_b32_e64 v9, v21, v9, s3
	v_lshlrev_b32_e32 v9, 2, v9
	s_waitcnt lgkmcnt(2)
	v_cmp_lt_f64_e64 s1, v[12:13], v[15:16]
	s_waitcnt lgkmcnt(0)
	v_cmp_lt_f64_e64 s2, v[10:11], v[17:18]
	v_cndmask_b32_e64 v13, v13, v16, s1
	v_cndmask_b32_e64 v12, v12, v15, s1
	v_cndmask_b32_e64 v11, v11, v18, s2
	v_cndmask_b32_e64 v10, v10, v17, s2
	ds_bpermute_b32 v16, v8, v13
	ds_bpermute_b32 v15, v8, v12
	;; [unrolled: 1-line block ×4, first 2 shown]
	s_waitcnt lgkmcnt(2)
	v_cmp_lt_f64_e64 s1, v[12:13], v[15:16]
	s_waitcnt lgkmcnt(0)
	v_cmp_lt_f64_e64 s2, v[10:11], v[17:18]
	v_cndmask_b32_e64 v13, v13, v16, s1
	v_cndmask_b32_e64 v12, v12, v15, s1
	;; [unrolled: 1-line block ×4, first 2 shown]
	v_xor_b32_e32 v10, 2, v21
	ds_bpermute_b32 v18, v9, v13
	ds_bpermute_b32 v17, v9, v12
	;; [unrolled: 1-line block ×4, first 2 shown]
	v_cmp_gt_i32_e64 s3, 64, v10
	v_cndmask_b32_e64 v10, v21, v10, s3
	v_lshlrev_b32_e32 v10, 2, v10
	s_waitcnt lgkmcnt(2)
	v_cmp_lt_f64_e64 s1, v[12:13], v[17:18]
	s_waitcnt lgkmcnt(0)
	v_cmp_lt_f64_e64 s2, v[15:16], v[19:20]
	v_cndmask_b32_e64 v18, v13, v18, s1
	v_cndmask_b32_e64 v17, v12, v17, s1
	;; [unrolled: 1-line block ×4, first 2 shown]
	v_xor_b32_e32 v13, 1, v21
	ds_bpermute_b32 v16, v10, v18
	ds_bpermute_b32 v15, v10, v17
	ds_bpermute_b32 v20, v10, v12
	ds_bpermute_b32 v19, v10, v11
	v_cmp_gt_i32_e64 s3, 64, v13
	v_cndmask_b32_e64 v13, v21, v13, s3
	v_lshlrev_b32_e32 v13, 2, v13
	s_waitcnt lgkmcnt(2)
	v_cmp_lt_f64_e64 s1, v[17:18], v[15:16]
	s_waitcnt lgkmcnt(0)
	v_cmp_lt_f64_e64 s2, v[11:12], v[19:20]
	v_cndmask_b32_e64 v16, v18, v16, s1
	v_cndmask_b32_e64 v15, v17, v15, s1
	;; [unrolled: 1-line block ×4, first 2 shown]
	ds_bpermute_b32 v18, v13, v16
	ds_bpermute_b32 v17, v13, v15
	;; [unrolled: 1-line block ×4, first 2 shown]
	s_waitcnt lgkmcnt(2)
	v_cmp_lt_f64_e64 s1, v[15:16], v[17:18]
	s_waitcnt lgkmcnt(0)
	v_cmp_lt_f64_e64 s2, v[11:12], v[19:20]
	v_cndmask_b32_e64 v16, v16, v18, s1
	v_cndmask_b32_e64 v15, v15, v17, s1
	;; [unrolled: 1-line block ×4, first 2 shown]
	s_mov_b32 s2, 0x652b82fe
	s_mov_b32 s3, 0x3ff71547
	v_add_f64 v[5:6], v[5:6], -v[15:16]
	v_add_f64 v[3:4], v[3:4], -v[11:12]
	v_mul_f64 v[11:12], v[5:6], s[2:3]
	v_cmp_nlt_f64_e64 s1, 0x40900000, v[5:6]
	v_mul_f64 v[15:16], v[3:4], s[2:3]
	s_mov_b32 s2, 0xfefa39ef
	s_mov_b32 s3, 0xbfe62e42
	v_rndne_f64_e32 v[11:12], v[11:12]
	v_rndne_f64_e32 v[15:16], v[15:16]
	v_fma_f64 v[17:18], v[11:12], s[2:3], v[5:6]
	v_cvt_i32_f64_e32 v25, v[11:12]
	v_fma_f64 v[19:20], v[15:16], s[2:3], v[3:4]
	s_mov_b32 s2, 0x3b39803f
	s_mov_b32 s3, 0xbc7abc9e
	v_fma_f64 v[17:18], v[11:12], s[2:3], v[17:18]
	v_fma_f64 v[19:20], v[15:16], s[2:3], v[19:20]
	s_mov_b32 s2, 0xfca7ab0c
	s_mov_b32 s3, 0x3e928af3
	v_fma_f64 v[21:22], v[17:18], s[4:5], s[2:3]
	v_fma_f64 v[23:24], v[19:20], s[4:5], s[2:3]
	s_mov_b32 s2, 0x623fde64
	s_mov_b32 s3, 0x3ec71dee
	v_cmp_ngt_f64_e64 s4, 0xc090cc00, v[3:4]
	v_fma_f64 v[21:22], v[17:18], v[21:22], s[2:3]
	v_fma_f64 v[23:24], v[19:20], v[23:24], s[2:3]
	s_mov_b32 s2, 0x7c89e6b0
	s_mov_b32 s3, 0x3efa0199
	v_fma_f64 v[21:22], v[17:18], v[21:22], s[2:3]
	v_fma_f64 v[23:24], v[19:20], v[23:24], s[2:3]
	s_mov_b32 s2, 0x14761f6e
	s_mov_b32 s3, 0x3f2a01a0
	;; [unrolled: 4-line block ×7, first 2 shown]
	v_fma_f64 v[21:22], v[17:18], v[21:22], s[2:3]
	v_fma_f64 v[23:24], v[19:20], v[23:24], s[2:3]
	v_cmp_nlt_f64_e64 s3, 0x40900000, v[3:4]
	v_cmp_ngt_f64_e64 s2, 0xc090cc00, v[5:6]
	v_fma_f64 v[21:22], v[17:18], v[21:22], 1.0
	v_fma_f64 v[23:24], v[19:20], v[23:24], 1.0
	;; [unrolled: 1-line block ×3, first 2 shown]
	v_cvt_i32_f64_e32 v17, v[15:16]
	v_fma_f64 v[15:16], v[19:20], v[23:24], 1.0
	v_ldexp_f64 v[11:12], v[11:12], v25
	v_ldexp_f64 v[15:16], v[15:16], v17
	v_cndmask_b32_e64 v12, 0x7ff00000, v12, s1
	s_and_b32 s1, s2, s1
	v_cndmask_b32_e64 v5, 0x7ff00000, v16, s3
	v_cndmask_b32_e64 v6, 0, v12, s2
	;; [unrolled: 1-line block ×4, first 2 shown]
	s_and_b32 s1, s4, s3
	v_cndmask_b32_e64 v3, 0, v15, s1
	v_add_f64 v[11:12], v[5:6], 0
	v_add_f64 v[15:16], v[3:4], 0
	ds_bpermute_b32 v17, v0, v11
	ds_bpermute_b32 v18, v0, v12
	ds_bpermute_b32 v19, v0, v15
	ds_bpermute_b32 v20, v0, v16
	s_waitcnt lgkmcnt(2)
	v_add_f64 v[11:12], v[11:12], v[17:18]
	s_waitcnt lgkmcnt(0)
	v_add_f64 v[15:16], v[15:16], v[19:20]
	ds_bpermute_b32 v17, v7, v11
	ds_bpermute_b32 v18, v7, v12
	ds_bpermute_b32 v19, v7, v15
	ds_bpermute_b32 v20, v7, v16
	s_waitcnt lgkmcnt(2)
	v_add_f64 v[11:12], v[11:12], v[17:18]
	s_waitcnt lgkmcnt(0)
	v_add_f64 v[15:16], v[15:16], v[19:20]
	ds_bpermute_b32 v17, v8, v11
	ds_bpermute_b32 v18, v8, v12
	ds_bpermute_b32 v7, v8, v15
	ds_bpermute_b32 v8, v8, v16
	s_waitcnt lgkmcnt(2)
	v_add_f64 v[11:12], v[11:12], v[17:18]
	s_waitcnt lgkmcnt(0)
	v_add_f64 v[7:8], v[15:16], v[7:8]
	ds_bpermute_b32 v15, v9, v11
	ds_bpermute_b32 v16, v9, v12
	ds_bpermute_b32 v17, v9, v7
	ds_bpermute_b32 v18, v9, v8
	s_waitcnt lgkmcnt(2)
	v_add_f64 v[11:12], v[11:12], v[15:16]
	s_waitcnt lgkmcnt(0)
	v_add_f64 v[7:8], v[7:8], v[17:18]
	ds_bpermute_b32 v15, v10, v11
	ds_bpermute_b32 v16, v10, v12
	ds_bpermute_b32 v17, v10, v7
	ds_bpermute_b32 v18, v10, v8
	s_waitcnt lgkmcnt(2)
	v_add_f64 v[10:11], v[11:12], v[15:16]
	s_waitcnt lgkmcnt(0)
	v_add_f64 v[7:8], v[7:8], v[17:18]
	ds_bpermute_b32 v12, v13, v10
	ds_bpermute_b32 v16, v13, v11
	;; [unrolled: 1-line block ×4, first 2 shown]
	s_and_saveexec_b32 s1, vcc_lo
	s_cbranch_execz .LBB366_9
; %bb.5:
	v_add_co_u32 v0, vcc_lo, s8, v1
	v_add_co_ci_u32_e64 v1, null, s9, v2, vcc_lo
	s_and_saveexec_b32 s1, s0
	s_cbranch_execz .LBB366_7
; %bb.6:
	s_waitcnt lgkmcnt(2)
	v_mov_b32_e32 v13, v16
	v_add_f64 v[10:11], v[10:11], v[12:13]
	v_div_scale_f64 v[12:13], null, v[10:11], v[10:11], v[5:6]
	v_div_scale_f64 v[20:21], vcc_lo, v[5:6], v[10:11], v[5:6]
	v_rcp_f64_e32 v[16:17], v[12:13]
	v_fma_f64 v[18:19], -v[12:13], v[16:17], 1.0
	v_fma_f64 v[16:17], v[16:17], v[18:19], v[16:17]
	v_fma_f64 v[18:19], -v[12:13], v[16:17], 1.0
	v_fma_f64 v[16:17], v[16:17], v[18:19], v[16:17]
	v_mul_f64 v[18:19], v[20:21], v[16:17]
	v_fma_f64 v[12:13], -v[12:13], v[18:19], v[20:21]
	v_div_fmas_f64 v[12:13], v[12:13], v[16:17], v[18:19]
	v_cmp_neq_f64_e32 vcc_lo, 0, v[10:11]
	v_div_fixup_f64 v[5:6], v[12:13], v[10:11], v[5:6]
	v_cndmask_b32_e32 v6, 0x7ff80000, v6, vcc_lo
	v_cndmask_b32_e32 v5, 0, v5, vcc_lo
	global_store_dwordx2 v[0:1], v[5:6], off
.LBB366_7:
	s_or_b32 exec_lo, exec_lo, s1
	v_cmp_ne_u32_e32 vcc_lo, 1, v14
	s_and_b32 s0, vcc_lo, s0
	s_and_b32 exec_lo, exec_lo, s0
	s_cbranch_execz .LBB366_9
; %bb.8:
	s_waitcnt lgkmcnt(0)
	v_mov_b32_e32 v10, v15
	s_mov_b32 s15, 0
	s_lshl_b64 s[0:1], s[14:15], 3
	v_add_co_u32 v0, s0, v0, s0
	v_add_f64 v[5:6], v[7:8], v[9:10]
	v_add_co_ci_u32_e64 v1, null, s1, v1, s0
	v_div_scale_f64 v[7:8], null, v[5:6], v[5:6], v[3:4]
	v_div_scale_f64 v[13:14], vcc_lo, v[3:4], v[5:6], v[3:4]
	v_rcp_f64_e32 v[9:10], v[7:8]
	v_fma_f64 v[11:12], -v[7:8], v[9:10], 1.0
	v_fma_f64 v[9:10], v[9:10], v[11:12], v[9:10]
	v_fma_f64 v[11:12], -v[7:8], v[9:10], 1.0
	v_fma_f64 v[9:10], v[9:10], v[11:12], v[9:10]
	v_mul_f64 v[11:12], v[13:14], v[9:10]
	v_fma_f64 v[7:8], -v[7:8], v[11:12], v[13:14]
	v_div_fmas_f64 v[7:8], v[7:8], v[9:10], v[11:12]
	v_cmp_neq_f64_e32 vcc_lo, 0, v[5:6]
	v_div_fixup_f64 v[2:3], v[7:8], v[5:6], v[3:4]
	v_cndmask_b32_e32 v3, 0x7ff80000, v3, vcc_lo
	v_cndmask_b32_e32 v2, 0, v2, vcc_lo
	global_store_dwordx2 v[0:1], v[2:3], off
.LBB366_9:
	s_endpgm
	.section	.rodata,"a",@progbits
	.p2align	6, 0x0
	.amdhsa_kernel _ZN12_GLOBAL__N_120softmax_warp_forwardIdddLi6ELb0ELb0ELi64EEEvPT0_PKT_iiiPKbib
		.amdhsa_group_segment_fixed_size 0
		.amdhsa_private_segment_fixed_size 0
		.amdhsa_kernarg_size 304
		.amdhsa_user_sgpr_count 6
		.amdhsa_user_sgpr_private_segment_buffer 1
		.amdhsa_user_sgpr_dispatch_ptr 0
		.amdhsa_user_sgpr_queue_ptr 0
		.amdhsa_user_sgpr_kernarg_segment_ptr 1
		.amdhsa_user_sgpr_dispatch_id 0
		.amdhsa_user_sgpr_flat_scratch_init 0
		.amdhsa_user_sgpr_private_segment_size 0
		.amdhsa_wavefront_size32 1
		.amdhsa_uses_dynamic_stack 0
		.amdhsa_system_sgpr_private_segment_wavefront_offset 0
		.amdhsa_system_sgpr_workgroup_id_x 1
		.amdhsa_system_sgpr_workgroup_id_y 0
		.amdhsa_system_sgpr_workgroup_id_z 0
		.amdhsa_system_sgpr_workgroup_info 0
		.amdhsa_system_vgpr_workitem_id 1
		.amdhsa_next_free_vgpr 26
		.amdhsa_next_free_sgpr 16
		.amdhsa_reserve_vcc 1
		.amdhsa_reserve_flat_scratch 0
		.amdhsa_float_round_mode_32 0
		.amdhsa_float_round_mode_16_64 0
		.amdhsa_float_denorm_mode_32 3
		.amdhsa_float_denorm_mode_16_64 3
		.amdhsa_dx10_clamp 1
		.amdhsa_ieee_mode 1
		.amdhsa_fp16_overflow 0
		.amdhsa_workgroup_processor_mode 1
		.amdhsa_memory_ordered 1
		.amdhsa_forward_progress 1
		.amdhsa_shared_vgpr_count 0
		.amdhsa_exception_fp_ieee_invalid_op 0
		.amdhsa_exception_fp_denorm_src 0
		.amdhsa_exception_fp_ieee_div_zero 0
		.amdhsa_exception_fp_ieee_overflow 0
		.amdhsa_exception_fp_ieee_underflow 0
		.amdhsa_exception_fp_ieee_inexact 0
		.amdhsa_exception_int_div_zero 0
	.end_amdhsa_kernel
	.section	.text._ZN12_GLOBAL__N_120softmax_warp_forwardIdddLi6ELb0ELb0ELi64EEEvPT0_PKT_iiiPKbib,"axG",@progbits,_ZN12_GLOBAL__N_120softmax_warp_forwardIdddLi6ELb0ELb0ELi64EEEvPT0_PKT_iiiPKbib,comdat
.Lfunc_end366:
	.size	_ZN12_GLOBAL__N_120softmax_warp_forwardIdddLi6ELb0ELb0ELi64EEEvPT0_PKT_iiiPKbib, .Lfunc_end366-_ZN12_GLOBAL__N_120softmax_warp_forwardIdddLi6ELb0ELb0ELi64EEEvPT0_PKT_iiiPKbib
                                        ; -- End function
	.set _ZN12_GLOBAL__N_120softmax_warp_forwardIdddLi6ELb0ELb0ELi64EEEvPT0_PKT_iiiPKbib.num_vgpr, 26
	.set _ZN12_GLOBAL__N_120softmax_warp_forwardIdddLi6ELb0ELb0ELi64EEEvPT0_PKT_iiiPKbib.num_agpr, 0
	.set _ZN12_GLOBAL__N_120softmax_warp_forwardIdddLi6ELb0ELb0ELi64EEEvPT0_PKT_iiiPKbib.numbered_sgpr, 16
	.set _ZN12_GLOBAL__N_120softmax_warp_forwardIdddLi6ELb0ELb0ELi64EEEvPT0_PKT_iiiPKbib.num_named_barrier, 0
	.set _ZN12_GLOBAL__N_120softmax_warp_forwardIdddLi6ELb0ELb0ELi64EEEvPT0_PKT_iiiPKbib.private_seg_size, 0
	.set _ZN12_GLOBAL__N_120softmax_warp_forwardIdddLi6ELb0ELb0ELi64EEEvPT0_PKT_iiiPKbib.uses_vcc, 1
	.set _ZN12_GLOBAL__N_120softmax_warp_forwardIdddLi6ELb0ELb0ELi64EEEvPT0_PKT_iiiPKbib.uses_flat_scratch, 0
	.set _ZN12_GLOBAL__N_120softmax_warp_forwardIdddLi6ELb0ELb0ELi64EEEvPT0_PKT_iiiPKbib.has_dyn_sized_stack, 0
	.set _ZN12_GLOBAL__N_120softmax_warp_forwardIdddLi6ELb0ELb0ELi64EEEvPT0_PKT_iiiPKbib.has_recursion, 0
	.set _ZN12_GLOBAL__N_120softmax_warp_forwardIdddLi6ELb0ELb0ELi64EEEvPT0_PKT_iiiPKbib.has_indirect_call, 0
	.section	.AMDGPU.csdata,"",@progbits
; Kernel info:
; codeLenInByte = 2132
; TotalNumSgprs: 18
; NumVgprs: 26
; ScratchSize: 0
; MemoryBound: 1
; FloatMode: 240
; IeeeMode: 1
; LDSByteSize: 0 bytes/workgroup (compile time only)
; SGPRBlocks: 0
; VGPRBlocks: 3
; NumSGPRsForWavesPerEU: 18
; NumVGPRsForWavesPerEU: 26
; Occupancy: 16
; WaveLimiterHint : 0
; COMPUTE_PGM_RSRC2:SCRATCH_EN: 0
; COMPUTE_PGM_RSRC2:USER_SGPR: 6
; COMPUTE_PGM_RSRC2:TRAP_HANDLER: 0
; COMPUTE_PGM_RSRC2:TGID_X_EN: 1
; COMPUTE_PGM_RSRC2:TGID_Y_EN: 0
; COMPUTE_PGM_RSRC2:TGID_Z_EN: 0
; COMPUTE_PGM_RSRC2:TIDIG_COMP_CNT: 1
	.section	.text._ZN12_GLOBAL__N_120softmax_warp_forwardIdddLi6ELb0ELb0ELi32EEEvPT0_PKT_iiiPKbib,"axG",@progbits,_ZN12_GLOBAL__N_120softmax_warp_forwardIdddLi6ELb0ELb0ELi32EEEvPT0_PKT_iiiPKbib,comdat
	.globl	_ZN12_GLOBAL__N_120softmax_warp_forwardIdddLi6ELb0ELb0ELi32EEEvPT0_PKT_iiiPKbib ; -- Begin function _ZN12_GLOBAL__N_120softmax_warp_forwardIdddLi6ELb0ELb0ELi32EEEvPT0_PKT_iiiPKbib
	.p2align	8
	.type	_ZN12_GLOBAL__N_120softmax_warp_forwardIdddLi6ELb0ELb0ELi32EEEvPT0_PKT_iiiPKbib,@function
_ZN12_GLOBAL__N_120softmax_warp_forwardIdddLi6ELb0ELb0ELi32EEEvPT0_PKT_iiiPKbib: ; @_ZN12_GLOBAL__N_120softmax_warp_forwardIdddLi6ELb0ELb0ELi32EEEvPT0_PKT_iiiPKbib
; %bb.0:
	s_clause 0x1
	s_load_dword s0, s[4:5], 0x3c
	s_load_dwordx8 s[12:19], s[4:5], 0x0
	v_mov_b32_e32 v9, 0
	v_mov_b32_e32 v10, 0xfff00000
	s_waitcnt lgkmcnt(0)
	s_lshr_b32 s0, s0, 16
	v_cmp_gt_i32_e64 s1, s18, v0
	s_and_b32 s0, s0, 0xffff
	s_mul_i32 s6, s6, s0
	v_add_lshl_u32 v3, s6, v1, 1
	v_mad_u64_u32 v[1:2], null, v3, s17, v[0:1]
	v_sub_nc_u32_e32 v19, s16, v3
	v_mov_b32_e32 v3, 0
	v_mov_b32_e32 v4, 0xfff00000
	v_cmp_lt_i32_e32 vcc_lo, 0, v19
	v_ashrrev_i32_e32 v2, 31, v1
	s_and_b32 s2, vcc_lo, s1
	v_lshlrev_b64 v[1:2], 3, v[1:2]
	v_add_co_u32 v11, s0, s14, v1
	v_add_co_ci_u32_e64 v12, null, s15, v2, s0
	s_and_saveexec_b32 s0, s2
	s_cbranch_execz .LBB367_2
; %bb.1:
	global_load_dwordx2 v[9:10], v[11:12], off
.LBB367_2:
	s_or_b32 exec_lo, exec_lo, s0
	v_add_nc_u32_e32 v0, 32, v0
	v_cmp_gt_i32_e64 s0, s18, v0
	s_and_b32 s3, vcc_lo, s0
	s_and_saveexec_b32 s2, s3
	s_cbranch_execz .LBB367_4
; %bb.3:
	global_load_dwordx2 v[3:4], v[11:12], off offset:256
.LBB367_4:
	s_or_b32 exec_lo, exec_lo, s2
	v_cmp_lt_i32_e64 s2, 1, v19
	v_mov_b32_e32 v5, 0
	v_mov_b32_e32 v7, 0
	;; [unrolled: 1-line block ×4, first 2 shown]
	s_and_b32 s3, s2, s1
	s_and_saveexec_b32 s4, s3
	s_cbranch_execz .LBB367_6
; %bb.5:
	s_mov_b32 s19, 0
	s_lshl_b64 s[6:7], s[18:19], 3
	v_add_co_u32 v7, s3, v11, s6
	v_add_co_ci_u32_e64 v8, null, s7, v12, s3
	global_load_dwordx2 v[7:8], v[7:8], off
.LBB367_6:
	s_or_b32 exec_lo, exec_lo, s4
	s_and_b32 s2, s2, s0
	s_and_saveexec_b32 s3, s2
	s_cbranch_execz .LBB367_8
; %bb.7:
	s_mov_b32 s19, 0
	s_lshl_b64 s[4:5], s[18:19], 3
	v_add_co_u32 v5, s2, v11, s4
	v_add_co_ci_u32_e64 v6, null, s5, v12, s2
	global_load_dwordx2 v[5:6], v[5:6], off offset:256
.LBB367_8:
	s_or_b32 exec_lo, exec_lo, s3
	s_waitcnt vmcnt(0)
	v_cmp_gt_f64_e64 s2, v[9:10], v[3:4]
	v_cmp_gt_f64_e64 s3, v[7:8], v[5:6]
	v_mbcnt_lo_u32_b32 v18, -1, 0
	s_mov_b32 s6, 0x6a5dcb37
	s_mov_b32 s7, 0x3e5ade15
	v_xor_b32_e32 v0, 16, v18
	v_xor_b32_e32 v11, 8, v18
	v_cmp_gt_i32_e64 s4, 32, v0
	v_cndmask_b32_e64 v0, v18, v0, s4
	v_cmp_gt_i32_e64 s4, 32, v11
	v_lshlrev_b32_e32 v0, 2, v0
	v_cndmask_b32_e64 v13, v4, v10, s2
	v_cndmask_b32_e64 v12, v3, v9, s2
	;; [unrolled: 1-line block ×5, first 2 shown]
	ds_bpermute_b32 v17, v0, v13
	ds_bpermute_b32 v16, v0, v12
	;; [unrolled: 1-line block ×4, first 2 shown]
	v_lshlrev_b32_e32 v11, 2, v11
	s_waitcnt lgkmcnt(2)
	v_cmp_lt_f64_e64 s2, v[12:13], v[16:17]
	s_waitcnt lgkmcnt(0)
	v_cmp_lt_f64_e64 s3, v[14:15], v[20:21]
	v_cndmask_b32_e64 v17, v13, v17, s2
	v_cndmask_b32_e64 v16, v12, v16, s2
	;; [unrolled: 1-line block ×4, first 2 shown]
	v_xor_b32_e32 v12, 4, v18
	ds_bpermute_b32 v21, v11, v17
	ds_bpermute_b32 v20, v11, v16
	;; [unrolled: 1-line block ×4, first 2 shown]
	v_cmp_gt_i32_e64 s4, 32, v12
	v_xor_b32_e32 v13, 2, v18
	v_cndmask_b32_e64 v12, v18, v12, s4
	v_cmp_gt_i32_e64 s4, 32, v13
	v_lshlrev_b32_e32 v12, 2, v12
	v_cndmask_b32_e64 v13, v18, v13, s4
	v_lshlrev_b32_e32 v13, 2, v13
	s_waitcnt lgkmcnt(2)
	v_cmp_lt_f64_e64 s2, v[16:17], v[20:21]
	s_waitcnt lgkmcnt(0)
	v_cmp_lt_f64_e64 s3, v[14:15], v[22:23]
	v_cndmask_b32_e64 v17, v17, v21, s2
	v_cndmask_b32_e64 v16, v16, v20, s2
	;; [unrolled: 1-line block ×4, first 2 shown]
	ds_bpermute_b32 v21, v12, v17
	ds_bpermute_b32 v20, v12, v16
	;; [unrolled: 1-line block ×4, first 2 shown]
	s_waitcnt lgkmcnt(2)
	v_cmp_lt_f64_e64 s2, v[16:17], v[20:21]
	s_waitcnt lgkmcnt(0)
	v_cmp_lt_f64_e64 s3, v[14:15], v[22:23]
	v_cndmask_b32_e64 v17, v17, v21, s2
	v_cndmask_b32_e64 v16, v16, v20, s2
	;; [unrolled: 1-line block ×4, first 2 shown]
	v_xor_b32_e32 v14, 1, v18
	ds_bpermute_b32 v23, v13, v17
	ds_bpermute_b32 v22, v13, v16
	;; [unrolled: 1-line block ×4, first 2 shown]
	v_cmp_gt_i32_e64 s4, 32, v14
	v_cndmask_b32_e64 v14, v18, v14, s4
	s_mov_b32 s4, 0x3b39803f
	s_mov_b32 s5, 0xbc7abc9e
	v_lshlrev_b32_e32 v14, 2, v14
	s_waitcnt lgkmcnt(2)
	v_cmp_lt_f64_e64 s2, v[16:17], v[22:23]
	s_waitcnt lgkmcnt(0)
	v_cmp_lt_f64_e64 s3, v[20:21], v[24:25]
	v_cndmask_b32_e64 v17, v17, v23, s2
	v_cndmask_b32_e64 v16, v16, v22, s2
	;; [unrolled: 1-line block ×4, first 2 shown]
	ds_bpermute_b32 v23, v14, v17
	ds_bpermute_b32 v22, v14, v16
	;; [unrolled: 1-line block ×4, first 2 shown]
	s_waitcnt lgkmcnt(2)
	v_cmp_lt_f64_e64 s2, v[16:17], v[22:23]
	s_waitcnt lgkmcnt(0)
	v_cmp_lt_f64_e64 s3, v[20:21], v[24:25]
	v_cndmask_b32_e64 v17, v17, v23, s2
	v_cndmask_b32_e64 v16, v16, v22, s2
	;; [unrolled: 1-line block ×4, first 2 shown]
	s_mov_b32 s2, 0x652b82fe
	s_mov_b32 s3, 0x3ff71547
	v_add_f64 v[9:10], v[9:10], -v[16:17]
	v_add_f64 v[3:4], v[3:4], -v[16:17]
	;; [unrolled: 1-line block ×4, first 2 shown]
	v_mul_f64 v[15:16], v[9:10], s[2:3]
	v_mul_f64 v[20:21], v[3:4], s[2:3]
	;; [unrolled: 1-line block ×4, first 2 shown]
	s_mov_b32 s2, 0xfefa39ef
	s_mov_b32 s3, 0xbfe62e42
	v_cmp_nlt_f64_e64 s8, 0x40900000, v[5:6]
	v_cmp_ngt_f64_e64 s9, 0xc090cc00, v[5:6]
	v_rndne_f64_e32 v[15:16], v[15:16]
	v_rndne_f64_e32 v[20:21], v[20:21]
	;; [unrolled: 1-line block ×4, first 2 shown]
	v_fma_f64 v[24:25], v[15:16], s[2:3], v[9:10]
	v_fma_f64 v[28:29], v[20:21], s[2:3], v[3:4]
	;; [unrolled: 1-line block ×4, first 2 shown]
	s_mov_b32 s2, 0xfca7ab0c
	s_mov_b32 s3, 0x3e928af3
	v_cvt_i32_f64_e32 v40, v[15:16]
	v_fma_f64 v[24:25], v[15:16], s[4:5], v[24:25]
	v_fma_f64 v[28:29], v[20:21], s[4:5], v[28:29]
	;; [unrolled: 1-line block ×4, first 2 shown]
	s_mov_b32 s4, 0x623fde64
	s_mov_b32 s5, 0x3ec71dee
	v_fma_f64 v[32:33], v[24:25], s[6:7], s[2:3]
	v_fma_f64 v[36:37], v[28:29], s[6:7], s[2:3]
	;; [unrolled: 1-line block ×4, first 2 shown]
	s_mov_b32 s2, 0x7c89e6b0
	s_mov_b32 s3, 0x3efa0199
	v_cmp_nlt_f64_e64 s6, 0x40900000, v[3:4]
	v_cmp_ngt_f64_e64 s7, 0xc090cc00, v[3:4]
	v_fma_f64 v[32:33], v[24:25], v[32:33], s[4:5]
	v_fma_f64 v[36:37], v[28:29], v[36:37], s[4:5]
	v_fma_f64 v[34:35], v[26:27], v[34:35], s[4:5]
	v_fma_f64 v[38:39], v[30:31], v[38:39], s[4:5]
	s_mov_b32 s4, 0x14761f6e
	s_mov_b32 s5, 0x3f2a01a0
	v_fma_f64 v[32:33], v[24:25], v[32:33], s[2:3]
	v_fma_f64 v[36:37], v[28:29], v[36:37], s[2:3]
	v_fma_f64 v[34:35], v[26:27], v[34:35], s[2:3]
	v_fma_f64 v[38:39], v[30:31], v[38:39], s[2:3]
	s_mov_b32 s2, 0x1852b7b0
	s_mov_b32 s3, 0x3f56c16c
	;; [unrolled: 6-line block ×6, first 2 shown]
	v_fma_f64 v[32:33], v[24:25], v[32:33], s[4:5]
	v_fma_f64 v[36:37], v[28:29], v[36:37], s[4:5]
	;; [unrolled: 1-line block ×4, first 2 shown]
	v_cmp_nlt_f64_e64 s4, 0x40900000, v[7:8]
	v_cmp_ngt_f64_e64 s5, 0xc090cc00, v[7:8]
	v_fma_f64 v[32:33], v[24:25], v[32:33], s[2:3]
	v_fma_f64 v[36:37], v[28:29], v[36:37], s[2:3]
	;; [unrolled: 1-line block ×4, first 2 shown]
	v_cmp_nlt_f64_e64 s2, 0x40900000, v[9:10]
	v_cmp_ngt_f64_e64 s3, 0xc090cc00, v[9:10]
	v_fma_f64 v[32:33], v[24:25], v[32:33], 1.0
	v_fma_f64 v[36:37], v[28:29], v[36:37], 1.0
	;; [unrolled: 1-line block ×5, first 2 shown]
	v_cvt_i32_f64_e32 v24, v[17:18]
	v_fma_f64 v[17:18], v[26:27], v[34:35], 1.0
	v_cvt_i32_f64_e32 v25, v[20:21]
	v_fma_f64 v[20:21], v[28:29], v[36:37], 1.0
	;; [unrolled: 2-line block ×3, first 2 shown]
	v_ldexp_f64 v[15:16], v[15:16], v40
	v_ldexp_f64 v[17:18], v[17:18], v24
	;; [unrolled: 1-line block ×4, first 2 shown]
	v_cndmask_b32_e64 v16, 0x7ff00000, v16, s2
	s_and_b32 s2, s3, s2
	v_cndmask_b32_e64 v9, 0x7ff00000, v18, s4
	v_cndmask_b32_e64 v7, 0x7ff00000, v21, s6
	;; [unrolled: 1-line block ×6, first 2 shown]
	s_and_b32 s2, s5, s4
	v_cndmask_b32_e64 v8, 0, v7, s7
	v_cndmask_b32_e64 v5, 0, v17, s2
	s_and_b32 s2, s7, s6
	v_add_f64 v[15:16], v[9:10], 0
	v_cndmask_b32_e64 v7, 0, v20, s2
	s_and_b32 s2, s9, s8
	v_add_f64 v[17:18], v[5:6], 0
	v_cndmask_b32_e64 v4, 0, v3, s9
	v_cndmask_b32_e64 v3, 0, v22, s2
	v_add_f64 v[15:16], v[15:16], v[7:8]
	v_add_f64 v[17:18], v[17:18], v[3:4]
	ds_bpermute_b32 v20, v0, v15
	ds_bpermute_b32 v21, v0, v16
	ds_bpermute_b32 v22, v0, v17
	ds_bpermute_b32 v23, v0, v18
	s_waitcnt lgkmcnt(2)
	v_add_f64 v[15:16], v[15:16], v[20:21]
	s_waitcnt lgkmcnt(0)
	v_add_f64 v[17:18], v[17:18], v[22:23]
	ds_bpermute_b32 v20, v11, v15
	ds_bpermute_b32 v21, v11, v16
	ds_bpermute_b32 v22, v11, v17
	ds_bpermute_b32 v23, v11, v18
	s_waitcnt lgkmcnt(2)
	v_add_f64 v[15:16], v[15:16], v[20:21]
	s_waitcnt lgkmcnt(0)
	;; [unrolled: 8-line block ×4, first 2 shown]
	v_add_f64 v[11:12], v[11:12], v[20:21]
	ds_bpermute_b32 v17, v14, v15
	ds_bpermute_b32 v18, v14, v16
	;; [unrolled: 1-line block ×4, first 2 shown]
	s_and_saveexec_b32 s2, vcc_lo
	s_cbranch_execz .LBB367_16
; %bb.9:
	v_add_co_u32 v0, vcc_lo, s12, v1
	v_add_co_ci_u32_e64 v1, null, s13, v2, vcc_lo
	s_and_saveexec_b32 s3, s1
	s_cbranch_execz .LBB367_12
; %bb.10:
	s_waitcnt lgkmcnt(2)
	v_add_f64 v[15:16], v[15:16], v[17:18]
	v_div_scale_f64 v[17:18], null, v[15:16], v[15:16], v[9:10]
	v_div_scale_f64 v[24:25], vcc_lo, v[9:10], v[15:16], v[9:10]
	v_cmp_eq_f64_e64 s2, 0, v[15:16]
	v_rcp_f64_e32 v[20:21], v[17:18]
	v_fma_f64 v[22:23], -v[17:18], v[20:21], 1.0
	v_fma_f64 v[20:21], v[20:21], v[22:23], v[20:21]
	v_fma_f64 v[22:23], -v[17:18], v[20:21], 1.0
	v_fma_f64 v[20:21], v[20:21], v[22:23], v[20:21]
	v_mul_f64 v[22:23], v[24:25], v[20:21]
	v_fma_f64 v[17:18], -v[17:18], v[22:23], v[24:25]
	v_div_fmas_f64 v[17:18], v[17:18], v[20:21], v[22:23]
	v_div_fixup_f64 v[9:10], v[17:18], v[15:16], v[9:10]
	v_cndmask_b32_e64 v10, v10, 0x7ff80000, s2
	v_cndmask_b32_e64 v9, v9, 0, s2
	global_store_dwordx2 v[0:1], v[9:10], off
	s_and_b32 exec_lo, exec_lo, s0
	s_cbranch_execz .LBB367_12
; %bb.11:
	v_div_scale_f64 v[9:10], null, v[15:16], v[15:16], v[7:8]
	v_div_scale_f64 v[22:23], vcc_lo, v[7:8], v[15:16], v[7:8]
	v_rcp_f64_e32 v[17:18], v[9:10]
	v_fma_f64 v[20:21], -v[9:10], v[17:18], 1.0
	v_fma_f64 v[17:18], v[17:18], v[20:21], v[17:18]
	v_fma_f64 v[20:21], -v[9:10], v[17:18], 1.0
	v_fma_f64 v[17:18], v[17:18], v[20:21], v[17:18]
	v_mul_f64 v[20:21], v[22:23], v[17:18]
	v_fma_f64 v[9:10], -v[9:10], v[20:21], v[22:23]
	v_div_fmas_f64 v[9:10], v[9:10], v[17:18], v[20:21]
	v_div_fixup_f64 v[7:8], v[9:10], v[15:16], v[7:8]
	v_cndmask_b32_e64 v8, v8, 0x7ff80000, s2
	v_cndmask_b32_e64 v7, v7, 0, s2
	global_store_dwordx2 v[0:1], v[7:8], off offset:256
.LBB367_12:
	s_or_b32 exec_lo, exec_lo, s3
	v_cmp_ne_u32_e32 vcc_lo, 1, v19
	s_and_b32 exec_lo, exec_lo, vcc_lo
	s_cbranch_execz .LBB367_16
; %bb.13:
	s_and_b32 exec_lo, exec_lo, s1
	s_cbranch_execz .LBB367_16
; %bb.14:
	s_waitcnt lgkmcnt(0)
	v_add_f64 v[7:8], v[11:12], v[13:14]
	s_mov_b32 s19, 0
	s_lshl_b64 s[2:3], s[18:19], 3
	v_div_scale_f64 v[9:10], null, v[7:8], v[7:8], v[5:6]
	v_div_scale_f64 v[15:16], vcc_lo, v[5:6], v[7:8], v[5:6]
	v_cmp_eq_f64_e64 s1, 0, v[7:8]
	v_rcp_f64_e32 v[11:12], v[9:10]
	v_fma_f64 v[13:14], -v[9:10], v[11:12], 1.0
	v_fma_f64 v[11:12], v[11:12], v[13:14], v[11:12]
	v_fma_f64 v[13:14], -v[9:10], v[11:12], 1.0
	v_fma_f64 v[11:12], v[11:12], v[13:14], v[11:12]
	v_mul_f64 v[13:14], v[15:16], v[11:12]
	v_fma_f64 v[9:10], -v[9:10], v[13:14], v[15:16]
	v_div_fmas_f64 v[9:10], v[9:10], v[11:12], v[13:14]
	v_add_co_u32 v0, vcc_lo, v0, s2
	v_add_co_ci_u32_e64 v1, null, s3, v1, vcc_lo
	v_div_fixup_f64 v[5:6], v[9:10], v[7:8], v[5:6]
	v_cndmask_b32_e64 v6, v6, 0x7ff80000, s1
	v_cndmask_b32_e64 v5, v5, 0, s1
	global_store_dwordx2 v[0:1], v[5:6], off
	s_and_b32 exec_lo, exec_lo, s0
	s_cbranch_execz .LBB367_16
; %bb.15:
	v_div_scale_f64 v[5:6], null, v[7:8], v[7:8], v[3:4]
	v_div_scale_f64 v[13:14], vcc_lo, v[3:4], v[7:8], v[3:4]
	v_rcp_f64_e32 v[9:10], v[5:6]
	v_fma_f64 v[11:12], -v[5:6], v[9:10], 1.0
	v_fma_f64 v[9:10], v[9:10], v[11:12], v[9:10]
	v_fma_f64 v[11:12], -v[5:6], v[9:10], 1.0
	v_fma_f64 v[9:10], v[9:10], v[11:12], v[9:10]
	v_mul_f64 v[11:12], v[13:14], v[9:10]
	v_fma_f64 v[5:6], -v[5:6], v[11:12], v[13:14]
	v_div_fmas_f64 v[5:6], v[5:6], v[9:10], v[11:12]
	v_div_fixup_f64 v[2:3], v[5:6], v[7:8], v[3:4]
	v_cndmask_b32_e64 v3, v3, 0x7ff80000, s1
	v_cndmask_b32_e64 v2, v2, 0, s1
	global_store_dwordx2 v[0:1], v[2:3], off offset:256
.LBB367_16:
	s_endpgm
	.section	.rodata,"a",@progbits
	.p2align	6, 0x0
	.amdhsa_kernel _ZN12_GLOBAL__N_120softmax_warp_forwardIdddLi6ELb0ELb0ELi32EEEvPT0_PKT_iiiPKbib
		.amdhsa_group_segment_fixed_size 0
		.amdhsa_private_segment_fixed_size 0
		.amdhsa_kernarg_size 304
		.amdhsa_user_sgpr_count 6
		.amdhsa_user_sgpr_private_segment_buffer 1
		.amdhsa_user_sgpr_dispatch_ptr 0
		.amdhsa_user_sgpr_queue_ptr 0
		.amdhsa_user_sgpr_kernarg_segment_ptr 1
		.amdhsa_user_sgpr_dispatch_id 0
		.amdhsa_user_sgpr_flat_scratch_init 0
		.amdhsa_user_sgpr_private_segment_size 0
		.amdhsa_wavefront_size32 1
		.amdhsa_uses_dynamic_stack 0
		.amdhsa_system_sgpr_private_segment_wavefront_offset 0
		.amdhsa_system_sgpr_workgroup_id_x 1
		.amdhsa_system_sgpr_workgroup_id_y 0
		.amdhsa_system_sgpr_workgroup_id_z 0
		.amdhsa_system_sgpr_workgroup_info 0
		.amdhsa_system_vgpr_workitem_id 1
		.amdhsa_next_free_vgpr 41
		.amdhsa_next_free_sgpr 20
		.amdhsa_reserve_vcc 1
		.amdhsa_reserve_flat_scratch 0
		.amdhsa_float_round_mode_32 0
		.amdhsa_float_round_mode_16_64 0
		.amdhsa_float_denorm_mode_32 3
		.amdhsa_float_denorm_mode_16_64 3
		.amdhsa_dx10_clamp 1
		.amdhsa_ieee_mode 1
		.amdhsa_fp16_overflow 0
		.amdhsa_workgroup_processor_mode 1
		.amdhsa_memory_ordered 1
		.amdhsa_forward_progress 1
		.amdhsa_shared_vgpr_count 0
		.amdhsa_exception_fp_ieee_invalid_op 0
		.amdhsa_exception_fp_denorm_src 0
		.amdhsa_exception_fp_ieee_div_zero 0
		.amdhsa_exception_fp_ieee_overflow 0
		.amdhsa_exception_fp_ieee_underflow 0
		.amdhsa_exception_fp_ieee_inexact 0
		.amdhsa_exception_int_div_zero 0
	.end_amdhsa_kernel
	.section	.text._ZN12_GLOBAL__N_120softmax_warp_forwardIdddLi6ELb0ELb0ELi32EEEvPT0_PKT_iiiPKbib,"axG",@progbits,_ZN12_GLOBAL__N_120softmax_warp_forwardIdddLi6ELb0ELb0ELi32EEEvPT0_PKT_iiiPKbib,comdat
.Lfunc_end367:
	.size	_ZN12_GLOBAL__N_120softmax_warp_forwardIdddLi6ELb0ELb0ELi32EEEvPT0_PKT_iiiPKbib, .Lfunc_end367-_ZN12_GLOBAL__N_120softmax_warp_forwardIdddLi6ELb0ELb0ELi32EEEvPT0_PKT_iiiPKbib
                                        ; -- End function
	.set _ZN12_GLOBAL__N_120softmax_warp_forwardIdddLi6ELb0ELb0ELi32EEEvPT0_PKT_iiiPKbib.num_vgpr, 41
	.set _ZN12_GLOBAL__N_120softmax_warp_forwardIdddLi6ELb0ELb0ELi32EEEvPT0_PKT_iiiPKbib.num_agpr, 0
	.set _ZN12_GLOBAL__N_120softmax_warp_forwardIdddLi6ELb0ELb0ELi32EEEvPT0_PKT_iiiPKbib.numbered_sgpr, 20
	.set _ZN12_GLOBAL__N_120softmax_warp_forwardIdddLi6ELb0ELb0ELi32EEEvPT0_PKT_iiiPKbib.num_named_barrier, 0
	.set _ZN12_GLOBAL__N_120softmax_warp_forwardIdddLi6ELb0ELb0ELi32EEEvPT0_PKT_iiiPKbib.private_seg_size, 0
	.set _ZN12_GLOBAL__N_120softmax_warp_forwardIdddLi6ELb0ELb0ELi32EEEvPT0_PKT_iiiPKbib.uses_vcc, 1
	.set _ZN12_GLOBAL__N_120softmax_warp_forwardIdddLi6ELb0ELb0ELi32EEEvPT0_PKT_iiiPKbib.uses_flat_scratch, 0
	.set _ZN12_GLOBAL__N_120softmax_warp_forwardIdddLi6ELb0ELb0ELi32EEEvPT0_PKT_iiiPKbib.has_dyn_sized_stack, 0
	.set _ZN12_GLOBAL__N_120softmax_warp_forwardIdddLi6ELb0ELb0ELi32EEEvPT0_PKT_iiiPKbib.has_recursion, 0
	.set _ZN12_GLOBAL__N_120softmax_warp_forwardIdddLi6ELb0ELb0ELi32EEEvPT0_PKT_iiiPKbib.has_indirect_call, 0
	.section	.AMDGPU.csdata,"",@progbits
; Kernel info:
; codeLenInByte = 2780
; TotalNumSgprs: 22
; NumVgprs: 41
; ScratchSize: 0
; MemoryBound: 0
; FloatMode: 240
; IeeeMode: 1
; LDSByteSize: 0 bytes/workgroup (compile time only)
; SGPRBlocks: 0
; VGPRBlocks: 5
; NumSGPRsForWavesPerEU: 22
; NumVGPRsForWavesPerEU: 41
; Occupancy: 16
; WaveLimiterHint : 0
; COMPUTE_PGM_RSRC2:SCRATCH_EN: 0
; COMPUTE_PGM_RSRC2:USER_SGPR: 6
; COMPUTE_PGM_RSRC2:TRAP_HANDLER: 0
; COMPUTE_PGM_RSRC2:TGID_X_EN: 1
; COMPUTE_PGM_RSRC2:TGID_Y_EN: 0
; COMPUTE_PGM_RSRC2:TGID_Z_EN: 0
; COMPUTE_PGM_RSRC2:TIDIG_COMP_CNT: 1
	.section	.text._ZN12_GLOBAL__N_120softmax_warp_forwardIdddLi7ELb0ELb0ELi64EEEvPT0_PKT_iiiPKbib,"axG",@progbits,_ZN12_GLOBAL__N_120softmax_warp_forwardIdddLi7ELb0ELb0ELi64EEEvPT0_PKT_iiiPKbib,comdat
	.globl	_ZN12_GLOBAL__N_120softmax_warp_forwardIdddLi7ELb0ELb0ELi64EEEvPT0_PKT_iiiPKbib ; -- Begin function _ZN12_GLOBAL__N_120softmax_warp_forwardIdddLi7ELb0ELb0ELi64EEEvPT0_PKT_iiiPKbib
	.p2align	8
	.type	_ZN12_GLOBAL__N_120softmax_warp_forwardIdddLi7ELb0ELb0ELi64EEEvPT0_PKT_iiiPKbib,@function
_ZN12_GLOBAL__N_120softmax_warp_forwardIdddLi7ELb0ELb0ELi64EEEvPT0_PKT_iiiPKbib: ; @_ZN12_GLOBAL__N_120softmax_warp_forwardIdddLi7ELb0ELb0ELi64EEEvPT0_PKT_iiiPKbib
; %bb.0:
	s_clause 0x1
	s_load_dword s0, s[4:5], 0x3c
	s_load_dwordx8 s[12:19], s[4:5], 0x0
	v_mov_b32_e32 v9, 0
	v_mov_b32_e32 v10, 0xfff00000
	s_waitcnt lgkmcnt(0)
	s_lshr_b32 s0, s0, 16
	v_cmp_gt_i32_e64 s1, s18, v0
	s_and_b32 s0, s0, 0xffff
	s_mul_i32 s6, s6, s0
	v_add_lshl_u32 v3, s6, v1, 1
	v_mad_u64_u32 v[1:2], null, v3, s17, v[0:1]
	v_sub_nc_u32_e32 v19, s16, v3
	v_mov_b32_e32 v3, 0
	v_mov_b32_e32 v4, 0xfff00000
	v_cmp_lt_i32_e32 vcc_lo, 0, v19
	v_ashrrev_i32_e32 v2, 31, v1
	s_and_b32 s2, vcc_lo, s1
	v_lshlrev_b64 v[1:2], 3, v[1:2]
	v_add_co_u32 v11, s0, s14, v1
	v_add_co_ci_u32_e64 v12, null, s15, v2, s0
	s_and_saveexec_b32 s0, s2
	s_cbranch_execz .LBB368_2
; %bb.1:
	global_load_dwordx2 v[9:10], v[11:12], off
.LBB368_2:
	s_or_b32 exec_lo, exec_lo, s0
	v_add_nc_u32_e32 v0, 64, v0
	v_cmp_gt_i32_e64 s0, s18, v0
	s_and_b32 s3, vcc_lo, s0
	s_and_saveexec_b32 s2, s3
	s_cbranch_execz .LBB368_4
; %bb.3:
	global_load_dwordx2 v[3:4], v[11:12], off offset:512
.LBB368_4:
	s_or_b32 exec_lo, exec_lo, s2
	v_cmp_lt_i32_e64 s2, 1, v19
	v_mov_b32_e32 v5, 0
	v_mov_b32_e32 v7, 0
	;; [unrolled: 1-line block ×4, first 2 shown]
	s_and_b32 s3, s2, s1
	s_and_saveexec_b32 s4, s3
	s_cbranch_execz .LBB368_6
; %bb.5:
	s_mov_b32 s19, 0
	s_lshl_b64 s[6:7], s[18:19], 3
	v_add_co_u32 v7, s3, v11, s6
	v_add_co_ci_u32_e64 v8, null, s7, v12, s3
	global_load_dwordx2 v[7:8], v[7:8], off
.LBB368_6:
	s_or_b32 exec_lo, exec_lo, s4
	s_and_b32 s2, s2, s0
	s_and_saveexec_b32 s3, s2
	s_cbranch_execz .LBB368_8
; %bb.7:
	s_mov_b32 s19, 0
	s_lshl_b64 s[4:5], s[18:19], 3
	v_add_co_u32 v5, s2, v11, s4
	v_add_co_ci_u32_e64 v6, null, s5, v12, s2
	global_load_dwordx2 v[5:6], v[5:6], off offset:512
.LBB368_8:
	s_or_b32 exec_lo, exec_lo, s3
	s_waitcnt vmcnt(0)
	v_cmp_gt_f64_e64 s2, v[9:10], v[3:4]
	v_cmp_gt_f64_e64 s3, v[7:8], v[5:6]
	v_mbcnt_lo_u32_b32 v18, -1, 0
	s_mov_b32 s6, 0x6a5dcb37
	s_mov_b32 s7, 0x3e5ade15
	v_or_b32_e32 v0, 32, v18
	v_xor_b32_e32 v11, 16, v18
	v_cmp_gt_i32_e64 s4, 64, v0
	v_cndmask_b32_e64 v0, v18, v0, s4
	v_cmp_gt_i32_e64 s4, 64, v11
	v_lshlrev_b32_e32 v0, 2, v0
	v_cndmask_b32_e64 v13, v4, v10, s2
	v_cndmask_b32_e64 v12, v3, v9, s2
	;; [unrolled: 1-line block ×5, first 2 shown]
	ds_bpermute_b32 v17, v0, v13
	ds_bpermute_b32 v16, v0, v12
	;; [unrolled: 1-line block ×4, first 2 shown]
	v_lshlrev_b32_e32 v11, 2, v11
	s_waitcnt lgkmcnt(2)
	v_cmp_lt_f64_e64 s2, v[12:13], v[16:17]
	s_waitcnt lgkmcnt(0)
	v_cmp_lt_f64_e64 s3, v[14:15], v[20:21]
	v_cndmask_b32_e64 v17, v13, v17, s2
	v_cndmask_b32_e64 v16, v12, v16, s2
	;; [unrolled: 1-line block ×4, first 2 shown]
	v_xor_b32_e32 v12, 8, v18
	ds_bpermute_b32 v21, v11, v17
	ds_bpermute_b32 v20, v11, v16
	;; [unrolled: 1-line block ×4, first 2 shown]
	v_cmp_gt_i32_e64 s4, 64, v12
	v_xor_b32_e32 v13, 4, v18
	v_cndmask_b32_e64 v12, v18, v12, s4
	v_cmp_gt_i32_e64 s4, 64, v13
	v_lshlrev_b32_e32 v12, 2, v12
	v_cndmask_b32_e64 v13, v18, v13, s4
	v_lshlrev_b32_e32 v13, 2, v13
	s_waitcnt lgkmcnt(2)
	v_cmp_lt_f64_e64 s2, v[16:17], v[20:21]
	s_waitcnt lgkmcnt(0)
	v_cmp_lt_f64_e64 s3, v[14:15], v[22:23]
	v_cndmask_b32_e64 v17, v17, v21, s2
	v_cndmask_b32_e64 v16, v16, v20, s2
	;; [unrolled: 1-line block ×4, first 2 shown]
	ds_bpermute_b32 v21, v12, v17
	ds_bpermute_b32 v20, v12, v16
	;; [unrolled: 1-line block ×4, first 2 shown]
	s_waitcnt lgkmcnt(2)
	v_cmp_lt_f64_e64 s2, v[16:17], v[20:21]
	s_waitcnt lgkmcnt(0)
	v_cmp_lt_f64_e64 s3, v[14:15], v[22:23]
	v_cndmask_b32_e64 v17, v17, v21, s2
	v_cndmask_b32_e64 v16, v16, v20, s2
	;; [unrolled: 1-line block ×4, first 2 shown]
	v_xor_b32_e32 v14, 2, v18
	ds_bpermute_b32 v23, v13, v17
	ds_bpermute_b32 v22, v13, v16
	;; [unrolled: 1-line block ×4, first 2 shown]
	v_cmp_gt_i32_e64 s4, 64, v14
	v_xor_b32_e32 v15, 1, v18
	v_cndmask_b32_e64 v14, v18, v14, s4
	v_cmp_gt_i32_e64 s4, 64, v15
	v_lshlrev_b32_e32 v14, 2, v14
	v_cndmask_b32_e64 v15, v18, v15, s4
	s_mov_b32 s4, 0x3b39803f
	s_mov_b32 s5, 0xbc7abc9e
	s_waitcnt lgkmcnt(2)
	v_cmp_lt_f64_e64 s2, v[16:17], v[22:23]
	s_waitcnt lgkmcnt(0)
	v_cmp_lt_f64_e64 s3, v[20:21], v[24:25]
	v_cndmask_b32_e64 v17, v17, v23, s2
	v_cndmask_b32_e64 v16, v16, v22, s2
	v_cndmask_b32_e64 v22, v21, v25, s3
	v_cndmask_b32_e64 v21, v20, v24, s3
	v_lshlrev_b32_e32 v20, 2, v15
	ds_bpermute_b32 v24, v14, v17
	ds_bpermute_b32 v23, v14, v16
	;; [unrolled: 1-line block ×4, first 2 shown]
	s_waitcnt lgkmcnt(2)
	v_cmp_lt_f64_e64 s2, v[16:17], v[23:24]
	s_waitcnt lgkmcnt(0)
	v_cmp_lt_f64_e64 s3, v[21:22], v[25:26]
	v_cndmask_b32_e64 v17, v17, v24, s2
	v_cndmask_b32_e64 v16, v16, v23, s2
	;; [unrolled: 1-line block ×4, first 2 shown]
	ds_bpermute_b32 v24, v20, v17
	ds_bpermute_b32 v23, v20, v16
	;; [unrolled: 1-line block ×4, first 2 shown]
	s_waitcnt lgkmcnt(2)
	v_cmp_lt_f64_e64 s2, v[16:17], v[23:24]
	s_waitcnt lgkmcnt(0)
	v_cmp_lt_f64_e64 s3, v[21:22], v[25:26]
	v_cndmask_b32_e64 v17, v17, v24, s2
	v_cndmask_b32_e64 v16, v16, v23, s2
	;; [unrolled: 1-line block ×4, first 2 shown]
	s_mov_b32 s2, 0x652b82fe
	s_mov_b32 s3, 0x3ff71547
	v_add_f64 v[9:10], v[9:10], -v[16:17]
	v_add_f64 v[3:4], v[3:4], -v[16:17]
	;; [unrolled: 1-line block ×4, first 2 shown]
	v_mul_f64 v[15:16], v[9:10], s[2:3]
	v_mul_f64 v[21:22], v[3:4], s[2:3]
	;; [unrolled: 1-line block ×4, first 2 shown]
	s_mov_b32 s2, 0xfefa39ef
	s_mov_b32 s3, 0xbfe62e42
	v_cmp_nlt_f64_e64 s8, 0x40900000, v[5:6]
	v_cmp_ngt_f64_e64 s9, 0xc090cc00, v[5:6]
	v_rndne_f64_e32 v[15:16], v[15:16]
	v_rndne_f64_e32 v[21:22], v[21:22]
	;; [unrolled: 1-line block ×4, first 2 shown]
	v_fma_f64 v[25:26], v[15:16], s[2:3], v[9:10]
	v_fma_f64 v[29:30], v[21:22], s[2:3], v[3:4]
	;; [unrolled: 1-line block ×4, first 2 shown]
	s_mov_b32 s2, 0xfca7ab0c
	s_mov_b32 s3, 0x3e928af3
	v_cvt_i32_f64_e32 v41, v[15:16]
	v_fma_f64 v[25:26], v[15:16], s[4:5], v[25:26]
	v_fma_f64 v[29:30], v[21:22], s[4:5], v[29:30]
	;; [unrolled: 1-line block ×4, first 2 shown]
	s_mov_b32 s4, 0x623fde64
	s_mov_b32 s5, 0x3ec71dee
	v_fma_f64 v[33:34], v[25:26], s[6:7], s[2:3]
	v_fma_f64 v[37:38], v[29:30], s[6:7], s[2:3]
	;; [unrolled: 1-line block ×4, first 2 shown]
	s_mov_b32 s2, 0x7c89e6b0
	s_mov_b32 s3, 0x3efa0199
	v_cmp_nlt_f64_e64 s6, 0x40900000, v[3:4]
	v_cmp_ngt_f64_e64 s7, 0xc090cc00, v[3:4]
	v_fma_f64 v[33:34], v[25:26], v[33:34], s[4:5]
	v_fma_f64 v[37:38], v[29:30], v[37:38], s[4:5]
	v_fma_f64 v[35:36], v[27:28], v[35:36], s[4:5]
	v_fma_f64 v[39:40], v[31:32], v[39:40], s[4:5]
	s_mov_b32 s4, 0x14761f6e
	s_mov_b32 s5, 0x3f2a01a0
	v_fma_f64 v[33:34], v[25:26], v[33:34], s[2:3]
	v_fma_f64 v[37:38], v[29:30], v[37:38], s[2:3]
	v_fma_f64 v[35:36], v[27:28], v[35:36], s[2:3]
	v_fma_f64 v[39:40], v[31:32], v[39:40], s[2:3]
	s_mov_b32 s2, 0x1852b7b0
	s_mov_b32 s3, 0x3f56c16c
	;; [unrolled: 6-line block ×6, first 2 shown]
	v_fma_f64 v[33:34], v[25:26], v[33:34], s[4:5]
	v_fma_f64 v[37:38], v[29:30], v[37:38], s[4:5]
	;; [unrolled: 1-line block ×4, first 2 shown]
	v_cmp_nlt_f64_e64 s4, 0x40900000, v[7:8]
	v_cmp_ngt_f64_e64 s5, 0xc090cc00, v[7:8]
	v_fma_f64 v[33:34], v[25:26], v[33:34], s[2:3]
	v_fma_f64 v[37:38], v[29:30], v[37:38], s[2:3]
	;; [unrolled: 1-line block ×4, first 2 shown]
	v_cmp_nlt_f64_e64 s2, 0x40900000, v[9:10]
	v_cmp_ngt_f64_e64 s3, 0xc090cc00, v[9:10]
	v_fma_f64 v[33:34], v[25:26], v[33:34], 1.0
	v_fma_f64 v[37:38], v[29:30], v[37:38], 1.0
	;; [unrolled: 1-line block ×5, first 2 shown]
	v_cvt_i32_f64_e32 v25, v[17:18]
	v_fma_f64 v[17:18], v[27:28], v[35:36], 1.0
	v_cvt_i32_f64_e32 v26, v[21:22]
	v_fma_f64 v[21:22], v[29:30], v[37:38], 1.0
	;; [unrolled: 2-line block ×3, first 2 shown]
	v_ldexp_f64 v[15:16], v[15:16], v41
	v_ldexp_f64 v[17:18], v[17:18], v25
	;; [unrolled: 1-line block ×4, first 2 shown]
	v_cndmask_b32_e64 v16, 0x7ff00000, v16, s2
	s_and_b32 s2, s3, s2
	v_cndmask_b32_e64 v9, 0x7ff00000, v18, s4
	v_cndmask_b32_e64 v7, 0x7ff00000, v22, s6
	;; [unrolled: 1-line block ×6, first 2 shown]
	s_and_b32 s2, s5, s4
	v_cndmask_b32_e64 v8, 0, v7, s7
	v_cndmask_b32_e64 v5, 0, v17, s2
	s_and_b32 s2, s7, s6
	v_add_f64 v[15:16], v[9:10], 0
	v_cndmask_b32_e64 v7, 0, v21, s2
	s_and_b32 s2, s9, s8
	v_add_f64 v[17:18], v[5:6], 0
	v_cndmask_b32_e64 v4, 0, v3, s9
	v_cndmask_b32_e64 v3, 0, v23, s2
	v_add_f64 v[15:16], v[15:16], v[7:8]
	v_add_f64 v[17:18], v[17:18], v[3:4]
	ds_bpermute_b32 v21, v0, v15
	ds_bpermute_b32 v22, v0, v16
	ds_bpermute_b32 v23, v0, v17
	ds_bpermute_b32 v24, v0, v18
	s_waitcnt lgkmcnt(2)
	v_add_f64 v[15:16], v[15:16], v[21:22]
	s_waitcnt lgkmcnt(0)
	v_add_f64 v[17:18], v[17:18], v[23:24]
	ds_bpermute_b32 v21, v11, v15
	ds_bpermute_b32 v22, v11, v16
	ds_bpermute_b32 v23, v11, v17
	ds_bpermute_b32 v24, v11, v18
	s_waitcnt lgkmcnt(2)
	v_add_f64 v[15:16], v[15:16], v[21:22]
	s_waitcnt lgkmcnt(0)
	;; [unrolled: 8-line block ×5, first 2 shown]
	v_add_f64 v[11:12], v[11:12], v[13:14]
	ds_bpermute_b32 v17, v20, v15
	ds_bpermute_b32 v18, v20, v16
	;; [unrolled: 1-line block ×4, first 2 shown]
	s_and_saveexec_b32 s2, vcc_lo
	s_cbranch_execz .LBB368_16
; %bb.9:
	v_add_co_u32 v0, vcc_lo, s12, v1
	v_add_co_ci_u32_e64 v1, null, s13, v2, vcc_lo
	s_and_saveexec_b32 s3, s1
	s_cbranch_execz .LBB368_12
; %bb.10:
	s_waitcnt lgkmcnt(2)
	v_add_f64 v[15:16], v[15:16], v[17:18]
	v_div_scale_f64 v[17:18], null, v[15:16], v[15:16], v[9:10]
	v_div_scale_f64 v[24:25], vcc_lo, v[9:10], v[15:16], v[9:10]
	v_cmp_eq_f64_e64 s2, 0, v[15:16]
	v_rcp_f64_e32 v[20:21], v[17:18]
	v_fma_f64 v[22:23], -v[17:18], v[20:21], 1.0
	v_fma_f64 v[20:21], v[20:21], v[22:23], v[20:21]
	v_fma_f64 v[22:23], -v[17:18], v[20:21], 1.0
	v_fma_f64 v[20:21], v[20:21], v[22:23], v[20:21]
	v_mul_f64 v[22:23], v[24:25], v[20:21]
	v_fma_f64 v[17:18], -v[17:18], v[22:23], v[24:25]
	v_div_fmas_f64 v[17:18], v[17:18], v[20:21], v[22:23]
	v_div_fixup_f64 v[9:10], v[17:18], v[15:16], v[9:10]
	v_cndmask_b32_e64 v10, v10, 0x7ff80000, s2
	v_cndmask_b32_e64 v9, v9, 0, s2
	global_store_dwordx2 v[0:1], v[9:10], off
	s_and_b32 exec_lo, exec_lo, s0
	s_cbranch_execz .LBB368_12
; %bb.11:
	v_div_scale_f64 v[9:10], null, v[15:16], v[15:16], v[7:8]
	v_div_scale_f64 v[22:23], vcc_lo, v[7:8], v[15:16], v[7:8]
	v_rcp_f64_e32 v[17:18], v[9:10]
	v_fma_f64 v[20:21], -v[9:10], v[17:18], 1.0
	v_fma_f64 v[17:18], v[17:18], v[20:21], v[17:18]
	v_fma_f64 v[20:21], -v[9:10], v[17:18], 1.0
	v_fma_f64 v[17:18], v[17:18], v[20:21], v[17:18]
	v_mul_f64 v[20:21], v[22:23], v[17:18]
	v_fma_f64 v[9:10], -v[9:10], v[20:21], v[22:23]
	v_div_fmas_f64 v[9:10], v[9:10], v[17:18], v[20:21]
	v_div_fixup_f64 v[7:8], v[9:10], v[15:16], v[7:8]
	v_cndmask_b32_e64 v8, v8, 0x7ff80000, s2
	v_cndmask_b32_e64 v7, v7, 0, s2
	global_store_dwordx2 v[0:1], v[7:8], off offset:512
.LBB368_12:
	s_or_b32 exec_lo, exec_lo, s3
	v_cmp_ne_u32_e32 vcc_lo, 1, v19
	s_and_b32 exec_lo, exec_lo, vcc_lo
	s_cbranch_execz .LBB368_16
; %bb.13:
	s_and_b32 exec_lo, exec_lo, s1
	s_cbranch_execz .LBB368_16
; %bb.14:
	s_waitcnt lgkmcnt(0)
	v_add_f64 v[7:8], v[11:12], v[13:14]
	s_mov_b32 s19, 0
	s_lshl_b64 s[2:3], s[18:19], 3
	v_div_scale_f64 v[9:10], null, v[7:8], v[7:8], v[5:6]
	v_div_scale_f64 v[15:16], vcc_lo, v[5:6], v[7:8], v[5:6]
	v_cmp_eq_f64_e64 s1, 0, v[7:8]
	v_rcp_f64_e32 v[11:12], v[9:10]
	v_fma_f64 v[13:14], -v[9:10], v[11:12], 1.0
	v_fma_f64 v[11:12], v[11:12], v[13:14], v[11:12]
	v_fma_f64 v[13:14], -v[9:10], v[11:12], 1.0
	v_fma_f64 v[11:12], v[11:12], v[13:14], v[11:12]
	v_mul_f64 v[13:14], v[15:16], v[11:12]
	v_fma_f64 v[9:10], -v[9:10], v[13:14], v[15:16]
	v_div_fmas_f64 v[9:10], v[9:10], v[11:12], v[13:14]
	v_add_co_u32 v0, vcc_lo, v0, s2
	v_add_co_ci_u32_e64 v1, null, s3, v1, vcc_lo
	v_div_fixup_f64 v[5:6], v[9:10], v[7:8], v[5:6]
	v_cndmask_b32_e64 v6, v6, 0x7ff80000, s1
	v_cndmask_b32_e64 v5, v5, 0, s1
	global_store_dwordx2 v[0:1], v[5:6], off
	s_and_b32 exec_lo, exec_lo, s0
	s_cbranch_execz .LBB368_16
; %bb.15:
	v_div_scale_f64 v[5:6], null, v[7:8], v[7:8], v[3:4]
	v_div_scale_f64 v[13:14], vcc_lo, v[3:4], v[7:8], v[3:4]
	v_rcp_f64_e32 v[9:10], v[5:6]
	v_fma_f64 v[11:12], -v[5:6], v[9:10], 1.0
	v_fma_f64 v[9:10], v[9:10], v[11:12], v[9:10]
	v_fma_f64 v[11:12], -v[5:6], v[9:10], 1.0
	v_fma_f64 v[9:10], v[9:10], v[11:12], v[9:10]
	v_mul_f64 v[11:12], v[13:14], v[9:10]
	v_fma_f64 v[5:6], -v[5:6], v[11:12], v[13:14]
	v_div_fmas_f64 v[5:6], v[5:6], v[9:10], v[11:12]
	v_div_fixup_f64 v[2:3], v[5:6], v[7:8], v[3:4]
	v_cndmask_b32_e64 v3, v3, 0x7ff80000, s1
	v_cndmask_b32_e64 v2, v2, 0, s1
	global_store_dwordx2 v[0:1], v[2:3], off offset:512
.LBB368_16:
	s_endpgm
	.section	.rodata,"a",@progbits
	.p2align	6, 0x0
	.amdhsa_kernel _ZN12_GLOBAL__N_120softmax_warp_forwardIdddLi7ELb0ELb0ELi64EEEvPT0_PKT_iiiPKbib
		.amdhsa_group_segment_fixed_size 0
		.amdhsa_private_segment_fixed_size 0
		.amdhsa_kernarg_size 304
		.amdhsa_user_sgpr_count 6
		.amdhsa_user_sgpr_private_segment_buffer 1
		.amdhsa_user_sgpr_dispatch_ptr 0
		.amdhsa_user_sgpr_queue_ptr 0
		.amdhsa_user_sgpr_kernarg_segment_ptr 1
		.amdhsa_user_sgpr_dispatch_id 0
		.amdhsa_user_sgpr_flat_scratch_init 0
		.amdhsa_user_sgpr_private_segment_size 0
		.amdhsa_wavefront_size32 1
		.amdhsa_uses_dynamic_stack 0
		.amdhsa_system_sgpr_private_segment_wavefront_offset 0
		.amdhsa_system_sgpr_workgroup_id_x 1
		.amdhsa_system_sgpr_workgroup_id_y 0
		.amdhsa_system_sgpr_workgroup_id_z 0
		.amdhsa_system_sgpr_workgroup_info 0
		.amdhsa_system_vgpr_workitem_id 1
		.amdhsa_next_free_vgpr 42
		.amdhsa_next_free_sgpr 20
		.amdhsa_reserve_vcc 1
		.amdhsa_reserve_flat_scratch 0
		.amdhsa_float_round_mode_32 0
		.amdhsa_float_round_mode_16_64 0
		.amdhsa_float_denorm_mode_32 3
		.amdhsa_float_denorm_mode_16_64 3
		.amdhsa_dx10_clamp 1
		.amdhsa_ieee_mode 1
		.amdhsa_fp16_overflow 0
		.amdhsa_workgroup_processor_mode 1
		.amdhsa_memory_ordered 1
		.amdhsa_forward_progress 1
		.amdhsa_shared_vgpr_count 0
		.amdhsa_exception_fp_ieee_invalid_op 0
		.amdhsa_exception_fp_denorm_src 0
		.amdhsa_exception_fp_ieee_div_zero 0
		.amdhsa_exception_fp_ieee_overflow 0
		.amdhsa_exception_fp_ieee_underflow 0
		.amdhsa_exception_fp_ieee_inexact 0
		.amdhsa_exception_int_div_zero 0
	.end_amdhsa_kernel
	.section	.text._ZN12_GLOBAL__N_120softmax_warp_forwardIdddLi7ELb0ELb0ELi64EEEvPT0_PKT_iiiPKbib,"axG",@progbits,_ZN12_GLOBAL__N_120softmax_warp_forwardIdddLi7ELb0ELb0ELi64EEEvPT0_PKT_iiiPKbib,comdat
.Lfunc_end368:
	.size	_ZN12_GLOBAL__N_120softmax_warp_forwardIdddLi7ELb0ELb0ELi64EEEvPT0_PKT_iiiPKbib, .Lfunc_end368-_ZN12_GLOBAL__N_120softmax_warp_forwardIdddLi7ELb0ELb0ELi64EEEvPT0_PKT_iiiPKbib
                                        ; -- End function
	.set _ZN12_GLOBAL__N_120softmax_warp_forwardIdddLi7ELb0ELb0ELi64EEEvPT0_PKT_iiiPKbib.num_vgpr, 42
	.set _ZN12_GLOBAL__N_120softmax_warp_forwardIdddLi7ELb0ELb0ELi64EEEvPT0_PKT_iiiPKbib.num_agpr, 0
	.set _ZN12_GLOBAL__N_120softmax_warp_forwardIdddLi7ELb0ELb0ELi64EEEvPT0_PKT_iiiPKbib.numbered_sgpr, 20
	.set _ZN12_GLOBAL__N_120softmax_warp_forwardIdddLi7ELb0ELb0ELi64EEEvPT0_PKT_iiiPKbib.num_named_barrier, 0
	.set _ZN12_GLOBAL__N_120softmax_warp_forwardIdddLi7ELb0ELb0ELi64EEEvPT0_PKT_iiiPKbib.private_seg_size, 0
	.set _ZN12_GLOBAL__N_120softmax_warp_forwardIdddLi7ELb0ELb0ELi64EEEvPT0_PKT_iiiPKbib.uses_vcc, 1
	.set _ZN12_GLOBAL__N_120softmax_warp_forwardIdddLi7ELb0ELb0ELi64EEEvPT0_PKT_iiiPKbib.uses_flat_scratch, 0
	.set _ZN12_GLOBAL__N_120softmax_warp_forwardIdddLi7ELb0ELb0ELi64EEEvPT0_PKT_iiiPKbib.has_dyn_sized_stack, 0
	.set _ZN12_GLOBAL__N_120softmax_warp_forwardIdddLi7ELb0ELb0ELi64EEEvPT0_PKT_iiiPKbib.has_recursion, 0
	.set _ZN12_GLOBAL__N_120softmax_warp_forwardIdddLi7ELb0ELb0ELi64EEEvPT0_PKT_iiiPKbib.has_indirect_call, 0
	.section	.AMDGPU.csdata,"",@progbits
; Kernel info:
; codeLenInByte = 2948
; TotalNumSgprs: 22
; NumVgprs: 42
; ScratchSize: 0
; MemoryBound: 0
; FloatMode: 240
; IeeeMode: 1
; LDSByteSize: 0 bytes/workgroup (compile time only)
; SGPRBlocks: 0
; VGPRBlocks: 5
; NumSGPRsForWavesPerEU: 22
; NumVGPRsForWavesPerEU: 42
; Occupancy: 16
; WaveLimiterHint : 0
; COMPUTE_PGM_RSRC2:SCRATCH_EN: 0
; COMPUTE_PGM_RSRC2:USER_SGPR: 6
; COMPUTE_PGM_RSRC2:TRAP_HANDLER: 0
; COMPUTE_PGM_RSRC2:TGID_X_EN: 1
; COMPUTE_PGM_RSRC2:TGID_Y_EN: 0
; COMPUTE_PGM_RSRC2:TGID_Z_EN: 0
; COMPUTE_PGM_RSRC2:TIDIG_COMP_CNT: 1
	.section	.text._ZN12_GLOBAL__N_120softmax_warp_forwardIdddLi7ELb0ELb0ELi32EEEvPT0_PKT_iiiPKbib,"axG",@progbits,_ZN12_GLOBAL__N_120softmax_warp_forwardIdddLi7ELb0ELb0ELi32EEEvPT0_PKT_iiiPKbib,comdat
	.globl	_ZN12_GLOBAL__N_120softmax_warp_forwardIdddLi7ELb0ELb0ELi32EEEvPT0_PKT_iiiPKbib ; -- Begin function _ZN12_GLOBAL__N_120softmax_warp_forwardIdddLi7ELb0ELb0ELi32EEEvPT0_PKT_iiiPKbib
	.p2align	8
	.type	_ZN12_GLOBAL__N_120softmax_warp_forwardIdddLi7ELb0ELb0ELi32EEEvPT0_PKT_iiiPKbib,@function
_ZN12_GLOBAL__N_120softmax_warp_forwardIdddLi7ELb0ELb0ELi32EEEvPT0_PKT_iiiPKbib: ; @_ZN12_GLOBAL__N_120softmax_warp_forwardIdddLi7ELb0ELb0ELi32EEEvPT0_PKT_iiiPKbib
; %bb.0:
	s_clause 0x1
	s_load_dword s0, s[4:5], 0x3c
	s_load_dwordx8 s[8:15], s[4:5], 0x0
	v_mov_b32_e32 v13, 0
	v_mov_b32_e32 v9, 0
	;; [unrolled: 1-line block ×4, first 2 shown]
	s_waitcnt lgkmcnt(0)
	s_lshr_b32 s0, s0, 16
	v_cmp_gt_i32_e64 s3, s14, v0
	s_and_b32 s0, s0, 0xffff
	s_mul_i32 s6, s6, s0
	v_add_lshl_u32 v3, s6, v1, 1
	v_mad_u64_u32 v[1:2], null, v3, s13, v[0:1]
	v_sub_nc_u32_e32 v27, s12, v3
	v_cmp_lt_i32_e32 vcc_lo, 0, v27
	v_ashrrev_i32_e32 v2, 31, v1
	s_and_b32 s1, vcc_lo, s3
	v_lshlrev_b64 v[1:2], 3, v[1:2]
	v_add_co_u32 v19, s0, s10, v1
	v_add_co_ci_u32_e64 v20, null, s11, v2, s0
	s_and_saveexec_b32 s0, s1
	s_cbranch_execz .LBB369_2
; %bb.1:
	global_load_dwordx2 v[9:10], v[19:20], off
.LBB369_2:
	s_or_b32 exec_lo, exec_lo, s0
	v_add_nc_u32_e32 v3, 32, v0
	v_cmp_gt_i32_e64 s2, s14, v3
	s_and_b32 s1, vcc_lo, s2
	s_and_saveexec_b32 s0, s1
	s_cbranch_execz .LBB369_4
; %bb.3:
	global_load_dwordx2 v[13:14], v[19:20], off offset:256
.LBB369_4:
	s_or_b32 exec_lo, exec_lo, s0
	v_add_nc_u32_e32 v3, 64, v0
	v_mov_b32_e32 v17, 0
	v_mov_b32_e32 v15, 0
	;; [unrolled: 1-line block ×4, first 2 shown]
	v_cmp_gt_i32_e64 s1, s14, v3
	s_and_b32 s4, vcc_lo, s1
	s_and_saveexec_b32 s0, s4
	s_cbranch_execz .LBB369_6
; %bb.5:
	global_load_dwordx2 v[15:16], v[19:20], off offset:512
.LBB369_6:
	s_or_b32 exec_lo, exec_lo, s0
	v_add_nc_u32_e32 v0, 0x60, v0
	v_cmp_gt_i32_e64 s0, s14, v0
	s_and_b32 s5, vcc_lo, s0
	s_and_saveexec_b32 s4, s5
	s_cbranch_execz .LBB369_8
; %bb.7:
	global_load_dwordx2 v[17:18], v[19:20], off offset:768
.LBB369_8:
	s_or_b32 exec_lo, exec_lo, s4
	v_cmp_lt_i32_e64 s4, 1, v27
	v_mov_b32_e32 v7, 0
	v_mov_b32_e32 v11, 0
	v_mov_b32_e32 v8, 0xfff00000
	v_mov_b32_e32 v12, 0xfff00000
	s_and_b32 s5, s4, s3
	s_and_saveexec_b32 s6, s5
	s_cbranch_execz .LBB369_10
; %bb.9:
	s_mov_b32 s15, 0
	s_lshl_b64 s[10:11], s[14:15], 3
	v_add_co_u32 v3, s5, v19, s10
	v_add_co_ci_u32_e64 v4, null, s11, v20, s5
	global_load_dwordx2 v[11:12], v[3:4], off
.LBB369_10:
	s_or_b32 exec_lo, exec_lo, s6
	s_and_b32 s5, s4, s2
	s_and_saveexec_b32 s6, s5
	s_cbranch_execz .LBB369_12
; %bb.11:
	s_mov_b32 s15, 0
	s_lshl_b64 s[10:11], s[14:15], 3
	v_add_co_u32 v3, s5, v19, s10
	v_add_co_ci_u32_e64 v4, null, s11, v20, s5
	global_load_dwordx2 v[7:8], v[3:4], off offset:256
.LBB369_12:
	s_or_b32 exec_lo, exec_lo, s6
	v_mov_b32_e32 v3, 0
	v_mov_b32_e32 v5, 0
	;; [unrolled: 1-line block ×4, first 2 shown]
	s_and_b32 s5, s4, s1
	s_and_saveexec_b32 s6, s5
	s_cbranch_execz .LBB369_14
; %bb.13:
	s_mov_b32 s15, 0
	s_lshl_b64 s[10:11], s[14:15], 3
	v_add_co_u32 v5, s5, v19, s10
	v_add_co_ci_u32_e64 v6, null, s11, v20, s5
	global_load_dwordx2 v[5:6], v[5:6], off offset:512
.LBB369_14:
	s_or_b32 exec_lo, exec_lo, s6
	s_and_b32 s4, s4, s0
	s_and_saveexec_b32 s5, s4
	s_cbranch_execz .LBB369_16
; %bb.15:
	s_mov_b32 s15, 0
	s_lshl_b64 s[6:7], s[14:15], 3
	v_add_co_u32 v3, s4, v19, s6
	v_add_co_ci_u32_e64 v4, null, s7, v20, s4
	global_load_dwordx2 v[3:4], v[3:4], off offset:768
.LBB369_16:
	s_or_b32 exec_lo, exec_lo, s5
	s_waitcnt vmcnt(0)
	v_cmp_gt_f64_e64 s4, v[9:10], v[13:14]
	v_mbcnt_lo_u32_b32 v30, -1, 0
	s_mov_b32 s36, 0x652b82fe
	s_mov_b32 s37, 0x3ff71547
	;; [unrolled: 1-line block ×4, first 2 shown]
	v_xor_b32_e32 v0, 16, v30
	s_mov_b32 s30, 0x3b39803f
	s_mov_b32 s31, 0xbc7abc9e
	;; [unrolled: 1-line block ×15, first 2 shown]
	v_cndmask_b32_e64 v20, v14, v10, s4
	v_cndmask_b32_e64 v19, v13, v9, s4
	s_mov_b32 s17, 0x3f811111
	s_mov_b32 s12, 0x555502a1
	;; [unrolled: 1-line block ×4, first 2 shown]
	v_cmp_gt_f64_e64 s4, v[19:20], v[15:16]
	s_mov_b32 s11, 0x3fc55555
	s_mov_b32 s6, 11
	;; [unrolled: 1-line block ×3, first 2 shown]
	v_cndmask_b32_e64 v20, v16, v20, s4
	v_cndmask_b32_e64 v19, v15, v19, s4
	v_cmp_gt_f64_e64 s4, v[19:20], v[17:18]
	v_cndmask_b32_e64 v20, v18, v20, s4
	v_cndmask_b32_e64 v19, v17, v19, s4
	v_cmp_gt_f64_e64 s4, v[11:12], v[7:8]
	;; [unrolled: 3-line block ×4, first 2 shown]
	v_cndmask_b32_e64 v22, v4, v22, s4
	v_cndmask_b32_e64 v21, v3, v21, s4
	v_cmp_gt_i32_e64 s4, 32, v0
	v_cndmask_b32_e64 v0, v30, v0, s4
	v_lshlrev_b32_e32 v0, 2, v0
	ds_bpermute_b32 v23, v0, v19
	ds_bpermute_b32 v24, v0, v20
	s_waitcnt lgkmcnt(0)
	v_cmp_lt_f64_e64 s4, v[19:20], v[23:24]
	v_cndmask_b32_e64 v20, v20, v24, s4
	v_cndmask_b32_e64 v19, v19, v23, s4
	ds_bpermute_b32 v23, v0, v21
	ds_bpermute_b32 v24, v0, v22
	s_waitcnt lgkmcnt(0)
	v_cmp_lt_f64_e64 s4, v[21:22], v[23:24]
	v_cndmask_b32_e64 v21, v21, v23, s4
	v_xor_b32_e32 v23, 8, v30
	v_cndmask_b32_e64 v22, v22, v24, s4
	v_cmp_gt_i32_e64 s4, 32, v23
	v_cndmask_b32_e64 v23, v30, v23, s4
	v_lshlrev_b32_e32 v23, 2, v23
	ds_bpermute_b32 v24, v23, v19
	ds_bpermute_b32 v25, v23, v20
	s_waitcnt lgkmcnt(0)
	v_cmp_lt_f64_e64 s4, v[19:20], v[24:25]
	v_cndmask_b32_e64 v20, v20, v25, s4
	v_cndmask_b32_e64 v19, v19, v24, s4
	ds_bpermute_b32 v24, v23, v21
	ds_bpermute_b32 v25, v23, v22
	s_waitcnt lgkmcnt(0)
	v_cmp_lt_f64_e64 s4, v[21:22], v[24:25]
	v_cndmask_b32_e64 v21, v21, v24, s4
	v_xor_b32_e32 v24, 4, v30
	;; [unrolled: 16-line block ×3, first 2 shown]
	v_cndmask_b32_e64 v22, v22, v26, s4
	v_xor_b32_e32 v26, 1, v30
	v_cmp_gt_i32_e64 s4, 32, v25
	v_cndmask_b32_e64 v25, v30, v25, s4
	v_lshlrev_b32_e32 v25, 2, v25
	ds_bpermute_b32 v28, v25, v19
	ds_bpermute_b32 v29, v25, v20
	s_waitcnt lgkmcnt(0)
	v_cmp_lt_f64_e64 s4, v[19:20], v[28:29]
	v_cndmask_b32_e64 v20, v20, v29, s4
	v_cndmask_b32_e64 v19, v19, v28, s4
	ds_bpermute_b32 v28, v25, v21
	ds_bpermute_b32 v29, v25, v22
	s_waitcnt lgkmcnt(0)
	v_cmp_lt_f64_e64 s4, v[21:22], v[28:29]
	v_cndmask_b32_e64 v22, v22, v29, s4
	v_cndmask_b32_e64 v21, v21, v28, s4
	v_cmp_gt_i32_e64 s4, 32, v26
	v_cndmask_b32_e64 v26, v30, v26, s4
	v_lshlrev_b32_e32 v28, 2, v26
	ds_bpermute_b32 v29, v28, v19
	ds_bpermute_b32 v30, v28, v20
	s_waitcnt lgkmcnt(0)
	v_cmp_lt_f64_e64 s4, v[19:20], v[29:30]
	v_cndmask_b32_e64 v30, v20, v30, s4
	v_cndmask_b32_e64 v29, v19, v29, s4
	ds_bpermute_b32 v19, v28, v21
	ds_bpermute_b32 v20, v28, v22
	v_add_f64 v[9:10], v[9:10], -v[29:30]
	v_add_f64 v[13:14], v[13:14], -v[29:30]
	;; [unrolled: 1-line block ×4, first 2 shown]
	s_waitcnt lgkmcnt(0)
	v_cmp_lt_f64_e64 s4, v[21:22], v[19:20]
	v_cmp_ngt_f64_e64 s5, 0xc090cc00, v[9:10]
	v_mul_f64 v[29:30], v[17:18], s[36:37]
	v_cndmask_b32_e64 v20, v22, v20, s4
	v_cndmask_b32_e64 v19, v21, v19, s4
	v_mul_f64 v[21:22], v[9:10], s[36:37]
	v_cmp_nlt_f64_e64 s4, 0x40900000, v[9:10]
	v_add_f64 v[11:12], v[11:12], -v[19:20]
	v_add_f64 v[7:8], v[7:8], -v[19:20]
	v_rndne_f64_e32 v[29:30], v[29:30]
	v_add_f64 v[5:6], v[5:6], -v[19:20]
	v_add_f64 v[3:4], v[3:4], -v[19:20]
	v_rndne_f64_e32 v[21:22], v[21:22]
	v_mul_f64 v[19:20], v[3:4], s[36:37]
	v_fma_f64 v[31:32], v[21:22], s[34:35], v[9:10]
	v_rndne_f64_e32 v[19:20], v[19:20]
	v_fma_f64 v[31:32], v[21:22], s[30:31], v[31:32]
	v_cvt_i32_f64_e32 v21, v[21:22]
	v_fma_f64 v[33:34], v[31:32], s[24:25], s[20:21]
	v_fma_f64 v[33:34], v[31:32], v[33:34], s[28:29]
	;; [unrolled: 1-line block ×9, first 2 shown]
	v_fma_f64 v[33:34], v[31:32], v[33:34], 1.0
	v_fma_f64 v[31:32], v[31:32], v[33:34], 1.0
	v_ldexp_f64 v[21:22], v[31:32], v21
	v_mul_f64 v[31:32], v[13:14], s[36:37]
	v_cndmask_b32_e64 v22, 0x7ff00000, v22, s4
	v_rndne_f64_e32 v[31:32], v[31:32]
	s_and_b32 s4, s5, s4
	v_cndmask_b32_e64 v9, 0, v21, s4
	v_cndmask_b32_e64 v10, 0, v22, s5
	v_cmp_nlt_f64_e64 s4, 0x40900000, v[13:14]
	v_cmp_ngt_f64_e64 s5, 0xc090cc00, v[13:14]
	v_add_f64 v[21:22], v[9:10], 0
	v_fma_f64 v[33:34], v[31:32], s[34:35], v[13:14]
	v_cvt_i32_f64_e32 v26, v[31:32]
	v_fma_f64 v[33:34], v[31:32], s[30:31], v[33:34]
	v_fma_f64 v[35:36], v[33:34], s[24:25], s[20:21]
	;; [unrolled: 1-line block ×10, first 2 shown]
	v_fma_f64 v[35:36], v[33:34], v[35:36], 1.0
	v_fma_f64 v[33:34], v[33:34], v[35:36], 1.0
	v_ldexp_f64 v[31:32], v[33:34], v26
	v_cndmask_b32_e64 v26, 0x7ff00000, v32, s4
	s_and_b32 s4, s5, s4
	v_cndmask_b32_e64 v13, 0, v31, s4
	v_mul_f64 v[31:32], v[15:16], s[36:37]
	v_cndmask_b32_e64 v14, 0, v26, s5
	v_cmp_nlt_f64_e64 s4, 0x40900000, v[15:16]
	v_cmp_ngt_f64_e64 s5, 0xc090cc00, v[15:16]
	v_add_f64 v[21:22], v[21:22], v[13:14]
	v_rndne_f64_e32 v[31:32], v[31:32]
	v_fma_f64 v[33:34], v[31:32], s[34:35], v[15:16]
	v_cvt_i32_f64_e32 v26, v[31:32]
	v_fma_f64 v[33:34], v[31:32], s[30:31], v[33:34]
	v_fma_f64 v[35:36], v[33:34], s[24:25], s[20:21]
	;; [unrolled: 1-line block ×10, first 2 shown]
	v_fma_f64 v[35:36], v[33:34], v[35:36], 1.0
	v_fma_f64 v[33:34], v[33:34], v[35:36], 1.0
	v_ldexp_f64 v[31:32], v[33:34], v26
	v_cndmask_b32_e64 v26, 0x7ff00000, v32, s4
	s_and_b32 s4, s5, s4
	v_cndmask_b32_e64 v15, 0, v31, s4
	v_fma_f64 v[31:32], v[29:30], s[34:35], v[17:18]
	v_cndmask_b32_e64 v16, 0, v26, s5
	v_cvt_i32_f64_e32 v26, v[29:30]
	v_cmp_nlt_f64_e64 s4, 0x40900000, v[17:18]
	v_cmp_ngt_f64_e64 s5, 0xc090cc00, v[17:18]
	v_add_f64 v[21:22], v[21:22], v[15:16]
	v_fma_f64 v[31:32], v[29:30], s[30:31], v[31:32]
	v_fma_f64 v[33:34], v[31:32], s[24:25], s[20:21]
	;; [unrolled: 1-line block ×10, first 2 shown]
	v_fma_f64 v[33:34], v[31:32], v[33:34], 1.0
	v_fma_f64 v[31:32], v[31:32], v[33:34], 1.0
	v_ldexp_f64 v[29:30], v[31:32], v26
	v_cndmask_b32_e64 v26, 0x7ff00000, v30, s4
	s_and_b32 s4, s5, s4
	v_cndmask_b32_e64 v17, 0, v29, s4
	v_mul_f64 v[29:30], v[11:12], s[36:37]
	v_cndmask_b32_e64 v18, 0, v26, s5
	v_cmp_nlt_f64_e64 s4, 0x40900000, v[11:12]
	v_cmp_ngt_f64_e64 s5, 0xc090cc00, v[11:12]
	v_add_f64 v[21:22], v[21:22], v[17:18]
	v_rndne_f64_e32 v[29:30], v[29:30]
	v_fma_f64 v[31:32], v[29:30], s[34:35], v[11:12]
	v_cvt_i32_f64_e32 v26, v[29:30]
	v_fma_f64 v[31:32], v[29:30], s[30:31], v[31:32]
	v_fma_f64 v[33:34], v[31:32], s[24:25], s[20:21]
	v_fma_f64 v[33:34], v[31:32], v[33:34], s[28:29]
	v_fma_f64 v[33:34], v[31:32], v[33:34], s[26:27]
	v_fma_f64 v[33:34], v[31:32], v[33:34], s[22:23]
	v_fma_f64 v[33:34], v[31:32], v[33:34], s[18:19]
	v_fma_f64 v[33:34], v[31:32], v[33:34], s[16:17]
	v_fma_f64 v[33:34], v[31:32], v[33:34], s[12:13]
	v_fma_f64 v[33:34], v[31:32], v[33:34], s[10:11]
	v_fma_f64 v[33:34], v[31:32], v[33:34], s[6:7]
	v_fma_f64 v[33:34], v[31:32], v[33:34], 1.0
	v_fma_f64 v[31:32], v[31:32], v[33:34], 1.0
	v_ldexp_f64 v[29:30], v[31:32], v26
	v_mul_f64 v[31:32], v[7:8], s[36:37]
	v_cndmask_b32_e64 v26, 0x7ff00000, v30, s4
	v_rndne_f64_e32 v[31:32], v[31:32]
	s_and_b32 s4, s5, s4
	v_cndmask_b32_e64 v11, 0, v29, s4
	v_cndmask_b32_e64 v12, 0, v26, s5
	v_cmp_nlt_f64_e64 s4, 0x40900000, v[7:8]
	v_cmp_ngt_f64_e64 s5, 0xc090cc00, v[7:8]
	v_add_f64 v[29:30], v[11:12], 0
	v_fma_f64 v[33:34], v[31:32], s[34:35], v[7:8]
	v_cvt_i32_f64_e32 v26, v[31:32]
	v_fma_f64 v[33:34], v[31:32], s[30:31], v[33:34]
	v_fma_f64 v[35:36], v[33:34], s[24:25], s[20:21]
	;; [unrolled: 1-line block ×10, first 2 shown]
	v_fma_f64 v[35:36], v[33:34], v[35:36], 1.0
	v_fma_f64 v[33:34], v[33:34], v[35:36], 1.0
	v_ldexp_f64 v[31:32], v[33:34], v26
	v_cndmask_b32_e64 v26, 0x7ff00000, v32, s4
	s_and_b32 s4, s5, s4
	v_cndmask_b32_e64 v7, 0, v31, s4
	v_mul_f64 v[31:32], v[5:6], s[36:37]
	v_cndmask_b32_e64 v8, 0, v26, s5
	v_cmp_nlt_f64_e64 s4, 0x40900000, v[5:6]
	v_cmp_ngt_f64_e64 s5, 0xc090cc00, v[5:6]
	v_add_f64 v[29:30], v[29:30], v[7:8]
	v_rndne_f64_e32 v[31:32], v[31:32]
	v_fma_f64 v[33:34], v[31:32], s[34:35], v[5:6]
	v_cvt_i32_f64_e32 v26, v[31:32]
	v_fma_f64 v[33:34], v[31:32], s[30:31], v[33:34]
	v_fma_f64 v[35:36], v[33:34], s[24:25], s[20:21]
	v_fma_f64 v[35:36], v[33:34], v[35:36], s[28:29]
	v_fma_f64 v[35:36], v[33:34], v[35:36], s[26:27]
	v_fma_f64 v[35:36], v[33:34], v[35:36], s[22:23]
	v_fma_f64 v[35:36], v[33:34], v[35:36], s[18:19]
	v_fma_f64 v[35:36], v[33:34], v[35:36], s[16:17]
	v_fma_f64 v[35:36], v[33:34], v[35:36], s[12:13]
	v_fma_f64 v[35:36], v[33:34], v[35:36], s[10:11]
	v_fma_f64 v[35:36], v[33:34], v[35:36], s[6:7]
	v_fma_f64 v[35:36], v[33:34], v[35:36], 1.0
	v_fma_f64 v[33:34], v[33:34], v[35:36], 1.0
	v_ldexp_f64 v[31:32], v[33:34], v26
	v_cndmask_b32_e64 v26, 0x7ff00000, v32, s4
	s_and_b32 s4, s5, s4
	v_cndmask_b32_e64 v5, 0, v31, s4
	v_fma_f64 v[31:32], v[19:20], s[34:35], v[3:4]
	v_cmp_nlt_f64_e64 s4, 0x40900000, v[3:4]
	v_cndmask_b32_e64 v6, 0, v26, s5
	v_cmp_ngt_f64_e64 s5, 0xc090cc00, v[3:4]
	v_add_f64 v[29:30], v[29:30], v[5:6]
	v_fma_f64 v[31:32], v[19:20], s[30:31], v[31:32]
	v_cvt_i32_f64_e32 v19, v[19:20]
	v_fma_f64 v[33:34], v[31:32], s[24:25], s[20:21]
	v_fma_f64 v[33:34], v[31:32], v[33:34], s[28:29]
	;; [unrolled: 1-line block ×9, first 2 shown]
	v_fma_f64 v[33:34], v[31:32], v[33:34], 1.0
	v_fma_f64 v[31:32], v[31:32], v[33:34], 1.0
	v_ldexp_f64 v[19:20], v[31:32], v19
	v_cndmask_b32_e64 v20, 0x7ff00000, v20, s4
	s_and_b32 s4, s5, s4
	v_cndmask_b32_e64 v3, 0, v19, s4
	v_cndmask_b32_e64 v4, 0, v20, s5
	v_add_f64 v[19:20], v[29:30], v[3:4]
	ds_bpermute_b32 v29, v0, v21
	ds_bpermute_b32 v30, v0, v22
	s_waitcnt lgkmcnt(0)
	v_add_f64 v[21:22], v[21:22], v[29:30]
	ds_bpermute_b32 v29, v0, v19
	ds_bpermute_b32 v30, v0, v20
	s_waitcnt lgkmcnt(0)
	;; [unrolled: 4-line block ×8, first 2 shown]
	v_add_f64 v[19:20], v[19:20], v[21:22]
	ds_bpermute_b32 v25, v28, v23
	ds_bpermute_b32 v26, v28, v24
	;; [unrolled: 1-line block ×4, first 2 shown]
	s_and_saveexec_b32 s4, vcc_lo
	s_cbranch_execz .LBB369_28
; %bb.17:
	v_add_co_u32 v0, vcc_lo, s8, v1
	v_add_co_ci_u32_e64 v1, null, s9, v2, vcc_lo
	s_and_saveexec_b32 s5, s3
	s_cbranch_execz .LBB369_22
; %bb.18:
	s_waitcnt lgkmcnt(2)
	v_add_f64 v[23:24], v[23:24], v[25:26]
	v_div_scale_f64 v[25:26], null, v[23:24], v[23:24], v[9:10]
	v_div_scale_f64 v[32:33], vcc_lo, v[9:10], v[23:24], v[9:10]
	v_cmp_eq_f64_e64 s4, 0, v[23:24]
	v_rcp_f64_e32 v[28:29], v[25:26]
	v_fma_f64 v[30:31], -v[25:26], v[28:29], 1.0
	v_fma_f64 v[28:29], v[28:29], v[30:31], v[28:29]
	v_fma_f64 v[30:31], -v[25:26], v[28:29], 1.0
	v_fma_f64 v[28:29], v[28:29], v[30:31], v[28:29]
	v_mul_f64 v[30:31], v[32:33], v[28:29]
	v_fma_f64 v[25:26], -v[25:26], v[30:31], v[32:33]
	v_div_fmas_f64 v[25:26], v[25:26], v[28:29], v[30:31]
	v_div_fixup_f64 v[9:10], v[25:26], v[23:24], v[9:10]
	v_cndmask_b32_e64 v10, v10, 0x7ff80000, s4
	v_cndmask_b32_e64 v9, v9, 0, s4
	global_store_dwordx2 v[0:1], v[9:10], off
	s_and_b32 exec_lo, exec_lo, s2
	s_cbranch_execz .LBB369_22
; %bb.19:
	v_div_scale_f64 v[9:10], null, v[23:24], v[23:24], v[13:14]
	v_div_scale_f64 v[30:31], vcc_lo, v[13:14], v[23:24], v[13:14]
	v_rcp_f64_e32 v[25:26], v[9:10]
	v_fma_f64 v[28:29], -v[9:10], v[25:26], 1.0
	v_fma_f64 v[25:26], v[25:26], v[28:29], v[25:26]
	v_fma_f64 v[28:29], -v[9:10], v[25:26], 1.0
	v_fma_f64 v[25:26], v[25:26], v[28:29], v[25:26]
	v_mul_f64 v[28:29], v[30:31], v[25:26]
	v_fma_f64 v[9:10], -v[9:10], v[28:29], v[30:31]
	v_div_fmas_f64 v[9:10], v[9:10], v[25:26], v[28:29]
	v_div_fixup_f64 v[9:10], v[9:10], v[23:24], v[13:14]
	v_cndmask_b32_e64 v10, v10, 0x7ff80000, s4
	v_cndmask_b32_e64 v9, v9, 0, s4
	global_store_dwordx2 v[0:1], v[9:10], off offset:256
	s_and_b32 exec_lo, exec_lo, s1
	s_cbranch_execz .LBB369_22
; %bb.20:
	v_div_scale_f64 v[9:10], null, v[23:24], v[23:24], v[15:16]
	v_div_scale_f64 v[28:29], vcc_lo, v[15:16], v[23:24], v[15:16]
	v_rcp_f64_e32 v[13:14], v[9:10]
	v_fma_f64 v[25:26], -v[9:10], v[13:14], 1.0
	v_fma_f64 v[13:14], v[13:14], v[25:26], v[13:14]
	v_fma_f64 v[25:26], -v[9:10], v[13:14], 1.0
	v_fma_f64 v[13:14], v[13:14], v[25:26], v[13:14]
	v_mul_f64 v[25:26], v[28:29], v[13:14]
	v_fma_f64 v[9:10], -v[9:10], v[25:26], v[28:29]
	v_div_fmas_f64 v[9:10], v[9:10], v[13:14], v[25:26]
	v_div_fixup_f64 v[9:10], v[9:10], v[23:24], v[15:16]
	v_cndmask_b32_e64 v10, v10, 0x7ff80000, s4
	v_cndmask_b32_e64 v9, v9, 0, s4
	global_store_dwordx2 v[0:1], v[9:10], off offset:512
	;; [unrolled: 17-line block ×3, first 2 shown]
.LBB369_22:
	s_or_b32 exec_lo, exec_lo, s5
	v_cmp_ne_u32_e32 vcc_lo, 1, v27
	s_and_b32 exec_lo, exec_lo, vcc_lo
	s_cbranch_execz .LBB369_28
; %bb.23:
	s_and_b32 exec_lo, exec_lo, s3
	s_cbranch_execz .LBB369_28
; %bb.24:
	s_waitcnt lgkmcnt(0)
	v_add_f64 v[9:10], v[19:20], v[21:22]
	s_mov_b32 s15, 0
	s_lshl_b64 s[4:5], s[14:15], 3
	v_div_scale_f64 v[13:14], null, v[9:10], v[9:10], v[11:12]
	v_div_scale_f64 v[19:20], vcc_lo, v[11:12], v[9:10], v[11:12]
	v_cmp_eq_f64_e64 s3, 0, v[9:10]
	v_rcp_f64_e32 v[15:16], v[13:14]
	v_fma_f64 v[17:18], -v[13:14], v[15:16], 1.0
	v_fma_f64 v[15:16], v[15:16], v[17:18], v[15:16]
	v_fma_f64 v[17:18], -v[13:14], v[15:16], 1.0
	v_fma_f64 v[15:16], v[15:16], v[17:18], v[15:16]
	v_mul_f64 v[17:18], v[19:20], v[15:16]
	v_fma_f64 v[13:14], -v[13:14], v[17:18], v[19:20]
	v_div_fmas_f64 v[13:14], v[13:14], v[15:16], v[17:18]
	v_add_co_u32 v0, vcc_lo, v0, s4
	v_add_co_ci_u32_e64 v1, null, s5, v1, vcc_lo
	v_div_fixup_f64 v[11:12], v[13:14], v[9:10], v[11:12]
	v_cndmask_b32_e64 v12, v12, 0x7ff80000, s3
	v_cndmask_b32_e64 v11, v11, 0, s3
	global_store_dwordx2 v[0:1], v[11:12], off
	s_and_b32 exec_lo, exec_lo, s2
	s_cbranch_execz .LBB369_28
; %bb.25:
	v_div_scale_f64 v[11:12], null, v[9:10], v[9:10], v[7:8]
	v_div_scale_f64 v[17:18], vcc_lo, v[7:8], v[9:10], v[7:8]
	v_rcp_f64_e32 v[13:14], v[11:12]
	v_fma_f64 v[15:16], -v[11:12], v[13:14], 1.0
	v_fma_f64 v[13:14], v[13:14], v[15:16], v[13:14]
	v_fma_f64 v[15:16], -v[11:12], v[13:14], 1.0
	v_fma_f64 v[13:14], v[13:14], v[15:16], v[13:14]
	v_mul_f64 v[15:16], v[17:18], v[13:14]
	v_fma_f64 v[11:12], -v[11:12], v[15:16], v[17:18]
	v_div_fmas_f64 v[11:12], v[11:12], v[13:14], v[15:16]
	v_div_fixup_f64 v[7:8], v[11:12], v[9:10], v[7:8]
	v_cndmask_b32_e64 v8, v8, 0x7ff80000, s3
	v_cndmask_b32_e64 v7, v7, 0, s3
	global_store_dwordx2 v[0:1], v[7:8], off offset:256
	s_and_b32 exec_lo, exec_lo, s1
	s_cbranch_execz .LBB369_28
; %bb.26:
	v_div_scale_f64 v[7:8], null, v[9:10], v[9:10], v[5:6]
	v_div_scale_f64 v[15:16], vcc_lo, v[5:6], v[9:10], v[5:6]
	v_rcp_f64_e32 v[11:12], v[7:8]
	v_fma_f64 v[13:14], -v[7:8], v[11:12], 1.0
	v_fma_f64 v[11:12], v[11:12], v[13:14], v[11:12]
	v_fma_f64 v[13:14], -v[7:8], v[11:12], 1.0
	v_fma_f64 v[11:12], v[11:12], v[13:14], v[11:12]
	v_mul_f64 v[13:14], v[15:16], v[11:12]
	v_fma_f64 v[7:8], -v[7:8], v[13:14], v[15:16]
	v_div_fmas_f64 v[7:8], v[7:8], v[11:12], v[13:14]
	v_div_fixup_f64 v[5:6], v[7:8], v[9:10], v[5:6]
	v_cndmask_b32_e64 v6, v6, 0x7ff80000, s3
	v_cndmask_b32_e64 v5, v5, 0, s3
	global_store_dwordx2 v[0:1], v[5:6], off offset:512
	;; [unrolled: 17-line block ×3, first 2 shown]
.LBB369_28:
	s_endpgm
	.section	.rodata,"a",@progbits
	.p2align	6, 0x0
	.amdhsa_kernel _ZN12_GLOBAL__N_120softmax_warp_forwardIdddLi7ELb0ELb0ELi32EEEvPT0_PKT_iiiPKbib
		.amdhsa_group_segment_fixed_size 0
		.amdhsa_private_segment_fixed_size 0
		.amdhsa_kernarg_size 304
		.amdhsa_user_sgpr_count 6
		.amdhsa_user_sgpr_private_segment_buffer 1
		.amdhsa_user_sgpr_dispatch_ptr 0
		.amdhsa_user_sgpr_queue_ptr 0
		.amdhsa_user_sgpr_kernarg_segment_ptr 1
		.amdhsa_user_sgpr_dispatch_id 0
		.amdhsa_user_sgpr_flat_scratch_init 0
		.amdhsa_user_sgpr_private_segment_size 0
		.amdhsa_wavefront_size32 1
		.amdhsa_uses_dynamic_stack 0
		.amdhsa_system_sgpr_private_segment_wavefront_offset 0
		.amdhsa_system_sgpr_workgroup_id_x 1
		.amdhsa_system_sgpr_workgroup_id_y 0
		.amdhsa_system_sgpr_workgroup_id_z 0
		.amdhsa_system_sgpr_workgroup_info 0
		.amdhsa_system_vgpr_workitem_id 1
		.amdhsa_next_free_vgpr 37
		.amdhsa_next_free_sgpr 38
		.amdhsa_reserve_vcc 1
		.amdhsa_reserve_flat_scratch 0
		.amdhsa_float_round_mode_32 0
		.amdhsa_float_round_mode_16_64 0
		.amdhsa_float_denorm_mode_32 3
		.amdhsa_float_denorm_mode_16_64 3
		.amdhsa_dx10_clamp 1
		.amdhsa_ieee_mode 1
		.amdhsa_fp16_overflow 0
		.amdhsa_workgroup_processor_mode 1
		.amdhsa_memory_ordered 1
		.amdhsa_forward_progress 1
		.amdhsa_shared_vgpr_count 0
		.amdhsa_exception_fp_ieee_invalid_op 0
		.amdhsa_exception_fp_denorm_src 0
		.amdhsa_exception_fp_ieee_div_zero 0
		.amdhsa_exception_fp_ieee_overflow 0
		.amdhsa_exception_fp_ieee_underflow 0
		.amdhsa_exception_fp_ieee_inexact 0
		.amdhsa_exception_int_div_zero 0
	.end_amdhsa_kernel
	.section	.text._ZN12_GLOBAL__N_120softmax_warp_forwardIdddLi7ELb0ELb0ELi32EEEvPT0_PKT_iiiPKbib,"axG",@progbits,_ZN12_GLOBAL__N_120softmax_warp_forwardIdddLi7ELb0ELb0ELi32EEEvPT0_PKT_iiiPKbib,comdat
.Lfunc_end369:
	.size	_ZN12_GLOBAL__N_120softmax_warp_forwardIdddLi7ELb0ELb0ELi32EEEvPT0_PKT_iiiPKbib, .Lfunc_end369-_ZN12_GLOBAL__N_120softmax_warp_forwardIdddLi7ELb0ELb0ELi32EEEvPT0_PKT_iiiPKbib
                                        ; -- End function
	.set _ZN12_GLOBAL__N_120softmax_warp_forwardIdddLi7ELb0ELb0ELi32EEEvPT0_PKT_iiiPKbib.num_vgpr, 37
	.set _ZN12_GLOBAL__N_120softmax_warp_forwardIdddLi7ELb0ELb0ELi32EEEvPT0_PKT_iiiPKbib.num_agpr, 0
	.set _ZN12_GLOBAL__N_120softmax_warp_forwardIdddLi7ELb0ELb0ELi32EEEvPT0_PKT_iiiPKbib.numbered_sgpr, 38
	.set _ZN12_GLOBAL__N_120softmax_warp_forwardIdddLi7ELb0ELb0ELi32EEEvPT0_PKT_iiiPKbib.num_named_barrier, 0
	.set _ZN12_GLOBAL__N_120softmax_warp_forwardIdddLi7ELb0ELb0ELi32EEEvPT0_PKT_iiiPKbib.private_seg_size, 0
	.set _ZN12_GLOBAL__N_120softmax_warp_forwardIdddLi7ELb0ELb0ELi32EEEvPT0_PKT_iiiPKbib.uses_vcc, 1
	.set _ZN12_GLOBAL__N_120softmax_warp_forwardIdddLi7ELb0ELb0ELi32EEEvPT0_PKT_iiiPKbib.uses_flat_scratch, 0
	.set _ZN12_GLOBAL__N_120softmax_warp_forwardIdddLi7ELb0ELb0ELi32EEEvPT0_PKT_iiiPKbib.has_dyn_sized_stack, 0
	.set _ZN12_GLOBAL__N_120softmax_warp_forwardIdddLi7ELb0ELb0ELi32EEEvPT0_PKT_iiiPKbib.has_recursion, 0
	.set _ZN12_GLOBAL__N_120softmax_warp_forwardIdddLi7ELb0ELb0ELi32EEEvPT0_PKT_iiiPKbib.has_indirect_call, 0
	.section	.AMDGPU.csdata,"",@progbits
; Kernel info:
; codeLenInByte = 4376
; TotalNumSgprs: 40
; NumVgprs: 37
; ScratchSize: 0
; MemoryBound: 0
; FloatMode: 240
; IeeeMode: 1
; LDSByteSize: 0 bytes/workgroup (compile time only)
; SGPRBlocks: 0
; VGPRBlocks: 4
; NumSGPRsForWavesPerEU: 40
; NumVGPRsForWavesPerEU: 37
; Occupancy: 16
; WaveLimiterHint : 0
; COMPUTE_PGM_RSRC2:SCRATCH_EN: 0
; COMPUTE_PGM_RSRC2:USER_SGPR: 6
; COMPUTE_PGM_RSRC2:TRAP_HANDLER: 0
; COMPUTE_PGM_RSRC2:TGID_X_EN: 1
; COMPUTE_PGM_RSRC2:TGID_Y_EN: 0
; COMPUTE_PGM_RSRC2:TGID_Z_EN: 0
; COMPUTE_PGM_RSRC2:TIDIG_COMP_CNT: 1
	.section	.text._ZN12_GLOBAL__N_120softmax_warp_forwardIdddLi8ELb0ELb0ELi64EEEvPT0_PKT_iiiPKbib,"axG",@progbits,_ZN12_GLOBAL__N_120softmax_warp_forwardIdddLi8ELb0ELb0ELi64EEEvPT0_PKT_iiiPKbib,comdat
	.globl	_ZN12_GLOBAL__N_120softmax_warp_forwardIdddLi8ELb0ELb0ELi64EEEvPT0_PKT_iiiPKbib ; -- Begin function _ZN12_GLOBAL__N_120softmax_warp_forwardIdddLi8ELb0ELb0ELi64EEEvPT0_PKT_iiiPKbib
	.p2align	8
	.type	_ZN12_GLOBAL__N_120softmax_warp_forwardIdddLi8ELb0ELb0ELi64EEEvPT0_PKT_iiiPKbib,@function
_ZN12_GLOBAL__N_120softmax_warp_forwardIdddLi8ELb0ELb0ELi64EEEvPT0_PKT_iiiPKbib: ; @_ZN12_GLOBAL__N_120softmax_warp_forwardIdddLi8ELb0ELb0ELi64EEEvPT0_PKT_iiiPKbib
; %bb.0:
	s_clause 0x1
	s_load_dword s0, s[4:5], 0x3c
	s_load_dwordx8 s[8:15], s[4:5], 0x0
	v_mov_b32_e32 v5, 0
	v_mov_b32_e32 v9, 0
	;; [unrolled: 1-line block ×4, first 2 shown]
	s_waitcnt lgkmcnt(0)
	s_lshr_b32 s0, s0, 16
	v_cmp_gt_i32_e32 vcc_lo, s14, v0
	v_mad_u64_u32 v[1:2], null, s6, s0, v[1:2]
	v_mad_u64_u32 v[2:3], null, v1, s13, v[0:1]
	v_sub_nc_u32_e32 v15, s12, v1
	v_cmp_lt_i32_e64 s3, 0, v15
	v_ashrrev_i32_e32 v3, 31, v2
	s_and_b32 s1, s3, vcc_lo
	v_lshlrev_b64 v[1:2], 3, v[2:3]
	v_add_co_u32 v11, s0, s10, v1
	v_add_co_ci_u32_e64 v12, null, s11, v2, s0
	s_and_saveexec_b32 s0, s1
	s_cbranch_execz .LBB370_2
; %bb.1:
	global_load_dwordx2 v[9:10], v[11:12], off
.LBB370_2:
	s_or_b32 exec_lo, exec_lo, s0
	v_add_nc_u32_e32 v3, 64, v0
	v_cmp_gt_i32_e64 s2, s14, v3
	s_and_b32 s1, s3, s2
	s_and_saveexec_b32 s0, s1
	s_cbranch_execz .LBB370_4
; %bb.3:
	global_load_dwordx2 v[5:6], v[11:12], off offset:512
.LBB370_4:
	s_or_b32 exec_lo, exec_lo, s0
	v_add_nc_u32_e32 v3, 0x80, v0
	v_mov_b32_e32 v7, 0
	v_mov_b32_e32 v8, 0xfff00000
	v_cmp_gt_i32_e64 s1, s14, v3
	v_mov_b32_e32 v3, 0
	v_mov_b32_e32 v4, 0xfff00000
	s_and_b32 s4, s3, s1
	s_and_saveexec_b32 s0, s4
	s_cbranch_execz .LBB370_6
; %bb.5:
	global_load_dwordx2 v[7:8], v[11:12], off offset:1024
.LBB370_6:
	s_or_b32 exec_lo, exec_lo, s0
	v_add_nc_u32_e32 v0, 0xc0, v0
	v_cmp_gt_i32_e64 s0, s14, v0
	s_and_b32 s4, s3, s0
	s_and_saveexec_b32 s3, s4
	s_cbranch_execz .LBB370_8
; %bb.7:
	global_load_dwordx2 v[3:4], v[11:12], off offset:1536
.LBB370_8:
	s_or_b32 exec_lo, exec_lo, s3
	s_waitcnt vmcnt(0)
	v_cmp_gt_f64_e64 s3, v[9:10], v[5:6]
	v_mbcnt_lo_u32_b32 v21, -1, 0
	s_mov_b32 s6, 0xfefa39ef
	s_mov_b32 s7, 0xbfe62e42
	;; [unrolled: 1-line block ×4, first 2 shown]
	v_or_b32_e32 v0, 32, v21
	v_xor_b32_e32 v13, 16, v21
	v_xor_b32_e32 v14, 8, v21
	s_mov_b32 s12, 0x6a5dcb37
	s_mov_b32 s13, 0x3e5ade15
	v_cmp_gt_i32_e64 s4, 64, v0
	s_mov_b32 s14, 0x623fde64
	s_mov_b32 s15, 0x3ec71dee
	v_cndmask_b32_e64 v0, v21, v0, s4
	v_cmp_gt_i32_e64 s4, 64, v13
	v_lshlrev_b32_e32 v0, 2, v0
	v_cndmask_b32_e64 v12, v6, v10, s3
	v_cndmask_b32_e64 v11, v5, v9, s3
	;; [unrolled: 1-line block ×3, first 2 shown]
	v_cmp_gt_i32_e64 s4, 64, v14
	v_cmp_gt_f64_e64 s3, v[11:12], v[7:8]
	v_lshlrev_b32_e32 v13, 2, v13
	v_cndmask_b32_e64 v14, v21, v14, s4
	v_lshlrev_b32_e32 v14, 2, v14
	v_cndmask_b32_e64 v12, v8, v12, s3
	v_cndmask_b32_e64 v11, v7, v11, s3
	v_cmp_gt_f64_e64 s3, v[11:12], v[3:4]
	v_cndmask_b32_e64 v12, v4, v12, s3
	v_cndmask_b32_e64 v11, v3, v11, s3
	ds_bpermute_b32 v17, v0, v12
	ds_bpermute_b32 v16, v0, v11
	s_waitcnt lgkmcnt(0)
	v_cmp_lt_f64_e64 s3, v[11:12], v[16:17]
	v_cndmask_b32_e64 v12, v12, v17, s3
	v_cndmask_b32_e64 v11, v11, v16, s3
	ds_bpermute_b32 v17, v13, v12
	ds_bpermute_b32 v16, v13, v11
	s_waitcnt lgkmcnt(0)
	v_cmp_lt_f64_e64 s3, v[11:12], v[16:17]
	v_cndmask_b32_e64 v12, v12, v17, s3
	v_cndmask_b32_e64 v11, v11, v16, s3
	v_xor_b32_e32 v16, 4, v21
	ds_bpermute_b32 v18, v14, v12
	ds_bpermute_b32 v17, v14, v11
	v_cmp_gt_i32_e64 s4, 64, v16
	v_cndmask_b32_e64 v16, v21, v16, s4
	v_lshlrev_b32_e32 v16, 2, v16
	s_waitcnt lgkmcnt(0)
	v_cmp_lt_f64_e64 s3, v[11:12], v[17:18]
	v_cndmask_b32_e64 v12, v12, v18, s3
	v_cndmask_b32_e64 v11, v11, v17, s3
	v_xor_b32_e32 v17, 2, v21
	ds_bpermute_b32 v19, v16, v12
	ds_bpermute_b32 v18, v16, v11
	v_cmp_gt_i32_e64 s4, 64, v17
	v_cndmask_b32_e64 v17, v21, v17, s4
	v_lshlrev_b32_e32 v17, 2, v17
	s_waitcnt lgkmcnt(0)
	v_cmp_lt_f64_e64 s3, v[11:12], v[18:19]
	v_cndmask_b32_e64 v12, v12, v19, s3
	v_cndmask_b32_e64 v11, v11, v18, s3
	v_xor_b32_e32 v18, 1, v21
	ds_bpermute_b32 v20, v17, v12
	ds_bpermute_b32 v19, v17, v11
	v_cmp_gt_i32_e64 s4, 64, v18
	v_cndmask_b32_e64 v18, v21, v18, s4
	s_mov_b32 s4, 0x652b82fe
	s_mov_b32 s5, 0x3ff71547
	v_lshlrev_b32_e32 v18, 2, v18
	s_waitcnt lgkmcnt(0)
	v_cmp_lt_f64_e64 s3, v[11:12], v[19:20]
	v_cndmask_b32_e64 v12, v12, v20, s3
	v_cndmask_b32_e64 v11, v11, v19, s3
	ds_bpermute_b32 v20, v18, v12
	ds_bpermute_b32 v19, v18, v11
	s_waitcnt lgkmcnt(0)
	v_cmp_lt_f64_e64 s3, v[11:12], v[19:20]
	v_cndmask_b32_e64 v12, v12, v20, s3
	v_cndmask_b32_e64 v11, v11, v19, s3
	v_add_f64 v[9:10], v[9:10], -v[11:12]
	v_add_f64 v[5:6], v[5:6], -v[11:12]
	v_add_f64 v[7:8], v[7:8], -v[11:12]
	v_add_f64 v[3:4], v[3:4], -v[11:12]
	v_mul_f64 v[19:20], v[9:10], s[4:5]
	v_mul_f64 v[21:22], v[5:6], s[4:5]
	;; [unrolled: 1-line block ×4, first 2 shown]
	s_mov_b32 s4, 0xfca7ab0c
	s_mov_b32 s5, 0x3e928af3
	v_cmp_nlt_f64_e64 s3, 0x40900000, v[9:10]
	v_rndne_f64_e32 v[19:20], v[19:20]
	v_rndne_f64_e32 v[21:22], v[21:22]
	;; [unrolled: 1-line block ×4, first 2 shown]
	v_fma_f64 v[23:24], v[19:20], s[6:7], v[9:10]
	v_fma_f64 v[27:28], v[21:22], s[6:7], v[5:6]
	;; [unrolled: 1-line block ×4, first 2 shown]
	s_mov_b32 s6, 0x7c89e6b0
	s_mov_b32 s7, 0x3efa0199
	v_cvt_i32_f64_e32 v41, v[19:20]
	v_fma_f64 v[23:24], v[19:20], s[10:11], v[23:24]
	v_fma_f64 v[27:28], v[21:22], s[10:11], v[27:28]
	;; [unrolled: 1-line block ×4, first 2 shown]
	s_mov_b32 s10, 0x14761f6e
	s_mov_b32 s11, 0x3f2a01a0
	v_cvt_i32_f64_e32 v25, v[25:26]
	v_fma_f64 v[31:32], v[23:24], s[12:13], s[4:5]
	v_fma_f64 v[35:36], v[27:28], s[12:13], s[4:5]
	;; [unrolled: 1-line block ×4, first 2 shown]
	s_mov_b32 s4, 0x1852b7b0
	s_mov_b32 s5, 0x3f56c16c
	;; [unrolled: 1-line block ×4, first 2 shown]
	v_fma_f64 v[31:32], v[23:24], v[31:32], s[14:15]
	v_fma_f64 v[35:36], v[27:28], v[35:36], s[14:15]
	;; [unrolled: 1-line block ×8, first 2 shown]
	s_mov_b32 s6, 0x555502a1
	s_mov_b32 s7, 0x3fa55555
	v_fma_f64 v[31:32], v[23:24], v[31:32], s[10:11]
	v_fma_f64 v[35:36], v[27:28], v[35:36], s[10:11]
	v_fma_f64 v[37:38], v[29:30], v[37:38], s[10:11]
	v_fma_f64 v[39:40], v[33:34], v[39:40], s[10:11]
	s_mov_b32 s10, 0x55555511
	s_mov_b32 s11, 0x3fc55555
	v_fma_f64 v[31:32], v[23:24], v[31:32], s[4:5]
	v_fma_f64 v[35:36], v[27:28], v[35:36], s[4:5]
	v_fma_f64 v[37:38], v[29:30], v[37:38], s[4:5]
	v_fma_f64 v[39:40], v[33:34], v[39:40], s[4:5]
	;; [unrolled: 6-line block ×3, first 2 shown]
	v_fma_f64 v[31:32], v[23:24], v[31:32], s[6:7]
	v_fma_f64 v[35:36], v[27:28], v[35:36], s[6:7]
	;; [unrolled: 1-line block ×4, first 2 shown]
	v_cmp_ngt_f64_e64 s6, 0xc090cc00, v[5:6]
	v_fma_f64 v[31:32], v[23:24], v[31:32], s[10:11]
	v_fma_f64 v[35:36], v[27:28], v[35:36], s[10:11]
	;; [unrolled: 1-line block ×7, first 2 shown]
	v_fma_f64 v[31:32], v[23:24], v[31:32], 1.0
	v_fma_f64 v[35:36], v[27:28], v[35:36], 1.0
	;; [unrolled: 1-line block ×3, first 2 shown]
	v_fma_f64 v[23:24], v[33:34], v[39:40], s[4:5]
	v_fma_f64 v[31:32], v[29:30], v[37:38], 1.0
	v_cvt_i32_f64_e32 v37, v[21:22]
	v_fma_f64 v[21:22], v[27:28], v[35:36], 1.0
	v_cmp_ngt_f64_e64 s4, 0xc090cc00, v[9:10]
	v_cvt_i32_f64_e32 v27, v[11:12]
	v_cmp_nlt_f64_e64 s5, 0x40900000, v[5:6]
	v_ldexp_f64 v[19:20], v[19:20], v41
	v_fma_f64 v[11:12], v[33:34], v[23:24], 1.0
	v_fma_f64 v[23:24], v[29:30], v[31:32], 1.0
	v_ldexp_f64 v[21:22], v[21:22], v37
	v_cndmask_b32_e64 v20, 0x7ff00000, v20, s3
	s_and_b32 s3, s4, s3
	v_fma_f64 v[9:10], v[33:34], v[11:12], 1.0
	v_cndmask_b32_e64 v11, 0, v19, s3
	v_ldexp_f64 v[23:24], v[23:24], v27
	v_cndmask_b32_e64 v12, 0, v20, s4
	v_cndmask_b32_e64 v22, 0x7ff00000, v22, s5
	v_cmp_nlt_f64_e64 s3, 0x40900000, v[7:8]
	v_cmp_ngt_f64_e64 s4, 0xc090cc00, v[7:8]
	s_and_b32 s5, s6, s5
	v_add_f64 v[5:6], v[11:12], 0
	v_cndmask_b32_e64 v8, 0, v22, s6
	v_cndmask_b32_e64 v7, 0, v21, s5
	v_cmp_nlt_f64_e64 s5, 0x40900000, v[3:4]
	v_cmp_ngt_f64_e64 s6, 0xc090cc00, v[3:4]
	v_ldexp_f64 v[9:10], v[9:10], v25
	v_cndmask_b32_e64 v24, 0x7ff00000, v24, s3
	s_and_b32 s3, s4, s3
	v_add_f64 v[19:20], v[5:6], v[7:8]
	v_cndmask_b32_e64 v5, 0, v23, s3
	v_cndmask_b32_e64 v6, 0, v24, s4
	s_mov_b32 s4, exec_lo
	s_and_b32 s3, s6, s5
	v_cndmask_b32_e64 v10, 0x7ff00000, v10, s5
	v_cndmask_b32_e64 v3, 0, v9, s3
	;; [unrolled: 1-line block ×3, first 2 shown]
	v_add_f64 v[19:20], v[19:20], v[5:6]
	v_add_f64 v[9:10], v[19:20], v[3:4]
	ds_bpermute_b32 v19, v0, v9
	ds_bpermute_b32 v20, v0, v10
	s_waitcnt lgkmcnt(0)
	v_add_f64 v[9:10], v[9:10], v[19:20]
	ds_bpermute_b32 v19, v13, v9
	ds_bpermute_b32 v20, v13, v10
	s_waitcnt lgkmcnt(0)
	;; [unrolled: 4-line block ×5, first 2 shown]
	v_add_f64 v[9:10], v[9:10], v[13:14]
	ds_bpermute_b32 v13, v18, v9
	ds_bpermute_b32 v14, v18, v10
	v_cmpx_lt_i32_e32 0, v15
	s_cbranch_execz .LBB370_14
; %bb.9:
	s_and_b32 exec_lo, exec_lo, vcc_lo
	s_cbranch_execz .LBB370_14
; %bb.10:
	s_waitcnt lgkmcnt(0)
	v_add_f64 v[9:10], v[9:10], v[13:14]
	v_div_scale_f64 v[13:14], null, v[9:10], v[9:10], v[11:12]
	v_div_scale_f64 v[19:20], vcc_lo, v[11:12], v[9:10], v[11:12]
	v_cmp_eq_f64_e64 s3, 0, v[9:10]
	v_rcp_f64_e32 v[15:16], v[13:14]
	v_fma_f64 v[17:18], -v[13:14], v[15:16], 1.0
	v_fma_f64 v[15:16], v[15:16], v[17:18], v[15:16]
	v_fma_f64 v[17:18], -v[13:14], v[15:16], 1.0
	v_fma_f64 v[15:16], v[15:16], v[17:18], v[15:16]
	v_mul_f64 v[17:18], v[19:20], v[15:16]
	v_fma_f64 v[13:14], -v[13:14], v[17:18], v[19:20]
	v_div_fmas_f64 v[13:14], v[13:14], v[15:16], v[17:18]
	v_add_co_u32 v0, vcc_lo, s8, v1
	v_add_co_ci_u32_e64 v1, null, s9, v2, vcc_lo
	v_div_fixup_f64 v[11:12], v[13:14], v[9:10], v[11:12]
	v_cndmask_b32_e64 v12, v12, 0x7ff80000, s3
	v_cndmask_b32_e64 v11, v11, 0, s3
	global_store_dwordx2 v[0:1], v[11:12], off
	s_and_b32 exec_lo, exec_lo, s2
	s_cbranch_execz .LBB370_14
; %bb.11:
	v_div_scale_f64 v[11:12], null, v[9:10], v[9:10], v[7:8]
	v_div_scale_f64 v[17:18], vcc_lo, v[7:8], v[9:10], v[7:8]
	v_rcp_f64_e32 v[13:14], v[11:12]
	v_fma_f64 v[15:16], -v[11:12], v[13:14], 1.0
	v_fma_f64 v[13:14], v[13:14], v[15:16], v[13:14]
	v_fma_f64 v[15:16], -v[11:12], v[13:14], 1.0
	v_fma_f64 v[13:14], v[13:14], v[15:16], v[13:14]
	v_mul_f64 v[15:16], v[17:18], v[13:14]
	v_fma_f64 v[11:12], -v[11:12], v[15:16], v[17:18]
	v_div_fmas_f64 v[11:12], v[11:12], v[13:14], v[15:16]
	v_div_fixup_f64 v[7:8], v[11:12], v[9:10], v[7:8]
	v_cndmask_b32_e64 v8, v8, 0x7ff80000, s3
	v_cndmask_b32_e64 v7, v7, 0, s3
	global_store_dwordx2 v[0:1], v[7:8], off offset:512
	s_and_b32 exec_lo, exec_lo, s1
	s_cbranch_execz .LBB370_14
; %bb.12:
	v_div_scale_f64 v[7:8], null, v[9:10], v[9:10], v[5:6]
	v_div_scale_f64 v[15:16], vcc_lo, v[5:6], v[9:10], v[5:6]
	v_rcp_f64_e32 v[11:12], v[7:8]
	v_fma_f64 v[13:14], -v[7:8], v[11:12], 1.0
	v_fma_f64 v[11:12], v[11:12], v[13:14], v[11:12]
	v_fma_f64 v[13:14], -v[7:8], v[11:12], 1.0
	v_fma_f64 v[11:12], v[11:12], v[13:14], v[11:12]
	v_mul_f64 v[13:14], v[15:16], v[11:12]
	v_fma_f64 v[7:8], -v[7:8], v[13:14], v[15:16]
	v_div_fmas_f64 v[7:8], v[7:8], v[11:12], v[13:14]
	v_div_fixup_f64 v[5:6], v[7:8], v[9:10], v[5:6]
	v_cndmask_b32_e64 v6, v6, 0x7ff80000, s3
	v_cndmask_b32_e64 v5, v5, 0, s3
	global_store_dwordx2 v[0:1], v[5:6], off offset:1024
	;; [unrolled: 17-line block ×3, first 2 shown]
.LBB370_14:
	s_endpgm
	.section	.rodata,"a",@progbits
	.p2align	6, 0x0
	.amdhsa_kernel _ZN12_GLOBAL__N_120softmax_warp_forwardIdddLi8ELb0ELb0ELi64EEEvPT0_PKT_iiiPKbib
		.amdhsa_group_segment_fixed_size 0
		.amdhsa_private_segment_fixed_size 0
		.amdhsa_kernarg_size 304
		.amdhsa_user_sgpr_count 6
		.amdhsa_user_sgpr_private_segment_buffer 1
		.amdhsa_user_sgpr_dispatch_ptr 0
		.amdhsa_user_sgpr_queue_ptr 0
		.amdhsa_user_sgpr_kernarg_segment_ptr 1
		.amdhsa_user_sgpr_dispatch_id 0
		.amdhsa_user_sgpr_flat_scratch_init 0
		.amdhsa_user_sgpr_private_segment_size 0
		.amdhsa_wavefront_size32 1
		.amdhsa_uses_dynamic_stack 0
		.amdhsa_system_sgpr_private_segment_wavefront_offset 0
		.amdhsa_system_sgpr_workgroup_id_x 1
		.amdhsa_system_sgpr_workgroup_id_y 0
		.amdhsa_system_sgpr_workgroup_id_z 0
		.amdhsa_system_sgpr_workgroup_info 0
		.amdhsa_system_vgpr_workitem_id 1
		.amdhsa_next_free_vgpr 42
		.amdhsa_next_free_sgpr 16
		.amdhsa_reserve_vcc 1
		.amdhsa_reserve_flat_scratch 0
		.amdhsa_float_round_mode_32 0
		.amdhsa_float_round_mode_16_64 0
		.amdhsa_float_denorm_mode_32 3
		.amdhsa_float_denorm_mode_16_64 3
		.amdhsa_dx10_clamp 1
		.amdhsa_ieee_mode 1
		.amdhsa_fp16_overflow 0
		.amdhsa_workgroup_processor_mode 1
		.amdhsa_memory_ordered 1
		.amdhsa_forward_progress 1
		.amdhsa_shared_vgpr_count 0
		.amdhsa_exception_fp_ieee_invalid_op 0
		.amdhsa_exception_fp_denorm_src 0
		.amdhsa_exception_fp_ieee_div_zero 0
		.amdhsa_exception_fp_ieee_overflow 0
		.amdhsa_exception_fp_ieee_underflow 0
		.amdhsa_exception_fp_ieee_inexact 0
		.amdhsa_exception_int_div_zero 0
	.end_amdhsa_kernel
	.section	.text._ZN12_GLOBAL__N_120softmax_warp_forwardIdddLi8ELb0ELb0ELi64EEEvPT0_PKT_iiiPKbib,"axG",@progbits,_ZN12_GLOBAL__N_120softmax_warp_forwardIdddLi8ELb0ELb0ELi64EEEvPT0_PKT_iiiPKbib,comdat
.Lfunc_end370:
	.size	_ZN12_GLOBAL__N_120softmax_warp_forwardIdddLi8ELb0ELb0ELi64EEEvPT0_PKT_iiiPKbib, .Lfunc_end370-_ZN12_GLOBAL__N_120softmax_warp_forwardIdddLi8ELb0ELb0ELi64EEEvPT0_PKT_iiiPKbib
                                        ; -- End function
	.set _ZN12_GLOBAL__N_120softmax_warp_forwardIdddLi8ELb0ELb0ELi64EEEvPT0_PKT_iiiPKbib.num_vgpr, 42
	.set _ZN12_GLOBAL__N_120softmax_warp_forwardIdddLi8ELb0ELb0ELi64EEEvPT0_PKT_iiiPKbib.num_agpr, 0
	.set _ZN12_GLOBAL__N_120softmax_warp_forwardIdddLi8ELb0ELb0ELi64EEEvPT0_PKT_iiiPKbib.numbered_sgpr, 16
	.set _ZN12_GLOBAL__N_120softmax_warp_forwardIdddLi8ELb0ELb0ELi64EEEvPT0_PKT_iiiPKbib.num_named_barrier, 0
	.set _ZN12_GLOBAL__N_120softmax_warp_forwardIdddLi8ELb0ELb0ELi64EEEvPT0_PKT_iiiPKbib.private_seg_size, 0
	.set _ZN12_GLOBAL__N_120softmax_warp_forwardIdddLi8ELb0ELb0ELi64EEEvPT0_PKT_iiiPKbib.uses_vcc, 1
	.set _ZN12_GLOBAL__N_120softmax_warp_forwardIdddLi8ELb0ELb0ELi64EEEvPT0_PKT_iiiPKbib.uses_flat_scratch, 0
	.set _ZN12_GLOBAL__N_120softmax_warp_forwardIdddLi8ELb0ELb0ELi64EEEvPT0_PKT_iiiPKbib.has_dyn_sized_stack, 0
	.set _ZN12_GLOBAL__N_120softmax_warp_forwardIdddLi8ELb0ELb0ELi64EEEvPT0_PKT_iiiPKbib.has_recursion, 0
	.set _ZN12_GLOBAL__N_120softmax_warp_forwardIdddLi8ELb0ELb0ELi64EEEvPT0_PKT_iiiPKbib.has_indirect_call, 0
	.section	.AMDGPU.csdata,"",@progbits
; Kernel info:
; codeLenInByte = 2460
; TotalNumSgprs: 18
; NumVgprs: 42
; ScratchSize: 0
; MemoryBound: 1
; FloatMode: 240
; IeeeMode: 1
; LDSByteSize: 0 bytes/workgroup (compile time only)
; SGPRBlocks: 0
; VGPRBlocks: 5
; NumSGPRsForWavesPerEU: 18
; NumVGPRsForWavesPerEU: 42
; Occupancy: 16
; WaveLimiterHint : 0
; COMPUTE_PGM_RSRC2:SCRATCH_EN: 0
; COMPUTE_PGM_RSRC2:USER_SGPR: 6
; COMPUTE_PGM_RSRC2:TRAP_HANDLER: 0
; COMPUTE_PGM_RSRC2:TGID_X_EN: 1
; COMPUTE_PGM_RSRC2:TGID_Y_EN: 0
; COMPUTE_PGM_RSRC2:TGID_Z_EN: 0
; COMPUTE_PGM_RSRC2:TIDIG_COMP_CNT: 1
	.section	.text._ZN12_GLOBAL__N_120softmax_warp_forwardIdddLi8ELb0ELb0ELi32EEEvPT0_PKT_iiiPKbib,"axG",@progbits,_ZN12_GLOBAL__N_120softmax_warp_forwardIdddLi8ELb0ELb0ELi32EEEvPT0_PKT_iiiPKbib,comdat
	.globl	_ZN12_GLOBAL__N_120softmax_warp_forwardIdddLi8ELb0ELb0ELi32EEEvPT0_PKT_iiiPKbib ; -- Begin function _ZN12_GLOBAL__N_120softmax_warp_forwardIdddLi8ELb0ELb0ELi32EEEvPT0_PKT_iiiPKbib
	.p2align	8
	.type	_ZN12_GLOBAL__N_120softmax_warp_forwardIdddLi8ELb0ELb0ELi32EEEvPT0_PKT_iiiPKbib,@function
_ZN12_GLOBAL__N_120softmax_warp_forwardIdddLi8ELb0ELb0ELi32EEEvPT0_PKT_iiiPKbib: ; @_ZN12_GLOBAL__N_120softmax_warp_forwardIdddLi8ELb0ELb0ELi32EEEvPT0_PKT_iiiPKbib
; %bb.0:
	s_clause 0x1
	s_load_dword s0, s[4:5], 0x3c
	s_load_dwordx8 s[12:19], s[4:5], 0x0
	v_mov_b32_e32 v15, 0
	v_mov_b32_e32 v9, 0
	;; [unrolled: 1-line block ×4, first 2 shown]
	s_waitcnt lgkmcnt(0)
	s_lshr_b32 s0, s0, 16
	v_cmp_gt_i32_e32 vcc_lo, s18, v0
	v_mad_u64_u32 v[1:2], null, s6, s0, v[1:2]
	v_mad_u64_u32 v[2:3], null, v1, s17, v[0:1]
	v_sub_nc_u32_e32 v23, s16, v1
	v_cmp_lt_i32_e64 s7, 0, v23
	v_ashrrev_i32_e32 v3, 31, v2
	s_and_b32 s1, s7, vcc_lo
	v_lshlrev_b64 v[1:2], 3, v[2:3]
	v_add_co_u32 v19, s0, s14, v1
	v_add_co_ci_u32_e64 v20, null, s15, v2, s0
	s_and_saveexec_b32 s0, s1
	s_cbranch_execz .LBB371_2
; %bb.1:
	global_load_dwordx2 v[9:10], v[19:20], off
.LBB371_2:
	s_or_b32 exec_lo, exec_lo, s0
	v_add_nc_u32_e32 v3, 32, v0
	v_cmp_gt_i32_e64 s6, s18, v3
	s_and_b32 s1, s7, s6
	s_and_saveexec_b32 s0, s1
	s_cbranch_execz .LBB371_4
; %bb.3:
	global_load_dwordx2 v[15:16], v[19:20], off offset:256
.LBB371_4:
	s_or_b32 exec_lo, exec_lo, s0
	v_add_nc_u32_e32 v3, 64, v0
	v_mov_b32_e32 v11, 0
	v_mov_b32_e32 v17, 0
	;; [unrolled: 1-line block ×4, first 2 shown]
	v_cmp_gt_i32_e64 s5, s18, v3
	s_and_b32 s1, s7, s5
	s_and_saveexec_b32 s0, s1
	s_cbranch_execz .LBB371_6
; %bb.5:
	global_load_dwordx2 v[17:18], v[19:20], off offset:512
.LBB371_6:
	s_or_b32 exec_lo, exec_lo, s0
	v_add_nc_u32_e32 v3, 0x60, v0
	v_cmp_gt_i32_e64 s4, s18, v3
	s_and_b32 s1, s7, s4
	s_and_saveexec_b32 s0, s1
	s_cbranch_execz .LBB371_8
; %bb.7:
	global_load_dwordx2 v[11:12], v[19:20], off offset:768
.LBB371_8:
	s_or_b32 exec_lo, exec_lo, s0
	v_add_nc_u32_e32 v3, 0x80, v0
	v_mov_b32_e32 v5, 0
	v_mov_b32_e32 v13, 0
	;; [unrolled: 1-line block ×4, first 2 shown]
	v_cmp_gt_i32_e64 s3, s18, v3
	s_and_b32 s1, s7, s3
	s_and_saveexec_b32 s0, s1
	s_cbranch_execz .LBB371_10
; %bb.9:
	global_load_dwordx2 v[13:14], v[19:20], off offset:1024
.LBB371_10:
	s_or_b32 exec_lo, exec_lo, s0
	v_add_nc_u32_e32 v3, 0xa0, v0
	v_cmp_gt_i32_e64 s2, s18, v3
	s_and_b32 s1, s7, s2
	s_and_saveexec_b32 s0, s1
	s_cbranch_execz .LBB371_12
; %bb.11:
	global_load_dwordx2 v[5:6], v[19:20], off offset:1280
.LBB371_12:
	s_or_b32 exec_lo, exec_lo, s0
	v_add_nc_u32_e32 v3, 0xc0, v0
	v_mov_b32_e32 v7, 0
	v_mov_b32_e32 v8, 0xfff00000
	v_cmp_gt_i32_e64 s1, s18, v3
	v_mov_b32_e32 v3, 0
	v_mov_b32_e32 v4, 0xfff00000
	s_and_b32 s8, s7, s1
	s_and_saveexec_b32 s0, s8
	s_cbranch_execz .LBB371_14
; %bb.13:
	global_load_dwordx2 v[7:8], v[19:20], off offset:1536
.LBB371_14:
	s_or_b32 exec_lo, exec_lo, s0
	v_add_nc_u32_e32 v0, 0xe0, v0
	v_cmp_gt_i32_e64 s0, s18, v0
	s_and_b32 s8, s7, s0
	s_and_saveexec_b32 s7, s8
	s_cbranch_execz .LBB371_16
; %bb.15:
	global_load_dwordx2 v[3:4], v[19:20], off offset:1792
.LBB371_16:
	s_or_b32 exec_lo, exec_lo, s7
	s_waitcnt vmcnt(0)
	v_cmp_gt_f64_e64 s7, v[9:10], v[15:16]
	v_mbcnt_lo_u32_b32 v28, -1, 0
	s_mov_b32 s18, 0xfefa39ef
	s_mov_b32 s19, 0xbfe62e42
	;; [unrolled: 1-line block ×4, first 2 shown]
	v_xor_b32_e32 v0, 16, v28
	v_xor_b32_e32 v21, 8, v28
	;; [unrolled: 1-line block ×3, first 2 shown]
	s_mov_b32 s10, 0xfca7ab0c
	s_mov_b32 s14, 0x6a5dcb37
	v_cmp_gt_i32_e64 s8, 32, v0
	s_mov_b32 s11, 0x3e928af3
	s_mov_b32 s15, 0x3e5ade15
	;; [unrolled: 1-line block ×4, first 2 shown]
	v_cndmask_b32_e64 v0, v28, v0, s8
	v_cmp_gt_i32_e64 s8, 32, v21
	s_mov_b32 s22, 0x7c89e6b0
	s_mov_b32 s23, 0x3efa0199
	;; [unrolled: 1-line block ×3, first 2 shown]
	v_lshlrev_b32_e32 v0, 2, v0
	v_cndmask_b32_e64 v20, v16, v10, s7
	v_cndmask_b32_e64 v19, v15, v9, s7
	;; [unrolled: 1-line block ×3, first 2 shown]
	v_cmp_gt_i32_e64 s8, 32, v22
	s_mov_b32 s25, 0x3f2a01a0
	s_mov_b32 s26, 0x1852b7b0
	v_cmp_gt_f64_e64 s7, v[19:20], v[17:18]
	v_lshlrev_b32_e32 v21, 2, v21
	v_cndmask_b32_e64 v22, v28, v22, s8
	s_mov_b32 s27, 0x3f56c16c
	s_mov_b32 s28, 0x11122322
	;; [unrolled: 1-line block ×4, first 2 shown]
	v_lshlrev_b32_e32 v22, 2, v22
	s_mov_b32 s31, 0x3fa55555
	s_mov_b32 s34, 0x55555511
	;; [unrolled: 1-line block ×5, first 2 shown]
	v_cndmask_b32_e64 v20, v18, v20, s7
	v_cndmask_b32_e64 v19, v17, v19, s7
	v_cmp_gt_f64_e64 s7, v[19:20], v[11:12]
	v_cndmask_b32_e64 v20, v12, v20, s7
	v_cndmask_b32_e64 v19, v11, v19, s7
	v_cmp_gt_f64_e64 s7, v[19:20], v[13:14]
	;; [unrolled: 3-line block ×5, first 2 shown]
	v_cndmask_b32_e64 v20, v4, v20, s7
	v_cndmask_b32_e64 v19, v3, v19, s7
	ds_bpermute_b32 v25, v0, v20
	ds_bpermute_b32 v24, v0, v19
	s_waitcnt lgkmcnt(0)
	v_cmp_lt_f64_e64 s7, v[19:20], v[24:25]
	v_cndmask_b32_e64 v20, v20, v25, s7
	v_cndmask_b32_e64 v19, v19, v24, s7
	ds_bpermute_b32 v25, v21, v20
	ds_bpermute_b32 v24, v21, v19
	s_waitcnt lgkmcnt(0)
	v_cmp_lt_f64_e64 s7, v[19:20], v[24:25]
	v_cndmask_b32_e64 v20, v20, v25, s7
	v_cndmask_b32_e64 v19, v19, v24, s7
	v_xor_b32_e32 v24, 2, v28
	ds_bpermute_b32 v26, v22, v20
	ds_bpermute_b32 v25, v22, v19
	v_cmp_gt_i32_e64 s8, 32, v24
	v_cndmask_b32_e64 v24, v28, v24, s8
	v_lshlrev_b32_e32 v24, 2, v24
	s_waitcnt lgkmcnt(0)
	v_cmp_lt_f64_e64 s7, v[19:20], v[25:26]
	v_cndmask_b32_e64 v20, v20, v26, s7
	v_cndmask_b32_e64 v19, v19, v25, s7
	v_xor_b32_e32 v25, 1, v28
	ds_bpermute_b32 v27, v24, v20
	ds_bpermute_b32 v26, v24, v19
	v_cmp_gt_i32_e64 s8, 32, v25
	v_cndmask_b32_e64 v25, v28, v25, s8
	s_mov_b32 s8, 0x652b82fe
	s_mov_b32 s9, 0x3ff71547
	v_lshlrev_b32_e32 v25, 2, v25
	s_waitcnt lgkmcnt(0)
	v_cmp_lt_f64_e64 s7, v[19:20], v[26:27]
	v_cndmask_b32_e64 v20, v20, v27, s7
	v_cndmask_b32_e64 v19, v19, v26, s7
	ds_bpermute_b32 v27, v25, v20
	ds_bpermute_b32 v26, v25, v19
	s_waitcnt lgkmcnt(0)
	v_cmp_lt_f64_e64 s7, v[19:20], v[26:27]
	v_cndmask_b32_e64 v20, v20, v27, s7
	v_cndmask_b32_e64 v19, v19, v26, s7
	v_add_f64 v[9:10], v[9:10], -v[19:20]
	v_add_f64 v[15:16], v[15:16], -v[19:20]
	v_add_f64 v[17:18], v[17:18], -v[19:20]
	v_add_f64 v[11:12], v[11:12], -v[19:20]
	v_add_f64 v[13:14], v[13:14], -v[19:20]
	v_add_f64 v[5:6], v[5:6], -v[19:20]
	v_add_f64 v[7:8], v[7:8], -v[19:20]
	v_add_f64 v[3:4], v[3:4], -v[19:20]
	v_mul_f64 v[26:27], v[9:10], s[8:9]
	v_mul_f64 v[28:29], v[15:16], s[8:9]
	;; [unrolled: 1-line block ×6, first 2 shown]
	v_cmp_nlt_f64_e64 s7, 0x40900000, v[9:10]
	v_mul_f64 v[54:55], v[3:4], s[8:9]
	v_rndne_f64_e32 v[26:27], v[26:27]
	v_rndne_f64_e32 v[28:29], v[28:29]
	;; [unrolled: 1-line block ×7, first 2 shown]
	v_fma_f64 v[32:33], v[26:27], s[18:19], v[9:10]
	v_fma_f64 v[34:35], v[28:29], s[18:19], v[15:16]
	;; [unrolled: 1-line block ×6, first 2 shown]
	v_cvt_i32_f64_e32 v60, v[26:27]
	v_cvt_i32_f64_e32 v61, v[28:29]
	;; [unrolled: 1-line block ×3, first 2 shown]
	v_fma_f64 v[32:33], v[26:27], s[16:17], v[32:33]
	v_fma_f64 v[34:35], v[28:29], s[16:17], v[34:35]
	;; [unrolled: 1-line block ×34, first 2 shown]
	v_mul_f64 v[38:39], v[7:8], s[8:9]
	v_fma_f64 v[40:41], v[34:35], v[40:41], s[34:35]
	v_fma_f64 v[42:43], v[36:37], v[42:43], s[34:35]
	;; [unrolled: 1-line block ×3, first 2 shown]
	v_cmp_ngt_f64_e64 s8, 0xc090cc00, v[9:10]
	v_cmp_nlt_f64_e64 s9, 0x40900000, v[15:16]
	v_fma_f64 v[19:20], v[32:33], v[19:20], s[36:37]
	v_rndne_f64_e32 v[38:39], v[38:39]
	v_fma_f64 v[40:41], v[34:35], v[40:41], s[36:37]
	v_fma_f64 v[28:29], v[36:37], v[42:43], s[36:37]
	;; [unrolled: 1-line block ×5, first 2 shown]
	v_cvt_i32_f64_e32 v48, v[48:49]
	v_fma_f64 v[19:20], v[32:33], v[19:20], 1.0
	v_fma_f64 v[26:27], v[38:39], s[18:19], v[7:8]
	v_fma_f64 v[40:41], v[34:35], v[40:41], 1.0
	v_fma_f64 v[28:29], v[36:37], v[28:29], 1.0
	v_fma_f64 v[56:57], v[52:53], v[56:57], s[20:21]
	v_fma_f64 v[58:59], v[50:51], v[58:59], 1.0
	v_fma_f64 v[19:20], v[32:33], v[19:20], 1.0
	v_fma_f64 v[32:33], v[54:55], s[18:19], v[3:4]
	v_fma_f64 v[26:27], v[38:39], s[16:17], v[26:27]
	v_fma_f64 v[34:35], v[34:35], v[40:41], 1.0
	v_fma_f64 v[40:41], v[42:43], s[14:15], s[10:11]
	v_fma_f64 v[28:29], v[36:37], v[28:29], 1.0
	v_fma_f64 v[56:57], v[52:53], v[56:57], s[22:23]
	v_cvt_i32_f64_e32 v38, v[38:39]
	v_ldexp_f64 v[19:20], v[19:20], v60
	v_fma_f64 v[32:33], v[54:55], s[16:17], v[32:33]
	v_fma_f64 v[36:37], v[26:27], s[14:15], s[10:11]
	v_ldexp_f64 v[34:35], v[34:35], v61
	v_fma_f64 v[40:41], v[42:43], v[40:41], s[20:21]
	v_cvt_i32_f64_e32 v60, v[44:45]
	v_fma_f64 v[56:57], v[52:53], v[56:57], s[24:25]
	v_fma_f64 v[44:45], v[50:51], v[58:59], 1.0
	v_ldexp_f64 v[28:29], v[28:29], v62
	v_cvt_i32_f64_e32 v51, v[46:47]
	v_cndmask_b32_e64 v20, 0x7ff00000, v20, s7
	v_fma_f64 v[30:31], v[32:33], s[14:15], s[10:11]
	v_fma_f64 v[36:37], v[26:27], v[36:37], s[20:21]
	v_cmp_ngt_f64_e64 s10, 0xc090cc00, v[15:16]
	v_fma_f64 v[40:41], v[42:43], v[40:41], s[22:23]
	s_and_b32 s7, s8, s7
	v_fma_f64 v[56:57], v[52:53], v[56:57], s[26:27]
	v_cndmask_b32_e64 v20, 0, v20, s8
	v_cndmask_b32_e64 v19, 0, v19, s7
	;; [unrolled: 1-line block ×3, first 2 shown]
	v_cmp_nlt_f64_e64 s7, 0x40900000, v[17:18]
	v_cmp_ngt_f64_e64 s8, 0xc090cc00, v[17:18]
	v_ldexp_f64 v[44:45], v[44:45], v60
	v_add_f64 v[15:16], v[19:20], 0
	v_fma_f64 v[30:31], v[32:33], v[30:31], s[20:21]
	v_fma_f64 v[36:37], v[26:27], v[36:37], s[22:23]
	s_and_b32 s9, s10, s9
	v_fma_f64 v[40:41], v[42:43], v[40:41], s[24:25]
	v_cndmask_b32_e64 v18, 0, v50, s10
	v_fma_f64 v[56:57], v[52:53], v[56:57], s[28:29]
	v_cndmask_b32_e64 v17, 0, v34, s9
	v_cmp_nlt_f64_e64 s9, 0x40900000, v[11:12]
	v_cmp_ngt_f64_e64 s10, 0xc090cc00, v[11:12]
	v_add_f64 v[46:47], v[15:16], v[17:18]
	v_fma_f64 v[30:31], v[32:33], v[30:31], s[22:23]
	v_fma_f64 v[36:37], v[26:27], v[36:37], s[24:25]
	;; [unrolled: 1-line block ×18, first 2 shown]
	v_fma_f64 v[40:41], v[52:53], v[56:57], 1.0
	v_fma_f64 v[9:10], v[32:33], v[9:10], s[34:35]
	v_fma_f64 v[30:31], v[26:27], v[30:31], s[36:37]
	v_fma_f64 v[35:36], v[42:43], v[36:37], 1.0
	v_fma_f64 v[40:41], v[52:53], v[40:41], 1.0
	v_cndmask_b32_e64 v52, 0x7ff00000, v29, s7
	s_and_b32 s7, s8, s7
	v_cndmask_b32_e64 v15, 0, v28, s7
	v_cmp_nlt_f64_e64 s7, 0x40900000, v[13:14]
	v_cndmask_b32_e64 v16, 0, v52, s8
	v_cmp_ngt_f64_e64 s8, 0xc090cc00, v[13:14]
	v_add_f64 v[11:12], v[46:47], v[15:16]
	v_fma_f64 v[9:10], v[32:33], v[9:10], s[36:37]
	v_fma_f64 v[29:30], v[26:27], v[30:31], 1.0
	v_cndmask_b32_e64 v31, 0x7ff00000, v45, s9
	v_fma_f64 v[34:35], v[42:43], v[35:36], 1.0
	v_ldexp_f64 v[36:37], v[40:41], v51
	s_and_b32 s9, s10, s9
	v_cndmask_b32_e64 v14, 0, v31, s10
	v_cndmask_b32_e64 v13, 0, v44, s9
	v_cmp_nlt_f64_e64 s9, 0x40900000, v[5:6]
	v_cmp_ngt_f64_e64 s10, 0xc090cc00, v[5:6]
	v_fma_f64 v[9:10], v[32:33], v[9:10], 1.0
	v_fma_f64 v[26:27], v[26:27], v[29:30], 1.0
	v_add_f64 v[30:31], v[11:12], v[13:14]
	v_ldexp_f64 v[28:29], v[34:35], v48
	v_cndmask_b32_e64 v34, 0x7ff00000, v37, s7
	s_and_b32 s7, s8, s7
	v_cvt_i32_f64_e32 v35, v[54:55]
	v_cndmask_b32_e64 v11, 0, v36, s7
	v_cmp_nlt_f64_e64 s7, 0x40900000, v[7:8]
	v_cndmask_b32_e64 v12, 0, v34, s8
	v_cmp_ngt_f64_e64 s8, 0xc090cc00, v[7:8]
	v_fma_f64 v[9:10], v[32:33], v[9:10], 1.0
	v_ldexp_f64 v[26:27], v[26:27], v38
	v_add_f64 v[5:6], v[30:31], v[11:12]
	v_cndmask_b32_e64 v29, 0x7ff00000, v29, s9
	s_and_b32 s9, s10, s9
	v_cndmask_b32_e64 v7, 0, v28, s9
	v_cmp_nlt_f64_e64 s9, 0x40900000, v[3:4]
	v_cndmask_b32_e64 v8, 0, v29, s10
	v_cmp_ngt_f64_e64 s10, 0xc090cc00, v[3:4]
	v_ldexp_f64 v[9:10], v[9:10], v35
	v_cndmask_b32_e64 v30, 0x7ff00000, v27, s7
	v_add_f64 v[27:28], v[5:6], v[7:8]
	s_and_b32 s7, s8, s7
	v_cndmask_b32_e64 v5, 0, v26, s7
	v_cndmask_b32_e64 v6, 0, v30, s8
	s_mov_b32 s8, exec_lo
	s_and_b32 s7, s10, s9
	v_cndmask_b32_e64 v10, 0x7ff00000, v10, s9
	v_cndmask_b32_e64 v3, 0, v9, s7
	v_add_f64 v[26:27], v[27:28], v[5:6]
	v_cndmask_b32_e64 v4, 0, v10, s10
	v_add_f64 v[9:10], v[26:27], v[3:4]
	ds_bpermute_b32 v26, v0, v9
	ds_bpermute_b32 v27, v0, v10
	s_waitcnt lgkmcnt(0)
	v_add_f64 v[9:10], v[9:10], v[26:27]
	ds_bpermute_b32 v26, v21, v9
	ds_bpermute_b32 v27, v21, v10
	s_waitcnt lgkmcnt(0)
	;; [unrolled: 4-line block ×4, first 2 shown]
	v_add_f64 v[9:10], v[9:10], v[21:22]
	ds_bpermute_b32 v21, v25, v9
	ds_bpermute_b32 v22, v25, v10
	v_cmpx_lt_i32_e32 0, v23
	s_cbranch_execz .LBB371_26
; %bb.17:
	s_and_b32 exec_lo, exec_lo, vcc_lo
	s_cbranch_execz .LBB371_26
; %bb.18:
	s_waitcnt lgkmcnt(0)
	v_add_f64 v[9:10], v[9:10], v[21:22]
	v_div_scale_f64 v[21:22], null, v[9:10], v[9:10], v[19:20]
	v_div_scale_f64 v[27:28], vcc_lo, v[19:20], v[9:10], v[19:20]
	v_cmp_eq_f64_e64 s7, 0, v[9:10]
	v_rcp_f64_e32 v[23:24], v[21:22]
	v_fma_f64 v[25:26], -v[21:22], v[23:24], 1.0
	v_fma_f64 v[23:24], v[23:24], v[25:26], v[23:24]
	v_fma_f64 v[25:26], -v[21:22], v[23:24], 1.0
	v_fma_f64 v[23:24], v[23:24], v[25:26], v[23:24]
	v_mul_f64 v[25:26], v[27:28], v[23:24]
	v_fma_f64 v[21:22], -v[21:22], v[25:26], v[27:28]
	v_div_fmas_f64 v[21:22], v[21:22], v[23:24], v[25:26]
	v_add_co_u32 v0, vcc_lo, s12, v1
	v_add_co_ci_u32_e64 v1, null, s13, v2, vcc_lo
	v_div_fixup_f64 v[19:20], v[21:22], v[9:10], v[19:20]
	v_cndmask_b32_e64 v20, v20, 0x7ff80000, s7
	v_cndmask_b32_e64 v19, v19, 0, s7
	global_store_dwordx2 v[0:1], v[19:20], off
	s_and_b32 exec_lo, exec_lo, s6
	s_cbranch_execz .LBB371_26
; %bb.19:
	v_div_scale_f64 v[19:20], null, v[9:10], v[9:10], v[17:18]
	v_div_scale_f64 v[25:26], vcc_lo, v[17:18], v[9:10], v[17:18]
	v_rcp_f64_e32 v[21:22], v[19:20]
	v_fma_f64 v[23:24], -v[19:20], v[21:22], 1.0
	v_fma_f64 v[21:22], v[21:22], v[23:24], v[21:22]
	v_fma_f64 v[23:24], -v[19:20], v[21:22], 1.0
	v_fma_f64 v[21:22], v[21:22], v[23:24], v[21:22]
	v_mul_f64 v[23:24], v[25:26], v[21:22]
	v_fma_f64 v[19:20], -v[19:20], v[23:24], v[25:26]
	v_div_fmas_f64 v[19:20], v[19:20], v[21:22], v[23:24]
	v_div_fixup_f64 v[17:18], v[19:20], v[9:10], v[17:18]
	v_cndmask_b32_e64 v18, v18, 0x7ff80000, s7
	v_cndmask_b32_e64 v17, v17, 0, s7
	global_store_dwordx2 v[0:1], v[17:18], off offset:256
	s_and_b32 exec_lo, exec_lo, s5
	s_cbranch_execz .LBB371_26
; %bb.20:
	v_div_scale_f64 v[17:18], null, v[9:10], v[9:10], v[15:16]
	v_div_scale_f64 v[23:24], vcc_lo, v[15:16], v[9:10], v[15:16]
	v_rcp_f64_e32 v[19:20], v[17:18]
	v_fma_f64 v[21:22], -v[17:18], v[19:20], 1.0
	v_fma_f64 v[19:20], v[19:20], v[21:22], v[19:20]
	v_fma_f64 v[21:22], -v[17:18], v[19:20], 1.0
	v_fma_f64 v[19:20], v[19:20], v[21:22], v[19:20]
	v_mul_f64 v[21:22], v[23:24], v[19:20]
	v_fma_f64 v[17:18], -v[17:18], v[21:22], v[23:24]
	v_div_fmas_f64 v[17:18], v[17:18], v[19:20], v[21:22]
	v_div_fixup_f64 v[15:16], v[17:18], v[9:10], v[15:16]
	v_cndmask_b32_e64 v16, v16, 0x7ff80000, s7
	v_cndmask_b32_e64 v15, v15, 0, s7
	global_store_dwordx2 v[0:1], v[15:16], off offset:512
	s_and_b32 exec_lo, exec_lo, s4
	s_cbranch_execz .LBB371_26
; %bb.21:
	v_div_scale_f64 v[15:16], null, v[9:10], v[9:10], v[13:14]
	v_div_scale_f64 v[21:22], vcc_lo, v[13:14], v[9:10], v[13:14]
	v_rcp_f64_e32 v[17:18], v[15:16]
	v_fma_f64 v[19:20], -v[15:16], v[17:18], 1.0
	v_fma_f64 v[17:18], v[17:18], v[19:20], v[17:18]
	v_fma_f64 v[19:20], -v[15:16], v[17:18], 1.0
	v_fma_f64 v[17:18], v[17:18], v[19:20], v[17:18]
	v_mul_f64 v[19:20], v[21:22], v[17:18]
	v_fma_f64 v[15:16], -v[15:16], v[19:20], v[21:22]
	v_div_fmas_f64 v[15:16], v[15:16], v[17:18], v[19:20]
	v_div_fixup_f64 v[13:14], v[15:16], v[9:10], v[13:14]
	v_cndmask_b32_e64 v14, v14, 0x7ff80000, s7
	v_cndmask_b32_e64 v13, v13, 0, s7
	global_store_dwordx2 v[0:1], v[13:14], off offset:768
	s_and_b32 exec_lo, exec_lo, s3
	s_cbranch_execz .LBB371_26
; %bb.22:
	v_div_scale_f64 v[13:14], null, v[9:10], v[9:10], v[11:12]
	v_div_scale_f64 v[19:20], vcc_lo, v[11:12], v[9:10], v[11:12]
	v_rcp_f64_e32 v[15:16], v[13:14]
	v_fma_f64 v[17:18], -v[13:14], v[15:16], 1.0
	v_fma_f64 v[15:16], v[15:16], v[17:18], v[15:16]
	v_fma_f64 v[17:18], -v[13:14], v[15:16], 1.0
	v_fma_f64 v[15:16], v[15:16], v[17:18], v[15:16]
	v_mul_f64 v[17:18], v[19:20], v[15:16]
	v_fma_f64 v[13:14], -v[13:14], v[17:18], v[19:20]
	v_div_fmas_f64 v[13:14], v[13:14], v[15:16], v[17:18]
	v_div_fixup_f64 v[11:12], v[13:14], v[9:10], v[11:12]
	v_cndmask_b32_e64 v12, v12, 0x7ff80000, s7
	v_cndmask_b32_e64 v11, v11, 0, s7
	global_store_dwordx2 v[0:1], v[11:12], off offset:1024
	s_and_b32 exec_lo, exec_lo, s2
	s_cbranch_execz .LBB371_26
; %bb.23:
	v_div_scale_f64 v[11:12], null, v[9:10], v[9:10], v[7:8]
	v_div_scale_f64 v[17:18], vcc_lo, v[7:8], v[9:10], v[7:8]
	v_rcp_f64_e32 v[13:14], v[11:12]
	v_fma_f64 v[15:16], -v[11:12], v[13:14], 1.0
	v_fma_f64 v[13:14], v[13:14], v[15:16], v[13:14]
	v_fma_f64 v[15:16], -v[11:12], v[13:14], 1.0
	v_fma_f64 v[13:14], v[13:14], v[15:16], v[13:14]
	v_mul_f64 v[15:16], v[17:18], v[13:14]
	v_fma_f64 v[11:12], -v[11:12], v[15:16], v[17:18]
	v_div_fmas_f64 v[11:12], v[11:12], v[13:14], v[15:16]
	v_div_fixup_f64 v[7:8], v[11:12], v[9:10], v[7:8]
	v_cndmask_b32_e64 v8, v8, 0x7ff80000, s7
	v_cndmask_b32_e64 v7, v7, 0, s7
	global_store_dwordx2 v[0:1], v[7:8], off offset:1280
	s_and_b32 exec_lo, exec_lo, s1
	s_cbranch_execz .LBB371_26
; %bb.24:
	v_div_scale_f64 v[7:8], null, v[9:10], v[9:10], v[5:6]
	v_div_scale_f64 v[15:16], vcc_lo, v[5:6], v[9:10], v[5:6]
	v_rcp_f64_e32 v[11:12], v[7:8]
	v_fma_f64 v[13:14], -v[7:8], v[11:12], 1.0
	v_fma_f64 v[11:12], v[11:12], v[13:14], v[11:12]
	v_fma_f64 v[13:14], -v[7:8], v[11:12], 1.0
	v_fma_f64 v[11:12], v[11:12], v[13:14], v[11:12]
	v_mul_f64 v[13:14], v[15:16], v[11:12]
	v_fma_f64 v[7:8], -v[7:8], v[13:14], v[15:16]
	v_div_fmas_f64 v[7:8], v[7:8], v[11:12], v[13:14]
	v_div_fixup_f64 v[5:6], v[7:8], v[9:10], v[5:6]
	v_cndmask_b32_e64 v6, v6, 0x7ff80000, s7
	v_cndmask_b32_e64 v5, v5, 0, s7
	global_store_dwordx2 v[0:1], v[5:6], off offset:1536
	s_and_b32 exec_lo, exec_lo, s0
	s_cbranch_execz .LBB371_26
; %bb.25:
	v_div_scale_f64 v[5:6], null, v[9:10], v[9:10], v[3:4]
	v_div_scale_f64 v[13:14], vcc_lo, v[3:4], v[9:10], v[3:4]
	v_rcp_f64_e32 v[7:8], v[5:6]
	v_fma_f64 v[11:12], -v[5:6], v[7:8], 1.0
	v_fma_f64 v[7:8], v[7:8], v[11:12], v[7:8]
	v_fma_f64 v[11:12], -v[5:6], v[7:8], 1.0
	v_fma_f64 v[7:8], v[7:8], v[11:12], v[7:8]
	v_mul_f64 v[11:12], v[13:14], v[7:8]
	v_fma_f64 v[5:6], -v[5:6], v[11:12], v[13:14]
	v_div_fmas_f64 v[5:6], v[5:6], v[7:8], v[11:12]
	v_div_fixup_f64 v[2:3], v[5:6], v[9:10], v[3:4]
	v_cndmask_b32_e64 v3, v3, 0x7ff80000, s7
	v_cndmask_b32_e64 v2, v2, 0, s7
	global_store_dwordx2 v[0:1], v[2:3], off offset:1792
.LBB371_26:
	s_endpgm
	.section	.rodata,"a",@progbits
	.p2align	6, 0x0
	.amdhsa_kernel _ZN12_GLOBAL__N_120softmax_warp_forwardIdddLi8ELb0ELb0ELi32EEEvPT0_PKT_iiiPKbib
		.amdhsa_group_segment_fixed_size 0
		.amdhsa_private_segment_fixed_size 0
		.amdhsa_kernarg_size 304
		.amdhsa_user_sgpr_count 6
		.amdhsa_user_sgpr_private_segment_buffer 1
		.amdhsa_user_sgpr_dispatch_ptr 0
		.amdhsa_user_sgpr_queue_ptr 0
		.amdhsa_user_sgpr_kernarg_segment_ptr 1
		.amdhsa_user_sgpr_dispatch_id 0
		.amdhsa_user_sgpr_flat_scratch_init 0
		.amdhsa_user_sgpr_private_segment_size 0
		.amdhsa_wavefront_size32 1
		.amdhsa_uses_dynamic_stack 0
		.amdhsa_system_sgpr_private_segment_wavefront_offset 0
		.amdhsa_system_sgpr_workgroup_id_x 1
		.amdhsa_system_sgpr_workgroup_id_y 0
		.amdhsa_system_sgpr_workgroup_id_z 0
		.amdhsa_system_sgpr_workgroup_info 0
		.amdhsa_system_vgpr_workitem_id 1
		.amdhsa_next_free_vgpr 63
		.amdhsa_next_free_sgpr 38
		.amdhsa_reserve_vcc 1
		.amdhsa_reserve_flat_scratch 0
		.amdhsa_float_round_mode_32 0
		.amdhsa_float_round_mode_16_64 0
		.amdhsa_float_denorm_mode_32 3
		.amdhsa_float_denorm_mode_16_64 3
		.amdhsa_dx10_clamp 1
		.amdhsa_ieee_mode 1
		.amdhsa_fp16_overflow 0
		.amdhsa_workgroup_processor_mode 1
		.amdhsa_memory_ordered 1
		.amdhsa_forward_progress 1
		.amdhsa_shared_vgpr_count 0
		.amdhsa_exception_fp_ieee_invalid_op 0
		.amdhsa_exception_fp_denorm_src 0
		.amdhsa_exception_fp_ieee_div_zero 0
		.amdhsa_exception_fp_ieee_overflow 0
		.amdhsa_exception_fp_ieee_underflow 0
		.amdhsa_exception_fp_ieee_inexact 0
		.amdhsa_exception_int_div_zero 0
	.end_amdhsa_kernel
	.section	.text._ZN12_GLOBAL__N_120softmax_warp_forwardIdddLi8ELb0ELb0ELi32EEEvPT0_PKT_iiiPKbib,"axG",@progbits,_ZN12_GLOBAL__N_120softmax_warp_forwardIdddLi8ELb0ELb0ELi32EEEvPT0_PKT_iiiPKbib,comdat
.Lfunc_end371:
	.size	_ZN12_GLOBAL__N_120softmax_warp_forwardIdddLi8ELb0ELb0ELi32EEEvPT0_PKT_iiiPKbib, .Lfunc_end371-_ZN12_GLOBAL__N_120softmax_warp_forwardIdddLi8ELb0ELb0ELi32EEEvPT0_PKT_iiiPKbib
                                        ; -- End function
	.set _ZN12_GLOBAL__N_120softmax_warp_forwardIdddLi8ELb0ELb0ELi32EEEvPT0_PKT_iiiPKbib.num_vgpr, 63
	.set _ZN12_GLOBAL__N_120softmax_warp_forwardIdddLi8ELb0ELb0ELi32EEEvPT0_PKT_iiiPKbib.num_agpr, 0
	.set _ZN12_GLOBAL__N_120softmax_warp_forwardIdddLi8ELb0ELb0ELi32EEEvPT0_PKT_iiiPKbib.numbered_sgpr, 38
	.set _ZN12_GLOBAL__N_120softmax_warp_forwardIdddLi8ELb0ELb0ELi32EEEvPT0_PKT_iiiPKbib.num_named_barrier, 0
	.set _ZN12_GLOBAL__N_120softmax_warp_forwardIdddLi8ELb0ELb0ELi32EEEvPT0_PKT_iiiPKbib.private_seg_size, 0
	.set _ZN12_GLOBAL__N_120softmax_warp_forwardIdddLi8ELb0ELb0ELi32EEEvPT0_PKT_iiiPKbib.uses_vcc, 1
	.set _ZN12_GLOBAL__N_120softmax_warp_forwardIdddLi8ELb0ELb0ELi32EEEvPT0_PKT_iiiPKbib.uses_flat_scratch, 0
	.set _ZN12_GLOBAL__N_120softmax_warp_forwardIdddLi8ELb0ELb0ELi32EEEvPT0_PKT_iiiPKbib.has_dyn_sized_stack, 0
	.set _ZN12_GLOBAL__N_120softmax_warp_forwardIdddLi8ELb0ELb0ELi32EEEvPT0_PKT_iiiPKbib.has_recursion, 0
	.set _ZN12_GLOBAL__N_120softmax_warp_forwardIdddLi8ELb0ELb0ELi32EEEvPT0_PKT_iiiPKbib.has_indirect_call, 0
	.section	.AMDGPU.csdata,"",@progbits
; Kernel info:
; codeLenInByte = 3944
; TotalNumSgprs: 40
; NumVgprs: 63
; ScratchSize: 0
; MemoryBound: 1
; FloatMode: 240
; IeeeMode: 1
; LDSByteSize: 0 bytes/workgroup (compile time only)
; SGPRBlocks: 0
; VGPRBlocks: 7
; NumSGPRsForWavesPerEU: 40
; NumVGPRsForWavesPerEU: 63
; Occupancy: 16
; WaveLimiterHint : 0
; COMPUTE_PGM_RSRC2:SCRATCH_EN: 0
; COMPUTE_PGM_RSRC2:USER_SGPR: 6
; COMPUTE_PGM_RSRC2:TRAP_HANDLER: 0
; COMPUTE_PGM_RSRC2:TGID_X_EN: 1
; COMPUTE_PGM_RSRC2:TGID_Y_EN: 0
; COMPUTE_PGM_RSRC2:TGID_Z_EN: 0
; COMPUTE_PGM_RSRC2:TIDIG_COMP_CNT: 1
	.section	.text._ZN12_GLOBAL__N_120softmax_warp_forwardIdddLi9ELb0ELb0ELi64EEEvPT0_PKT_iiiPKbib,"axG",@progbits,_ZN12_GLOBAL__N_120softmax_warp_forwardIdddLi9ELb0ELb0ELi64EEEvPT0_PKT_iiiPKbib,comdat
	.globl	_ZN12_GLOBAL__N_120softmax_warp_forwardIdddLi9ELb0ELb0ELi64EEEvPT0_PKT_iiiPKbib ; -- Begin function _ZN12_GLOBAL__N_120softmax_warp_forwardIdddLi9ELb0ELb0ELi64EEEvPT0_PKT_iiiPKbib
	.p2align	8
	.type	_ZN12_GLOBAL__N_120softmax_warp_forwardIdddLi9ELb0ELb0ELi64EEEvPT0_PKT_iiiPKbib,@function
_ZN12_GLOBAL__N_120softmax_warp_forwardIdddLi9ELb0ELb0ELi64EEEvPT0_PKT_iiiPKbib: ; @_ZN12_GLOBAL__N_120softmax_warp_forwardIdddLi9ELb0ELb0ELi64EEEvPT0_PKT_iiiPKbib
; %bb.0:
	s_clause 0x1
	s_load_dword s0, s[4:5], 0x3c
	s_load_dwordx8 s[12:19], s[4:5], 0x0
	v_mov_b32_e32 v13, 0
	v_mov_b32_e32 v15, 0
	;; [unrolled: 1-line block ×4, first 2 shown]
	s_waitcnt lgkmcnt(0)
	s_lshr_b32 s0, s0, 16
	v_cmp_gt_i32_e32 vcc_lo, s18, v0
	v_mad_u64_u32 v[1:2], null, s6, s0, v[1:2]
	v_mad_u64_u32 v[2:3], null, v1, s17, v[0:1]
	v_sub_nc_u32_e32 v23, s16, v1
	v_cmp_lt_i32_e64 s7, 0, v23
	v_ashrrev_i32_e32 v3, 31, v2
	s_and_b32 s1, s7, vcc_lo
	v_lshlrev_b64 v[1:2], 3, v[2:3]
	v_add_co_u32 v19, s0, s14, v1
	v_add_co_ci_u32_e64 v20, null, s15, v2, s0
	s_and_saveexec_b32 s0, s1
	s_cbranch_execz .LBB372_2
; %bb.1:
	global_load_dwordx2 v[15:16], v[19:20], off
.LBB372_2:
	s_or_b32 exec_lo, exec_lo, s0
	v_add_nc_u32_e32 v3, 64, v0
	v_cmp_gt_i32_e64 s6, s18, v3
	s_and_b32 s1, s7, s6
	s_and_saveexec_b32 s0, s1
	s_cbranch_execz .LBB372_4
; %bb.3:
	global_load_dwordx2 v[13:14], v[19:20], off offset:512
.LBB372_4:
	s_or_b32 exec_lo, exec_lo, s0
	v_add_nc_u32_e32 v3, 0x80, v0
	v_mov_b32_e32 v9, 0
	v_mov_b32_e32 v17, 0
	v_mov_b32_e32 v10, 0xfff00000
	v_mov_b32_e32 v18, 0xfff00000
	v_cmp_gt_i32_e64 s5, s18, v3
	s_and_b32 s1, s7, s5
	s_and_saveexec_b32 s0, s1
	s_cbranch_execz .LBB372_6
; %bb.5:
	global_load_dwordx2 v[17:18], v[19:20], off offset:1024
.LBB372_6:
	s_or_b32 exec_lo, exec_lo, s0
	v_add_nc_u32_e32 v3, 0xc0, v0
	v_cmp_gt_i32_e64 s4, s18, v3
	s_and_b32 s1, s7, s4
	s_and_saveexec_b32 s0, s1
	s_cbranch_execz .LBB372_8
; %bb.7:
	global_load_dwordx2 v[9:10], v[19:20], off offset:1536
.LBB372_8:
	s_or_b32 exec_lo, exec_lo, s0
	v_add_nc_u32_e32 v3, 0x100, v0
	v_mov_b32_e32 v5, 0
	v_mov_b32_e32 v11, 0
	;; [unrolled: 1-line block ×4, first 2 shown]
	v_cmp_gt_i32_e64 s3, s18, v3
	s_and_b32 s0, s7, s3
	s_and_saveexec_b32 s1, s0
	s_cbranch_execz .LBB372_10
; %bb.9:
	v_add_co_u32 v3, s0, 0x800, v19
	v_add_co_ci_u32_e64 v4, null, 0, v20, s0
	global_load_dwordx2 v[11:12], v[3:4], off
.LBB372_10:
	s_or_b32 exec_lo, exec_lo, s1
	v_add_nc_u32_e32 v3, 0x140, v0
	v_cmp_gt_i32_e64 s2, s18, v3
	s_and_b32 s0, s7, s2
	s_and_saveexec_b32 s1, s0
	s_cbranch_execz .LBB372_12
; %bb.11:
	v_add_co_u32 v3, s0, 0x800, v19
	v_add_co_ci_u32_e64 v4, null, 0, v20, s0
	global_load_dwordx2 v[5:6], v[3:4], off offset:512
.LBB372_12:
	s_or_b32 exec_lo, exec_lo, s1
	v_add_nc_u32_e32 v3, 0x180, v0
	v_mov_b32_e32 v7, 0
	v_mov_b32_e32 v8, 0xfff00000
	v_cmp_gt_i32_e64 s1, s18, v3
	v_mov_b32_e32 v3, 0
	v_mov_b32_e32 v4, 0xfff00000
	s_and_b32 s0, s7, s1
	s_and_saveexec_b32 s8, s0
	s_cbranch_execz .LBB372_14
; %bb.13:
	v_add_co_u32 v7, s0, 0x800, v19
	v_add_co_ci_u32_e64 v8, null, 0, v20, s0
	global_load_dwordx2 v[7:8], v[7:8], off offset:1024
.LBB372_14:
	s_or_b32 exec_lo, exec_lo, s8
	v_add_nc_u32_e32 v0, 0x1c0, v0
	v_cmp_gt_i32_e64 s0, s18, v0
	s_and_b32 s7, s7, s0
	s_and_saveexec_b32 s8, s7
	s_cbranch_execz .LBB372_16
; %bb.15:
	v_add_co_u32 v3, s7, 0x800, v19
	v_add_co_ci_u32_e64 v4, null, 0, v20, s7
	global_load_dwordx2 v[3:4], v[3:4], off offset:1536
.LBB372_16:
	s_or_b32 exec_lo, exec_lo, s8
	s_waitcnt vmcnt(0)
	v_cmp_gt_f64_e64 s7, v[15:16], v[13:14]
	v_mbcnt_lo_u32_b32 v29, -1, 0
	s_mov_b32 s20, 0xfefa39ef
	s_mov_b32 s21, 0xbfe62e42
	;; [unrolled: 1-line block ×4, first 2 shown]
	v_or_b32_e32 v0, 32, v29
	v_xor_b32_e32 v21, 16, v29
	v_xor_b32_e32 v22, 8, v29
	s_mov_b32 s10, 0xfca7ab0c
	s_mov_b32 s14, 0x6a5dcb37
	v_cmp_gt_i32_e64 s8, 64, v0
	s_mov_b32 s11, 0x3e928af3
	s_mov_b32 s15, 0x3e5ade15
	;; [unrolled: 1-line block ×4, first 2 shown]
	v_cndmask_b32_e64 v0, v29, v0, s8
	v_cmp_gt_i32_e64 s8, 64, v21
	s_mov_b32 s22, 0x7c89e6b0
	s_mov_b32 s23, 0x3efa0199
	;; [unrolled: 1-line block ×3, first 2 shown]
	v_lshlrev_b32_e32 v0, 2, v0
	v_cndmask_b32_e64 v20, v14, v16, s7
	v_cndmask_b32_e64 v19, v13, v15, s7
	;; [unrolled: 1-line block ×3, first 2 shown]
	v_cmp_gt_i32_e64 s8, 64, v22
	s_mov_b32 s25, 0x3f2a01a0
	s_mov_b32 s26, 0x1852b7b0
	v_cmp_gt_f64_e64 s7, v[19:20], v[17:18]
	v_lshlrev_b32_e32 v21, 2, v21
	v_cndmask_b32_e64 v22, v29, v22, s8
	s_mov_b32 s27, 0x3f56c16c
	s_mov_b32 s28, 0x11122322
	;; [unrolled: 1-line block ×4, first 2 shown]
	v_lshlrev_b32_e32 v22, 2, v22
	s_mov_b32 s31, 0x3fa55555
	s_mov_b32 s34, 0x55555511
	;; [unrolled: 1-line block ×5, first 2 shown]
	v_cndmask_b32_e64 v20, v18, v20, s7
	v_cndmask_b32_e64 v19, v17, v19, s7
	v_cmp_gt_f64_e64 s7, v[19:20], v[9:10]
	v_cndmask_b32_e64 v20, v10, v20, s7
	v_cndmask_b32_e64 v19, v9, v19, s7
	v_cmp_gt_f64_e64 s7, v[19:20], v[11:12]
	;; [unrolled: 3-line block ×5, first 2 shown]
	v_cndmask_b32_e64 v20, v4, v20, s7
	v_cndmask_b32_e64 v19, v3, v19, s7
	ds_bpermute_b32 v25, v0, v20
	ds_bpermute_b32 v24, v0, v19
	s_waitcnt lgkmcnt(0)
	v_cmp_lt_f64_e64 s7, v[19:20], v[24:25]
	v_cndmask_b32_e64 v20, v20, v25, s7
	v_cndmask_b32_e64 v19, v19, v24, s7
	ds_bpermute_b32 v25, v21, v20
	ds_bpermute_b32 v24, v21, v19
	s_waitcnt lgkmcnt(0)
	v_cmp_lt_f64_e64 s7, v[19:20], v[24:25]
	v_cndmask_b32_e64 v20, v20, v25, s7
	v_cndmask_b32_e64 v19, v19, v24, s7
	v_xor_b32_e32 v24, 4, v29
	ds_bpermute_b32 v26, v22, v20
	ds_bpermute_b32 v25, v22, v19
	v_cmp_gt_i32_e64 s8, 64, v24
	v_cndmask_b32_e64 v24, v29, v24, s8
	v_lshlrev_b32_e32 v24, 2, v24
	s_waitcnt lgkmcnt(0)
	v_cmp_lt_f64_e64 s7, v[19:20], v[25:26]
	v_cndmask_b32_e64 v20, v20, v26, s7
	v_cndmask_b32_e64 v19, v19, v25, s7
	v_xor_b32_e32 v25, 2, v29
	ds_bpermute_b32 v27, v24, v20
	ds_bpermute_b32 v26, v24, v19
	v_cmp_gt_i32_e64 s8, 64, v25
	v_cndmask_b32_e64 v25, v29, v25, s8
	v_lshlrev_b32_e32 v25, 2, v25
	s_waitcnt lgkmcnt(0)
	v_cmp_lt_f64_e64 s7, v[19:20], v[26:27]
	v_cndmask_b32_e64 v20, v20, v27, s7
	v_cndmask_b32_e64 v19, v19, v26, s7
	v_xor_b32_e32 v26, 1, v29
	ds_bpermute_b32 v28, v25, v20
	ds_bpermute_b32 v27, v25, v19
	v_cmp_gt_i32_e64 s8, 64, v26
	v_cndmask_b32_e64 v26, v29, v26, s8
	s_mov_b32 s8, 0x652b82fe
	s_mov_b32 s9, 0x3ff71547
	v_lshlrev_b32_e32 v26, 2, v26
	s_waitcnt lgkmcnt(0)
	v_cmp_lt_f64_e64 s7, v[19:20], v[27:28]
	v_cndmask_b32_e64 v20, v20, v28, s7
	v_cndmask_b32_e64 v19, v19, v27, s7
	ds_bpermute_b32 v28, v26, v20
	ds_bpermute_b32 v27, v26, v19
	s_waitcnt lgkmcnt(0)
	v_cmp_lt_f64_e64 s7, v[19:20], v[27:28]
	v_cndmask_b32_e64 v20, v20, v28, s7
	v_cndmask_b32_e64 v19, v19, v27, s7
	v_add_f64 v[15:16], v[15:16], -v[19:20]
	v_add_f64 v[13:14], v[13:14], -v[19:20]
	;; [unrolled: 1-line block ×8, first 2 shown]
	v_mul_f64 v[27:28], v[15:16], s[8:9]
	v_mul_f64 v[29:30], v[13:14], s[8:9]
	;; [unrolled: 1-line block ×6, first 2 shown]
	v_cmp_nlt_f64_e64 s7, 0x40900000, v[15:16]
	v_mul_f64 v[55:56], v[3:4], s[8:9]
	v_rndne_f64_e32 v[27:28], v[27:28]
	v_rndne_f64_e32 v[29:30], v[29:30]
	;; [unrolled: 1-line block ×7, first 2 shown]
	v_fma_f64 v[33:34], v[27:28], s[20:21], v[15:16]
	v_fma_f64 v[35:36], v[29:30], s[20:21], v[13:14]
	;; [unrolled: 1-line block ×6, first 2 shown]
	v_cvt_i32_f64_e32 v61, v[27:28]
	v_cvt_i32_f64_e32 v62, v[29:30]
	v_fma_f64 v[33:34], v[27:28], s[16:17], v[33:34]
	v_fma_f64 v[35:36], v[29:30], s[16:17], v[35:36]
	;; [unrolled: 1-line block ×34, first 2 shown]
	v_mul_f64 v[41:42], v[7:8], s[8:9]
	v_fma_f64 v[43:44], v[37:38], v[43:44], s[34:35]
	v_cmp_ngt_f64_e64 s8, 0xc090cc00, v[15:16]
	v_fma_f64 v[15:16], v[29:30], s[14:15], s[10:11]
	v_cmp_nlt_f64_e64 s9, 0x40900000, v[13:14]
	v_fma_f64 v[39:40], v[33:34], v[39:40], s[36:37]
	v_fma_f64 v[19:20], v[35:36], v[19:20], s[36:37]
	v_rndne_f64_e32 v[41:42], v[41:42]
	v_fma_f64 v[43:44], v[37:38], v[43:44], s[36:37]
	v_fma_f64 v[15:16], v[29:30], v[15:16], s[18:19]
	v_fma_f64 v[39:40], v[33:34], v[39:40], 1.0
	v_fma_f64 v[19:20], v[35:36], v[19:20], 1.0
	v_fma_f64 v[27:28], v[41:42], s[20:21], v[7:8]
	v_fma_f64 v[15:16], v[29:30], v[15:16], s[22:23]
	v_fma_f64 v[33:34], v[33:34], v[39:40], 1.0
	v_fma_f64 v[39:40], v[49:50], s[16:17], v[57:58]
	v_fma_f64 v[57:58], v[53:54], s[14:15], s[10:11]
	v_fma_f64 v[19:20], v[35:36], v[19:20], 1.0
	v_fma_f64 v[27:28], v[41:42], s[16:17], v[27:28]
	v_fma_f64 v[35:36], v[37:38], v[43:44], 1.0
	v_fma_f64 v[15:16], v[29:30], v[15:16], s[24:25]
	v_cvt_i32_f64_e32 v49, v[49:50]
	v_ldexp_f64 v[33:34], v[33:34], v61
	v_fma_f64 v[43:44], v[39:40], s[14:15], s[10:11]
	v_fma_f64 v[57:58], v[53:54], v[57:58], s[18:19]
	v_cvt_i32_f64_e32 v61, v[31:32]
	v_fma_f64 v[35:36], v[37:38], v[35:36], 1.0
	v_fma_f64 v[37:38], v[27:28], s[14:15], s[10:11]
	v_fma_f64 v[15:16], v[29:30], v[15:16], s[26:27]
	v_cmp_ngt_f64_e64 s10, 0xc090cc00, v[13:14]
	v_cndmask_b32_e64 v63, 0x7ff00000, v34, s7
	v_fma_f64 v[43:44], v[39:40], v[43:44], s[18:19]
	v_fma_f64 v[57:58], v[53:54], v[57:58], s[22:23]
	s_and_b32 s7, s8, s7
	v_ldexp_f64 v[34:35], v[35:36], v61
	v_fma_f64 v[31:32], v[27:28], v[37:38], s[18:19]
	v_fma_f64 v[15:16], v[29:30], v[15:16], s[28:29]
	;; [unrolled: 1-line block ×5, first 2 shown]
	v_ldexp_f64 v[59:60], v[19:20], v62
	v_cndmask_b32_e64 v20, 0, v63, s8
	v_fma_f64 v[31:32], v[27:28], v[31:32], s[22:23]
	v_fma_f64 v[15:16], v[29:30], v[15:16], s[30:31]
	v_cndmask_b32_e64 v19, 0, v33, s7
	v_cvt_i32_f64_e32 v62, v[45:46]
	v_cmp_nlt_f64_e64 s7, 0x40900000, v[17:18]
	v_cmp_ngt_f64_e64 s8, 0xc090cc00, v[17:18]
	v_cvt_i32_f64_e32 v33, v[47:48]
	v_add_f64 v[13:14], v[19:20], 0
	v_fma_f64 v[37:38], v[39:40], v[37:38], s[24:25]
	v_fma_f64 v[43:44], v[53:54], v[43:44], s[26:27]
	;; [unrolled: 1-line block ×20, first 2 shown]
	v_fma_f64 v[57:58], v[51:52], v[57:58], 1.0
	v_fma_f64 v[31:32], v[27:28], v[31:32], s[34:35]
	v_fma_f64 v[37:38], v[39:40], v[37:38], s[36:37]
	v_fma_f64 v[43:44], v[53:54], v[43:44], 1.0
	v_fma_f64 v[45:46], v[51:52], v[57:58], 1.0
	v_cndmask_b32_e64 v51, 0x7ff00000, v60, s9
	s_and_b32 s9, s10, s9
	v_fma_f64 v[31:32], v[27:28], v[31:32], s[36:37]
	v_cndmask_b32_e64 v17, 0, v59, s9
	v_cndmask_b32_e64 v52, 0x7ff00000, v35, s7
	;; [unrolled: 1-line block ×3, first 2 shown]
	v_cmp_nlt_f64_e64 s9, 0x40900000, v[9:10]
	v_cmp_ngt_f64_e64 s10, 0xc090cc00, v[9:10]
	s_and_b32 s7, s8, s7
	v_cndmask_b32_e64 v16, 0, v52, s8
	v_add_f64 v[13:14], v[13:14], v[17:18]
	v_cndmask_b32_e64 v15, 0, v34, s7
	v_cmp_nlt_f64_e64 s7, 0x40900000, v[11:12]
	v_cmp_ngt_f64_e64 s8, 0xc090cc00, v[11:12]
	v_fma_f64 v[36:37], v[39:40], v[37:38], 1.0
	v_fma_f64 v[43:44], v[53:54], v[43:44], 1.0
	v_ldexp_f64 v[45:46], v[45:46], v62
	v_fma_f64 v[31:32], v[27:28], v[31:32], 1.0
	v_add_f64 v[9:10], v[13:14], v[15:16]
	v_fma_f64 v[35:36], v[39:40], v[36:37], 1.0
	v_ldexp_f64 v[37:38], v[43:44], v33
	v_cndmask_b32_e64 v39, 0x7ff00000, v46, s9
	s_and_b32 s9, s10, s9
	v_cvt_i32_f64_e32 v40, v[41:42]
	v_cndmask_b32_e64 v13, 0, v45, s9
	v_fma_f64 v[33:34], v[29:30], v[47:48], 1.0
	v_cndmask_b32_e64 v14, 0, v39, s10
	v_fma_f64 v[27:28], v[27:28], v[31:32], 1.0
	v_cmp_nlt_f64_e64 s9, 0x40900000, v[5:6]
	v_cmp_ngt_f64_e64 s10, 0xc090cc00, v[5:6]
	v_add_f64 v[9:10], v[9:10], v[13:14]
	v_ldexp_f64 v[31:32], v[35:36], v49
	v_cndmask_b32_e64 v35, 0x7ff00000, v38, s7
	s_and_b32 s7, s8, s7
	v_cvt_i32_f64_e32 v36, v[55:56]
	v_cndmask_b32_e64 v11, 0, v37, s7
	v_cmp_nlt_f64_e64 s7, 0x40900000, v[7:8]
	v_cndmask_b32_e64 v12, 0, v35, s8
	v_fma_f64 v[29:30], v[29:30], v[33:34], 1.0
	v_ldexp_f64 v[27:28], v[27:28], v40
	v_cmp_ngt_f64_e64 s8, 0xc090cc00, v[7:8]
	v_add_f64 v[5:6], v[9:10], v[11:12]
	v_cndmask_b32_e64 v32, 0x7ff00000, v32, s9
	s_and_b32 s9, s10, s9
	v_cndmask_b32_e64 v7, 0, v31, s9
	v_cmp_nlt_f64_e64 s9, 0x40900000, v[3:4]
	v_cndmask_b32_e64 v8, 0, v32, s10
	v_cmp_ngt_f64_e64 s10, 0xc090cc00, v[3:4]
	v_ldexp_f64 v[9:10], v[29:30], v36
	v_cndmask_b32_e64 v30, 0x7ff00000, v28, s7
	s_and_b32 s7, s8, s7
	v_add_f64 v[28:29], v[5:6], v[7:8]
	v_cndmask_b32_e64 v6, 0, v30, s8
	v_cndmask_b32_e64 v5, 0, v27, s7
	s_mov_b32 s8, exec_lo
	s_and_b32 s7, s10, s9
	v_cndmask_b32_e64 v10, 0x7ff00000, v10, s9
	v_cndmask_b32_e64 v3, 0, v9, s7
	;; [unrolled: 1-line block ×3, first 2 shown]
	v_add_f64 v[27:28], v[28:29], v[5:6]
	v_add_f64 v[9:10], v[27:28], v[3:4]
	ds_bpermute_b32 v27, v0, v9
	ds_bpermute_b32 v28, v0, v10
	s_waitcnt lgkmcnt(0)
	v_add_f64 v[9:10], v[9:10], v[27:28]
	ds_bpermute_b32 v27, v21, v9
	ds_bpermute_b32 v28, v21, v10
	s_waitcnt lgkmcnt(0)
	;; [unrolled: 4-line block ×5, first 2 shown]
	v_add_f64 v[9:10], v[9:10], v[21:22]
	ds_bpermute_b32 v21, v26, v9
	ds_bpermute_b32 v22, v26, v10
	v_cmpx_lt_i32_e32 0, v23
	s_cbranch_execz .LBB372_26
; %bb.17:
	s_and_b32 exec_lo, exec_lo, vcc_lo
	s_cbranch_execz .LBB372_26
; %bb.18:
	s_waitcnt lgkmcnt(0)
	v_add_f64 v[9:10], v[9:10], v[21:22]
	v_div_scale_f64 v[21:22], null, v[9:10], v[9:10], v[19:20]
	v_div_scale_f64 v[27:28], vcc_lo, v[19:20], v[9:10], v[19:20]
	v_cmp_eq_f64_e64 s7, 0, v[9:10]
	v_rcp_f64_e32 v[23:24], v[21:22]
	v_fma_f64 v[25:26], -v[21:22], v[23:24], 1.0
	v_fma_f64 v[23:24], v[23:24], v[25:26], v[23:24]
	v_fma_f64 v[25:26], -v[21:22], v[23:24], 1.0
	v_fma_f64 v[23:24], v[23:24], v[25:26], v[23:24]
	v_mul_f64 v[25:26], v[27:28], v[23:24]
	v_fma_f64 v[21:22], -v[21:22], v[25:26], v[27:28]
	v_div_fmas_f64 v[21:22], v[21:22], v[23:24], v[25:26]
	v_add_co_u32 v0, vcc_lo, s12, v1
	v_add_co_ci_u32_e64 v1, null, s13, v2, vcc_lo
	v_div_fixup_f64 v[19:20], v[21:22], v[9:10], v[19:20]
	v_cndmask_b32_e64 v20, v20, 0x7ff80000, s7
	v_cndmask_b32_e64 v19, v19, 0, s7
	global_store_dwordx2 v[0:1], v[19:20], off
	s_and_b32 exec_lo, exec_lo, s6
	s_cbranch_execz .LBB372_26
; %bb.19:
	v_div_scale_f64 v[19:20], null, v[9:10], v[9:10], v[17:18]
	v_div_scale_f64 v[25:26], vcc_lo, v[17:18], v[9:10], v[17:18]
	v_rcp_f64_e32 v[21:22], v[19:20]
	v_fma_f64 v[23:24], -v[19:20], v[21:22], 1.0
	v_fma_f64 v[21:22], v[21:22], v[23:24], v[21:22]
	v_fma_f64 v[23:24], -v[19:20], v[21:22], 1.0
	v_fma_f64 v[21:22], v[21:22], v[23:24], v[21:22]
	v_mul_f64 v[23:24], v[25:26], v[21:22]
	v_fma_f64 v[19:20], -v[19:20], v[23:24], v[25:26]
	v_div_fmas_f64 v[19:20], v[19:20], v[21:22], v[23:24]
	v_div_fixup_f64 v[17:18], v[19:20], v[9:10], v[17:18]
	v_cndmask_b32_e64 v18, v18, 0x7ff80000, s7
	v_cndmask_b32_e64 v17, v17, 0, s7
	global_store_dwordx2 v[0:1], v[17:18], off offset:512
	s_and_b32 exec_lo, exec_lo, s5
	s_cbranch_execz .LBB372_26
; %bb.20:
	v_div_scale_f64 v[17:18], null, v[9:10], v[9:10], v[15:16]
	v_div_scale_f64 v[23:24], vcc_lo, v[15:16], v[9:10], v[15:16]
	v_rcp_f64_e32 v[19:20], v[17:18]
	v_fma_f64 v[21:22], -v[17:18], v[19:20], 1.0
	v_fma_f64 v[19:20], v[19:20], v[21:22], v[19:20]
	v_fma_f64 v[21:22], -v[17:18], v[19:20], 1.0
	v_fma_f64 v[19:20], v[19:20], v[21:22], v[19:20]
	v_mul_f64 v[21:22], v[23:24], v[19:20]
	v_fma_f64 v[17:18], -v[17:18], v[21:22], v[23:24]
	v_div_fmas_f64 v[17:18], v[17:18], v[19:20], v[21:22]
	v_div_fixup_f64 v[15:16], v[17:18], v[9:10], v[15:16]
	v_cndmask_b32_e64 v16, v16, 0x7ff80000, s7
	v_cndmask_b32_e64 v15, v15, 0, s7
	global_store_dwordx2 v[0:1], v[15:16], off offset:1024
	;; [unrolled: 17-line block ×3, first 2 shown]
	s_and_b32 exec_lo, exec_lo, s3
	s_cbranch_execz .LBB372_26
; %bb.22:
	v_div_scale_f64 v[13:14], null, v[9:10], v[9:10], v[11:12]
	v_div_scale_f64 v[19:20], vcc_lo, v[11:12], v[9:10], v[11:12]
	v_rcp_f64_e32 v[15:16], v[13:14]
	v_fma_f64 v[17:18], -v[13:14], v[15:16], 1.0
	v_fma_f64 v[15:16], v[15:16], v[17:18], v[15:16]
	v_fma_f64 v[17:18], -v[13:14], v[15:16], 1.0
	v_fma_f64 v[15:16], v[15:16], v[17:18], v[15:16]
	v_mul_f64 v[17:18], v[19:20], v[15:16]
	v_fma_f64 v[13:14], -v[13:14], v[17:18], v[19:20]
	v_div_fmas_f64 v[13:14], v[13:14], v[15:16], v[17:18]
	v_add_co_u32 v0, vcc_lo, 0x800, v0
	v_add_co_ci_u32_e64 v1, null, 0, v1, vcc_lo
	v_div_fixup_f64 v[11:12], v[13:14], v[9:10], v[11:12]
	v_cndmask_b32_e64 v12, v12, 0x7ff80000, s7
	v_cndmask_b32_e64 v11, v11, 0, s7
	global_store_dwordx2 v[0:1], v[11:12], off
	s_and_b32 exec_lo, exec_lo, s2
	s_cbranch_execz .LBB372_26
; %bb.23:
	v_div_scale_f64 v[11:12], null, v[9:10], v[9:10], v[7:8]
	v_div_scale_f64 v[17:18], vcc_lo, v[7:8], v[9:10], v[7:8]
	v_rcp_f64_e32 v[13:14], v[11:12]
	v_fma_f64 v[15:16], -v[11:12], v[13:14], 1.0
	v_fma_f64 v[13:14], v[13:14], v[15:16], v[13:14]
	v_fma_f64 v[15:16], -v[11:12], v[13:14], 1.0
	v_fma_f64 v[13:14], v[13:14], v[15:16], v[13:14]
	v_mul_f64 v[15:16], v[17:18], v[13:14]
	v_fma_f64 v[11:12], -v[11:12], v[15:16], v[17:18]
	v_div_fmas_f64 v[11:12], v[11:12], v[13:14], v[15:16]
	v_div_fixup_f64 v[7:8], v[11:12], v[9:10], v[7:8]
	v_cndmask_b32_e64 v8, v8, 0x7ff80000, s7
	v_cndmask_b32_e64 v7, v7, 0, s7
	global_store_dwordx2 v[0:1], v[7:8], off offset:512
	s_and_b32 exec_lo, exec_lo, s1
	s_cbranch_execz .LBB372_26
; %bb.24:
	v_div_scale_f64 v[7:8], null, v[9:10], v[9:10], v[5:6]
	v_div_scale_f64 v[15:16], vcc_lo, v[5:6], v[9:10], v[5:6]
	v_rcp_f64_e32 v[11:12], v[7:8]
	v_fma_f64 v[13:14], -v[7:8], v[11:12], 1.0
	v_fma_f64 v[11:12], v[11:12], v[13:14], v[11:12]
	v_fma_f64 v[13:14], -v[7:8], v[11:12], 1.0
	v_fma_f64 v[11:12], v[11:12], v[13:14], v[11:12]
	v_mul_f64 v[13:14], v[15:16], v[11:12]
	v_fma_f64 v[7:8], -v[7:8], v[13:14], v[15:16]
	v_div_fmas_f64 v[7:8], v[7:8], v[11:12], v[13:14]
	v_div_fixup_f64 v[5:6], v[7:8], v[9:10], v[5:6]
	v_cndmask_b32_e64 v6, v6, 0x7ff80000, s7
	v_cndmask_b32_e64 v5, v5, 0, s7
	global_store_dwordx2 v[0:1], v[5:6], off offset:1024
	s_and_b32 exec_lo, exec_lo, s0
	s_cbranch_execz .LBB372_26
; %bb.25:
	v_div_scale_f64 v[5:6], null, v[9:10], v[9:10], v[3:4]
	v_div_scale_f64 v[13:14], vcc_lo, v[3:4], v[9:10], v[3:4]
	v_rcp_f64_e32 v[7:8], v[5:6]
	v_fma_f64 v[11:12], -v[5:6], v[7:8], 1.0
	v_fma_f64 v[7:8], v[7:8], v[11:12], v[7:8]
	v_fma_f64 v[11:12], -v[5:6], v[7:8], 1.0
	v_fma_f64 v[7:8], v[7:8], v[11:12], v[7:8]
	v_mul_f64 v[11:12], v[13:14], v[7:8]
	v_fma_f64 v[5:6], -v[5:6], v[11:12], v[13:14]
	v_div_fmas_f64 v[5:6], v[5:6], v[7:8], v[11:12]
	v_div_fixup_f64 v[2:3], v[5:6], v[9:10], v[3:4]
	v_cndmask_b32_e64 v3, v3, 0x7ff80000, s7
	v_cndmask_b32_e64 v2, v2, 0, s7
	global_store_dwordx2 v[0:1], v[2:3], off offset:1536
.LBB372_26:
	s_endpgm
	.section	.rodata,"a",@progbits
	.p2align	6, 0x0
	.amdhsa_kernel _ZN12_GLOBAL__N_120softmax_warp_forwardIdddLi9ELb0ELb0ELi64EEEvPT0_PKT_iiiPKbib
		.amdhsa_group_segment_fixed_size 0
		.amdhsa_private_segment_fixed_size 0
		.amdhsa_kernarg_size 304
		.amdhsa_user_sgpr_count 6
		.amdhsa_user_sgpr_private_segment_buffer 1
		.amdhsa_user_sgpr_dispatch_ptr 0
		.amdhsa_user_sgpr_queue_ptr 0
		.amdhsa_user_sgpr_kernarg_segment_ptr 1
		.amdhsa_user_sgpr_dispatch_id 0
		.amdhsa_user_sgpr_flat_scratch_init 0
		.amdhsa_user_sgpr_private_segment_size 0
		.amdhsa_wavefront_size32 1
		.amdhsa_uses_dynamic_stack 0
		.amdhsa_system_sgpr_private_segment_wavefront_offset 0
		.amdhsa_system_sgpr_workgroup_id_x 1
		.amdhsa_system_sgpr_workgroup_id_y 0
		.amdhsa_system_sgpr_workgroup_id_z 0
		.amdhsa_system_sgpr_workgroup_info 0
		.amdhsa_system_vgpr_workitem_id 1
		.amdhsa_next_free_vgpr 64
		.amdhsa_next_free_sgpr 38
		.amdhsa_reserve_vcc 1
		.amdhsa_reserve_flat_scratch 0
		.amdhsa_float_round_mode_32 0
		.amdhsa_float_round_mode_16_64 0
		.amdhsa_float_denorm_mode_32 3
		.amdhsa_float_denorm_mode_16_64 3
		.amdhsa_dx10_clamp 1
		.amdhsa_ieee_mode 1
		.amdhsa_fp16_overflow 0
		.amdhsa_workgroup_processor_mode 1
		.amdhsa_memory_ordered 1
		.amdhsa_forward_progress 1
		.amdhsa_shared_vgpr_count 0
		.amdhsa_exception_fp_ieee_invalid_op 0
		.amdhsa_exception_fp_denorm_src 0
		.amdhsa_exception_fp_ieee_div_zero 0
		.amdhsa_exception_fp_ieee_overflow 0
		.amdhsa_exception_fp_ieee_underflow 0
		.amdhsa_exception_fp_ieee_inexact 0
		.amdhsa_exception_int_div_zero 0
	.end_amdhsa_kernel
	.section	.text._ZN12_GLOBAL__N_120softmax_warp_forwardIdddLi9ELb0ELb0ELi64EEEvPT0_PKT_iiiPKbib,"axG",@progbits,_ZN12_GLOBAL__N_120softmax_warp_forwardIdddLi9ELb0ELb0ELi64EEEvPT0_PKT_iiiPKbib,comdat
.Lfunc_end372:
	.size	_ZN12_GLOBAL__N_120softmax_warp_forwardIdddLi9ELb0ELb0ELi64EEEvPT0_PKT_iiiPKbib, .Lfunc_end372-_ZN12_GLOBAL__N_120softmax_warp_forwardIdddLi9ELb0ELb0ELi64EEEvPT0_PKT_iiiPKbib
                                        ; -- End function
	.set _ZN12_GLOBAL__N_120softmax_warp_forwardIdddLi9ELb0ELb0ELi64EEEvPT0_PKT_iiiPKbib.num_vgpr, 64
	.set _ZN12_GLOBAL__N_120softmax_warp_forwardIdddLi9ELb0ELb0ELi64EEEvPT0_PKT_iiiPKbib.num_agpr, 0
	.set _ZN12_GLOBAL__N_120softmax_warp_forwardIdddLi9ELb0ELb0ELi64EEEvPT0_PKT_iiiPKbib.numbered_sgpr, 38
	.set _ZN12_GLOBAL__N_120softmax_warp_forwardIdddLi9ELb0ELb0ELi64EEEvPT0_PKT_iiiPKbib.num_named_barrier, 0
	.set _ZN12_GLOBAL__N_120softmax_warp_forwardIdddLi9ELb0ELb0ELi64EEEvPT0_PKT_iiiPKbib.private_seg_size, 0
	.set _ZN12_GLOBAL__N_120softmax_warp_forwardIdddLi9ELb0ELb0ELi64EEEvPT0_PKT_iiiPKbib.uses_vcc, 1
	.set _ZN12_GLOBAL__N_120softmax_warp_forwardIdddLi9ELb0ELb0ELi64EEEvPT0_PKT_iiiPKbib.uses_flat_scratch, 0
	.set _ZN12_GLOBAL__N_120softmax_warp_forwardIdddLi9ELb0ELb0ELi64EEEvPT0_PKT_iiiPKbib.has_dyn_sized_stack, 0
	.set _ZN12_GLOBAL__N_120softmax_warp_forwardIdddLi9ELb0ELb0ELi64EEEvPT0_PKT_iiiPKbib.has_recursion, 0
	.set _ZN12_GLOBAL__N_120softmax_warp_forwardIdddLi9ELb0ELb0ELi64EEEvPT0_PKT_iiiPKbib.has_indirect_call, 0
	.section	.AMDGPU.csdata,"",@progbits
; Kernel info:
; codeLenInByte = 4144
; TotalNumSgprs: 40
; NumVgprs: 64
; ScratchSize: 0
; MemoryBound: 1
; FloatMode: 240
; IeeeMode: 1
; LDSByteSize: 0 bytes/workgroup (compile time only)
; SGPRBlocks: 0
; VGPRBlocks: 7
; NumSGPRsForWavesPerEU: 40
; NumVGPRsForWavesPerEU: 64
; Occupancy: 16
; WaveLimiterHint : 0
; COMPUTE_PGM_RSRC2:SCRATCH_EN: 0
; COMPUTE_PGM_RSRC2:USER_SGPR: 6
; COMPUTE_PGM_RSRC2:TRAP_HANDLER: 0
; COMPUTE_PGM_RSRC2:TGID_X_EN: 1
; COMPUTE_PGM_RSRC2:TGID_Y_EN: 0
; COMPUTE_PGM_RSRC2:TGID_Z_EN: 0
; COMPUTE_PGM_RSRC2:TIDIG_COMP_CNT: 1
	.section	.text._ZN12_GLOBAL__N_120softmax_warp_forwardIdddLi9ELb0ELb0ELi32EEEvPT0_PKT_iiiPKbib,"axG",@progbits,_ZN12_GLOBAL__N_120softmax_warp_forwardIdddLi9ELb0ELb0ELi32EEEvPT0_PKT_iiiPKbib,comdat
	.globl	_ZN12_GLOBAL__N_120softmax_warp_forwardIdddLi9ELb0ELb0ELi32EEEvPT0_PKT_iiiPKbib ; -- Begin function _ZN12_GLOBAL__N_120softmax_warp_forwardIdddLi9ELb0ELb0ELi32EEEvPT0_PKT_iiiPKbib
	.p2align	8
	.type	_ZN12_GLOBAL__N_120softmax_warp_forwardIdddLi9ELb0ELb0ELi32EEEvPT0_PKT_iiiPKbib,@function
_ZN12_GLOBAL__N_120softmax_warp_forwardIdddLi9ELb0ELb0ELi32EEEvPT0_PKT_iiiPKbib: ; @_ZN12_GLOBAL__N_120softmax_warp_forwardIdddLi9ELb0ELb0ELi32EEEvPT0_PKT_iiiPKbib
; %bb.0:
	s_clause 0x1
	s_load_dword s0, s[4:5], 0x3c
	s_load_dwordx8 s[36:43], s[4:5], 0x0
	v_mov_b32_e32 v7, 0
	v_mov_b32_e32 v8, 0xfff00000
	s_waitcnt lgkmcnt(0)
	s_lshr_b32 s0, s0, 16
	v_cmp_gt_i32_e32 vcc_lo, s42, v0
	v_mad_u64_u32 v[1:2], null, s6, s0, v[1:2]
	v_mad_u64_u32 v[2:3], null, v1, s41, v[0:1]
	v_sub_nc_u32_e32 v79, s40, v1
	v_cmp_lt_i32_e64 s15, 0, v79
	v_ashrrev_i32_e32 v3, 31, v2
	s_and_b32 s1, s15, vcc_lo
	v_lshlrev_b64 v[1:2], 3, v[2:3]
	v_mov_b32_e32 v3, 0
	v_mov_b32_e32 v4, 0xfff00000
	v_add_co_u32 v29, s0, s38, v1
	v_add_co_ci_u32_e64 v30, null, s39, v2, s0
	s_and_saveexec_b32 s0, s1
	s_cbranch_execz .LBB373_2
; %bb.1:
	global_load_dwordx2 v[3:4], v[29:30], off
.LBB373_2:
	s_or_b32 exec_lo, exec_lo, s0
	v_add_nc_u32_e32 v5, 32, v0
	v_cmp_gt_i32_e64 s14, s42, v5
	s_and_b32 s1, s15, s14
	s_and_saveexec_b32 s0, s1
	s_cbranch_execz .LBB373_4
; %bb.3:
	global_load_dwordx2 v[7:8], v[29:30], off offset:256
.LBB373_4:
	s_or_b32 exec_lo, exec_lo, s0
	v_add_nc_u32_e32 v5, 64, v0
	v_mov_b32_e32 v17, 0
	v_mov_b32_e32 v13, 0
	v_mov_b32_e32 v18, 0xfff00000
	v_mov_b32_e32 v14, 0xfff00000
	v_cmp_gt_i32_e64 s13, s42, v5
	s_and_b32 s1, s15, s13
	s_and_saveexec_b32 s0, s1
	s_cbranch_execz .LBB373_6
; %bb.5:
	global_load_dwordx2 v[13:14], v[29:30], off offset:512
.LBB373_6:
	s_or_b32 exec_lo, exec_lo, s0
	v_add_nc_u32_e32 v5, 0x60, v0
	v_cmp_gt_i32_e64 s12, s42, v5
	s_and_b32 s1, s15, s12
	s_and_saveexec_b32 s0, s1
	s_cbranch_execz .LBB373_8
; %bb.7:
	global_load_dwordx2 v[17:18], v[29:30], off offset:768
.LBB373_8:
	s_or_b32 exec_lo, exec_lo, s0
	v_add_nc_u32_e32 v5, 0x80, v0
	v_mov_b32_e32 v15, 0
	v_mov_b32_e32 v23, 0
	v_mov_b32_e32 v16, 0xfff00000
	v_mov_b32_e32 v24, 0xfff00000
	v_cmp_gt_i32_e64 s11, s42, v5
	s_and_b32 s1, s15, s11
	s_and_saveexec_b32 s0, s1
	s_cbranch_execz .LBB373_10
; %bb.9:
	global_load_dwordx2 v[23:24], v[29:30], off offset:1024
.LBB373_10:
	;; [unrolled: 22-line block ×3, first 2 shown]
	s_or_b32 exec_lo, exec_lo, s0
	v_add_nc_u32_e32 v5, 0xe0, v0
	v_cmp_gt_i32_e64 s8, s42, v5
	s_and_b32 s1, s15, s8
	s_and_saveexec_b32 s0, s1
	s_cbranch_execz .LBB373_16
; %bb.15:
	global_load_dwordx2 v[31:32], v[29:30], off offset:1792
.LBB373_16:
	s_or_b32 exec_lo, exec_lo, s0
	v_add_nc_u32_e32 v5, 0x100, v0
	v_mov_b32_e32 v33, 0
	v_mov_b32_e32 v34, 0xfff00000
	v_cmp_gt_i32_e64 s7, s42, v5
	v_mov_b32_e32 v5, 0
	v_mov_b32_e32 v6, 0xfff00000
	s_and_b32 s0, s15, s7
	s_and_saveexec_b32 s1, s0
	s_cbranch_execz .LBB373_18
; %bb.17:
	v_add_co_u32 v9, s0, 0x800, v29
	v_add_co_ci_u32_e64 v10, null, 0, v30, s0
	global_load_dwordx2 v[33:34], v[9:10], off
.LBB373_18:
	s_or_b32 exec_lo, exec_lo, s1
	v_add_nc_u32_e32 v9, 0x120, v0
	v_cmp_gt_i32_e64 s6, s42, v9
	s_and_b32 s0, s15, s6
	s_and_saveexec_b32 s1, s0
	s_cbranch_execz .LBB373_20
; %bb.19:
	v_add_co_u32 v5, s0, 0x800, v29
	v_add_co_ci_u32_e64 v6, null, 0, v30, s0
	global_load_dwordx2 v[5:6], v[5:6], off offset:256
.LBB373_20:
	s_or_b32 exec_lo, exec_lo, s1
	v_add_nc_u32_e32 v9, 0x140, v0
	v_mov_b32_e32 v11, 0
	v_mov_b32_e32 v12, 0xfff00000
	v_cmp_gt_i32_e64 s5, s42, v9
	v_mov_b32_e32 v9, 0
	v_mov_b32_e32 v10, 0xfff00000
	s_and_b32 s0, s15, s5
	s_and_saveexec_b32 s1, s0
	s_cbranch_execz .LBB373_22
; %bb.21:
	v_add_co_u32 v11, s0, 0x800, v29
	v_add_co_ci_u32_e64 v12, null, 0, v30, s0
	global_load_dwordx2 v[11:12], v[11:12], off offset:512
.LBB373_22:
	s_or_b32 exec_lo, exec_lo, s1
	v_add_nc_u32_e32 v19, 0x160, v0
	v_cmp_gt_i32_e64 s4, s42, v19
	s_and_b32 s0, s15, s4
	s_and_saveexec_b32 s1, s0
	s_cbranch_execz .LBB373_24
; %bb.23:
	v_add_co_u32 v9, s0, 0x800, v29
	v_add_co_ci_u32_e64 v10, null, 0, v30, s0
	global_load_dwordx2 v[9:10], v[9:10], off offset:768
.LBB373_24:
	s_or_b32 exec_lo, exec_lo, s1
	v_add_nc_u32_e32 v19, 0x180, v0
	v_mov_b32_e32 v21, 0
	v_mov_b32_e32 v22, 0xfff00000
	v_cmp_gt_i32_e64 s3, s42, v19
	v_mov_b32_e32 v19, 0
	v_mov_b32_e32 v20, 0xfff00000
	s_and_b32 s0, s15, s3
	s_and_saveexec_b32 s1, s0
	s_cbranch_execz .LBB373_26
; %bb.25:
	v_add_co_u32 v21, s0, 0x800, v29
	v_add_co_ci_u32_e64 v22, null, 0, v30, s0
	global_load_dwordx2 v[21:22], v[21:22], off offset:1024
.LBB373_26:
	;; [unrolled: 26-line block ×3, first 2 shown]
	s_or_b32 exec_lo, exec_lo, s16
	v_add_nc_u32_e32 v0, 0x1e0, v0
	v_cmp_gt_i32_e64 s0, s42, v0
	s_and_b32 s15, s15, s0
	s_and_saveexec_b32 s16, s15
	s_cbranch_execz .LBB373_32
; %bb.31:
	v_add_co_u32 v25, s15, 0x800, v29
	v_add_co_ci_u32_e64 v26, null, 0, v30, s15
	global_load_dwordx2 v[25:26], v[25:26], off offset:1792
.LBB373_32:
	s_or_b32 exec_lo, exec_lo, s16
	s_waitcnt vmcnt(0)
	v_cmp_gt_f64_e64 s15, v[3:4], v[7:8]
	v_mbcnt_lo_u32_b32 v37, -1, 0
	s_mov_b32 s28, 0xfefa39ef
	s_mov_b32 s29, 0xbfe62e42
	;; [unrolled: 1-line block ×4, first 2 shown]
	v_xor_b32_e32 v0, 16, v37
	v_xor_b32_e32 v38, 8, v37
	s_mov_b32 s34, 0xfca7ab0c
	s_mov_b32 s38, 0x6a5dcb37
	;; [unrolled: 1-line block ×3, first 2 shown]
	v_cmp_gt_i32_e64 s16, 32, v0
	s_mov_b32 s39, 0x3e5ade15
	s_mov_b32 s40, 0x623fde64
	;; [unrolled: 1-line block ×4, first 2 shown]
	v_cndmask_b32_e64 v0, v37, v0, s16
	v_cmp_gt_i32_e64 s16, 32, v38
	s_mov_b32 s43, 0x3efa0199
	s_mov_b32 s44, 0x14761f6e
	;; [unrolled: 1-line block ×3, first 2 shown]
	v_lshlrev_b32_e32 v0, 2, v0
	v_cndmask_b32_e64 v30, v8, v4, s15
	v_cndmask_b32_e64 v29, v7, v3, s15
	;; [unrolled: 1-line block ×3, first 2 shown]
	s_mov_b32 s48, 0x1852b7b0
	s_mov_b32 s49, 0x3f56c16c
	;; [unrolled: 1-line block ×3, first 2 shown]
	v_cmp_gt_f64_e64 s15, v[29:30], v[13:14]
	v_lshlrev_b32_e32 v80, 2, v38
	v_xor_b32_e32 v38, 4, v37
	s_mov_b32 s47, 0x3f811111
	s_mov_b32 s50, 0x555502a1
	;; [unrolled: 1-line block ×4, first 2 shown]
	v_cmp_gt_i32_e64 s16, 32, v38
	s_mov_b32 s53, 0x3fc55555
	s_mov_b32 s54, 11
	;; [unrolled: 1-line block ×3, first 2 shown]
	v_cndmask_b32_e64 v38, v37, v38, s16
	v_lshlrev_b32_e32 v81, 2, v38
	v_xor_b32_e32 v38, 2, v37
	v_cndmask_b32_e64 v30, v14, v30, s15
	v_cndmask_b32_e64 v29, v13, v29, s15
	v_cmp_gt_i32_e64 s16, 32, v38
	v_cmp_gt_f64_e64 s15, v[29:30], v[17:18]
	v_cndmask_b32_e64 v38, v37, v38, s16
	v_lshlrev_b32_e32 v82, 2, v38
	v_xor_b32_e32 v38, 1, v37
	v_cmp_gt_i32_e64 s16, 32, v38
	v_cndmask_b32_e64 v37, v37, v38, s16
	s_mov_b32 s16, 0x652b82fe
	s_mov_b32 s17, 0x3ff71547
	v_cndmask_b32_e64 v30, v18, v30, s15
	v_cndmask_b32_e64 v29, v17, v29, s15
	v_lshlrev_b32_e32 v83, 2, v37
	v_cmp_gt_f64_e64 s15, v[29:30], v[23:24]
	v_cndmask_b32_e64 v30, v24, v30, s15
	v_cndmask_b32_e64 v29, v23, v29, s15
	v_cmp_gt_f64_e64 s15, v[29:30], v[15:16]
	v_cndmask_b32_e64 v30, v16, v30, s15
	v_cndmask_b32_e64 v29, v15, v29, s15
	;; [unrolled: 3-line block ×12, first 2 shown]
	ds_bpermute_b32 v36, v0, v30
	ds_bpermute_b32 v35, v0, v29
	s_waitcnt lgkmcnt(0)
	v_cmp_lt_f64_e64 s15, v[29:30], v[35:36]
	v_cndmask_b32_e64 v30, v30, v36, s15
	v_cndmask_b32_e64 v29, v29, v35, s15
	ds_bpermute_b32 v36, v80, v30
	ds_bpermute_b32 v35, v80, v29
	s_waitcnt lgkmcnt(0)
	v_cmp_lt_f64_e64 s15, v[29:30], v[35:36]
	v_cndmask_b32_e64 v30, v30, v36, s15
	v_cndmask_b32_e64 v29, v29, v35, s15
	;; [unrolled: 6-line block ×5, first 2 shown]
	v_add_f64 v[3:4], v[3:4], -v[35:36]
	v_add_f64 v[7:8], v[7:8], -v[35:36]
	v_add_f64 v[13:14], v[13:14], -v[35:36]
	v_add_f64 v[17:18], v[17:18], -v[35:36]
	v_add_f64 v[23:24], v[23:24], -v[35:36]
	v_add_f64 v[31:32], v[31:32], -v[35:36]
	v_add_f64 v[33:34], v[33:34], -v[35:36]
	v_add_f64 v[21:22], v[21:22], -v[35:36]
	v_mul_f64 v[29:30], v[3:4], s[16:17]
	v_mul_f64 v[43:44], v[7:8], s[16:17]
	;; [unrolled: 1-line block ×4, first 2 shown]
	v_cmp_nlt_f64_e64 s15, 0x40900000, v[3:4]
	v_mul_f64 v[61:62], v[31:32], s[16:17]
	v_mul_f64 v[65:66], v[33:34], s[16:17]
	v_cmp_ngt_f64_e64 s18, 0xc090cc00, v[7:8]
	v_cmp_nlt_f64_e64 s19, 0x40900000, v[13:14]
	v_cmp_ngt_f64_e64 s20, 0xc090cc00, v[13:14]
	v_cmp_nlt_f64_e64 s21, 0x40900000, v[17:18]
	;; [unrolled: 2-line block ×3, first 2 shown]
	v_cmp_ngt_f64_e64 s24, 0xc090cc00, v[23:24]
	v_rndne_f64_e32 v[37:38], v[29:30]
	v_add_f64 v[29:30], v[15:16], -v[35:36]
	v_add_f64 v[15:16], v[39:40], -v[35:36]
	v_rndne_f64_e32 v[55:56], v[43:44]
	v_mul_f64 v[39:40], v[23:24], s[16:17]
	v_rndne_f64_e32 v[69:70], v[41:42]
	v_rndne_f64_e32 v[71:72], v[45:46]
	v_fma_f64 v[41:42], v[37:38], s[28:29], v[3:4]
	v_mul_f64 v[43:44], v[29:30], s[16:17]
	v_mul_f64 v[45:46], v[15:16], s[16:17]
	v_fma_f64 v[51:52], v[55:56], s[28:29], v[7:8]
	v_rndne_f64_e32 v[53:54], v[39:40]
	v_fma_f64 v[39:40], v[69:70], s[28:29], v[13:14]
	v_cmp_nlt_f64_e64 s25, 0x40900000, v[29:30]
	v_cmp_ngt_f64_e64 s26, 0xc090cc00, v[29:30]
	v_fma_f64 v[57:58], v[37:38], s[30:31], v[41:42]
	v_rndne_f64_e32 v[49:50], v[43:44]
	v_fma_f64 v[41:42], v[71:72], s[28:29], v[17:18]
	v_rndne_f64_e32 v[47:48], v[45:46]
	;; [unrolled: 2-line block ×3, first 2 shown]
	v_fma_f64 v[45:46], v[53:54], s[28:29], v[23:24]
	v_fma_f64 v[67:68], v[69:70], s[30:31], v[39:40]
	v_rndne_f64_e32 v[39:40], v[65:66]
	v_fma_f64 v[51:52], v[57:58], s[38:39], s[34:35]
	v_fma_f64 v[73:74], v[49:50], s[28:29], v[29:30]
	;; [unrolled: 1-line block ×17, first 2 shown]
	v_add_f64 v[45:46], v[11:12], -v[35:36]
	v_add_f64 v[11:12], v[19:20], -v[35:36]
	v_fma_f64 v[90:91], v[57:58], v[51:52], s[42:43]
	v_fma_f64 v[92:93], v[65:66], s[38:39], s[34:35]
	;; [unrolled: 1-line block ×6, first 2 shown]
	v_add_f64 v[51:52], v[5:6], -v[35:36]
	v_add_f64 v[41:42], v[9:10], -v[35:36]
	v_fma_f64 v[98:99], v[77:78], s[38:39], s[34:35]
	v_fma_f64 v[19:20], v[67:68], v[88:89], s[42:43]
	v_add_f64 v[9:10], v[27:28], -v[35:36]
	v_add_f64 v[5:6], v[25:26], -v[35:36]
	v_fma_f64 v[84:85], v[61:62], v[84:85], s[40:41]
	v_fma_f64 v[88:89], v[57:58], v[90:91], s[44:45]
	;; [unrolled: 1-line block ×7, first 2 shown]
	v_cvt_i32_f64_e32 v94, v[37:38]
	v_cvt_i32_f64_e32 v95, v[55:56]
	v_fma_f64 v[92:93], v[77:78], v[98:99], s[40:41]
	v_fma_f64 v[19:20], v[67:68], v[19:20], s[44:45]
	v_cvt_i32_f64_e32 v96, v[53:54]
	v_cvt_i32_f64_e32 v97, v[43:44]
	v_fma_f64 v[84:85], v[61:62], v[84:85], s[42:43]
	v_fma_f64 v[88:89], v[57:58], v[88:89], s[48:49]
	;; [unrolled: 1-line block ×43, first 2 shown]
	v_mul_f64 v[86:87], v[51:52], s[16:17]
	v_fma_f64 v[90:91], v[77:78], v[92:93], s[50:51]
	v_cvt_i32_f64_e32 v92, v[69:70]
	v_fma_f64 v[19:20], v[67:68], v[19:20], s[54:55]
	v_cvt_i32_f64_e32 v93, v[71:72]
	v_mul_f64 v[71:72], v[45:46], s[16:17]
	v_fma_f64 v[84:85], v[61:62], v[84:85], s[52:53]
	v_fma_f64 v[69:70], v[57:58], v[88:89], 1.0
	v_fma_f64 v[25:26], v[65:66], v[25:26], s[52:53]
	v_fma_f64 v[88:89], v[63:64], v[27:28], s[54:55]
	v_fma_f64 v[35:36], v[73:74], v[35:36], s[50:51]
	v_fma_f64 v[37:38], v[75:76], v[37:38], s[52:53]
	v_fma_f64 v[55:56], v[59:60], v[55:56], 1.0
	v_rndne_f64_e32 v[27:28], v[86:87]
	v_fma_f64 v[86:87], v[77:78], v[90:91], s[52:53]
	v_fma_f64 v[90:91], v[67:68], v[19:20], 1.0
	v_rndne_f64_e32 v[19:20], v[71:72]
	v_fma_f64 v[84:85], v[61:62], v[84:85], s[54:55]
	v_fma_f64 v[69:70], v[57:58], v[69:70], 1.0
	v_mul_f64 v[57:58], v[41:42], s[16:17]
	v_fma_f64 v[71:72], v[65:66], v[25:26], s[54:55]
	v_fma_f64 v[35:36], v[73:74], v[35:36], s[52:53]
	v_fma_f64 v[88:89], v[63:64], v[88:89], 1.0
	v_fma_f64 v[37:38], v[75:76], v[37:38], s[54:55]
	v_fma_f64 v[59:60], v[59:60], v[55:56], 1.0
	v_fma_f64 v[55:56], v[27:28], s[28:29], v[51:52]
	v_fma_f64 v[86:87], v[77:78], v[86:87], s[54:55]
	v_fma_f64 v[67:68], v[67:68], v[90:91], 1.0
	v_mul_f64 v[90:91], v[21:22], s[16:17]
	v_fma_f64 v[84:85], v[61:62], v[84:85], 1.0
	v_ldexp_f64 v[53:54], v[69:70], v94
	v_rndne_f64_e32 v[25:26], v[57:58]
	v_fma_f64 v[57:58], v[65:66], v[71:72], 1.0
	v_fma_f64 v[71:72], v[19:20], s[28:29], v[45:46]
	v_fma_f64 v[35:36], v[73:74], v[35:36], s[54:55]
	v_fma_f64 v[63:64], v[63:64], v[88:89], 1.0
	v_fma_f64 v[37:38], v[75:76], v[37:38], 1.0
	v_fma_f64 v[88:89], v[27:28], s[30:31], v[55:56]
	v_fma_f64 v[86:87], v[77:78], v[86:87], 1.0
	v_cvt_i32_f64_e32 v94, v[49:50]
	v_ldexp_f64 v[67:68], v[67:68], v92
	v_rndne_f64_e32 v[55:56], v[90:91]
	v_ldexp_f64 v[59:60], v[59:60], v95
	v_fma_f64 v[61:62], v[61:62], v[84:85], 1.0
	v_mul_f64 v[84:85], v[11:12], s[16:17]
	v_cndmask_b32_e64 v54, 0x7ff00000, v54, s15
	v_fma_f64 v[90:91], v[25:26], s[28:29], v[41:42]
	v_fma_f64 v[65:66], v[65:66], v[57:58], 1.0
	v_fma_f64 v[71:72], v[19:20], s[30:31], v[71:72]
	v_fma_f64 v[35:36], v[73:74], v[35:36], 1.0
	v_ldexp_f64 v[63:64], v[63:64], v93
	v_fma_f64 v[75:76], v[75:76], v[37:38], 1.0
	v_fma_f64 v[37:38], v[88:89], s[38:39], s[34:35]
	v_fma_f64 v[77:78], v[77:78], v[86:87], 1.0
	v_mul_f64 v[86:87], v[9:10], s[16:17]
	v_cndmask_b32_e64 v68, 0x7ff00000, v68, s19
	v_fma_f64 v[69:70], v[55:56], s[28:29], v[21:22]
	v_ldexp_f64 v[61:62], v[61:62], v96
	v_rndne_f64_e32 v[57:58], v[84:85]
	v_cndmask_b32_e64 v30, 0, v68, s20
	v_cvt_i32_f64_e32 v68, v[39:40]
	v_fma_f64 v[84:85], v[25:26], s[30:31], v[90:91]
	v_mul_f64 v[90:91], v[5:6], s[16:17]
	v_cmp_ngt_f64_e64 s16, 0xc090cc00, v[3:4]
	v_fma_f64 v[73:74], v[73:74], v[35:36], 1.0
	v_fma_f64 v[35:36], v[71:72], s[38:39], s[34:35]
	v_cmp_nlt_f64_e64 s17, 0x40900000, v[7:8]
	v_fma_f64 v[37:38], v[88:89], v[37:38], s[40:41]
	v_ldexp_f64 v[65:66], v[65:66], v94
	v_rndne_f64_e32 v[49:50], v[86:87]
	v_cvt_i32_f64_e32 v94, v[47:48]
	v_fma_f64 v[69:70], v[55:56], s[30:31], v[69:70]
	v_cndmask_b32_e64 v64, 0x7ff00000, v64, s21
	v_cndmask_b32_e64 v95, 0x7ff00000, v62, s23
	v_fma_f64 v[86:87], v[57:58], s[28:29], v[11:12]
	v_ldexp_f64 v[77:78], v[77:78], v97
	v_fma_f64 v[92:93], v[84:85], s[38:39], s[34:35]
	v_rndne_f64_e32 v[3:4], v[90:91]
	s_and_b32 s15, s16, s15
	v_cndmask_b32_e64 v48, 0, v54, s16
	v_fma_f64 v[35:36], v[71:72], v[35:36], s[40:41]
	v_cndmask_b32_e64 v47, 0, v53, s15
	v_fma_f64 v[37:38], v[88:89], v[37:38], s[42:43]
	;; [unrolled: 2-line block ×3, first 2 shown]
	s_and_b32 s15, s18, s17
	v_fma_f64 v[13:14], v[69:70], s[38:39], s[34:35]
	v_add_f64 v[43:44], v[47:48], 0
	v_cndmask_b32_e64 v96, 0x7ff00000, v66, s25
	v_fma_f64 v[86:87], v[57:58], s[30:31], v[86:87]
	v_ldexp_f64 v[75:76], v[75:76], v94
	v_cmp_ngt_f64_e64 s16, 0xc090cc00, v[15:16]
	s_and_b32 s17, s26, s25
	v_fma_f64 v[17:18], v[84:85], v[92:93], s[40:41]
	v_fma_f64 v[23:24], v[3:4], s[28:29], v[5:6]
	;; [unrolled: 1-line block ×5, first 2 shown]
	v_cvt_i32_f64_e32 v49, v[49:50]
	v_fma_f64 v[53:54], v[69:70], v[13:14], s[40:41]
	v_cndmask_b32_e64 v14, 0, v64, s22
	v_fma_f64 v[7:8], v[86:87], s[38:39], s[34:35]
	v_fma_f64 v[17:18], v[84:85], v[17:18], s[42:43]
	;; [unrolled: 1-line block ×4, first 2 shown]
	v_cndmask_b32_e64 v38, 0, v60, s18
	v_cndmask_b32_e64 v37, 0, v59, s15
	v_fma_f64 v[59:60], v[3:4], s[30:31], v[23:24]
	v_fma_f64 v[23:24], v[90:91], s[38:39], s[34:35]
	s_and_b32 s15, s20, s19
	v_fma_f64 v[53:54], v[69:70], v[53:54], s[42:43]
	v_add_f64 v[43:44], v[43:44], v[37:38]
	v_cndmask_b32_e64 v29, 0, v67, s15
	s_and_b32 s15, s22, s21
	v_cmp_ngt_f64_e64 s18, 0xc090cc00, v[31:32]
	v_cndmask_b32_e64 v13, 0, v63, s15
	v_fma_f64 v[62:63], v[86:87], v[7:8], s[40:41]
	s_and_b32 s15, s24, s23
	v_cndmask_b32_e64 v8, 0, v95, s24
	v_cndmask_b32_e64 v7, 0, v61, s15
	v_fma_f64 v[17:18], v[84:85], v[17:18], s[44:45]
	v_cmp_nlt_f64_e64 s15, 0x40900000, v[15:16]
	v_fma_f64 v[35:36], v[71:72], v[35:36], s[48:49]
	v_fma_f64 v[66:67], v[88:89], v[92:93], s[46:47]
	;; [unrolled: 1-line block ×5, first 2 shown]
	v_add_f64 v[43:44], v[43:44], v[29:30]
	v_fma_f64 v[61:62], v[86:87], v[62:63], s[42:43]
	v_fma_f64 v[17:18], v[84:85], v[17:18], s[48:49]
	v_cndmask_b32_e64 v76, 0x7ff00000, v76, s15
	s_and_b32 s15, s16, s15
	v_fma_f64 v[35:36], v[71:72], v[35:36], s[46:47]
	v_fma_f64 v[63:64], v[88:89], v[66:67], s[50:51]
	;; [unrolled: 1-line block ×5, first 2 shown]
	v_add_f64 v[43:44], v[43:44], v[13:14]
	v_fma_f64 v[61:62], v[86:87], v[61:62], s[44:45]
	v_fma_f64 v[17:18], v[84:85], v[17:18], s[46:47]
	;; [unrolled: 1-line block ×7, first 2 shown]
	v_add_f64 v[43:44], v[43:44], v[7:8]
	v_fma_f64 v[61:62], v[86:87], v[61:62], s[48:49]
	v_fma_f64 v[17:18], v[84:85], v[17:18], s[50:51]
	;; [unrolled: 1-line block ×10, first 2 shown]
	v_cndmask_b32_e64 v36, 0, v96, s26
	v_cndmask_b32_e64 v35, 0, v65, s17
	v_fma_f64 v[63:64], v[88:89], v[63:64], 1.0
	v_cmp_nlt_f64_e64 s17, 0x40900000, v[31:32]
	v_cvt_i32_f64_e32 v65, v[27:28]
	v_fma_f64 v[27:28], v[59:60], v[39:40], s[48:49]
	v_add_f64 v[15:16], v[43:44], v[35:36]
	v_fma_f64 v[23:24], v[90:91], v[23:24], s[46:47]
	v_cndmask_b32_e64 v32, 0, v76, s16
	v_cndmask_b32_e64 v31, 0, v75, s15
	v_fma_f64 v[43:44], v[69:70], v[53:54], s[52:53]
	v_cmp_nlt_f64_e64 s15, 0x40900000, v[33:34]
	v_cmp_ngt_f64_e64 s16, 0xc090cc00, v[33:34]
	v_fma_f64 v[39:40], v[86:87], v[61:62], s[50:51]
	v_fma_f64 v[17:18], v[84:85], v[17:18], s[54:55]
	v_fma_f64 v[53:54], v[71:72], v[66:67], 1.0
	v_cvt_i32_f64_e32 v67, v[19:20]
	v_fma_f64 v[61:62], v[88:89], v[63:64], 1.0
	v_ldexp_f64 v[63:64], v[73:74], v68
	v_cndmask_b32_e64 v66, 0x7ff00000, v78, s17
	s_and_b32 s17, s18, s17
	v_add_f64 v[15:16], v[15:16], v[31:32]
	v_fma_f64 v[19:20], v[59:60], v[27:28], s[46:47]
	v_fma_f64 v[23:24], v[90:91], v[23:24], s[50:51]
	v_cndmask_b32_e64 v28, 0, v66, s18
	v_cndmask_b32_e64 v27, 0, v77, s17
	v_fma_f64 v[43:44], v[69:70], v[43:44], s[54:55]
	v_cmp_nlt_f64_e64 s17, 0x40900000, v[51:52]
	v_fma_f64 v[39:40], v[86:87], v[39:40], s[52:53]
	v_cmp_ngt_f64_e64 s18, 0xc090cc00, v[51:52]
	v_fma_f64 v[17:18], v[84:85], v[17:18], 1.0
	v_fma_f64 v[53:54], v[71:72], v[53:54], 1.0
	v_ldexp_f64 v[61:62], v[61:62], v65
	v_cndmask_b32_e64 v64, 0x7ff00000, v64, s15
	s_and_b32 s15, s16, s15
	v_cvt_i32_f64_e32 v65, v[25:26]
	v_add_f64 v[15:16], v[15:16], v[27:28]
	v_fma_f64 v[19:20], v[59:60], v[19:20], s[50:51]
	v_fma_f64 v[23:24], v[90:91], v[23:24], s[52:53]
	v_cndmask_b32_e64 v26, 0, v64, s16
	v_cndmask_b32_e64 v25, 0, v63, s15
	v_cmp_nlt_f64_e64 s15, 0x40900000, v[45:46]
	v_cmp_ngt_f64_e64 s16, 0xc090cc00, v[45:46]
	v_fma_f64 v[33:34], v[86:87], v[39:40], s[54:55]
	v_fma_f64 v[39:40], v[69:70], v[43:44], 1.0
	v_fma_f64 v[17:18], v[84:85], v[17:18], 1.0
	v_ldexp_f64 v[43:44], v[53:54], v67
	v_cvt_i32_f64_e32 v54, v[55:56]
	v_cndmask_b32_e64 v53, 0x7ff00000, v62, s17
	s_and_b32 s17, s18, s17
	v_add_f64 v[15:16], v[15:16], v[25:26]
	v_fma_f64 v[51:52], v[59:60], v[19:20], s[52:53]
	v_fma_f64 v[23:24], v[90:91], v[23:24], s[54:55]
	v_cndmask_b32_e64 v20, 0, v53, s18
	v_cndmask_b32_e64 v19, 0, v61, s17
	v_cmp_nlt_f64_e64 s17, 0x40900000, v[41:42]
	v_cmp_ngt_f64_e64 s18, 0xc090cc00, v[41:42]
	v_fma_f64 v[33:34], v[86:87], v[33:34], 1.0
	v_fma_f64 v[39:40], v[69:70], v[39:40], 1.0
	v_cvt_i32_f64_e32 v53, v[57:58]
	v_ldexp_f64 v[17:18], v[17:18], v65
	v_cndmask_b32_e64 v55, 0x7ff00000, v44, s15
	s_and_b32 s15, s16, s15
	v_add_f64 v[15:16], v[15:16], v[19:20]
	v_fma_f64 v[44:45], v[59:60], v[51:52], s[54:55]
	v_fma_f64 v[51:52], v[90:91], v[23:24], 1.0
	v_cndmask_b32_e64 v24, 0, v55, s16
	v_cndmask_b32_e64 v23, 0, v43, s15
	v_cmp_nlt_f64_e64 s15, 0x40900000, v[21:22]
	v_cmp_ngt_f64_e64 s16, 0xc090cc00, v[21:22]
	v_fma_f64 v[33:34], v[86:87], v[33:34], 1.0
	v_ldexp_f64 v[39:40], v[39:40], v54
	v_cndmask_b32_e64 v18, 0x7ff00000, v18, s17
	s_and_b32 s17, s18, s17
	v_add_f64 v[41:42], v[15:16], v[23:24]
	v_cndmask_b32_e64 v16, 0, v18, s18
	v_cndmask_b32_e64 v15, 0, v17, s17
	v_fma_f64 v[43:44], v[59:60], v[44:45], 1.0
	v_fma_f64 v[45:46], v[90:91], v[51:52], 1.0
	v_cmp_nlt_f64_e64 s17, 0x40900000, v[11:12]
	v_cmp_ngt_f64_e64 s18, 0xc090cc00, v[11:12]
	v_ldexp_f64 v[33:34], v[33:34], v53
	v_cndmask_b32_e64 v40, 0x7ff00000, v40, s15
	s_and_b32 s15, s16, s15
	v_cndmask_b32_e64 v11, 0, v39, s15
	v_cmp_nlt_f64_e64 s15, 0x40900000, v[9:10]
	v_cndmask_b32_e64 v12, 0, v40, s16
	v_cmp_ngt_f64_e64 s16, 0xc090cc00, v[9:10]
	v_add_f64 v[17:18], v[41:42], v[15:16]
	v_cvt_i32_f64_e32 v41, v[3:4]
	v_fma_f64 v[3:4], v[59:60], v[43:44], 1.0
	v_ldexp_f64 v[21:22], v[45:46], v49
	v_cndmask_b32_e64 v34, 0x7ff00000, v34, s17
	s_and_b32 s17, s18, s17
	v_cndmask_b32_e64 v9, 0, v33, s17
	v_cmp_nlt_f64_e64 s17, 0x40900000, v[5:6]
	v_cndmask_b32_e64 v10, 0, v34, s18
	v_cmp_ngt_f64_e64 s18, 0xc090cc00, v[5:6]
	v_add_f64 v[17:18], v[17:18], v[11:12]
	v_ldexp_f64 v[3:4], v[3:4], v41
	v_cndmask_b32_e64 v22, 0x7ff00000, v22, s15
	s_and_b32 s15, s16, s15
	v_cndmask_b32_e64 v5, 0, v21, s15
	v_cndmask_b32_e64 v6, 0, v22, s16
	s_mov_b32 s16, exec_lo
	s_and_b32 s15, s18, s17
	v_add_f64 v[17:18], v[17:18], v[9:10]
	v_cndmask_b32_e64 v4, 0x7ff00000, v4, s17
	v_cndmask_b32_e64 v3, 0, v3, s15
	;; [unrolled: 1-line block ×3, first 2 shown]
	v_add_f64 v[17:18], v[17:18], v[5:6]
	v_add_f64 v[17:18], v[17:18], v[3:4]
	ds_bpermute_b32 v21, v0, v17
	ds_bpermute_b32 v22, v0, v18
	s_waitcnt lgkmcnt(0)
	v_add_f64 v[17:18], v[17:18], v[21:22]
	ds_bpermute_b32 v21, v80, v17
	ds_bpermute_b32 v22, v80, v18
	s_waitcnt lgkmcnt(0)
	;; [unrolled: 4-line block ×4, first 2 shown]
	v_add_f64 v[17:18], v[17:18], v[21:22]
	ds_bpermute_b32 v21, v83, v17
	ds_bpermute_b32 v22, v83, v18
	v_cmpx_lt_i32_e32 0, v79
	s_cbranch_execz .LBB373_50
; %bb.33:
	s_and_b32 exec_lo, exec_lo, vcc_lo
	s_cbranch_execz .LBB373_50
; %bb.34:
	s_waitcnt lgkmcnt(0)
	v_add_f64 v[17:18], v[17:18], v[21:22]
	v_div_scale_f64 v[21:22], null, v[17:18], v[17:18], v[47:48]
	v_div_scale_f64 v[41:42], vcc_lo, v[47:48], v[17:18], v[47:48]
	v_cmp_eq_f64_e64 s15, 0, v[17:18]
	v_rcp_f64_e32 v[33:34], v[21:22]
	v_fma_f64 v[39:40], -v[21:22], v[33:34], 1.0
	v_fma_f64 v[33:34], v[33:34], v[39:40], v[33:34]
	v_fma_f64 v[39:40], -v[21:22], v[33:34], 1.0
	v_fma_f64 v[33:34], v[33:34], v[39:40], v[33:34]
	v_mul_f64 v[39:40], v[41:42], v[33:34]
	v_fma_f64 v[21:22], -v[21:22], v[39:40], v[41:42]
	v_div_fmas_f64 v[21:22], v[21:22], v[33:34], v[39:40]
	v_add_co_u32 v0, vcc_lo, s36, v1
	v_add_co_ci_u32_e64 v1, null, s37, v2, vcc_lo
	v_div_fixup_f64 v[21:22], v[21:22], v[17:18], v[47:48]
	v_cndmask_b32_e64 v22, v22, 0x7ff80000, s15
	v_cndmask_b32_e64 v21, v21, 0, s15
	global_store_dwordx2 v[0:1], v[21:22], off
	s_and_b32 exec_lo, exec_lo, s14
	s_cbranch_execz .LBB373_50
; %bb.35:
	v_div_scale_f64 v[21:22], null, v[17:18], v[17:18], v[37:38]
	v_div_scale_f64 v[41:42], vcc_lo, v[37:38], v[17:18], v[37:38]
	v_rcp_f64_e32 v[33:34], v[21:22]
	v_fma_f64 v[39:40], -v[21:22], v[33:34], 1.0
	v_fma_f64 v[33:34], v[33:34], v[39:40], v[33:34]
	v_fma_f64 v[39:40], -v[21:22], v[33:34], 1.0
	v_fma_f64 v[33:34], v[33:34], v[39:40], v[33:34]
	v_mul_f64 v[39:40], v[41:42], v[33:34]
	v_fma_f64 v[21:22], -v[21:22], v[39:40], v[41:42]
	v_div_fmas_f64 v[21:22], v[21:22], v[33:34], v[39:40]
	v_div_fixup_f64 v[21:22], v[21:22], v[17:18], v[37:38]
	v_cndmask_b32_e64 v22, v22, 0x7ff80000, s15
	v_cndmask_b32_e64 v21, v21, 0, s15
	global_store_dwordx2 v[0:1], v[21:22], off offset:256
	s_and_b32 exec_lo, exec_lo, s13
	s_cbranch_execz .LBB373_50
; %bb.36:
	v_div_scale_f64 v[21:22], null, v[17:18], v[17:18], v[29:30]
	v_div_scale_f64 v[39:40], vcc_lo, v[29:30], v[17:18], v[29:30]
	v_rcp_f64_e32 v[33:34], v[21:22]
	v_fma_f64 v[37:38], -v[21:22], v[33:34], 1.0
	v_fma_f64 v[33:34], v[33:34], v[37:38], v[33:34]
	v_fma_f64 v[37:38], -v[21:22], v[33:34], 1.0
	v_fma_f64 v[33:34], v[33:34], v[37:38], v[33:34]
	v_mul_f64 v[37:38], v[39:40], v[33:34]
	v_fma_f64 v[21:22], -v[21:22], v[37:38], v[39:40]
	v_div_fmas_f64 v[21:22], v[21:22], v[33:34], v[37:38]
	v_div_fixup_f64 v[21:22], v[21:22], v[17:18], v[29:30]
	v_cndmask_b32_e64 v22, v22, 0x7ff80000, s15
	v_cndmask_b32_e64 v21, v21, 0, s15
	global_store_dwordx2 v[0:1], v[21:22], off offset:512
	;; [unrolled: 17-line block ×7, first 2 shown]
	s_and_b32 exec_lo, exec_lo, s7
	s_cbranch_execz .LBB373_50
; %bb.42:
	v_div_scale_f64 v[7:8], null, v[17:18], v[17:18], v[25:26]
	v_div_scale_f64 v[27:28], vcc_lo, v[25:26], v[17:18], v[25:26]
	v_rcp_f64_e32 v[13:14], v[7:8]
	v_fma_f64 v[21:22], -v[7:8], v[13:14], 1.0
	v_fma_f64 v[13:14], v[13:14], v[21:22], v[13:14]
	v_fma_f64 v[21:22], -v[7:8], v[13:14], 1.0
	v_fma_f64 v[13:14], v[13:14], v[21:22], v[13:14]
	v_mul_f64 v[21:22], v[27:28], v[13:14]
	v_fma_f64 v[7:8], -v[7:8], v[21:22], v[27:28]
	v_div_fmas_f64 v[7:8], v[7:8], v[13:14], v[21:22]
	v_add_co_u32 v0, vcc_lo, 0x800, v0
	v_add_co_ci_u32_e64 v1, null, 0, v1, vcc_lo
	v_div_fixup_f64 v[7:8], v[7:8], v[17:18], v[25:26]
	v_cndmask_b32_e64 v8, v8, 0x7ff80000, s15
	v_cndmask_b32_e64 v7, v7, 0, s15
	global_store_dwordx2 v[0:1], v[7:8], off
	s_and_b32 exec_lo, exec_lo, s6
	s_cbranch_execz .LBB373_50
; %bb.43:
	v_div_scale_f64 v[7:8], null, v[17:18], v[17:18], v[19:20]
	v_div_scale_f64 v[25:26], vcc_lo, v[19:20], v[17:18], v[19:20]
	v_rcp_f64_e32 v[13:14], v[7:8]
	v_fma_f64 v[21:22], -v[7:8], v[13:14], 1.0
	v_fma_f64 v[13:14], v[13:14], v[21:22], v[13:14]
	v_fma_f64 v[21:22], -v[7:8], v[13:14], 1.0
	v_fma_f64 v[13:14], v[13:14], v[21:22], v[13:14]
	v_mul_f64 v[21:22], v[25:26], v[13:14]
	v_fma_f64 v[7:8], -v[7:8], v[21:22], v[25:26]
	v_div_fmas_f64 v[7:8], v[7:8], v[13:14], v[21:22]
	v_div_fixup_f64 v[7:8], v[7:8], v[17:18], v[19:20]
	v_cndmask_b32_e64 v8, v8, 0x7ff80000, s15
	v_cndmask_b32_e64 v7, v7, 0, s15
	global_store_dwordx2 v[0:1], v[7:8], off offset:256
	s_and_b32 exec_lo, exec_lo, s5
	s_cbranch_execz .LBB373_50
; %bb.44:
	v_div_scale_f64 v[7:8], null, v[17:18], v[17:18], v[23:24]
	v_div_scale_f64 v[21:22], vcc_lo, v[23:24], v[17:18], v[23:24]
	v_rcp_f64_e32 v[13:14], v[7:8]
	v_fma_f64 v[19:20], -v[7:8], v[13:14], 1.0
	v_fma_f64 v[13:14], v[13:14], v[19:20], v[13:14]
	v_fma_f64 v[19:20], -v[7:8], v[13:14], 1.0
	v_fma_f64 v[13:14], v[13:14], v[19:20], v[13:14]
	v_mul_f64 v[19:20], v[21:22], v[13:14]
	v_fma_f64 v[7:8], -v[7:8], v[19:20], v[21:22]
	v_div_fmas_f64 v[7:8], v[7:8], v[13:14], v[19:20]
	v_div_fixup_f64 v[7:8], v[7:8], v[17:18], v[23:24]
	v_cndmask_b32_e64 v8, v8, 0x7ff80000, s15
	v_cndmask_b32_e64 v7, v7, 0, s15
	global_store_dwordx2 v[0:1], v[7:8], off offset:512
	;; [unrolled: 17-line block ×7, first 2 shown]
.LBB373_50:
	s_endpgm
	.section	.rodata,"a",@progbits
	.p2align	6, 0x0
	.amdhsa_kernel _ZN12_GLOBAL__N_120softmax_warp_forwardIdddLi9ELb0ELb0ELi32EEEvPT0_PKT_iiiPKbib
		.amdhsa_group_segment_fixed_size 0
		.amdhsa_private_segment_fixed_size 0
		.amdhsa_kernarg_size 304
		.amdhsa_user_sgpr_count 6
		.amdhsa_user_sgpr_private_segment_buffer 1
		.amdhsa_user_sgpr_dispatch_ptr 0
		.amdhsa_user_sgpr_queue_ptr 0
		.amdhsa_user_sgpr_kernarg_segment_ptr 1
		.amdhsa_user_sgpr_dispatch_id 0
		.amdhsa_user_sgpr_flat_scratch_init 0
		.amdhsa_user_sgpr_private_segment_size 0
		.amdhsa_wavefront_size32 1
		.amdhsa_uses_dynamic_stack 0
		.amdhsa_system_sgpr_private_segment_wavefront_offset 0
		.amdhsa_system_sgpr_workgroup_id_x 1
		.amdhsa_system_sgpr_workgroup_id_y 0
		.amdhsa_system_sgpr_workgroup_id_z 0
		.amdhsa_system_sgpr_workgroup_info 0
		.amdhsa_system_vgpr_workitem_id 1
		.amdhsa_next_free_vgpr 100
		.amdhsa_next_free_sgpr 56
		.amdhsa_reserve_vcc 1
		.amdhsa_reserve_flat_scratch 0
		.amdhsa_float_round_mode_32 0
		.amdhsa_float_round_mode_16_64 0
		.amdhsa_float_denorm_mode_32 3
		.amdhsa_float_denorm_mode_16_64 3
		.amdhsa_dx10_clamp 1
		.amdhsa_ieee_mode 1
		.amdhsa_fp16_overflow 0
		.amdhsa_workgroup_processor_mode 1
		.amdhsa_memory_ordered 1
		.amdhsa_forward_progress 1
		.amdhsa_shared_vgpr_count 0
		.amdhsa_exception_fp_ieee_invalid_op 0
		.amdhsa_exception_fp_denorm_src 0
		.amdhsa_exception_fp_ieee_div_zero 0
		.amdhsa_exception_fp_ieee_overflow 0
		.amdhsa_exception_fp_ieee_underflow 0
		.amdhsa_exception_fp_ieee_inexact 0
		.amdhsa_exception_int_div_zero 0
	.end_amdhsa_kernel
	.section	.text._ZN12_GLOBAL__N_120softmax_warp_forwardIdddLi9ELb0ELb0ELi32EEEvPT0_PKT_iiiPKbib,"axG",@progbits,_ZN12_GLOBAL__N_120softmax_warp_forwardIdddLi9ELb0ELb0ELi32EEEvPT0_PKT_iiiPKbib,comdat
.Lfunc_end373:
	.size	_ZN12_GLOBAL__N_120softmax_warp_forwardIdddLi9ELb0ELb0ELi32EEEvPT0_PKT_iiiPKbib, .Lfunc_end373-_ZN12_GLOBAL__N_120softmax_warp_forwardIdddLi9ELb0ELb0ELi32EEEvPT0_PKT_iiiPKbib
                                        ; -- End function
	.set _ZN12_GLOBAL__N_120softmax_warp_forwardIdddLi9ELb0ELb0ELi32EEEvPT0_PKT_iiiPKbib.num_vgpr, 100
	.set _ZN12_GLOBAL__N_120softmax_warp_forwardIdddLi9ELb0ELb0ELi32EEEvPT0_PKT_iiiPKbib.num_agpr, 0
	.set _ZN12_GLOBAL__N_120softmax_warp_forwardIdddLi9ELb0ELb0ELi32EEEvPT0_PKT_iiiPKbib.numbered_sgpr, 56
	.set _ZN12_GLOBAL__N_120softmax_warp_forwardIdddLi9ELb0ELb0ELi32EEEvPT0_PKT_iiiPKbib.num_named_barrier, 0
	.set _ZN12_GLOBAL__N_120softmax_warp_forwardIdddLi9ELb0ELb0ELi32EEEvPT0_PKT_iiiPKbib.private_seg_size, 0
	.set _ZN12_GLOBAL__N_120softmax_warp_forwardIdddLi9ELb0ELb0ELi32EEEvPT0_PKT_iiiPKbib.uses_vcc, 1
	.set _ZN12_GLOBAL__N_120softmax_warp_forwardIdddLi9ELb0ELb0ELi32EEEvPT0_PKT_iiiPKbib.uses_flat_scratch, 0
	.set _ZN12_GLOBAL__N_120softmax_warp_forwardIdddLi9ELb0ELb0ELi32EEEvPT0_PKT_iiiPKbib.has_dyn_sized_stack, 0
	.set _ZN12_GLOBAL__N_120softmax_warp_forwardIdddLi9ELb0ELb0ELi32EEEvPT0_PKT_iiiPKbib.has_recursion, 0
	.set _ZN12_GLOBAL__N_120softmax_warp_forwardIdddLi9ELb0ELb0ELi32EEEvPT0_PKT_iiiPKbib.has_indirect_call, 0
	.section	.AMDGPU.csdata,"",@progbits
; Kernel info:
; codeLenInByte = 7292
; TotalNumSgprs: 58
; NumVgprs: 100
; ScratchSize: 0
; MemoryBound: 1
; FloatMode: 240
; IeeeMode: 1
; LDSByteSize: 0 bytes/workgroup (compile time only)
; SGPRBlocks: 0
; VGPRBlocks: 12
; NumSGPRsForWavesPerEU: 58
; NumVGPRsForWavesPerEU: 100
; Occupancy: 9
; WaveLimiterHint : 0
; COMPUTE_PGM_RSRC2:SCRATCH_EN: 0
; COMPUTE_PGM_RSRC2:USER_SGPR: 6
; COMPUTE_PGM_RSRC2:TRAP_HANDLER: 0
; COMPUTE_PGM_RSRC2:TGID_X_EN: 1
; COMPUTE_PGM_RSRC2:TGID_Y_EN: 0
; COMPUTE_PGM_RSRC2:TGID_Z_EN: 0
; COMPUTE_PGM_RSRC2:TIDIG_COMP_CNT: 1
	.section	.text._ZN12_GLOBAL__N_120softmax_warp_forwardIdddLi10ELb0ELb0ELi64EEEvPT0_PKT_iiiPKbib,"axG",@progbits,_ZN12_GLOBAL__N_120softmax_warp_forwardIdddLi10ELb0ELb0ELi64EEEvPT0_PKT_iiiPKbib,comdat
	.globl	_ZN12_GLOBAL__N_120softmax_warp_forwardIdddLi10ELb0ELb0ELi64EEEvPT0_PKT_iiiPKbib ; -- Begin function _ZN12_GLOBAL__N_120softmax_warp_forwardIdddLi10ELb0ELb0ELi64EEEvPT0_PKT_iiiPKbib
	.p2align	8
	.type	_ZN12_GLOBAL__N_120softmax_warp_forwardIdddLi10ELb0ELb0ELi64EEEvPT0_PKT_iiiPKbib,@function
_ZN12_GLOBAL__N_120softmax_warp_forwardIdddLi10ELb0ELb0ELi64EEEvPT0_PKT_iiiPKbib: ; @_ZN12_GLOBAL__N_120softmax_warp_forwardIdddLi10ELb0ELb0ELi64EEEvPT0_PKT_iiiPKbib
; %bb.0:
	s_clause 0x1
	s_load_dword s0, s[4:5], 0x3c
	s_load_dwordx8 s[36:43], s[4:5], 0x0
	v_mov_b32_e32 v7, 0
	v_mov_b32_e32 v8, 0xfff00000
	s_waitcnt lgkmcnt(0)
	s_lshr_b32 s0, s0, 16
	v_cmp_gt_i32_e32 vcc_lo, s42, v0
	v_mad_u64_u32 v[1:2], null, s6, s0, v[1:2]
	v_mad_u64_u32 v[2:3], null, v1, s41, v[0:1]
	v_sub_nc_u32_e32 v79, s40, v1
	v_cmp_lt_i32_e64 s15, 0, v79
	v_ashrrev_i32_e32 v3, 31, v2
	s_and_b32 s1, s15, vcc_lo
	v_lshlrev_b64 v[1:2], 3, v[2:3]
	v_mov_b32_e32 v3, 0
	v_mov_b32_e32 v4, 0xfff00000
	v_add_co_u32 v29, s0, s38, v1
	v_add_co_ci_u32_e64 v30, null, s39, v2, s0
	s_and_saveexec_b32 s0, s1
	s_cbranch_execz .LBB374_2
; %bb.1:
	global_load_dwordx2 v[3:4], v[29:30], off
.LBB374_2:
	s_or_b32 exec_lo, exec_lo, s0
	v_add_nc_u32_e32 v5, 64, v0
	v_cmp_gt_i32_e64 s14, s42, v5
	s_and_b32 s1, s15, s14
	s_and_saveexec_b32 s0, s1
	s_cbranch_execz .LBB374_4
; %bb.3:
	global_load_dwordx2 v[7:8], v[29:30], off offset:512
.LBB374_4:
	s_or_b32 exec_lo, exec_lo, s0
	v_add_nc_u32_e32 v5, 0x80, v0
	v_mov_b32_e32 v21, 0
	v_mov_b32_e32 v13, 0
	;; [unrolled: 1-line block ×4, first 2 shown]
	v_cmp_gt_i32_e64 s13, s42, v5
	s_and_b32 s1, s15, s13
	s_and_saveexec_b32 s0, s1
	s_cbranch_execz .LBB374_6
; %bb.5:
	global_load_dwordx2 v[13:14], v[29:30], off offset:1024
.LBB374_6:
	s_or_b32 exec_lo, exec_lo, s0
	v_add_nc_u32_e32 v5, 0xc0, v0
	v_cmp_gt_i32_e64 s12, s42, v5
	s_and_b32 s1, s15, s12
	s_and_saveexec_b32 s0, s1
	s_cbranch_execz .LBB374_8
; %bb.7:
	global_load_dwordx2 v[21:22], v[29:30], off offset:1536
.LBB374_8:
	s_or_b32 exec_lo, exec_lo, s0
	v_add_nc_u32_e32 v5, 0x100, v0
	v_mov_b32_e32 v19, 0
	v_mov_b32_e32 v27, 0
	;; [unrolled: 1-line block ×4, first 2 shown]
	v_cmp_gt_i32_e64 s11, s42, v5
	s_and_b32 s0, s15, s11
	s_and_saveexec_b32 s1, s0
	s_cbranch_execz .LBB374_10
; %bb.9:
	v_add_co_u32 v5, s0, 0x800, v29
	v_add_co_ci_u32_e64 v6, null, 0, v30, s0
	global_load_dwordx2 v[27:28], v[5:6], off
.LBB374_10:
	s_or_b32 exec_lo, exec_lo, s1
	v_add_nc_u32_e32 v5, 0x140, v0
	v_cmp_gt_i32_e64 s10, s42, v5
	s_and_b32 s0, s15, s10
	s_and_saveexec_b32 s1, s0
	s_cbranch_execz .LBB374_12
; %bb.11:
	v_add_co_u32 v5, s0, 0x800, v29
	v_add_co_ci_u32_e64 v6, null, 0, v30, s0
	global_load_dwordx2 v[19:20], v[5:6], off offset:512
.LBB374_12:
	s_or_b32 exec_lo, exec_lo, s1
	v_add_nc_u32_e32 v5, 0x180, v0
	v_mov_b32_e32 v31, 0
	v_mov_b32_e32 v39, 0
	;; [unrolled: 1-line block ×4, first 2 shown]
	v_cmp_gt_i32_e64 s9, s42, v5
	s_and_b32 s0, s15, s9
	s_and_saveexec_b32 s1, s0
	s_cbranch_execz .LBB374_14
; %bb.13:
	v_add_co_u32 v5, s0, 0x800, v29
	v_add_co_ci_u32_e64 v6, null, 0, v30, s0
	global_load_dwordx2 v[39:40], v[5:6], off offset:1024
.LBB374_14:
	s_or_b32 exec_lo, exec_lo, s1
	v_add_nc_u32_e32 v5, 0x1c0, v0
	v_cmp_gt_i32_e64 s8, s42, v5
	s_and_b32 s0, s15, s8
	s_and_saveexec_b32 s1, s0
	s_cbranch_execz .LBB374_16
; %bb.15:
	v_add_co_u32 v5, s0, 0x800, v29
	v_add_co_ci_u32_e64 v6, null, 0, v30, s0
	global_load_dwordx2 v[31:32], v[5:6], off offset:1536
.LBB374_16:
	s_or_b32 exec_lo, exec_lo, s1
	v_add_nc_u32_e32 v5, 0x200, v0
	v_mov_b32_e32 v33, 0
	v_mov_b32_e32 v34, 0xfff00000
	v_cmp_gt_i32_e64 s7, s42, v5
	v_mov_b32_e32 v5, 0
	v_mov_b32_e32 v6, 0xfff00000
	s_and_b32 s0, s15, s7
	s_and_saveexec_b32 s1, s0
	s_cbranch_execz .LBB374_18
; %bb.17:
	v_add_co_u32 v9, s0, 0x1000, v29
	v_add_co_ci_u32_e64 v10, null, 0, v30, s0
	global_load_dwordx2 v[33:34], v[9:10], off
.LBB374_18:
	s_or_b32 exec_lo, exec_lo, s1
	v_add_nc_u32_e32 v9, 0x240, v0
	v_cmp_gt_i32_e64 s6, s42, v9
	s_and_b32 s0, s15, s6
	s_and_saveexec_b32 s1, s0
	s_cbranch_execz .LBB374_20
; %bb.19:
	v_add_co_u32 v5, s0, 0x1000, v29
	v_add_co_ci_u32_e64 v6, null, 0, v30, s0
	global_load_dwordx2 v[5:6], v[5:6], off offset:512
.LBB374_20:
	s_or_b32 exec_lo, exec_lo, s1
	v_add_nc_u32_e32 v9, 0x280, v0
	v_mov_b32_e32 v11, 0
	v_mov_b32_e32 v12, 0xfff00000
	v_cmp_gt_i32_e64 s5, s42, v9
	v_mov_b32_e32 v9, 0
	v_mov_b32_e32 v10, 0xfff00000
	s_and_b32 s0, s15, s5
	s_and_saveexec_b32 s1, s0
	s_cbranch_execz .LBB374_22
; %bb.21:
	v_add_co_u32 v11, s0, 0x1000, v29
	v_add_co_ci_u32_e64 v12, null, 0, v30, s0
	global_load_dwordx2 v[11:12], v[11:12], off offset:1024
.LBB374_22:
	s_or_b32 exec_lo, exec_lo, s1
	v_add_nc_u32_e32 v15, 0x2c0, v0
	v_cmp_gt_i32_e64 s4, s42, v15
	s_and_b32 s0, s15, s4
	s_and_saveexec_b32 s1, s0
	s_cbranch_execz .LBB374_24
; %bb.23:
	v_add_co_u32 v9, s0, 0x1000, v29
	v_add_co_ci_u32_e64 v10, null, 0, v30, s0
	global_load_dwordx2 v[9:10], v[9:10], off offset:1536
.LBB374_24:
	s_or_b32 exec_lo, exec_lo, s1
	v_add_nc_u32_e32 v15, 0x300, v0
	v_mov_b32_e32 v17, 0
	v_mov_b32_e32 v18, 0xfff00000
	v_cmp_gt_i32_e64 s3, s42, v15
	v_mov_b32_e32 v15, 0
	v_mov_b32_e32 v16, 0xfff00000
	s_and_b32 s0, s15, s3
	s_and_saveexec_b32 s1, s0
	s_cbranch_execz .LBB374_26
; %bb.25:
	v_add_co_u32 v17, s0, 0x1800, v29
	v_add_co_ci_u32_e64 v18, null, 0, v30, s0
	global_load_dwordx2 v[17:18], v[17:18], off
.LBB374_26:
	s_or_b32 exec_lo, exec_lo, s1
	v_add_nc_u32_e32 v23, 0x340, v0
	v_cmp_gt_i32_e64 s2, s42, v23
	s_and_b32 s0, s15, s2
	s_and_saveexec_b32 s1, s0
	s_cbranch_execz .LBB374_28
; %bb.27:
	v_add_co_u32 v15, s0, 0x1800, v29
	v_add_co_ci_u32_e64 v16, null, 0, v30, s0
	global_load_dwordx2 v[15:16], v[15:16], off offset:512
.LBB374_28:
	s_or_b32 exec_lo, exec_lo, s1
	v_add_nc_u32_e32 v23, 0x380, v0
	v_mov_b32_e32 v25, 0
	v_mov_b32_e32 v26, 0xfff00000
	v_cmp_gt_i32_e64 s1, s42, v23
	v_mov_b32_e32 v23, 0
	v_mov_b32_e32 v24, 0xfff00000
	s_and_b32 s0, s15, s1
	s_and_saveexec_b32 s16, s0
	s_cbranch_execz .LBB374_30
; %bb.29:
	v_add_co_u32 v25, s0, 0x1800, v29
	v_add_co_ci_u32_e64 v26, null, 0, v30, s0
	global_load_dwordx2 v[25:26], v[25:26], off offset:1024
.LBB374_30:
	s_or_b32 exec_lo, exec_lo, s16
	v_add_nc_u32_e32 v0, 0x3c0, v0
	v_cmp_gt_i32_e64 s0, s42, v0
	s_and_b32 s15, s15, s0
	s_and_saveexec_b32 s16, s15
	s_cbranch_execz .LBB374_32
; %bb.31:
	v_add_co_u32 v23, s15, 0x1800, v29
	v_add_co_ci_u32_e64 v24, null, 0, v30, s15
	global_load_dwordx2 v[23:24], v[23:24], off offset:1536
.LBB374_32:
	s_or_b32 exec_lo, exec_lo, s16
	s_waitcnt vmcnt(0)
	v_cmp_gt_f64_e64 s15, v[3:4], v[7:8]
	v_mbcnt_lo_u32_b32 v37, -1, 0
	s_mov_b32 s28, 0xfefa39ef
	s_mov_b32 s29, 0xbfe62e42
	;; [unrolled: 1-line block ×4, first 2 shown]
	v_or_b32_e32 v0, 32, v37
	v_xor_b32_e32 v38, 16, v37
	s_mov_b32 s34, 0xfca7ab0c
	s_mov_b32 s38, 0x6a5dcb37
	;; [unrolled: 1-line block ×3, first 2 shown]
	v_cmp_gt_i32_e64 s16, 64, v0
	s_mov_b32 s39, 0x3e5ade15
	s_mov_b32 s40, 0x623fde64
	;; [unrolled: 1-line block ×4, first 2 shown]
	v_cndmask_b32_e64 v0, v37, v0, s16
	v_cmp_gt_i32_e64 s16, 64, v38
	s_mov_b32 s43, 0x3efa0199
	s_mov_b32 s44, 0x14761f6e
	;; [unrolled: 1-line block ×3, first 2 shown]
	v_lshlrev_b32_e32 v0, 2, v0
	v_cndmask_b32_e64 v30, v8, v4, s15
	v_cndmask_b32_e64 v29, v7, v3, s15
	;; [unrolled: 1-line block ×3, first 2 shown]
	s_mov_b32 s54, 0x1852b7b0
	s_mov_b32 s55, 0x3f56c16c
	;; [unrolled: 1-line block ×3, first 2 shown]
	v_cmp_gt_f64_e64 s15, v[29:30], v[13:14]
	v_lshlrev_b32_e32 v80, 2, v38
	v_xor_b32_e32 v38, 8, v37
	s_mov_b32 s53, 0x3f811111
	s_mov_b32 s50, 0x555502a1
	s_mov_b32 s51, 0x3fa55555
	s_mov_b32 s48, 0x55555511
	v_cmp_gt_i32_e64 s16, 64, v38
	s_mov_b32 s49, 0x3fc55555
	s_mov_b32 s46, 11
	;; [unrolled: 1-line block ×3, first 2 shown]
	v_cndmask_b32_e64 v38, v37, v38, s16
	v_lshlrev_b32_e32 v81, 2, v38
	v_xor_b32_e32 v38, 4, v37
	v_cndmask_b32_e64 v30, v14, v30, s15
	v_cndmask_b32_e64 v29, v13, v29, s15
	v_cmp_gt_i32_e64 s16, 64, v38
	v_cmp_gt_f64_e64 s15, v[29:30], v[21:22]
	v_cndmask_b32_e64 v38, v37, v38, s16
	v_lshlrev_b32_e32 v82, 2, v38
	v_xor_b32_e32 v38, 2, v37
	v_cmp_gt_i32_e64 s16, 64, v38
	v_cndmask_b32_e64 v38, v37, v38, s16
	v_lshlrev_b32_e32 v83, 2, v38
	v_cndmask_b32_e64 v30, v22, v30, s15
	v_cndmask_b32_e64 v29, v21, v29, s15
	v_xor_b32_e32 v38, 1, v37
	v_cmp_gt_f64_e64 s15, v[29:30], v[27:28]
	v_cmp_gt_i32_e64 s16, 64, v38
	v_cndmask_b32_e64 v37, v37, v38, s16
	s_mov_b32 s16, 0x652b82fe
	s_mov_b32 s17, 0x3ff71547
	v_lshlrev_b32_e32 v84, 2, v37
	v_cndmask_b32_e64 v30, v28, v30, s15
	v_cndmask_b32_e64 v29, v27, v29, s15
	v_cmp_gt_f64_e64 s15, v[29:30], v[19:20]
	v_cndmask_b32_e64 v30, v20, v30, s15
	v_cndmask_b32_e64 v29, v19, v29, s15
	v_cmp_gt_f64_e64 s15, v[29:30], v[39:40]
	;; [unrolled: 3-line block ×11, first 2 shown]
	v_cndmask_b32_e64 v30, v24, v30, s15
	v_cndmask_b32_e64 v29, v23, v29, s15
	ds_bpermute_b32 v36, v0, v30
	ds_bpermute_b32 v35, v0, v29
	s_waitcnt lgkmcnt(0)
	v_cmp_lt_f64_e64 s15, v[29:30], v[35:36]
	v_cndmask_b32_e64 v30, v30, v36, s15
	v_cndmask_b32_e64 v29, v29, v35, s15
	ds_bpermute_b32 v36, v80, v30
	ds_bpermute_b32 v35, v80, v29
	s_waitcnt lgkmcnt(0)
	v_cmp_lt_f64_e64 s15, v[29:30], v[35:36]
	;; [unrolled: 6-line block ×6, first 2 shown]
	v_cndmask_b32_e64 v36, v30, v36, s15
	v_cndmask_b32_e64 v35, v29, v35, s15
	v_add_f64 v[3:4], v[3:4], -v[35:36]
	v_add_f64 v[7:8], v[7:8], -v[35:36]
	;; [unrolled: 1-line block ×8, first 2 shown]
	v_mul_f64 v[29:30], v[3:4], s[16:17]
	v_mul_f64 v[43:44], v[7:8], s[16:17]
	;; [unrolled: 1-line block ×4, first 2 shown]
	v_cmp_nlt_f64_e64 s15, 0x40900000, v[3:4]
	v_mul_f64 v[59:60], v[31:32], s[16:17]
	v_mul_f64 v[63:64], v[33:34], s[16:17]
	v_cmp_ngt_f64_e64 s18, 0xc090cc00, v[7:8]
	v_cmp_nlt_f64_e64 s19, 0x40900000, v[13:14]
	v_cmp_ngt_f64_e64 s20, 0xc090cc00, v[13:14]
	v_cmp_nlt_f64_e64 s21, 0x40900000, v[21:22]
	;; [unrolled: 2-line block ×3, first 2 shown]
	v_cmp_ngt_f64_e64 s24, 0xc090cc00, v[27:28]
	v_rndne_f64_e32 v[37:38], v[29:30]
	v_add_f64 v[29:30], v[19:20], -v[35:36]
	v_add_f64 v[19:20], v[39:40], -v[35:36]
	v_rndne_f64_e32 v[53:54], v[43:44]
	v_mul_f64 v[39:40], v[27:28], s[16:17]
	v_rndne_f64_e32 v[69:70], v[41:42]
	v_rndne_f64_e32 v[67:68], v[45:46]
	v_fma_f64 v[41:42], v[37:38], s[28:29], v[3:4]
	v_mul_f64 v[43:44], v[29:30], s[16:17]
	v_mul_f64 v[45:46], v[19:20], s[16:17]
	v_fma_f64 v[47:48], v[53:54], s[28:29], v[7:8]
	v_rndne_f64_e32 v[71:72], v[39:40]
	v_fma_f64 v[39:40], v[69:70], s[28:29], v[13:14]
	v_cvt_i32_f64_e32 v99, v[37:38]
	v_cmp_nlt_f64_e64 s25, 0x40900000, v[29:30]
	v_cmp_ngt_f64_e64 s26, 0xc090cc00, v[29:30]
	v_fma_f64 v[55:56], v[37:38], s[30:31], v[41:42]
	v_rndne_f64_e32 v[51:52], v[43:44]
	v_fma_f64 v[41:42], v[67:68], s[28:29], v[21:22]
	v_rndne_f64_e32 v[49:50], v[45:46]
	;; [unrolled: 2-line block ×3, first 2 shown]
	v_fma_f64 v[47:48], v[71:72], s[28:29], v[27:28]
	v_fma_f64 v[65:66], v[69:70], s[30:31], v[39:40]
	v_rndne_f64_e32 v[45:46], v[63:64]
	v_fma_f64 v[39:40], v[55:56], s[38:39], s[34:35]
	v_fma_f64 v[73:74], v[51:52], s[28:29], v[29:30]
	v_fma_f64 v[61:62], v[67:68], s[30:31], v[41:42]
	v_fma_f64 v[41:42], v[49:50], s[28:29], v[19:20]
	v_fma_f64 v[77:78], v[57:58], s[38:39], s[34:35]
	v_fma_f64 v[85:86], v[43:44], s[28:29], v[31:32]
	v_fma_f64 v[59:60], v[71:72], s[30:31], v[47:48]
	v_fma_f64 v[47:48], v[65:66], s[38:39], s[34:35]
	v_fma_f64 v[87:88], v[45:46], s[28:29], v[33:34]
	v_fma_f64 v[39:40], v[55:56], v[39:40], s[40:41]
	v_fma_f64 v[63:64], v[51:52], s[30:31], v[73:74]
	v_fma_f64 v[73:74], v[61:62], s[38:39], s[34:35]
	v_fma_f64 v[75:76], v[49:50], s[30:31], v[41:42]
	v_fma_f64 v[41:42], v[57:58], v[77:78], s[40:41]
	v_fma_f64 v[77:78], v[43:44], s[30:31], v[85:86]
	v_fma_f64 v[85:86], v[59:60], s[38:39], s[34:35]
	v_fma_f64 v[89:90], v[65:66], v[47:48], s[40:41]
	v_add_f64 v[47:48], v[5:6], -v[35:36]
	v_add_f64 v[5:6], v[23:24], -v[35:36]
	v_fma_f64 v[91:92], v[55:56], v[39:40], s[42:43]
	v_fma_f64 v[93:94], v[63:64], s[38:39], s[34:35]
	;; [unrolled: 1-line block ×6, first 2 shown]
	v_add_f64 v[41:42], v[11:12], -v[35:36]
	v_add_f64 v[11:12], v[15:16], -v[35:36]
	v_fma_f64 v[15:16], v[77:78], s[38:39], s[34:35]
	v_add_f64 v[39:40], v[9:10], -v[35:36]
	v_add_f64 v[9:10], v[25:26], -v[35:36]
	v_fma_f64 v[23:24], v[59:60], v[85:86], s[40:41]
	v_fma_f64 v[25:26], v[65:66], v[89:90], s[42:43]
	;; [unrolled: 1-line block ×8, first 2 shown]
	v_cvt_i32_f64_e32 v93, v[53:54]
	v_cvt_i32_f64_e32 v94, v[69:70]
	v_fma_f64 v[15:16], v[77:78], v[15:16], s[40:41]
	v_cvt_i32_f64_e32 v95, v[67:68]
	v_cvt_i32_f64_e32 v96, v[71:72]
	v_fma_f64 v[23:24], v[59:60], v[23:24], s[42:43]
	v_fma_f64 v[25:26], v[65:66], v[25:26], s[44:45]
	v_mul_f64 v[71:72], v[41:42], s[16:17]
	v_cvt_i32_f64_e32 v97, v[51:52]
	v_cvt_i32_f64_e32 v98, v[49:50]
	v_fma_f64 v[35:36], v[55:56], v[35:36], s[54:55]
	v_fma_f64 v[37:38], v[63:64], v[37:38], s[42:43]
	;; [unrolled: 1-line block ×42, first 2 shown]
	v_mul_f64 v[89:90], v[47:48], s[16:17]
	v_fma_f64 v[15:16], v[77:78], v[15:16], s[50:51]
	v_fma_f64 v[23:24], v[59:60], v[23:24], s[48:49]
	;; [unrolled: 1-line block ×3, first 2 shown]
	v_fma_f64 v[35:36], v[55:56], v[35:36], 1.0
	v_fma_f64 v[37:38], v[63:64], v[37:38], s[48:49]
	v_fma_f64 v[53:54], v[61:62], v[53:54], s[46:47]
	;; [unrolled: 1-line block ×4, first 2 shown]
	v_fma_f64 v[87:88], v[57:58], v[87:88], 1.0
	v_rndne_f64_e32 v[25:26], v[89:90]
	v_fma_f64 v[15:16], v[77:78], v[15:16], s[48:49]
	v_fma_f64 v[89:90], v[59:60], v[23:24], s[46:47]
	v_fma_f64 v[67:68], v[65:66], v[67:68], 1.0
	v_rndne_f64_e32 v[23:24], v[71:72]
	v_fma_f64 v[35:36], v[55:56], v[35:36], 1.0
	v_mul_f64 v[55:56], v[39:40], s[16:17]
	v_fma_f64 v[37:38], v[63:64], v[37:38], s[46:47]
	v_fma_f64 v[71:72], v[61:62], v[53:54], 1.0
	v_fma_f64 v[69:70], v[73:74], v[69:70], s[48:49]
	v_fma_f64 v[85:86], v[75:76], v[85:86], s[46:47]
	v_fma_f64 v[87:88], v[57:58], v[87:88], 1.0
	v_fma_f64 v[57:58], v[25:26], s[28:29], v[47:48]
	v_fma_f64 v[15:16], v[77:78], v[15:16], s[46:47]
	v_fma_f64 v[89:90], v[59:60], v[89:90], 1.0
	v_fma_f64 v[65:66], v[65:66], v[67:68], 1.0
	v_mul_f64 v[67:68], v[17:18], s[16:17]
	v_ldexp_f64 v[35:36], v[35:36], v99
	v_rndne_f64_e32 v[53:54], v[55:56]
	v_fma_f64 v[37:38], v[63:64], v[37:38], 1.0
	v_fma_f64 v[61:62], v[61:62], v[71:72], 1.0
	v_fma_f64 v[71:72], v[23:24], s[28:29], v[41:42]
	v_fma_f64 v[69:70], v[73:74], v[69:70], s[46:47]
	v_fma_f64 v[85:86], v[75:76], v[85:86], 1.0
	v_fma_f64 v[91:92], v[25:26], s[30:31], v[57:58]
	v_fma_f64 v[15:16], v[77:78], v[15:16], 1.0
	v_mul_f64 v[57:58], v[11:12], s[16:17]
	v_fma_f64 v[59:60], v[59:60], v[89:90], 1.0
	v_rndne_f64_e32 v[55:56], v[67:68]
	v_fma_f64 v[37:38], v[63:64], v[37:38], 1.0
	v_fma_f64 v[63:64], v[53:54], s[28:29], v[39:40]
	v_fma_f64 v[67:68], v[23:24], s[30:31], v[71:72]
	v_fma_f64 v[69:70], v[73:74], v[69:70], 1.0
	v_fma_f64 v[71:72], v[75:76], v[85:86], 1.0
	v_fma_f64 v[75:76], v[91:92], s[38:39], s[34:35]
	v_fma_f64 v[77:78], v[77:78], v[15:16], 1.0
	v_mul_f64 v[15:16], v[9:10], s[16:17]
	v_rndne_f64_e32 v[57:58], v[57:58]
	v_ldexp_f64 v[85:86], v[87:88], v93
	v_mul_f64 v[87:88], v[5:6], s[16:17]
	v_fma_f64 v[51:52], v[55:56], s[28:29], v[17:18]
	v_cmp_ngt_f64_e64 s16, 0xc090cc00, v[3:4]
	v_cmp_nlt_f64_e64 s17, 0x40900000, v[7:8]
	v_cndmask_b32_e64 v93, 0x7ff00000, v36, s15
	v_ldexp_f64 v[61:62], v[61:62], v95
	v_ldexp_f64 v[59:60], v[59:60], v96
	v_fma_f64 v[63:64], v[53:54], s[30:31], v[63:64]
	v_fma_f64 v[69:70], v[73:74], v[69:70], 1.0
	v_fma_f64 v[73:74], v[67:68], s[38:39], s[34:35]
	v_fma_f64 v[75:76], v[91:92], v[75:76], s[40:41]
	v_ldexp_f64 v[71:72], v[71:72], v98
	v_rndne_f64_e32 v[49:50], v[15:16]
	v_ldexp_f64 v[15:16], v[65:66], v94
	v_fma_f64 v[65:66], v[57:58], s[28:29], v[11:12]
	v_rndne_f64_e32 v[3:4], v[87:88]
	v_fma_f64 v[51:52], v[55:56], s[30:31], v[51:52]
	v_ldexp_f64 v[87:88], v[37:38], v97
	s_and_b32 s15, s16, s15
	v_cndmask_b32_e64 v38, 0x7ff00000, v86, s17
	v_cndmask_b32_e64 v62, 0x7ff00000, v62, s21
	v_cvt_i32_f64_e32 v55, v[55:56]
	v_cvt_i32_f64_e32 v56, v[57:58]
	v_cndmask_b32_e64 v38, 0, v38, s18
	v_fma_f64 v[89:90], v[63:64], s[38:39], s[34:35]
	v_fma_f64 v[73:74], v[67:68], v[73:74], s[40:41]
	;; [unrolled: 1-line block ×4, first 2 shown]
	v_cndmask_b32_e64 v16, 0x7ff00000, v16, s19
	v_fma_f64 v[65:66], v[57:58], s[30:31], v[65:66]
	v_fma_f64 v[27:28], v[3:4], s[28:29], v[5:6]
	;; [unrolled: 1-line block ×3, first 2 shown]
	v_cndmask_b32_e64 v94, 0x7ff00000, v88, s25
	v_fma_f64 v[21:22], v[63:64], v[89:90], s[40:41]
	v_cvt_i32_f64_e32 v90, v[43:44]
	v_cndmask_b32_e64 v44, 0, v93, s16
	v_fma_f64 v[36:37], v[67:68], v[73:74], s[42:43]
	v_fma_f64 v[73:74], v[91:92], v[75:76], s[44:45]
	v_cndmask_b32_e64 v43, 0, v35, s15
	v_fma_f64 v[7:8], v[49:50], s[30:31], v[7:8]
	v_cvt_i32_f64_e32 v93, v[45:46]
	v_fma_f64 v[29:30], v[65:66], s[38:39], s[34:35]
	s_and_b32 s15, s18, s17
	v_add_f64 v[45:46], v[43:44], 0
	v_fma_f64 v[13:14], v[51:52], v[13:14], s[40:41]
	v_cndmask_b32_e64 v89, 0x7ff00000, v60, s23
	v_cmp_ngt_f64_e64 s16, 0xc090cc00, v[19:20]
	s_and_b32 s17, s26, s25
	v_cmp_ngt_f64_e64 s18, 0xc090cc00, v[31:32]
	v_fma_f64 v[21:22], v[63:64], v[21:22], s[42:43]
	v_ldexp_f64 v[77:78], v[77:78], v90
	v_fma_f64 v[75:76], v[67:68], v[36:37], s[44:45]
	v_fma_f64 v[73:74], v[91:92], v[73:74], s[54:55]
	v_cndmask_b32_e64 v37, 0, v85, s15
	v_fma_f64 v[85:86], v[3:4], s[30:31], v[27:28]
	v_fma_f64 v[27:28], v[7:8], s[38:39], s[34:35]
	;; [unrolled: 1-line block ×3, first 2 shown]
	s_and_b32 s15, s20, s19
	v_add_f64 v[45:46], v[45:46], v[37:38]
	v_cndmask_b32_e64 v35, 0, v15, s15
	s_and_b32 s15, s22, s21
	v_cndmask_b32_e64 v36, 0, v16, s20
	v_cndmask_b32_e64 v15, 0, v61, s15
	v_fma_f64 v[60:61], v[51:52], v[13:14], s[42:43]
	v_cndmask_b32_e64 v14, 0, v89, s24
	s_and_b32 s15, s24, s23
	v_cndmask_b32_e64 v16, 0, v62, s22
	v_cndmask_b32_e64 v13, 0, v59, s15
	v_cmp_nlt_f64_e64 s15, 0x40900000, v[19:20]
	v_ldexp_f64 v[69:70], v[69:70], v93
	v_fma_f64 v[21:22], v[63:64], v[21:22], s[44:45]
	v_fma_f64 v[75:76], v[67:68], v[75:76], s[54:55]
	;; [unrolled: 1-line block ×6, first 2 shown]
	v_add_f64 v[45:46], v[45:46], v[35:36]
	v_fma_f64 v[59:60], v[51:52], v[60:61], s[44:45]
	v_cndmask_b32_e64 v90, 0x7ff00000, v72, s15
	s_and_b32 s15, s16, s15
	v_fma_f64 v[21:22], v[63:64], v[21:22], s[54:55]
	v_fma_f64 v[61:62], v[67:68], v[75:76], s[52:53]
	v_fma_f64 v[73:74], v[91:92], v[73:74], s[50:51]
	v_fma_f64 v[75:76], v[85:86], v[88:89], s[40:41]
	v_fma_f64 v[27:28], v[7:8], v[27:28], s[42:43]
	v_fma_f64 v[29:30], v[65:66], v[29:30], s[44:45]
	v_add_f64 v[45:46], v[45:46], v[15:16]
	v_fma_f64 v[59:60], v[51:52], v[59:60], s[54:55]
	v_fma_f64 v[21:22], v[63:64], v[21:22], s[52:53]
	;; [unrolled: 1-line block ×7, first 2 shown]
	v_add_f64 v[45:46], v[45:46], v[13:14]
	v_fma_f64 v[59:60], v[51:52], v[59:60], s[52:53]
	v_fma_f64 v[21:22], v[63:64], v[21:22], s[50:51]
	;; [unrolled: 1-line block ×7, first 2 shown]
	v_cndmask_b32_e64 v30, 0, v94, s26
	v_cndmask_b32_e64 v29, 0, v87, s17
	v_cmp_nlt_f64_e64 s17, 0x40900000, v[31:32]
	v_cvt_i32_f64_e32 v87, v[25:26]
	v_add_f64 v[19:20], v[45:46], v[29:30]
	v_fma_f64 v[59:60], v[51:52], v[59:60], s[50:51]
	v_fma_f64 v[21:22], v[63:64], v[21:22], s[48:49]
	;; [unrolled: 1-line block ×3, first 2 shown]
	v_fma_f64 v[73:74], v[91:92], v[73:74], 1.0
	v_fma_f64 v[25:26], v[85:86], v[75:76], s[54:55]
	v_fma_f64 v[45:46], v[7:8], v[27:28], s[52:53]
	v_cndmask_b32_e64 v28, 0, v90, s16
	v_cndmask_b32_e64 v27, 0, v71, s15
	v_fma_f64 v[75:76], v[65:66], v[88:89], s[50:51]
	v_cmp_nlt_f64_e64 s15, 0x40900000, v[33:34]
	v_cmp_ngt_f64_e64 s16, 0xc090cc00, v[33:34]
	v_cvt_i32_f64_e32 v71, v[23:24]
	v_add_f64 v[19:20], v[19:20], v[27:28]
	v_fma_f64 v[59:60], v[51:52], v[59:60], s[48:49]
	v_fma_f64 v[21:22], v[63:64], v[21:22], s[46:47]
	v_fma_f64 v[61:62], v[67:68], v[61:62], 1.0
	v_fma_f64 v[72:73], v[91:92], v[73:74], 1.0
	v_cndmask_b32_e64 v74, 0x7ff00000, v78, s17
	s_and_b32 s17, s18, s17
	v_fma_f64 v[23:24], v[85:86], v[25:26], s[52:53]
	v_cndmask_b32_e64 v25, 0, v77, s17
	v_fma_f64 v[31:32], v[7:8], v[45:46], s[50:51]
	v_cndmask_b32_e64 v26, 0, v74, s18
	;; [unrolled: 2-line block ×3, first 2 shown]
	v_cmp_nlt_f64_e64 s17, 0x40900000, v[47:48]
	v_cmp_ngt_f64_e64 s18, 0xc090cc00, v[47:48]
	v_add_f64 v[19:20], v[19:20], v[25:26]
	v_fma_f64 v[59:60], v[51:52], v[59:60], s[46:47]
	s_and_b32 s15, s16, s15
	v_fma_f64 v[21:22], v[63:64], v[21:22], 1.0
	v_fma_f64 v[61:62], v[67:68], v[61:62], 1.0
	v_ldexp_f64 v[67:68], v[72:73], v87
	v_cvt_i32_f64_e32 v72, v[53:54]
	v_fma_f64 v[33:34], v[85:86], v[23:24], s[50:51]
	v_cndmask_b32_e64 v24, 0, v70, s16
	v_cndmask_b32_e64 v23, 0, v69, s15
	v_fma_f64 v[31:32], v[7:8], v[31:32], s[48:49]
	v_fma_f64 v[45:46], v[65:66], v[45:46], s[46:47]
	v_cmp_nlt_f64_e64 s15, 0x40900000, v[41:42]
	v_cmp_ngt_f64_e64 s16, 0xc090cc00, v[41:42]
	v_add_f64 v[47:48], v[19:20], v[23:24]
	v_fma_f64 v[53:54], v[51:52], v[59:60], 1.0
	v_fma_f64 v[21:22], v[63:64], v[21:22], 1.0
	v_ldexp_f64 v[59:60], v[61:62], v71
	v_cndmask_b32_e64 v61, 0x7ff00000, v68, s17
	s_and_b32 s17, s18, s17
	v_cndmask_b32_e64 v19, 0, v67, s17
	v_fma_f64 v[33:34], v[85:86], v[33:34], s[48:49]
	v_cndmask_b32_e64 v20, 0, v61, s18
	v_fma_f64 v[31:32], v[7:8], v[31:32], s[46:47]
	v_fma_f64 v[45:46], v[65:66], v[45:46], 1.0
	v_cmp_nlt_f64_e64 s17, 0x40900000, v[39:40]
	v_cmp_ngt_f64_e64 s18, 0xc090cc00, v[39:40]
	v_add_f64 v[41:42], v[47:48], v[19:20]
	v_fma_f64 v[51:52], v[51:52], v[53:54], 1.0
	v_ldexp_f64 v[53:54], v[21:22], v72
	v_cndmask_b32_e64 v21, 0x7ff00000, v60, s15
	s_and_b32 s15, s16, s15
	v_cndmask_b32_e64 v22, 0, v21, s16
	v_cndmask_b32_e64 v21, 0, v59, s15
	v_fma_f64 v[33:34], v[85:86], v[33:34], s[46:47]
	v_fma_f64 v[31:32], v[7:8], v[31:32], 1.0
	v_fma_f64 v[45:46], v[65:66], v[45:46], 1.0
	v_cmp_nlt_f64_e64 s15, 0x40900000, v[17:18]
	v_cmp_ngt_f64_e64 s16, 0xc090cc00, v[17:18]
	v_add_f64 v[39:40], v[41:42], v[21:22]
	v_ldexp_f64 v[47:48], v[51:52], v55
	v_cvt_i32_f64_e32 v41, v[49:50]
	v_cndmask_b32_e64 v51, 0x7ff00000, v54, s17
	s_and_b32 s17, s18, s17
	v_cndmask_b32_e64 v17, 0, v53, s17
	v_cmp_nlt_f64_e64 s17, 0x40900000, v[11:12]
	v_cndmask_b32_e64 v18, 0, v51, s18
	v_cmp_ngt_f64_e64 s18, 0xc090cc00, v[11:12]
	v_fma_f64 v[33:34], v[85:86], v[33:34], 1.0
	v_fma_f64 v[7:8], v[7:8], v[31:32], 1.0
	v_ldexp_f64 v[31:32], v[45:46], v56
	v_cvt_i32_f64_e32 v45, v[3:4]
	v_add_f64 v[39:40], v[39:40], v[17:18]
	v_cndmask_b32_e64 v42, 0x7ff00000, v48, s15
	s_and_b32 s15, s16, s15
	v_cndmask_b32_e64 v11, 0, v47, s15
	v_cmp_nlt_f64_e64 s15, 0x40900000, v[9:10]
	v_cndmask_b32_e64 v12, 0, v42, s16
	v_cmp_ngt_f64_e64 s16, 0xc090cc00, v[9:10]
	v_fma_f64 v[3:4], v[85:86], v[33:34], 1.0
	v_ldexp_f64 v[33:34], v[7:8], v41
	v_cndmask_b32_e64 v7, 0x7ff00000, v32, s17
	s_and_b32 s17, s18, s17
	v_add_f64 v[39:40], v[39:40], v[11:12]
	v_cndmask_b32_e64 v8, 0, v7, s18
	v_cndmask_b32_e64 v7, 0, v31, s17
	v_cmp_nlt_f64_e64 s17, 0x40900000, v[5:6]
	v_cmp_ngt_f64_e64 s18, 0xc090cc00, v[5:6]
	v_ldexp_f64 v[3:4], v[3:4], v45
	v_cndmask_b32_e64 v32, 0x7ff00000, v34, s15
	s_and_b32 s15, s16, s15
	v_cndmask_b32_e64 v5, 0, v33, s15
	v_add_f64 v[9:10], v[39:40], v[7:8]
	v_cndmask_b32_e64 v6, 0, v32, s16
	s_mov_b32 s16, exec_lo
	s_and_b32 s15, s18, s17
	v_cndmask_b32_e64 v4, 0x7ff00000, v4, s17
	v_cndmask_b32_e64 v3, 0, v3, s15
	v_add_f64 v[9:10], v[9:10], v[5:6]
	v_cndmask_b32_e64 v4, 0, v4, s18
	v_add_f64 v[9:10], v[9:10], v[3:4]
	ds_bpermute_b32 v31, v0, v9
	ds_bpermute_b32 v32, v0, v10
	s_waitcnt lgkmcnt(0)
	v_add_f64 v[9:10], v[9:10], v[31:32]
	ds_bpermute_b32 v31, v80, v9
	ds_bpermute_b32 v32, v80, v10
	s_waitcnt lgkmcnt(0)
	;; [unrolled: 4-line block ×5, first 2 shown]
	v_add_f64 v[9:10], v[9:10], v[31:32]
	ds_bpermute_b32 v31, v84, v9
	ds_bpermute_b32 v32, v84, v10
	v_cmpx_lt_i32_e32 0, v79
	s_cbranch_execz .LBB374_50
; %bb.33:
	s_and_b32 exec_lo, exec_lo, vcc_lo
	s_cbranch_execz .LBB374_50
; %bb.34:
	s_waitcnt lgkmcnt(0)
	v_add_f64 v[9:10], v[9:10], v[31:32]
	v_div_scale_f64 v[31:32], null, v[9:10], v[9:10], v[43:44]
	v_div_scale_f64 v[41:42], vcc_lo, v[43:44], v[9:10], v[43:44]
	v_cmp_eq_f64_e64 s15, 0, v[9:10]
	v_rcp_f64_e32 v[33:34], v[31:32]
	v_fma_f64 v[39:40], -v[31:32], v[33:34], 1.0
	v_fma_f64 v[33:34], v[33:34], v[39:40], v[33:34]
	v_fma_f64 v[39:40], -v[31:32], v[33:34], 1.0
	v_fma_f64 v[33:34], v[33:34], v[39:40], v[33:34]
	v_mul_f64 v[39:40], v[41:42], v[33:34]
	v_fma_f64 v[31:32], -v[31:32], v[39:40], v[41:42]
	v_div_fmas_f64 v[31:32], v[31:32], v[33:34], v[39:40]
	v_add_co_u32 v0, vcc_lo, s36, v1
	v_add_co_ci_u32_e64 v1, null, s37, v2, vcc_lo
	v_div_fixup_f64 v[31:32], v[31:32], v[9:10], v[43:44]
	v_cndmask_b32_e64 v32, v32, 0x7ff80000, s15
	v_cndmask_b32_e64 v31, v31, 0, s15
	global_store_dwordx2 v[0:1], v[31:32], off
	s_and_b32 exec_lo, exec_lo, s14
	s_cbranch_execz .LBB374_50
; %bb.35:
	v_div_scale_f64 v[31:32], null, v[9:10], v[9:10], v[37:38]
	v_div_scale_f64 v[41:42], vcc_lo, v[37:38], v[9:10], v[37:38]
	v_rcp_f64_e32 v[33:34], v[31:32]
	v_fma_f64 v[39:40], -v[31:32], v[33:34], 1.0
	v_fma_f64 v[33:34], v[33:34], v[39:40], v[33:34]
	v_fma_f64 v[39:40], -v[31:32], v[33:34], 1.0
	v_fma_f64 v[33:34], v[33:34], v[39:40], v[33:34]
	v_mul_f64 v[39:40], v[41:42], v[33:34]
	v_fma_f64 v[31:32], -v[31:32], v[39:40], v[41:42]
	v_div_fmas_f64 v[31:32], v[31:32], v[33:34], v[39:40]
	v_div_fixup_f64 v[31:32], v[31:32], v[9:10], v[37:38]
	v_cndmask_b32_e64 v32, v32, 0x7ff80000, s15
	v_cndmask_b32_e64 v31, v31, 0, s15
	global_store_dwordx2 v[0:1], v[31:32], off offset:512
	s_and_b32 exec_lo, exec_lo, s13
	s_cbranch_execz .LBB374_50
; %bb.36:
	v_div_scale_f64 v[31:32], null, v[9:10], v[9:10], v[35:36]
	v_div_scale_f64 v[39:40], vcc_lo, v[35:36], v[9:10], v[35:36]
	v_rcp_f64_e32 v[33:34], v[31:32]
	v_fma_f64 v[37:38], -v[31:32], v[33:34], 1.0
	v_fma_f64 v[33:34], v[33:34], v[37:38], v[33:34]
	v_fma_f64 v[37:38], -v[31:32], v[33:34], 1.0
	v_fma_f64 v[33:34], v[33:34], v[37:38], v[33:34]
	v_mul_f64 v[37:38], v[39:40], v[33:34]
	v_fma_f64 v[31:32], -v[31:32], v[37:38], v[39:40]
	v_div_fmas_f64 v[31:32], v[31:32], v[33:34], v[37:38]
	v_div_fixup_f64 v[31:32], v[31:32], v[9:10], v[35:36]
	v_cndmask_b32_e64 v32, v32, 0x7ff80000, s15
	v_cndmask_b32_e64 v31, v31, 0, s15
	global_store_dwordx2 v[0:1], v[31:32], off offset:1024
	;; [unrolled: 17-line block ×3, first 2 shown]
	s_and_b32 exec_lo, exec_lo, s11
	s_cbranch_execz .LBB374_50
; %bb.38:
	v_div_scale_f64 v[15:16], null, v[9:10], v[9:10], v[13:14]
	v_div_scale_f64 v[35:36], vcc_lo, v[13:14], v[9:10], v[13:14]
	v_rcp_f64_e32 v[31:32], v[15:16]
	v_fma_f64 v[33:34], -v[15:16], v[31:32], 1.0
	v_fma_f64 v[31:32], v[31:32], v[33:34], v[31:32]
	v_fma_f64 v[33:34], -v[15:16], v[31:32], 1.0
	v_fma_f64 v[31:32], v[31:32], v[33:34], v[31:32]
	v_mul_f64 v[33:34], v[35:36], v[31:32]
	v_fma_f64 v[15:16], -v[15:16], v[33:34], v[35:36]
	v_div_fmas_f64 v[15:16], v[15:16], v[31:32], v[33:34]
	v_div_fixup_f64 v[13:14], v[15:16], v[9:10], v[13:14]
	v_cndmask_b32_e64 v15, v13, 0, s15
	v_add_co_u32 v13, vcc_lo, 0x800, v0
	v_cndmask_b32_e64 v16, v14, 0x7ff80000, s15
	v_add_co_ci_u32_e64 v14, null, 0, v1, vcc_lo
	global_store_dwordx2 v[13:14], v[15:16], off
	s_and_b32 exec_lo, exec_lo, s10
	s_cbranch_execz .LBB374_50
; %bb.39:
	v_div_scale_f64 v[15:16], null, v[9:10], v[9:10], v[29:30]
	v_div_scale_f64 v[35:36], vcc_lo, v[29:30], v[9:10], v[29:30]
	v_rcp_f64_e32 v[31:32], v[15:16]
	v_fma_f64 v[33:34], -v[15:16], v[31:32], 1.0
	v_fma_f64 v[31:32], v[31:32], v[33:34], v[31:32]
	v_fma_f64 v[33:34], -v[15:16], v[31:32], 1.0
	v_fma_f64 v[31:32], v[31:32], v[33:34], v[31:32]
	v_mul_f64 v[33:34], v[35:36], v[31:32]
	v_fma_f64 v[15:16], -v[15:16], v[33:34], v[35:36]
	v_div_fmas_f64 v[15:16], v[15:16], v[31:32], v[33:34]
	v_div_fixup_f64 v[15:16], v[15:16], v[9:10], v[29:30]
	v_cndmask_b32_e64 v16, v16, 0x7ff80000, s15
	v_cndmask_b32_e64 v15, v15, 0, s15
	global_store_dwordx2 v[13:14], v[15:16], off offset:512
	s_and_b32 exec_lo, exec_lo, s9
	s_cbranch_execz .LBB374_50
; %bb.40:
	v_div_scale_f64 v[15:16], null, v[9:10], v[9:10], v[27:28]
	v_div_scale_f64 v[33:34], vcc_lo, v[27:28], v[9:10], v[27:28]
	v_rcp_f64_e32 v[29:30], v[15:16]
	v_fma_f64 v[31:32], -v[15:16], v[29:30], 1.0
	v_fma_f64 v[29:30], v[29:30], v[31:32], v[29:30]
	v_fma_f64 v[31:32], -v[15:16], v[29:30], 1.0
	v_fma_f64 v[29:30], v[29:30], v[31:32], v[29:30]
	v_mul_f64 v[31:32], v[33:34], v[29:30]
	v_fma_f64 v[15:16], -v[15:16], v[31:32], v[33:34]
	v_div_fmas_f64 v[15:16], v[15:16], v[29:30], v[31:32]
	v_div_fixup_f64 v[15:16], v[15:16], v[9:10], v[27:28]
	v_cndmask_b32_e64 v16, v16, 0x7ff80000, s15
	v_cndmask_b32_e64 v15, v15, 0, s15
	global_store_dwordx2 v[13:14], v[15:16], off offset:1024
	;; [unrolled: 17-line block ×3, first 2 shown]
	s_and_b32 exec_lo, exec_lo, s7
	s_cbranch_execz .LBB374_50
; %bb.42:
	v_div_scale_f64 v[13:14], null, v[9:10], v[9:10], v[23:24]
	v_div_scale_f64 v[27:28], vcc_lo, v[23:24], v[9:10], v[23:24]
	v_rcp_f64_e32 v[15:16], v[13:14]
	v_fma_f64 v[25:26], -v[13:14], v[15:16], 1.0
	v_fma_f64 v[15:16], v[15:16], v[25:26], v[15:16]
	v_fma_f64 v[25:26], -v[13:14], v[15:16], 1.0
	v_fma_f64 v[15:16], v[15:16], v[25:26], v[15:16]
	v_mul_f64 v[25:26], v[27:28], v[15:16]
	v_fma_f64 v[13:14], -v[13:14], v[25:26], v[27:28]
	v_div_fmas_f64 v[13:14], v[13:14], v[15:16], v[25:26]
	v_div_fixup_f64 v[13:14], v[13:14], v[9:10], v[23:24]
	v_cndmask_b32_e64 v15, v13, 0, s15
	v_add_co_u32 v13, vcc_lo, 0x1000, v0
	v_cndmask_b32_e64 v16, v14, 0x7ff80000, s15
	v_add_co_ci_u32_e64 v14, null, 0, v1, vcc_lo
	global_store_dwordx2 v[13:14], v[15:16], off
	s_and_b32 exec_lo, exec_lo, s6
	s_cbranch_execz .LBB374_50
; %bb.43:
	v_div_scale_f64 v[15:16], null, v[9:10], v[9:10], v[19:20]
	v_div_scale_f64 v[27:28], vcc_lo, v[19:20], v[9:10], v[19:20]
	v_rcp_f64_e32 v[23:24], v[15:16]
	v_fma_f64 v[25:26], -v[15:16], v[23:24], 1.0
	v_fma_f64 v[23:24], v[23:24], v[25:26], v[23:24]
	v_fma_f64 v[25:26], -v[15:16], v[23:24], 1.0
	v_fma_f64 v[23:24], v[23:24], v[25:26], v[23:24]
	v_mul_f64 v[25:26], v[27:28], v[23:24]
	v_fma_f64 v[15:16], -v[15:16], v[25:26], v[27:28]
	v_div_fmas_f64 v[15:16], v[15:16], v[23:24], v[25:26]
	v_div_fixup_f64 v[15:16], v[15:16], v[9:10], v[19:20]
	v_cndmask_b32_e64 v16, v16, 0x7ff80000, s15
	v_cndmask_b32_e64 v15, v15, 0, s15
	global_store_dwordx2 v[13:14], v[15:16], off offset:512
	s_and_b32 exec_lo, exec_lo, s5
	s_cbranch_execz .LBB374_50
; %bb.44:
	v_div_scale_f64 v[15:16], null, v[9:10], v[9:10], v[21:22]
	v_div_scale_f64 v[25:26], vcc_lo, v[21:22], v[9:10], v[21:22]
	v_rcp_f64_e32 v[19:20], v[15:16]
	v_fma_f64 v[23:24], -v[15:16], v[19:20], 1.0
	v_fma_f64 v[19:20], v[19:20], v[23:24], v[19:20]
	v_fma_f64 v[23:24], -v[15:16], v[19:20], 1.0
	v_fma_f64 v[19:20], v[19:20], v[23:24], v[19:20]
	v_mul_f64 v[23:24], v[25:26], v[19:20]
	v_fma_f64 v[15:16], -v[15:16], v[23:24], v[25:26]
	v_div_fmas_f64 v[15:16], v[15:16], v[19:20], v[23:24]
	v_div_fixup_f64 v[15:16], v[15:16], v[9:10], v[21:22]
	v_cndmask_b32_e64 v16, v16, 0x7ff80000, s15
	v_cndmask_b32_e64 v15, v15, 0, s15
	global_store_dwordx2 v[13:14], v[15:16], off offset:1024
	;; [unrolled: 17-line block ×3, first 2 shown]
	s_and_b32 exec_lo, exec_lo, s3
	s_cbranch_execz .LBB374_50
; %bb.46:
	v_div_scale_f64 v[13:14], null, v[9:10], v[9:10], v[11:12]
	v_div_scale_f64 v[19:20], vcc_lo, v[11:12], v[9:10], v[11:12]
	v_rcp_f64_e32 v[15:16], v[13:14]
	v_fma_f64 v[17:18], -v[13:14], v[15:16], 1.0
	v_fma_f64 v[15:16], v[15:16], v[17:18], v[15:16]
	v_fma_f64 v[17:18], -v[13:14], v[15:16], 1.0
	v_fma_f64 v[15:16], v[15:16], v[17:18], v[15:16]
	v_mul_f64 v[17:18], v[19:20], v[15:16]
	v_fma_f64 v[13:14], -v[13:14], v[17:18], v[19:20]
	v_div_fmas_f64 v[13:14], v[13:14], v[15:16], v[17:18]
	v_add_co_u32 v0, vcc_lo, 0x1800, v0
	v_add_co_ci_u32_e64 v1, null, 0, v1, vcc_lo
	v_div_fixup_f64 v[11:12], v[13:14], v[9:10], v[11:12]
	v_cndmask_b32_e64 v12, v12, 0x7ff80000, s15
	v_cndmask_b32_e64 v11, v11, 0, s15
	global_store_dwordx2 v[0:1], v[11:12], off
	s_and_b32 exec_lo, exec_lo, s2
	s_cbranch_execz .LBB374_50
; %bb.47:
	v_div_scale_f64 v[11:12], null, v[9:10], v[9:10], v[7:8]
	v_div_scale_f64 v[17:18], vcc_lo, v[7:8], v[9:10], v[7:8]
	v_rcp_f64_e32 v[13:14], v[11:12]
	v_fma_f64 v[15:16], -v[11:12], v[13:14], 1.0
	v_fma_f64 v[13:14], v[13:14], v[15:16], v[13:14]
	v_fma_f64 v[15:16], -v[11:12], v[13:14], 1.0
	v_fma_f64 v[13:14], v[13:14], v[15:16], v[13:14]
	v_mul_f64 v[15:16], v[17:18], v[13:14]
	v_fma_f64 v[11:12], -v[11:12], v[15:16], v[17:18]
	v_div_fmas_f64 v[11:12], v[11:12], v[13:14], v[15:16]
	v_div_fixup_f64 v[7:8], v[11:12], v[9:10], v[7:8]
	v_cndmask_b32_e64 v8, v8, 0x7ff80000, s15
	v_cndmask_b32_e64 v7, v7, 0, s15
	global_store_dwordx2 v[0:1], v[7:8], off offset:512
	s_and_b32 exec_lo, exec_lo, s1
	s_cbranch_execz .LBB374_50
; %bb.48:
	v_div_scale_f64 v[7:8], null, v[9:10], v[9:10], v[5:6]
	v_div_scale_f64 v[15:16], vcc_lo, v[5:6], v[9:10], v[5:6]
	v_rcp_f64_e32 v[11:12], v[7:8]
	v_fma_f64 v[13:14], -v[7:8], v[11:12], 1.0
	v_fma_f64 v[11:12], v[11:12], v[13:14], v[11:12]
	v_fma_f64 v[13:14], -v[7:8], v[11:12], 1.0
	v_fma_f64 v[11:12], v[11:12], v[13:14], v[11:12]
	v_mul_f64 v[13:14], v[15:16], v[11:12]
	v_fma_f64 v[7:8], -v[7:8], v[13:14], v[15:16]
	v_div_fmas_f64 v[7:8], v[7:8], v[11:12], v[13:14]
	v_div_fixup_f64 v[5:6], v[7:8], v[9:10], v[5:6]
	v_cndmask_b32_e64 v6, v6, 0x7ff80000, s15
	v_cndmask_b32_e64 v5, v5, 0, s15
	global_store_dwordx2 v[0:1], v[5:6], off offset:1024
	;; [unrolled: 17-line block ×3, first 2 shown]
.LBB374_50:
	s_endpgm
	.section	.rodata,"a",@progbits
	.p2align	6, 0x0
	.amdhsa_kernel _ZN12_GLOBAL__N_120softmax_warp_forwardIdddLi10ELb0ELb0ELi64EEEvPT0_PKT_iiiPKbib
		.amdhsa_group_segment_fixed_size 0
		.amdhsa_private_segment_fixed_size 0
		.amdhsa_kernarg_size 304
		.amdhsa_user_sgpr_count 6
		.amdhsa_user_sgpr_private_segment_buffer 1
		.amdhsa_user_sgpr_dispatch_ptr 0
		.amdhsa_user_sgpr_queue_ptr 0
		.amdhsa_user_sgpr_kernarg_segment_ptr 1
		.amdhsa_user_sgpr_dispatch_id 0
		.amdhsa_user_sgpr_flat_scratch_init 0
		.amdhsa_user_sgpr_private_segment_size 0
		.amdhsa_wavefront_size32 1
		.amdhsa_uses_dynamic_stack 0
		.amdhsa_system_sgpr_private_segment_wavefront_offset 0
		.amdhsa_system_sgpr_workgroup_id_x 1
		.amdhsa_system_sgpr_workgroup_id_y 0
		.amdhsa_system_sgpr_workgroup_id_z 0
		.amdhsa_system_sgpr_workgroup_info 0
		.amdhsa_system_vgpr_workitem_id 1
		.amdhsa_next_free_vgpr 100
		.amdhsa_next_free_sgpr 56
		.amdhsa_reserve_vcc 1
		.amdhsa_reserve_flat_scratch 0
		.amdhsa_float_round_mode_32 0
		.amdhsa_float_round_mode_16_64 0
		.amdhsa_float_denorm_mode_32 3
		.amdhsa_float_denorm_mode_16_64 3
		.amdhsa_dx10_clamp 1
		.amdhsa_ieee_mode 1
		.amdhsa_fp16_overflow 0
		.amdhsa_workgroup_processor_mode 1
		.amdhsa_memory_ordered 1
		.amdhsa_forward_progress 1
		.amdhsa_shared_vgpr_count 0
		.amdhsa_exception_fp_ieee_invalid_op 0
		.amdhsa_exception_fp_denorm_src 0
		.amdhsa_exception_fp_ieee_div_zero 0
		.amdhsa_exception_fp_ieee_overflow 0
		.amdhsa_exception_fp_ieee_underflow 0
		.amdhsa_exception_fp_ieee_inexact 0
		.amdhsa_exception_int_div_zero 0
	.end_amdhsa_kernel
	.section	.text._ZN12_GLOBAL__N_120softmax_warp_forwardIdddLi10ELb0ELb0ELi64EEEvPT0_PKT_iiiPKbib,"axG",@progbits,_ZN12_GLOBAL__N_120softmax_warp_forwardIdddLi10ELb0ELb0ELi64EEEvPT0_PKT_iiiPKbib,comdat
.Lfunc_end374:
	.size	_ZN12_GLOBAL__N_120softmax_warp_forwardIdddLi10ELb0ELb0ELi64EEEvPT0_PKT_iiiPKbib, .Lfunc_end374-_ZN12_GLOBAL__N_120softmax_warp_forwardIdddLi10ELb0ELb0ELi64EEEvPT0_PKT_iiiPKbib
                                        ; -- End function
	.set _ZN12_GLOBAL__N_120softmax_warp_forwardIdddLi10ELb0ELb0ELi64EEEvPT0_PKT_iiiPKbib.num_vgpr, 100
	.set _ZN12_GLOBAL__N_120softmax_warp_forwardIdddLi10ELb0ELb0ELi64EEEvPT0_PKT_iiiPKbib.num_agpr, 0
	.set _ZN12_GLOBAL__N_120softmax_warp_forwardIdddLi10ELb0ELb0ELi64EEEvPT0_PKT_iiiPKbib.numbered_sgpr, 56
	.set _ZN12_GLOBAL__N_120softmax_warp_forwardIdddLi10ELb0ELb0ELi64EEEvPT0_PKT_iiiPKbib.num_named_barrier, 0
	.set _ZN12_GLOBAL__N_120softmax_warp_forwardIdddLi10ELb0ELb0ELi64EEEvPT0_PKT_iiiPKbib.private_seg_size, 0
	.set _ZN12_GLOBAL__N_120softmax_warp_forwardIdddLi10ELb0ELb0ELi64EEEvPT0_PKT_iiiPKbib.uses_vcc, 1
	.set _ZN12_GLOBAL__N_120softmax_warp_forwardIdddLi10ELb0ELb0ELi64EEEvPT0_PKT_iiiPKbib.uses_flat_scratch, 0
	.set _ZN12_GLOBAL__N_120softmax_warp_forwardIdddLi10ELb0ELb0ELi64EEEvPT0_PKT_iiiPKbib.has_dyn_sized_stack, 0
	.set _ZN12_GLOBAL__N_120softmax_warp_forwardIdddLi10ELb0ELb0ELi64EEEvPT0_PKT_iiiPKbib.has_recursion, 0
	.set _ZN12_GLOBAL__N_120softmax_warp_forwardIdddLi10ELb0ELb0ELi64EEEvPT0_PKT_iiiPKbib.has_indirect_call, 0
	.section	.AMDGPU.csdata,"",@progbits
; Kernel info:
; codeLenInByte = 7512
; TotalNumSgprs: 58
; NumVgprs: 100
; ScratchSize: 0
; MemoryBound: 1
; FloatMode: 240
; IeeeMode: 1
; LDSByteSize: 0 bytes/workgroup (compile time only)
; SGPRBlocks: 0
; VGPRBlocks: 12
; NumSGPRsForWavesPerEU: 58
; NumVGPRsForWavesPerEU: 100
; Occupancy: 9
; WaveLimiterHint : 0
; COMPUTE_PGM_RSRC2:SCRATCH_EN: 0
; COMPUTE_PGM_RSRC2:USER_SGPR: 6
; COMPUTE_PGM_RSRC2:TRAP_HANDLER: 0
; COMPUTE_PGM_RSRC2:TGID_X_EN: 1
; COMPUTE_PGM_RSRC2:TGID_Y_EN: 0
; COMPUTE_PGM_RSRC2:TGID_Z_EN: 0
; COMPUTE_PGM_RSRC2:TIDIG_COMP_CNT: 1
	.section	.text._ZN12_GLOBAL__N_120softmax_warp_forwardIdddLi10ELb0ELb0ELi32EEEvPT0_PKT_iiiPKbib,"axG",@progbits,_ZN12_GLOBAL__N_120softmax_warp_forwardIdddLi10ELb0ELb0ELi32EEEvPT0_PKT_iiiPKbib,comdat
	.globl	_ZN12_GLOBAL__N_120softmax_warp_forwardIdddLi10ELb0ELb0ELi32EEEvPT0_PKT_iiiPKbib ; -- Begin function _ZN12_GLOBAL__N_120softmax_warp_forwardIdddLi10ELb0ELb0ELi32EEEvPT0_PKT_iiiPKbib
	.p2align	8
	.type	_ZN12_GLOBAL__N_120softmax_warp_forwardIdddLi10ELb0ELb0ELi32EEEvPT0_PKT_iiiPKbib,@function
_ZN12_GLOBAL__N_120softmax_warp_forwardIdddLi10ELb0ELb0ELi32EEEvPT0_PKT_iiiPKbib: ; @_ZN12_GLOBAL__N_120softmax_warp_forwardIdddLi10ELb0ELb0ELi32EEEvPT0_PKT_iiiPKbib
; %bb.0:
	s_clause 0x1
	s_load_dword s0, s[4:5], 0x3c
	s_load_dwordx8 s[36:43], s[4:5], 0x0
	v_mov_b32_e32 v5, 0
	v_mov_b32_e32 v6, 0xfff00000
	s_waitcnt lgkmcnt(0)
	s_lshr_b32 s0, s0, 16
	v_cmp_gt_i32_e32 vcc_lo, s42, v0
	v_mad_u64_u32 v[1:2], null, s6, s0, v[1:2]
	v_mad_u64_u32 v[2:3], null, v1, s41, v[0:1]
	v_sub_nc_u32_e32 v71, s40, v1
	v_cmp_lt_i32_e64 s31, 0, v71
	v_ashrrev_i32_e32 v3, 31, v2
	s_and_b32 s1, s31, vcc_lo
	v_lshlrev_b64 v[1:2], 3, v[2:3]
	v_mov_b32_e32 v3, 0
	v_mov_b32_e32 v4, 0xfff00000
	v_add_co_u32 v67, s0, s38, v1
	v_add_co_ci_u32_e64 v68, null, s39, v2, s0
	s_and_saveexec_b32 s0, s1
	s_cbranch_execz .LBB375_2
; %bb.1:
	global_load_dwordx2 v[3:4], v[67:68], off
.LBB375_2:
	s_or_b32 exec_lo, exec_lo, s0
	v_add_nc_u32_e32 v7, 32, v0
	v_cmp_gt_i32_e64 s30, s42, v7
	s_and_b32 s1, s31, s30
	s_and_saveexec_b32 s0, s1
	s_cbranch_execz .LBB375_4
; %bb.3:
	global_load_dwordx2 v[5:6], v[67:68], off offset:256
.LBB375_4:
	s_or_b32 exec_lo, exec_lo, s0
	v_add_nc_u32_e32 v7, 64, v0
	v_mov_b32_e32 v9, 0
	v_mov_b32_e32 v10, 0xfff00000
	v_cmp_gt_i32_e64 s29, s42, v7
	v_mov_b32_e32 v7, 0
	v_mov_b32_e32 v8, 0xfff00000
	s_and_b32 s1, s31, s29
	s_and_saveexec_b32 s0, s1
	s_cbranch_execz .LBB375_6
; %bb.5:
	global_load_dwordx2 v[7:8], v[67:68], off offset:512
.LBB375_6:
	s_or_b32 exec_lo, exec_lo, s0
	v_add_nc_u32_e32 v11, 0x60, v0
	v_cmp_gt_i32_e64 s28, s42, v11
	s_and_b32 s1, s31, s28
	s_and_saveexec_b32 s0, s1
	s_cbranch_execz .LBB375_8
; %bb.7:
	global_load_dwordx2 v[9:10], v[67:68], off offset:768
.LBB375_8:
	s_or_b32 exec_lo, exec_lo, s0
	v_add_nc_u32_e32 v11, 0x80, v0
	v_mov_b32_e32 v13, 0
	v_mov_b32_e32 v14, 0xfff00000
	v_cmp_gt_i32_e64 s27, s42, v11
	v_mov_b32_e32 v11, 0
	v_mov_b32_e32 v12, 0xfff00000
	s_and_b32 s1, s31, s27
	s_and_saveexec_b32 s0, s1
	s_cbranch_execz .LBB375_10
; %bb.9:
	global_load_dwordx2 v[11:12], v[67:68], off offset:1024
.LBB375_10:
	;; [unrolled: 22-line block ×3, first 2 shown]
	s_or_b32 exec_lo, exec_lo, s0
	v_add_nc_u32_e32 v19, 0xe0, v0
	v_cmp_gt_i32_e64 s24, s42, v19
	s_and_b32 s1, s31, s24
	s_and_saveexec_b32 s0, s1
	s_cbranch_execz .LBB375_16
; %bb.15:
	global_load_dwordx2 v[17:18], v[67:68], off offset:1792
.LBB375_16:
	s_or_b32 exec_lo, exec_lo, s0
	v_add_nc_u32_e32 v19, 0x100, v0
	v_mov_b32_e32 v21, 0
	v_mov_b32_e32 v22, 0xfff00000
	v_cmp_gt_i32_e64 s23, s42, v19
	v_mov_b32_e32 v19, 0
	v_mov_b32_e32 v20, 0xfff00000
	s_and_b32 s0, s31, s23
	s_and_saveexec_b32 s1, s0
	s_cbranch_execz .LBB375_18
; %bb.17:
	v_add_co_u32 v19, s0, 0x800, v67
	v_add_co_ci_u32_e64 v20, null, 0, v68, s0
	global_load_dwordx2 v[19:20], v[19:20], off
.LBB375_18:
	s_or_b32 exec_lo, exec_lo, s1
	v_add_nc_u32_e32 v23, 0x120, v0
	v_cmp_gt_i32_e64 s22, s42, v23
	s_and_b32 s0, s31, s22
	s_and_saveexec_b32 s1, s0
	s_cbranch_execz .LBB375_20
; %bb.19:
	v_add_co_u32 v21, s0, 0x800, v67
	v_add_co_ci_u32_e64 v22, null, 0, v68, s0
	global_load_dwordx2 v[21:22], v[21:22], off offset:256
.LBB375_20:
	s_or_b32 exec_lo, exec_lo, s1
	v_add_nc_u32_e32 v23, 0x140, v0
	v_mov_b32_e32 v25, 0
	v_mov_b32_e32 v26, 0xfff00000
	v_cmp_gt_i32_e64 s21, s42, v23
	v_mov_b32_e32 v23, 0
	v_mov_b32_e32 v24, 0xfff00000
	s_and_b32 s0, s31, s21
	s_and_saveexec_b32 s1, s0
	s_cbranch_execz .LBB375_22
; %bb.21:
	v_add_co_u32 v23, s0, 0x800, v67
	v_add_co_ci_u32_e64 v24, null, 0, v68, s0
	global_load_dwordx2 v[23:24], v[23:24], off offset:512
.LBB375_22:
	s_or_b32 exec_lo, exec_lo, s1
	v_add_nc_u32_e32 v27, 0x160, v0
	v_cmp_gt_i32_e64 s20, s42, v27
	s_and_b32 s0, s31, s20
	s_and_saveexec_b32 s1, s0
	s_cbranch_execz .LBB375_24
; %bb.23:
	v_add_co_u32 v25, s0, 0x800, v67
	v_add_co_ci_u32_e64 v26, null, 0, v68, s0
	global_load_dwordx2 v[25:26], v[25:26], off offset:768
.LBB375_24:
	s_or_b32 exec_lo, exec_lo, s1
	v_add_nc_u32_e32 v27, 0x180, v0
	v_mov_b32_e32 v29, 0
	v_mov_b32_e32 v30, 0xfff00000
	v_cmp_gt_i32_e64 s19, s42, v27
	v_mov_b32_e32 v27, 0
	v_mov_b32_e32 v28, 0xfff00000
	s_and_b32 s0, s31, s19
	s_and_saveexec_b32 s1, s0
	s_cbranch_execz .LBB375_26
; %bb.25:
	v_add_co_u32 v27, s0, 0x800, v67
	v_add_co_ci_u32_e64 v28, null, 0, v68, s0
	global_load_dwordx2 v[27:28], v[27:28], off offset:1024
.LBB375_26:
	s_or_b32 exec_lo, exec_lo, s1
	v_add_nc_u32_e32 v31, 0x1a0, v0
	v_cmp_gt_i32_e64 s18, s42, v31
	s_and_b32 s0, s31, s18
	s_and_saveexec_b32 s1, s0
	s_cbranch_execz .LBB375_28
; %bb.27:
	v_add_co_u32 v29, s0, 0x800, v67
	v_add_co_ci_u32_e64 v30, null, 0, v68, s0
	global_load_dwordx2 v[29:30], v[29:30], off offset:1280
.LBB375_28:
	s_or_b32 exec_lo, exec_lo, s1
	v_add_nc_u32_e32 v31, 0x1c0, v0
	v_mov_b32_e32 v33, 0
	v_mov_b32_e32 v34, 0xfff00000
	v_cmp_gt_i32_e64 s17, s42, v31
	v_mov_b32_e32 v31, 0
	v_mov_b32_e32 v32, 0xfff00000
	s_and_b32 s0, s31, s17
	s_and_saveexec_b32 s1, s0
	s_cbranch_execz .LBB375_30
; %bb.29:
	v_add_co_u32 v31, s0, 0x800, v67
	v_add_co_ci_u32_e64 v32, null, 0, v68, s0
	global_load_dwordx2 v[31:32], v[31:32], off offset:1536
.LBB375_30:
	s_or_b32 exec_lo, exec_lo, s1
	v_add_nc_u32_e32 v35, 0x1e0, v0
	v_cmp_gt_i32_e64 s16, s42, v35
	s_and_b32 s0, s31, s16
	s_and_saveexec_b32 s1, s0
	s_cbranch_execz .LBB375_32
; %bb.31:
	v_add_co_u32 v33, s0, 0x800, v67
	v_add_co_ci_u32_e64 v34, null, 0, v68, s0
	global_load_dwordx2 v[33:34], v[33:34], off offset:1792
.LBB375_32:
	s_or_b32 exec_lo, exec_lo, s1
	v_add_nc_u32_e32 v35, 0x200, v0
	v_mov_b32_e32 v37, 0
	v_mov_b32_e32 v38, 0xfff00000
	v_cmp_gt_i32_e64 s15, s42, v35
	v_mov_b32_e32 v35, 0
	v_mov_b32_e32 v36, 0xfff00000
	s_and_b32 s0, s31, s15
	s_and_saveexec_b32 s1, s0
	s_cbranch_execz .LBB375_34
; %bb.33:
	v_add_co_u32 v35, s0, 0x1000, v67
	v_add_co_ci_u32_e64 v36, null, 0, v68, s0
	global_load_dwordx2 v[35:36], v[35:36], off
.LBB375_34:
	s_or_b32 exec_lo, exec_lo, s1
	v_add_nc_u32_e32 v39, 0x220, v0
	v_cmp_gt_i32_e64 s14, s42, v39
	s_and_b32 s0, s31, s14
	s_and_saveexec_b32 s1, s0
	s_cbranch_execz .LBB375_36
; %bb.35:
	v_add_co_u32 v37, s0, 0x1000, v67
	v_add_co_ci_u32_e64 v38, null, 0, v68, s0
	global_load_dwordx2 v[37:38], v[37:38], off offset:256
.LBB375_36:
	s_or_b32 exec_lo, exec_lo, s1
	v_add_nc_u32_e32 v39, 0x240, v0
	v_mov_b32_e32 v41, 0
	v_mov_b32_e32 v42, 0xfff00000
	v_cmp_gt_i32_e64 s13, s42, v39
	v_mov_b32_e32 v39, 0
	v_mov_b32_e32 v40, 0xfff00000
	s_and_b32 s0, s31, s13
	s_and_saveexec_b32 s1, s0
	s_cbranch_execz .LBB375_38
; %bb.37:
	v_add_co_u32 v39, s0, 0x1000, v67
	v_add_co_ci_u32_e64 v40, null, 0, v68, s0
	global_load_dwordx2 v[39:40], v[39:40], off offset:512
.LBB375_38:
	s_or_b32 exec_lo, exec_lo, s1
	v_add_nc_u32_e32 v43, 0x260, v0
	v_cmp_gt_i32_e64 s12, s42, v43
	s_and_b32 s0, s31, s12
	s_and_saveexec_b32 s1, s0
	s_cbranch_execz .LBB375_40
; %bb.39:
	v_add_co_u32 v41, s0, 0x1000, v67
	v_add_co_ci_u32_e64 v42, null, 0, v68, s0
	global_load_dwordx2 v[41:42], v[41:42], off offset:768
.LBB375_40:
	s_or_b32 exec_lo, exec_lo, s1
	v_add_nc_u32_e32 v43, 0x280, v0
	v_mov_b32_e32 v45, 0
	v_mov_b32_e32 v46, 0xfff00000
	v_cmp_gt_i32_e64 s11, s42, v43
	v_mov_b32_e32 v43, 0
	v_mov_b32_e32 v44, 0xfff00000
	s_and_b32 s0, s31, s11
	s_and_saveexec_b32 s1, s0
	s_cbranch_execz .LBB375_42
; %bb.41:
	v_add_co_u32 v43, s0, 0x1000, v67
	v_add_co_ci_u32_e64 v44, null, 0, v68, s0
	global_load_dwordx2 v[43:44], v[43:44], off offset:1024
.LBB375_42:
	;; [unrolled: 26-line block ×3, first 2 shown]
	s_or_b32 exec_lo, exec_lo, s1
	v_add_nc_u32_e32 v51, 0x2e0, v0
	v_cmp_gt_i32_e64 s8, s42, v51
	s_and_b32 s0, s31, s8
	s_and_saveexec_b32 s1, s0
	s_cbranch_execz .LBB375_48
; %bb.47:
	v_add_co_u32 v49, s0, 0x1000, v67
	v_add_co_ci_u32_e64 v50, null, 0, v68, s0
	global_load_dwordx2 v[49:50], v[49:50], off offset:1792
.LBB375_48:
	s_or_b32 exec_lo, exec_lo, s1
	v_add_nc_u32_e32 v51, 0x300, v0
	v_mov_b32_e32 v53, 0
	v_mov_b32_e32 v54, 0xfff00000
	v_cmp_gt_i32_e64 s7, s42, v51
	v_mov_b32_e32 v51, 0
	v_mov_b32_e32 v52, 0xfff00000
	s_and_b32 s0, s31, s7
	s_and_saveexec_b32 s1, s0
	s_cbranch_execz .LBB375_50
; %bb.49:
	v_add_co_u32 v51, s0, 0x1800, v67
	v_add_co_ci_u32_e64 v52, null, 0, v68, s0
	global_load_dwordx2 v[51:52], v[51:52], off
.LBB375_50:
	s_or_b32 exec_lo, exec_lo, s1
	v_add_nc_u32_e32 v55, 0x320, v0
	v_cmp_gt_i32_e64 s6, s42, v55
	s_and_b32 s0, s31, s6
	s_and_saveexec_b32 s1, s0
	s_cbranch_execz .LBB375_52
; %bb.51:
	v_add_co_u32 v53, s0, 0x1800, v67
	v_add_co_ci_u32_e64 v54, null, 0, v68, s0
	global_load_dwordx2 v[53:54], v[53:54], off offset:256
.LBB375_52:
	s_or_b32 exec_lo, exec_lo, s1
	v_add_nc_u32_e32 v55, 0x340, v0
	v_mov_b32_e32 v59, 0
	v_mov_b32_e32 v60, 0xfff00000
	v_cmp_gt_i32_e64 s5, s42, v55
	v_mov_b32_e32 v55, 0
	v_mov_b32_e32 v56, 0xfff00000
	s_and_b32 s0, s31, s5
	s_and_saveexec_b32 s1, s0
	s_cbranch_execz .LBB375_54
; %bb.53:
	v_add_co_u32 v55, s0, 0x1800, v67
	v_add_co_ci_u32_e64 v56, null, 0, v68, s0
	global_load_dwordx2 v[55:56], v[55:56], off offset:512
.LBB375_54:
	s_or_b32 exec_lo, exec_lo, s1
	v_add_nc_u32_e32 v57, 0x360, v0
	v_cmp_gt_i32_e64 s4, s42, v57
	s_and_b32 s0, s31, s4
	s_and_saveexec_b32 s1, s0
	s_cbranch_execz .LBB375_56
; %bb.55:
	v_add_co_u32 v57, s0, 0x1800, v67
	v_add_co_ci_u32_e64 v58, null, 0, v68, s0
	global_load_dwordx2 v[59:60], v[57:58], off offset:768
.LBB375_56:
	s_or_b32 exec_lo, exec_lo, s1
	v_add_nc_u32_e32 v57, 0x380, v0
	v_mov_b32_e32 v65, 0
	v_mov_b32_e32 v61, 0
	;; [unrolled: 1-line block ×4, first 2 shown]
	v_cmp_gt_i32_e64 s3, s42, v57
	s_and_b32 s0, s31, s3
	s_and_saveexec_b32 s1, s0
	s_cbranch_execz .LBB375_58
; %bb.57:
	v_add_co_u32 v57, s0, 0x1800, v67
	v_add_co_ci_u32_e64 v58, null, 0, v68, s0
	global_load_dwordx2 v[61:62], v[57:58], off offset:1024
.LBB375_58:
	s_or_b32 exec_lo, exec_lo, s1
	v_add_nc_u32_e32 v57, 0x3a0, v0
	v_cmp_gt_i32_e64 s2, s42, v57
	s_and_b32 s0, s31, s2
	s_and_saveexec_b32 s1, s0
	s_cbranch_execz .LBB375_60
; %bb.59:
	v_add_co_u32 v57, s0, 0x1800, v67
	v_add_co_ci_u32_e64 v58, null, 0, v68, s0
	global_load_dwordx2 v[65:66], v[57:58], off offset:1280
.LBB375_60:
	s_or_b32 exec_lo, exec_lo, s1
	v_add_nc_u32_e32 v57, 0x3c0, v0
	v_mov_b32_e32 v63, 0
	v_mov_b32_e32 v64, 0xfff00000
	v_cmp_gt_i32_e64 s1, s42, v57
	v_mov_b32_e32 v57, 0
	v_mov_b32_e32 v58, 0xfff00000
	s_and_b32 s0, s31, s1
	s_and_saveexec_b32 s33, s0
	s_cbranch_execz .LBB375_62
; %bb.61:
	v_add_co_u32 v63, s0, 0x1800, v67
	v_add_co_ci_u32_e64 v64, null, 0, v68, s0
	global_load_dwordx2 v[63:64], v[63:64], off offset:1536
.LBB375_62:
	s_or_b32 exec_lo, exec_lo, s33
	v_add_nc_u32_e32 v0, 0x3e0, v0
	v_cmp_gt_i32_e64 s0, s42, v0
	s_and_b32 s31, s31, s0
	s_and_saveexec_b32 s33, s31
	s_cbranch_execz .LBB375_64
; %bb.63:
	v_add_co_u32 v57, s31, 0x1800, v67
	v_add_co_ci_u32_e64 v58, null, 0, v68, s31
	global_load_dwordx2 v[57:58], v[57:58], off offset:1792
.LBB375_64:
	s_or_b32 exec_lo, exec_lo, s33
	s_waitcnt vmcnt(0)
	v_cmp_gt_f64_e64 s31, v[3:4], v[5:6]
	v_mbcnt_lo_u32_b32 v75, -1, 0
	s_mov_b32 s34, 0x652b82fe
	s_mov_b32 s35, 0x3ff71547
	s_mov_b32 s38, 0xfefa39ef
	s_mov_b32 s39, 0xbfe62e42
	v_xor_b32_e32 v0, 16, v75
	s_mov_b32 s40, 0x3b39803f
	s_mov_b32 s41, 0xbc7abc9e
	;; [unrolled: 1-line block ×15, first 2 shown]
	v_cndmask_b32_e64 v68, v6, v4, s31
	v_cndmask_b32_e64 v67, v5, v3, s31
	s_mov_b32 s55, 0x3f811111
	s_mov_b32 s56, 0x555502a1
	;; [unrolled: 1-line block ×4, first 2 shown]
	v_cmp_gt_f64_e64 s31, v[67:68], v[7:8]
	s_mov_b32 s59, 0x3fc55555
	s_mov_b32 s60, 11
	;; [unrolled: 1-line block ×3, first 2 shown]
	v_cndmask_b32_e64 v68, v8, v68, s31
	v_cndmask_b32_e64 v67, v7, v67, s31
	v_cmp_gt_f64_e64 s31, v[67:68], v[9:10]
	v_cndmask_b32_e64 v68, v10, v68, s31
	v_cndmask_b32_e64 v67, v9, v67, s31
	v_cmp_gt_f64_e64 s31, v[67:68], v[11:12]
	;; [unrolled: 3-line block ×29, first 2 shown]
	v_cndmask_b32_e64 v68, v58, v68, s31
	v_cndmask_b32_e64 v67, v57, v67, s31
	v_cmp_gt_i32_e64 s31, 32, v0
	v_cndmask_b32_e64 v0, v75, v0, s31
	v_lshlrev_b32_e32 v0, 2, v0
	ds_bpermute_b32 v69, v0, v67
	ds_bpermute_b32 v70, v0, v68
	s_waitcnt lgkmcnt(0)
	v_cmp_lt_f64_e64 s31, v[67:68], v[69:70]
	v_cndmask_b32_e64 v67, v67, v69, s31
	v_xor_b32_e32 v69, 8, v75
	v_cndmask_b32_e64 v68, v68, v70, s31
	v_cmp_gt_i32_e64 s31, 32, v69
	v_cndmask_b32_e64 v69, v75, v69, s31
	v_lshlrev_b32_e32 v72, 2, v69
	ds_bpermute_b32 v69, v72, v67
	ds_bpermute_b32 v70, v72, v68
	s_waitcnt lgkmcnt(0)
	v_cmp_lt_f64_e64 s31, v[67:68], v[69:70]
	v_cndmask_b32_e64 v67, v67, v69, s31
	v_xor_b32_e32 v69, 4, v75
	;; [unrolled: 10-line block ×4, first 2 shown]
	v_cndmask_b32_e64 v68, v68, v70, s31
	v_cmp_gt_i32_e64 s31, 32, v69
	v_cndmask_b32_e64 v69, v75, v69, s31
	v_lshlrev_b32_e32 v75, 2, v69
	ds_bpermute_b32 v69, v75, v67
	ds_bpermute_b32 v70, v75, v68
	s_waitcnt lgkmcnt(0)
	v_cmp_lt_f64_e64 s31, v[67:68], v[69:70]
	v_cndmask_b32_e64 v68, v68, v70, s31
	v_cndmask_b32_e64 v67, v67, v69, s31
	v_add_f64 v[3:4], v[3:4], -v[67:68]
	v_add_f64 v[5:6], v[5:6], -v[67:68]
	v_add_f64 v[7:8], v[7:8], -v[67:68]
	v_add_f64 v[9:10], v[9:10], -v[67:68]
	v_add_f64 v[11:12], v[11:12], -v[67:68]
	v_add_f64 v[13:14], v[13:14], -v[67:68]
	v_add_f64 v[15:16], v[15:16], -v[67:68]
	v_add_f64 v[17:18], v[17:18], -v[67:68]
	v_add_f64 v[19:20], v[19:20], -v[67:68]
	v_add_f64 v[21:22], v[21:22], -v[67:68]
	v_add_f64 v[23:24], v[23:24], -v[67:68]
	v_add_f64 v[25:26], v[25:26], -v[67:68]
	v_add_f64 v[27:28], v[27:28], -v[67:68]
	v_add_f64 v[29:30], v[29:30], -v[67:68]
	v_add_f64 v[31:32], v[31:32], -v[67:68]
	v_add_f64 v[33:34], v[33:34], -v[67:68]
	v_add_f64 v[35:36], v[35:36], -v[67:68]
	v_add_f64 v[37:38], v[37:38], -v[67:68]
	v_add_f64 v[39:40], v[39:40], -v[67:68]
	v_add_f64 v[41:42], v[41:42], -v[67:68]
	v_add_f64 v[43:44], v[43:44], -v[67:68]
	v_add_f64 v[45:46], v[45:46], -v[67:68]
	v_mul_f64 v[69:70], v[3:4], s[34:35]
	v_cmp_nlt_f64_e64 s31, 0x40900000, v[3:4]
	v_cmp_ngt_f64_e64 s33, 0xc090cc00, v[3:4]
	v_add_f64 v[47:48], v[47:48], -v[67:68]
	v_add_f64 v[49:50], v[49:50], -v[67:68]
	;; [unrolled: 1-line block ×10, first 2 shown]
	v_rndne_f64_e32 v[69:70], v[69:70]
	v_mul_f64 v[67:68], v[57:58], s[34:35]
	v_fma_f64 v[76:77], v[69:70], s[38:39], v[3:4]
	v_rndne_f64_e32 v[67:68], v[67:68]
	v_fma_f64 v[76:77], v[69:70], s[40:41], v[76:77]
	v_cvt_i32_f64_e32 v69, v[69:70]
	v_fma_f64 v[78:79], v[76:77], s[44:45], s[42:43]
	v_fma_f64 v[78:79], v[76:77], v[78:79], s[46:47]
	v_fma_f64 v[78:79], v[76:77], v[78:79], s[48:49]
	v_fma_f64 v[78:79], v[76:77], v[78:79], s[50:51]
	v_fma_f64 v[78:79], v[76:77], v[78:79], s[52:53]
	v_fma_f64 v[78:79], v[76:77], v[78:79], s[54:55]
	v_fma_f64 v[78:79], v[76:77], v[78:79], s[56:57]
	v_fma_f64 v[78:79], v[76:77], v[78:79], s[58:59]
	v_fma_f64 v[78:79], v[76:77], v[78:79], s[60:61]
	v_fma_f64 v[78:79], v[76:77], v[78:79], 1.0
	v_fma_f64 v[76:77], v[76:77], v[78:79], 1.0
	v_ldexp_f64 v[69:70], v[76:77], v69
	v_mul_f64 v[76:77], v[5:6], s[34:35]
	v_cndmask_b32_e64 v70, 0x7ff00000, v70, s31
	v_rndne_f64_e32 v[76:77], v[76:77]
	s_and_b32 s31, s33, s31
	v_cndmask_b32_e64 v3, 0, v69, s31
	v_cmp_nlt_f64_e64 s31, 0x40900000, v[5:6]
	v_cndmask_b32_e64 v4, 0, v70, s33
	v_cmp_ngt_f64_e64 s33, 0xc090cc00, v[5:6]
	v_add_f64 v[69:70], v[3:4], 0
	v_fma_f64 v[78:79], v[76:77], s[38:39], v[5:6]
	v_fma_f64 v[78:79], v[76:77], s[40:41], v[78:79]
	v_cvt_i32_f64_e32 v76, v[76:77]
	v_fma_f64 v[80:81], v[78:79], s[44:45], s[42:43]
	v_fma_f64 v[80:81], v[78:79], v[80:81], s[46:47]
	v_fma_f64 v[80:81], v[78:79], v[80:81], s[48:49]
	v_fma_f64 v[80:81], v[78:79], v[80:81], s[50:51]
	v_fma_f64 v[80:81], v[78:79], v[80:81], s[52:53]
	v_fma_f64 v[80:81], v[78:79], v[80:81], s[54:55]
	v_fma_f64 v[80:81], v[78:79], v[80:81], s[56:57]
	v_fma_f64 v[80:81], v[78:79], v[80:81], s[58:59]
	v_fma_f64 v[80:81], v[78:79], v[80:81], s[60:61]
	v_fma_f64 v[80:81], v[78:79], v[80:81], 1.0
	v_fma_f64 v[78:79], v[78:79], v[80:81], 1.0
	v_ldexp_f64 v[76:77], v[78:79], v76
	v_cndmask_b32_e64 v77, 0x7ff00000, v77, s31
	s_and_b32 s31, s33, s31
	v_cndmask_b32_e64 v5, 0, v76, s31
	v_cmp_nlt_f64_e64 s31, 0x40900000, v[7:8]
	v_cndmask_b32_e64 v6, 0, v77, s33
	v_mul_f64 v[76:77], v[7:8], s[34:35]
	v_cmp_ngt_f64_e64 s33, 0xc090cc00, v[7:8]
	v_add_f64 v[69:70], v[69:70], v[5:6]
	v_rndne_f64_e32 v[76:77], v[76:77]
	v_fma_f64 v[78:79], v[76:77], s[38:39], v[7:8]
	v_fma_f64 v[78:79], v[76:77], s[40:41], v[78:79]
	v_cvt_i32_f64_e32 v76, v[76:77]
	v_fma_f64 v[80:81], v[78:79], s[44:45], s[42:43]
	v_fma_f64 v[80:81], v[78:79], v[80:81], s[46:47]
	v_fma_f64 v[80:81], v[78:79], v[80:81], s[48:49]
	v_fma_f64 v[80:81], v[78:79], v[80:81], s[50:51]
	v_fma_f64 v[80:81], v[78:79], v[80:81], s[52:53]
	v_fma_f64 v[80:81], v[78:79], v[80:81], s[54:55]
	v_fma_f64 v[80:81], v[78:79], v[80:81], s[56:57]
	v_fma_f64 v[80:81], v[78:79], v[80:81], s[58:59]
	v_fma_f64 v[80:81], v[78:79], v[80:81], s[60:61]
	v_fma_f64 v[80:81], v[78:79], v[80:81], 1.0
	v_fma_f64 v[78:79], v[78:79], v[80:81], 1.0
	v_ldexp_f64 v[76:77], v[78:79], v76
	v_cndmask_b32_e64 v77, 0x7ff00000, v77, s31
	s_and_b32 s31, s33, s31
	v_cndmask_b32_e64 v7, 0, v76, s31
	v_cmp_nlt_f64_e64 s31, 0x40900000, v[9:10]
	v_cndmask_b32_e64 v8, 0, v77, s33
	v_mul_f64 v[76:77], v[9:10], s[34:35]
	v_cmp_ngt_f64_e64 s33, 0xc090cc00, v[9:10]
	v_add_f64 v[69:70], v[69:70], v[7:8]
	v_rndne_f64_e32 v[76:77], v[76:77]
	;; [unrolled: 24-line block ×29, first 2 shown]
	v_fma_f64 v[78:79], v[76:77], s[38:39], v[63:64]
	v_fma_f64 v[78:79], v[76:77], s[40:41], v[78:79]
	v_cvt_i32_f64_e32 v76, v[76:77]
	v_fma_f64 v[80:81], v[78:79], s[44:45], s[42:43]
	v_fma_f64 v[80:81], v[78:79], v[80:81], s[46:47]
	;; [unrolled: 1-line block ×9, first 2 shown]
	v_fma_f64 v[80:81], v[78:79], v[80:81], 1.0
	v_fma_f64 v[78:79], v[78:79], v[80:81], 1.0
	v_ldexp_f64 v[76:77], v[78:79], v76
	v_cndmask_b32_e64 v77, 0x7ff00000, v77, s31
	s_and_b32 s31, s33, s31
	v_cndmask_b32_e64 v63, 0, v76, s31
	v_cmp_ngt_f64_e64 s31, 0xc090cc00, v[57:58]
	v_cndmask_b32_e64 v64, 0, v77, s33
	v_fma_f64 v[76:77], v[67:68], s[38:39], v[57:58]
	v_cmp_nlt_f64_e64 s33, 0x40900000, v[57:58]
	v_add_f64 v[69:70], v[69:70], v[63:64]
	v_fma_f64 v[76:77], v[67:68], s[40:41], v[76:77]
	v_cvt_i32_f64_e32 v67, v[67:68]
	v_fma_f64 v[78:79], v[76:77], s[44:45], s[42:43]
	v_fma_f64 v[78:79], v[76:77], v[78:79], s[46:47]
	;; [unrolled: 1-line block ×9, first 2 shown]
	v_fma_f64 v[78:79], v[76:77], v[78:79], 1.0
	v_fma_f64 v[76:77], v[76:77], v[78:79], 1.0
	v_ldexp_f64 v[67:68], v[76:77], v67
	v_cndmask_b32_e64 v68, 0x7ff00000, v68, s33
	s_and_b32 s33, s31, s33
	v_cndmask_b32_e64 v57, 0, v67, s33
	s_mov_b32 s33, exec_lo
	v_cndmask_b32_e64 v58, 0, v68, s31
	v_add_f64 v[67:68], v[69:70], v[57:58]
	ds_bpermute_b32 v69, v0, v67
	ds_bpermute_b32 v70, v0, v68
	s_waitcnt lgkmcnt(0)
	v_add_f64 v[67:68], v[67:68], v[69:70]
	ds_bpermute_b32 v69, v72, v67
	ds_bpermute_b32 v70, v72, v68
	s_waitcnt lgkmcnt(0)
	;; [unrolled: 4-line block ×4, first 2 shown]
	v_add_f64 v[67:68], v[67:68], v[69:70]
	ds_bpermute_b32 v69, v75, v67
	ds_bpermute_b32 v70, v75, v68
	v_cmpx_lt_i32_e32 0, v71
	s_cbranch_execz .LBB375_98
; %bb.65:
	s_and_b32 exec_lo, exec_lo, vcc_lo
	s_cbranch_execz .LBB375_98
; %bb.66:
	s_waitcnt lgkmcnt(0)
	v_add_f64 v[67:68], v[67:68], v[69:70]
	v_div_scale_f64 v[69:70], null, v[67:68], v[67:68], v[3:4]
	v_div_scale_f64 v[75:76], vcc_lo, v[3:4], v[67:68], v[3:4]
	v_cmp_eq_f64_e64 s31, 0, v[67:68]
	v_rcp_f64_e32 v[71:72], v[69:70]
	v_fma_f64 v[73:74], -v[69:70], v[71:72], 1.0
	v_fma_f64 v[71:72], v[71:72], v[73:74], v[71:72]
	v_fma_f64 v[73:74], -v[69:70], v[71:72], 1.0
	v_fma_f64 v[71:72], v[71:72], v[73:74], v[71:72]
	v_mul_f64 v[73:74], v[75:76], v[71:72]
	v_fma_f64 v[69:70], -v[69:70], v[73:74], v[75:76]
	v_div_fmas_f64 v[69:70], v[69:70], v[71:72], v[73:74]
	v_add_co_u32 v0, vcc_lo, s36, v1
	v_add_co_ci_u32_e64 v1, null, s37, v2, vcc_lo
	v_div_fixup_f64 v[3:4], v[69:70], v[67:68], v[3:4]
	v_cndmask_b32_e64 v4, v4, 0x7ff80000, s31
	v_cndmask_b32_e64 v3, v3, 0, s31
	global_store_dwordx2 v[0:1], v[3:4], off
	s_and_b32 exec_lo, exec_lo, s30
	s_cbranch_execz .LBB375_98
; %bb.67:
	v_div_scale_f64 v[2:3], null, v[67:68], v[67:68], v[5:6]
	v_div_scale_f64 v[73:74], vcc_lo, v[5:6], v[67:68], v[5:6]
	v_rcp_f64_e32 v[69:70], v[2:3]
	v_fma_f64 v[71:72], -v[2:3], v[69:70], 1.0
	v_fma_f64 v[69:70], v[69:70], v[71:72], v[69:70]
	v_fma_f64 v[71:72], -v[2:3], v[69:70], 1.0
	v_fma_f64 v[69:70], v[69:70], v[71:72], v[69:70]
	v_mul_f64 v[71:72], v[73:74], v[69:70]
	v_fma_f64 v[2:3], -v[2:3], v[71:72], v[73:74]
	v_div_fmas_f64 v[2:3], v[2:3], v[69:70], v[71:72]
	v_div_fixup_f64 v[2:3], v[2:3], v[67:68], v[5:6]
	v_cndmask_b32_e64 v3, v3, 0x7ff80000, s31
	v_cndmask_b32_e64 v2, v2, 0, s31
	global_store_dwordx2 v[0:1], v[2:3], off offset:256
	s_and_b32 exec_lo, exec_lo, s29
	s_cbranch_execz .LBB375_98
; %bb.68:
	v_div_scale_f64 v[2:3], null, v[67:68], v[67:68], v[7:8]
	v_div_scale_f64 v[71:72], vcc_lo, v[7:8], v[67:68], v[7:8]
	v_rcp_f64_e32 v[4:5], v[2:3]
	v_fma_f64 v[69:70], -v[2:3], v[4:5], 1.0
	v_fma_f64 v[4:5], v[4:5], v[69:70], v[4:5]
	v_fma_f64 v[69:70], -v[2:3], v[4:5], 1.0
	v_fma_f64 v[4:5], v[4:5], v[69:70], v[4:5]
	v_mul_f64 v[69:70], v[71:72], v[4:5]
	v_fma_f64 v[2:3], -v[2:3], v[69:70], v[71:72]
	v_div_fmas_f64 v[2:3], v[2:3], v[4:5], v[69:70]
	v_div_fixup_f64 v[2:3], v[2:3], v[67:68], v[7:8]
	v_cndmask_b32_e64 v3, v3, 0x7ff80000, s31
	v_cndmask_b32_e64 v2, v2, 0, s31
	global_store_dwordx2 v[0:1], v[2:3], off offset:512
	;; [unrolled: 17-line block ×7, first 2 shown]
	s_and_b32 exec_lo, exec_lo, s23
	s_cbranch_execz .LBB375_98
; %bb.74:
	v_div_scale_f64 v[2:3], null, v[67:68], v[67:68], v[19:20]
	v_div_scale_f64 v[8:9], vcc_lo, v[19:20], v[67:68], v[19:20]
	v_rcp_f64_e32 v[4:5], v[2:3]
	v_fma_f64 v[6:7], -v[2:3], v[4:5], 1.0
	v_fma_f64 v[4:5], v[4:5], v[6:7], v[4:5]
	v_fma_f64 v[6:7], -v[2:3], v[4:5], 1.0
	v_fma_f64 v[4:5], v[4:5], v[6:7], v[4:5]
	v_mul_f64 v[6:7], v[8:9], v[4:5]
	v_fma_f64 v[2:3], -v[2:3], v[6:7], v[8:9]
	v_div_fmas_f64 v[2:3], v[2:3], v[4:5], v[6:7]
	v_div_fixup_f64 v[2:3], v[2:3], v[67:68], v[19:20]
	v_cndmask_b32_e64 v4, v2, 0, s31
	v_add_co_u32 v2, vcc_lo, 0x800, v0
	v_cndmask_b32_e64 v5, v3, 0x7ff80000, s31
	v_add_co_ci_u32_e64 v3, null, 0, v1, vcc_lo
	global_store_dwordx2 v[2:3], v[4:5], off
	s_and_b32 exec_lo, exec_lo, s22
	s_cbranch_execz .LBB375_98
; %bb.75:
	v_div_scale_f64 v[4:5], null, v[67:68], v[67:68], v[21:22]
	v_div_scale_f64 v[10:11], vcc_lo, v[21:22], v[67:68], v[21:22]
	v_rcp_f64_e32 v[6:7], v[4:5]
	v_fma_f64 v[8:9], -v[4:5], v[6:7], 1.0
	v_fma_f64 v[6:7], v[6:7], v[8:9], v[6:7]
	v_fma_f64 v[8:9], -v[4:5], v[6:7], 1.0
	v_fma_f64 v[6:7], v[6:7], v[8:9], v[6:7]
	v_mul_f64 v[8:9], v[10:11], v[6:7]
	v_fma_f64 v[4:5], -v[4:5], v[8:9], v[10:11]
	v_div_fmas_f64 v[4:5], v[4:5], v[6:7], v[8:9]
	v_div_fixup_f64 v[4:5], v[4:5], v[67:68], v[21:22]
	v_cndmask_b32_e64 v5, v5, 0x7ff80000, s31
	v_cndmask_b32_e64 v4, v4, 0, s31
	global_store_dwordx2 v[2:3], v[4:5], off offset:256
	s_and_b32 exec_lo, exec_lo, s21
	s_cbranch_execz .LBB375_98
; %bb.76:
	v_div_scale_f64 v[4:5], null, v[67:68], v[67:68], v[23:24]
	v_div_scale_f64 v[10:11], vcc_lo, v[23:24], v[67:68], v[23:24]
	v_rcp_f64_e32 v[6:7], v[4:5]
	v_fma_f64 v[8:9], -v[4:5], v[6:7], 1.0
	v_fma_f64 v[6:7], v[6:7], v[8:9], v[6:7]
	v_fma_f64 v[8:9], -v[4:5], v[6:7], 1.0
	v_fma_f64 v[6:7], v[6:7], v[8:9], v[6:7]
	v_mul_f64 v[8:9], v[10:11], v[6:7]
	v_fma_f64 v[4:5], -v[4:5], v[8:9], v[10:11]
	v_div_fmas_f64 v[4:5], v[4:5], v[6:7], v[8:9]
	v_div_fixup_f64 v[4:5], v[4:5], v[67:68], v[23:24]
	v_cndmask_b32_e64 v5, v5, 0x7ff80000, s31
	v_cndmask_b32_e64 v4, v4, 0, s31
	global_store_dwordx2 v[2:3], v[4:5], off offset:512
	;; [unrolled: 17-line block ×7, first 2 shown]
	s_and_b32 exec_lo, exec_lo, s15
	s_cbranch_execz .LBB375_98
; %bb.82:
	v_div_scale_f64 v[2:3], null, v[67:68], v[67:68], v[35:36]
	v_div_scale_f64 v[8:9], vcc_lo, v[35:36], v[67:68], v[35:36]
	v_rcp_f64_e32 v[4:5], v[2:3]
	v_fma_f64 v[6:7], -v[2:3], v[4:5], 1.0
	v_fma_f64 v[4:5], v[4:5], v[6:7], v[4:5]
	v_fma_f64 v[6:7], -v[2:3], v[4:5], 1.0
	v_fma_f64 v[4:5], v[4:5], v[6:7], v[4:5]
	v_mul_f64 v[6:7], v[8:9], v[4:5]
	v_fma_f64 v[2:3], -v[2:3], v[6:7], v[8:9]
	v_div_fmas_f64 v[2:3], v[2:3], v[4:5], v[6:7]
	v_div_fixup_f64 v[2:3], v[2:3], v[67:68], v[35:36]
	v_cndmask_b32_e64 v4, v2, 0, s31
	v_add_co_u32 v2, vcc_lo, 0x1000, v0
	v_cndmask_b32_e64 v5, v3, 0x7ff80000, s31
	v_add_co_ci_u32_e64 v3, null, 0, v1, vcc_lo
	global_store_dwordx2 v[2:3], v[4:5], off
	s_and_b32 exec_lo, exec_lo, s14
	s_cbranch_execz .LBB375_98
; %bb.83:
	v_div_scale_f64 v[4:5], null, v[67:68], v[67:68], v[37:38]
	v_div_scale_f64 v[10:11], vcc_lo, v[37:38], v[67:68], v[37:38]
	v_rcp_f64_e32 v[6:7], v[4:5]
	v_fma_f64 v[8:9], -v[4:5], v[6:7], 1.0
	v_fma_f64 v[6:7], v[6:7], v[8:9], v[6:7]
	v_fma_f64 v[8:9], -v[4:5], v[6:7], 1.0
	v_fma_f64 v[6:7], v[6:7], v[8:9], v[6:7]
	v_mul_f64 v[8:9], v[10:11], v[6:7]
	v_fma_f64 v[4:5], -v[4:5], v[8:9], v[10:11]
	v_div_fmas_f64 v[4:5], v[4:5], v[6:7], v[8:9]
	v_div_fixup_f64 v[4:5], v[4:5], v[67:68], v[37:38]
	v_cndmask_b32_e64 v5, v5, 0x7ff80000, s31
	v_cndmask_b32_e64 v4, v4, 0, s31
	global_store_dwordx2 v[2:3], v[4:5], off offset:256
	s_and_b32 exec_lo, exec_lo, s13
	s_cbranch_execz .LBB375_98
; %bb.84:
	v_div_scale_f64 v[4:5], null, v[67:68], v[67:68], v[39:40]
	v_div_scale_f64 v[10:11], vcc_lo, v[39:40], v[67:68], v[39:40]
	v_rcp_f64_e32 v[6:7], v[4:5]
	v_fma_f64 v[8:9], -v[4:5], v[6:7], 1.0
	v_fma_f64 v[6:7], v[6:7], v[8:9], v[6:7]
	v_fma_f64 v[8:9], -v[4:5], v[6:7], 1.0
	v_fma_f64 v[6:7], v[6:7], v[8:9], v[6:7]
	v_mul_f64 v[8:9], v[10:11], v[6:7]
	v_fma_f64 v[4:5], -v[4:5], v[8:9], v[10:11]
	v_div_fmas_f64 v[4:5], v[4:5], v[6:7], v[8:9]
	v_div_fixup_f64 v[4:5], v[4:5], v[67:68], v[39:40]
	v_cndmask_b32_e64 v5, v5, 0x7ff80000, s31
	v_cndmask_b32_e64 v4, v4, 0, s31
	global_store_dwordx2 v[2:3], v[4:5], off offset:512
	;; [unrolled: 17-line block ×7, first 2 shown]
	s_and_b32 exec_lo, exec_lo, s7
	s_cbranch_execz .LBB375_98
; %bb.90:
	v_div_scale_f64 v[2:3], null, v[67:68], v[67:68], v[51:52]
	v_div_scale_f64 v[8:9], vcc_lo, v[51:52], v[67:68], v[51:52]
	v_rcp_f64_e32 v[4:5], v[2:3]
	v_fma_f64 v[6:7], -v[2:3], v[4:5], 1.0
	v_fma_f64 v[4:5], v[4:5], v[6:7], v[4:5]
	v_fma_f64 v[6:7], -v[2:3], v[4:5], 1.0
	v_fma_f64 v[4:5], v[4:5], v[6:7], v[4:5]
	v_mul_f64 v[6:7], v[8:9], v[4:5]
	v_fma_f64 v[2:3], -v[2:3], v[6:7], v[8:9]
	v_div_fmas_f64 v[2:3], v[2:3], v[4:5], v[6:7]
	v_add_co_u32 v0, vcc_lo, 0x1800, v0
	v_add_co_ci_u32_e64 v1, null, 0, v1, vcc_lo
	v_div_fixup_f64 v[2:3], v[2:3], v[67:68], v[51:52]
	v_cndmask_b32_e64 v3, v3, 0x7ff80000, s31
	v_cndmask_b32_e64 v2, v2, 0, s31
	global_store_dwordx2 v[0:1], v[2:3], off
	s_and_b32 exec_lo, exec_lo, s6
	s_cbranch_execz .LBB375_98
; %bb.91:
	v_div_scale_f64 v[2:3], null, v[67:68], v[67:68], v[53:54]
	v_div_scale_f64 v[8:9], vcc_lo, v[53:54], v[67:68], v[53:54]
	v_rcp_f64_e32 v[4:5], v[2:3]
	v_fma_f64 v[6:7], -v[2:3], v[4:5], 1.0
	v_fma_f64 v[4:5], v[4:5], v[6:7], v[4:5]
	v_fma_f64 v[6:7], -v[2:3], v[4:5], 1.0
	v_fma_f64 v[4:5], v[4:5], v[6:7], v[4:5]
	v_mul_f64 v[6:7], v[8:9], v[4:5]
	v_fma_f64 v[2:3], -v[2:3], v[6:7], v[8:9]
	v_div_fmas_f64 v[2:3], v[2:3], v[4:5], v[6:7]
	v_div_fixup_f64 v[2:3], v[2:3], v[67:68], v[53:54]
	v_cndmask_b32_e64 v3, v3, 0x7ff80000, s31
	v_cndmask_b32_e64 v2, v2, 0, s31
	global_store_dwordx2 v[0:1], v[2:3], off offset:256
	s_and_b32 exec_lo, exec_lo, s5
	s_cbranch_execz .LBB375_98
; %bb.92:
	v_div_scale_f64 v[2:3], null, v[67:68], v[67:68], v[55:56]
	v_div_scale_f64 v[8:9], vcc_lo, v[55:56], v[67:68], v[55:56]
	v_rcp_f64_e32 v[4:5], v[2:3]
	v_fma_f64 v[6:7], -v[2:3], v[4:5], 1.0
	v_fma_f64 v[4:5], v[4:5], v[6:7], v[4:5]
	v_fma_f64 v[6:7], -v[2:3], v[4:5], 1.0
	v_fma_f64 v[4:5], v[4:5], v[6:7], v[4:5]
	v_mul_f64 v[6:7], v[8:9], v[4:5]
	v_fma_f64 v[2:3], -v[2:3], v[6:7], v[8:9]
	v_div_fmas_f64 v[2:3], v[2:3], v[4:5], v[6:7]
	v_div_fixup_f64 v[2:3], v[2:3], v[67:68], v[55:56]
	v_cndmask_b32_e64 v3, v3, 0x7ff80000, s31
	v_cndmask_b32_e64 v2, v2, 0, s31
	global_store_dwordx2 v[0:1], v[2:3], off offset:512
	s_and_b32 exec_lo, exec_lo, s4
	s_cbranch_execz .LBB375_98
; %bb.93:
	v_div_scale_f64 v[2:3], null, v[67:68], v[67:68], v[59:60]
	v_div_scale_f64 v[8:9], vcc_lo, v[59:60], v[67:68], v[59:60]
	v_rcp_f64_e32 v[4:5], v[2:3]
	v_fma_f64 v[6:7], -v[2:3], v[4:5], 1.0
	v_fma_f64 v[4:5], v[4:5], v[6:7], v[4:5]
	v_fma_f64 v[6:7], -v[2:3], v[4:5], 1.0
	v_fma_f64 v[4:5], v[4:5], v[6:7], v[4:5]
	v_mul_f64 v[6:7], v[8:9], v[4:5]
	v_fma_f64 v[2:3], -v[2:3], v[6:7], v[8:9]
	v_div_fmas_f64 v[2:3], v[2:3], v[4:5], v[6:7]
	v_div_fixup_f64 v[2:3], v[2:3], v[67:68], v[59:60]
	v_cndmask_b32_e64 v3, v3, 0x7ff80000, s31
	v_cndmask_b32_e64 v2, v2, 0, s31
	global_store_dwordx2 v[0:1], v[2:3], off offset:768
	s_and_b32 exec_lo, exec_lo, s3
	s_cbranch_execz .LBB375_98
; %bb.94:
	v_div_scale_f64 v[2:3], null, v[67:68], v[67:68], v[61:62]
	v_div_scale_f64 v[8:9], vcc_lo, v[61:62], v[67:68], v[61:62]
	v_rcp_f64_e32 v[4:5], v[2:3]
	v_fma_f64 v[6:7], -v[2:3], v[4:5], 1.0
	v_fma_f64 v[4:5], v[4:5], v[6:7], v[4:5]
	v_fma_f64 v[6:7], -v[2:3], v[4:5], 1.0
	v_fma_f64 v[4:5], v[4:5], v[6:7], v[4:5]
	v_mul_f64 v[6:7], v[8:9], v[4:5]
	v_fma_f64 v[2:3], -v[2:3], v[6:7], v[8:9]
	v_div_fmas_f64 v[2:3], v[2:3], v[4:5], v[6:7]
	v_div_fixup_f64 v[2:3], v[2:3], v[67:68], v[61:62]
	v_cndmask_b32_e64 v3, v3, 0x7ff80000, s31
	v_cndmask_b32_e64 v2, v2, 0, s31
	global_store_dwordx2 v[0:1], v[2:3], off offset:1024
	s_and_b32 exec_lo, exec_lo, s2
	s_cbranch_execz .LBB375_98
; %bb.95:
	v_div_scale_f64 v[2:3], null, v[67:68], v[67:68], v[65:66]
	v_div_scale_f64 v[8:9], vcc_lo, v[65:66], v[67:68], v[65:66]
	v_rcp_f64_e32 v[4:5], v[2:3]
	v_fma_f64 v[6:7], -v[2:3], v[4:5], 1.0
	v_fma_f64 v[4:5], v[4:5], v[6:7], v[4:5]
	v_fma_f64 v[6:7], -v[2:3], v[4:5], 1.0
	v_fma_f64 v[4:5], v[4:5], v[6:7], v[4:5]
	v_mul_f64 v[6:7], v[8:9], v[4:5]
	v_fma_f64 v[2:3], -v[2:3], v[6:7], v[8:9]
	v_div_fmas_f64 v[2:3], v[2:3], v[4:5], v[6:7]
	v_div_fixup_f64 v[2:3], v[2:3], v[67:68], v[65:66]
	v_cndmask_b32_e64 v3, v3, 0x7ff80000, s31
	v_cndmask_b32_e64 v2, v2, 0, s31
	global_store_dwordx2 v[0:1], v[2:3], off offset:1280
	s_and_b32 exec_lo, exec_lo, s1
	s_cbranch_execz .LBB375_98
; %bb.96:
	v_div_scale_f64 v[2:3], null, v[67:68], v[67:68], v[63:64]
	v_div_scale_f64 v[8:9], vcc_lo, v[63:64], v[67:68], v[63:64]
	v_rcp_f64_e32 v[4:5], v[2:3]
	v_fma_f64 v[6:7], -v[2:3], v[4:5], 1.0
	v_fma_f64 v[4:5], v[4:5], v[6:7], v[4:5]
	v_fma_f64 v[6:7], -v[2:3], v[4:5], 1.0
	v_fma_f64 v[4:5], v[4:5], v[6:7], v[4:5]
	v_mul_f64 v[6:7], v[8:9], v[4:5]
	v_fma_f64 v[2:3], -v[2:3], v[6:7], v[8:9]
	v_div_fmas_f64 v[2:3], v[2:3], v[4:5], v[6:7]
	v_div_fixup_f64 v[2:3], v[2:3], v[67:68], v[63:64]
	v_cndmask_b32_e64 v3, v3, 0x7ff80000, s31
	v_cndmask_b32_e64 v2, v2, 0, s31
	global_store_dwordx2 v[0:1], v[2:3], off offset:1536
	s_and_b32 exec_lo, exec_lo, s0
	s_cbranch_execz .LBB375_98
; %bb.97:
	v_div_scale_f64 v[2:3], null, v[67:68], v[67:68], v[57:58]
	v_div_scale_f64 v[8:9], vcc_lo, v[57:58], v[67:68], v[57:58]
	v_rcp_f64_e32 v[4:5], v[2:3]
	v_fma_f64 v[6:7], -v[2:3], v[4:5], 1.0
	v_fma_f64 v[4:5], v[4:5], v[6:7], v[4:5]
	v_fma_f64 v[6:7], -v[2:3], v[4:5], 1.0
	v_fma_f64 v[4:5], v[4:5], v[6:7], v[4:5]
	v_mul_f64 v[6:7], v[8:9], v[4:5]
	v_fma_f64 v[2:3], -v[2:3], v[6:7], v[8:9]
	v_div_fmas_f64 v[2:3], v[2:3], v[4:5], v[6:7]
	v_div_fixup_f64 v[2:3], v[2:3], v[67:68], v[57:58]
	v_cndmask_b32_e64 v3, v3, 0x7ff80000, s31
	v_cndmask_b32_e64 v2, v2, 0, s31
	global_store_dwordx2 v[0:1], v[2:3], off offset:1792
.LBB375_98:
	s_endpgm
	.section	.rodata,"a",@progbits
	.p2align	6, 0x0
	.amdhsa_kernel _ZN12_GLOBAL__N_120softmax_warp_forwardIdddLi10ELb0ELb0ELi32EEEvPT0_PKT_iiiPKbib
		.amdhsa_group_segment_fixed_size 0
		.amdhsa_private_segment_fixed_size 0
		.amdhsa_kernarg_size 304
		.amdhsa_user_sgpr_count 6
		.amdhsa_user_sgpr_private_segment_buffer 1
		.amdhsa_user_sgpr_dispatch_ptr 0
		.amdhsa_user_sgpr_queue_ptr 0
		.amdhsa_user_sgpr_kernarg_segment_ptr 1
		.amdhsa_user_sgpr_dispatch_id 0
		.amdhsa_user_sgpr_flat_scratch_init 0
		.amdhsa_user_sgpr_private_segment_size 0
		.amdhsa_wavefront_size32 1
		.amdhsa_uses_dynamic_stack 0
		.amdhsa_system_sgpr_private_segment_wavefront_offset 0
		.amdhsa_system_sgpr_workgroup_id_x 1
		.amdhsa_system_sgpr_workgroup_id_y 0
		.amdhsa_system_sgpr_workgroup_id_z 0
		.amdhsa_system_sgpr_workgroup_info 0
		.amdhsa_system_vgpr_workitem_id 1
		.amdhsa_next_free_vgpr 82
		.amdhsa_next_free_sgpr 62
		.amdhsa_reserve_vcc 1
		.amdhsa_reserve_flat_scratch 0
		.amdhsa_float_round_mode_32 0
		.amdhsa_float_round_mode_16_64 0
		.amdhsa_float_denorm_mode_32 3
		.amdhsa_float_denorm_mode_16_64 3
		.amdhsa_dx10_clamp 1
		.amdhsa_ieee_mode 1
		.amdhsa_fp16_overflow 0
		.amdhsa_workgroup_processor_mode 1
		.amdhsa_memory_ordered 1
		.amdhsa_forward_progress 1
		.amdhsa_shared_vgpr_count 0
		.amdhsa_exception_fp_ieee_invalid_op 0
		.amdhsa_exception_fp_denorm_src 0
		.amdhsa_exception_fp_ieee_div_zero 0
		.amdhsa_exception_fp_ieee_overflow 0
		.amdhsa_exception_fp_ieee_underflow 0
		.amdhsa_exception_fp_ieee_inexact 0
		.amdhsa_exception_int_div_zero 0
	.end_amdhsa_kernel
	.section	.text._ZN12_GLOBAL__N_120softmax_warp_forwardIdddLi10ELb0ELb0ELi32EEEvPT0_PKT_iiiPKbib,"axG",@progbits,_ZN12_GLOBAL__N_120softmax_warp_forwardIdddLi10ELb0ELb0ELi32EEEvPT0_PKT_iiiPKbib,comdat
.Lfunc_end375:
	.size	_ZN12_GLOBAL__N_120softmax_warp_forwardIdddLi10ELb0ELb0ELi32EEEvPT0_PKT_iiiPKbib, .Lfunc_end375-_ZN12_GLOBAL__N_120softmax_warp_forwardIdddLi10ELb0ELb0ELi32EEEvPT0_PKT_iiiPKbib
                                        ; -- End function
	.set _ZN12_GLOBAL__N_120softmax_warp_forwardIdddLi10ELb0ELb0ELi32EEEvPT0_PKT_iiiPKbib.num_vgpr, 82
	.set _ZN12_GLOBAL__N_120softmax_warp_forwardIdddLi10ELb0ELb0ELi32EEEvPT0_PKT_iiiPKbib.num_agpr, 0
	.set _ZN12_GLOBAL__N_120softmax_warp_forwardIdddLi10ELb0ELb0ELi32EEEvPT0_PKT_iiiPKbib.numbered_sgpr, 62
	.set _ZN12_GLOBAL__N_120softmax_warp_forwardIdddLi10ELb0ELb0ELi32EEEvPT0_PKT_iiiPKbib.num_named_barrier, 0
	.set _ZN12_GLOBAL__N_120softmax_warp_forwardIdddLi10ELb0ELb0ELi32EEEvPT0_PKT_iiiPKbib.private_seg_size, 0
	.set _ZN12_GLOBAL__N_120softmax_warp_forwardIdddLi10ELb0ELb0ELi32EEEvPT0_PKT_iiiPKbib.uses_vcc, 1
	.set _ZN12_GLOBAL__N_120softmax_warp_forwardIdddLi10ELb0ELb0ELi32EEEvPT0_PKT_iiiPKbib.uses_flat_scratch, 0
	.set _ZN12_GLOBAL__N_120softmax_warp_forwardIdddLi10ELb0ELb0ELi32EEEvPT0_PKT_iiiPKbib.has_dyn_sized_stack, 0
	.set _ZN12_GLOBAL__N_120softmax_warp_forwardIdddLi10ELb0ELb0ELi32EEEvPT0_PKT_iiiPKbib.has_recursion, 0
	.set _ZN12_GLOBAL__N_120softmax_warp_forwardIdddLi10ELb0ELb0ELi32EEEvPT0_PKT_iiiPKbib.has_indirect_call, 0
	.section	.AMDGPU.csdata,"",@progbits
; Kernel info:
; codeLenInByte = 13988
; TotalNumSgprs: 64
; NumVgprs: 82
; ScratchSize: 0
; MemoryBound: 0
; FloatMode: 240
; IeeeMode: 1
; LDSByteSize: 0 bytes/workgroup (compile time only)
; SGPRBlocks: 0
; VGPRBlocks: 10
; NumSGPRsForWavesPerEU: 64
; NumVGPRsForWavesPerEU: 82
; Occupancy: 10
; WaveLimiterHint : 0
; COMPUTE_PGM_RSRC2:SCRATCH_EN: 0
; COMPUTE_PGM_RSRC2:USER_SGPR: 6
; COMPUTE_PGM_RSRC2:TRAP_HANDLER: 0
; COMPUTE_PGM_RSRC2:TGID_X_EN: 1
; COMPUTE_PGM_RSRC2:TGID_Y_EN: 0
; COMPUTE_PGM_RSRC2:TGID_Z_EN: 0
; COMPUTE_PGM_RSRC2:TIDIG_COMP_CNT: 1
	.section	.text._ZN12_GLOBAL__N_120softmax_warp_forwardIdddLi11ELb0ELb0ELi64EEEvPT0_PKT_iiiPKbib,"axG",@progbits,_ZN12_GLOBAL__N_120softmax_warp_forwardIdddLi11ELb0ELb0ELi64EEEvPT0_PKT_iiiPKbib,comdat
	.globl	_ZN12_GLOBAL__N_120softmax_warp_forwardIdddLi11ELb0ELb0ELi64EEEvPT0_PKT_iiiPKbib ; -- Begin function _ZN12_GLOBAL__N_120softmax_warp_forwardIdddLi11ELb0ELb0ELi64EEEvPT0_PKT_iiiPKbib
	.p2align	8
	.type	_ZN12_GLOBAL__N_120softmax_warp_forwardIdddLi11ELb0ELb0ELi64EEEvPT0_PKT_iiiPKbib,@function
_ZN12_GLOBAL__N_120softmax_warp_forwardIdddLi11ELb0ELb0ELi64EEEvPT0_PKT_iiiPKbib: ; @_ZN12_GLOBAL__N_120softmax_warp_forwardIdddLi11ELb0ELb0ELi64EEEvPT0_PKT_iiiPKbib
; %bb.0:
	s_clause 0x1
	s_load_dword s0, s[4:5], 0x3c
	s_load_dwordx8 s[36:43], s[4:5], 0x0
	v_mov_b32_e32 v5, 0
	v_mov_b32_e32 v6, 0xfff00000
	s_waitcnt lgkmcnt(0)
	s_lshr_b32 s0, s0, 16
	v_cmp_gt_i32_e32 vcc_lo, s42, v0
	v_mad_u64_u32 v[1:2], null, s6, s0, v[1:2]
	v_mad_u64_u32 v[2:3], null, v1, s41, v[0:1]
	v_sub_nc_u32_e32 v71, s40, v1
	v_cmp_lt_i32_e64 s31, 0, v71
	v_ashrrev_i32_e32 v3, 31, v2
	s_and_b32 s1, s31, vcc_lo
	v_lshlrev_b64 v[1:2], 3, v[2:3]
	v_mov_b32_e32 v3, 0
	v_mov_b32_e32 v4, 0xfff00000
	v_add_co_u32 v67, s0, s38, v1
	v_add_co_ci_u32_e64 v68, null, s39, v2, s0
	s_and_saveexec_b32 s0, s1
	s_cbranch_execz .LBB376_2
; %bb.1:
	global_load_dwordx2 v[3:4], v[67:68], off
.LBB376_2:
	s_or_b32 exec_lo, exec_lo, s0
	v_add_nc_u32_e32 v7, 64, v0
	v_cmp_gt_i32_e64 s30, s42, v7
	s_and_b32 s1, s31, s30
	s_and_saveexec_b32 s0, s1
	s_cbranch_execz .LBB376_4
; %bb.3:
	global_load_dwordx2 v[5:6], v[67:68], off offset:512
.LBB376_4:
	s_or_b32 exec_lo, exec_lo, s0
	v_add_nc_u32_e32 v7, 0x80, v0
	v_mov_b32_e32 v9, 0
	v_mov_b32_e32 v10, 0xfff00000
	v_cmp_gt_i32_e64 s29, s42, v7
	v_mov_b32_e32 v7, 0
	v_mov_b32_e32 v8, 0xfff00000
	s_and_b32 s1, s31, s29
	s_and_saveexec_b32 s0, s1
	s_cbranch_execz .LBB376_6
; %bb.5:
	global_load_dwordx2 v[7:8], v[67:68], off offset:1024
.LBB376_6:
	s_or_b32 exec_lo, exec_lo, s0
	v_add_nc_u32_e32 v11, 0xc0, v0
	v_cmp_gt_i32_e64 s28, s42, v11
	s_and_b32 s1, s31, s28
	s_and_saveexec_b32 s0, s1
	s_cbranch_execz .LBB376_8
; %bb.7:
	global_load_dwordx2 v[9:10], v[67:68], off offset:1536
.LBB376_8:
	s_or_b32 exec_lo, exec_lo, s0
	v_add_nc_u32_e32 v11, 0x100, v0
	v_mov_b32_e32 v13, 0
	v_mov_b32_e32 v14, 0xfff00000
	v_cmp_gt_i32_e64 s27, s42, v11
	v_mov_b32_e32 v11, 0
	v_mov_b32_e32 v12, 0xfff00000
	s_and_b32 s0, s31, s27
	s_and_saveexec_b32 s1, s0
	s_cbranch_execz .LBB376_10
; %bb.9:
	v_add_co_u32 v11, s0, 0x800, v67
	v_add_co_ci_u32_e64 v12, null, 0, v68, s0
	global_load_dwordx2 v[11:12], v[11:12], off
.LBB376_10:
	s_or_b32 exec_lo, exec_lo, s1
	v_add_nc_u32_e32 v15, 0x140, v0
	v_cmp_gt_i32_e64 s26, s42, v15
	s_and_b32 s0, s31, s26
	s_and_saveexec_b32 s1, s0
	s_cbranch_execz .LBB376_12
; %bb.11:
	v_add_co_u32 v13, s0, 0x800, v67
	v_add_co_ci_u32_e64 v14, null, 0, v68, s0
	global_load_dwordx2 v[13:14], v[13:14], off offset:512
.LBB376_12:
	s_or_b32 exec_lo, exec_lo, s1
	v_add_nc_u32_e32 v15, 0x180, v0
	v_mov_b32_e32 v17, 0
	v_mov_b32_e32 v18, 0xfff00000
	v_cmp_gt_i32_e64 s25, s42, v15
	v_mov_b32_e32 v15, 0
	v_mov_b32_e32 v16, 0xfff00000
	s_and_b32 s0, s31, s25
	s_and_saveexec_b32 s1, s0
	s_cbranch_execz .LBB376_14
; %bb.13:
	v_add_co_u32 v15, s0, 0x800, v67
	v_add_co_ci_u32_e64 v16, null, 0, v68, s0
	global_load_dwordx2 v[15:16], v[15:16], off offset:1024
.LBB376_14:
	s_or_b32 exec_lo, exec_lo, s1
	v_add_nc_u32_e32 v19, 0x1c0, v0
	v_cmp_gt_i32_e64 s24, s42, v19
	s_and_b32 s0, s31, s24
	s_and_saveexec_b32 s1, s0
	s_cbranch_execz .LBB376_16
; %bb.15:
	v_add_co_u32 v17, s0, 0x800, v67
	v_add_co_ci_u32_e64 v18, null, 0, v68, s0
	global_load_dwordx2 v[17:18], v[17:18], off offset:1536
.LBB376_16:
	s_or_b32 exec_lo, exec_lo, s1
	v_add_nc_u32_e32 v19, 0x200, v0
	v_mov_b32_e32 v21, 0
	v_mov_b32_e32 v22, 0xfff00000
	v_cmp_gt_i32_e64 s23, s42, v19
	v_mov_b32_e32 v19, 0
	v_mov_b32_e32 v20, 0xfff00000
	s_and_b32 s0, s31, s23
	s_and_saveexec_b32 s1, s0
	s_cbranch_execz .LBB376_18
; %bb.17:
	v_add_co_u32 v19, s0, 0x1000, v67
	v_add_co_ci_u32_e64 v20, null, 0, v68, s0
	global_load_dwordx2 v[19:20], v[19:20], off
.LBB376_18:
	s_or_b32 exec_lo, exec_lo, s1
	v_add_nc_u32_e32 v23, 0x240, v0
	v_cmp_gt_i32_e64 s22, s42, v23
	s_and_b32 s0, s31, s22
	s_and_saveexec_b32 s1, s0
	s_cbranch_execz .LBB376_20
; %bb.19:
	v_add_co_u32 v21, s0, 0x1000, v67
	v_add_co_ci_u32_e64 v22, null, 0, v68, s0
	global_load_dwordx2 v[21:22], v[21:22], off offset:512
.LBB376_20:
	s_or_b32 exec_lo, exec_lo, s1
	v_add_nc_u32_e32 v23, 0x280, v0
	v_mov_b32_e32 v25, 0
	v_mov_b32_e32 v26, 0xfff00000
	v_cmp_gt_i32_e64 s21, s42, v23
	v_mov_b32_e32 v23, 0
	v_mov_b32_e32 v24, 0xfff00000
	s_and_b32 s0, s31, s21
	s_and_saveexec_b32 s1, s0
	s_cbranch_execz .LBB376_22
; %bb.21:
	v_add_co_u32 v23, s0, 0x1000, v67
	v_add_co_ci_u32_e64 v24, null, 0, v68, s0
	global_load_dwordx2 v[23:24], v[23:24], off offset:1024
.LBB376_22:
	s_or_b32 exec_lo, exec_lo, s1
	v_add_nc_u32_e32 v27, 0x2c0, v0
	v_cmp_gt_i32_e64 s20, s42, v27
	s_and_b32 s0, s31, s20
	s_and_saveexec_b32 s1, s0
	s_cbranch_execz .LBB376_24
; %bb.23:
	v_add_co_u32 v25, s0, 0x1000, v67
	v_add_co_ci_u32_e64 v26, null, 0, v68, s0
	global_load_dwordx2 v[25:26], v[25:26], off offset:1536
.LBB376_24:
	;; [unrolled: 52-line block ×3, first 2 shown]
	s_or_b32 exec_lo, exec_lo, s1
	v_or_b32_e32 v35, 0x400, v0
	v_mov_b32_e32 v37, 0
	v_mov_b32_e32 v38, 0xfff00000
	v_cmp_gt_i32_e64 s15, s42, v35
	v_mov_b32_e32 v35, 0
	v_mov_b32_e32 v36, 0xfff00000
	s_and_b32 s0, s31, s15
	s_and_saveexec_b32 s1, s0
	s_cbranch_execz .LBB376_34
; %bb.33:
	v_add_co_u32 v35, s0, 0x2000, v67
	v_add_co_ci_u32_e64 v36, null, 0, v68, s0
	global_load_dwordx2 v[35:36], v[35:36], off
.LBB376_34:
	s_or_b32 exec_lo, exec_lo, s1
	v_add_nc_u32_e32 v39, 0x440, v0
	v_cmp_gt_i32_e64 s14, s42, v39
	s_and_b32 s0, s31, s14
	s_and_saveexec_b32 s1, s0
	s_cbranch_execz .LBB376_36
; %bb.35:
	v_add_co_u32 v37, s0, 0x2000, v67
	v_add_co_ci_u32_e64 v38, null, 0, v68, s0
	global_load_dwordx2 v[37:38], v[37:38], off offset:512
.LBB376_36:
	s_or_b32 exec_lo, exec_lo, s1
	v_add_nc_u32_e32 v39, 0x480, v0
	v_mov_b32_e32 v41, 0
	v_mov_b32_e32 v42, 0xfff00000
	v_cmp_gt_i32_e64 s13, s42, v39
	v_mov_b32_e32 v39, 0
	v_mov_b32_e32 v40, 0xfff00000
	s_and_b32 s0, s31, s13
	s_and_saveexec_b32 s1, s0
	s_cbranch_execz .LBB376_38
; %bb.37:
	v_add_co_u32 v39, s0, 0x2000, v67
	v_add_co_ci_u32_e64 v40, null, 0, v68, s0
	global_load_dwordx2 v[39:40], v[39:40], off offset:1024
.LBB376_38:
	s_or_b32 exec_lo, exec_lo, s1
	v_add_nc_u32_e32 v43, 0x4c0, v0
	v_cmp_gt_i32_e64 s12, s42, v43
	s_and_b32 s0, s31, s12
	s_and_saveexec_b32 s1, s0
	s_cbranch_execz .LBB376_40
; %bb.39:
	v_add_co_u32 v41, s0, 0x2000, v67
	v_add_co_ci_u32_e64 v42, null, 0, v68, s0
	global_load_dwordx2 v[41:42], v[41:42], off offset:1536
.LBB376_40:
	s_or_b32 exec_lo, exec_lo, s1
	v_add_nc_u32_e32 v43, 0x500, v0
	v_mov_b32_e32 v45, 0
	v_mov_b32_e32 v46, 0xfff00000
	v_cmp_gt_i32_e64 s11, s42, v43
	v_mov_b32_e32 v43, 0
	v_mov_b32_e32 v44, 0xfff00000
	s_and_b32 s0, s31, s11
	s_and_saveexec_b32 s1, s0
	s_cbranch_execz .LBB376_42
; %bb.41:
	v_add_co_u32 v43, s0, 0x2800, v67
	v_add_co_ci_u32_e64 v44, null, 0, v68, s0
	global_load_dwordx2 v[43:44], v[43:44], off
.LBB376_42:
	s_or_b32 exec_lo, exec_lo, s1
	v_add_nc_u32_e32 v47, 0x540, v0
	v_cmp_gt_i32_e64 s10, s42, v47
	s_and_b32 s0, s31, s10
	s_and_saveexec_b32 s1, s0
	s_cbranch_execz .LBB376_44
; %bb.43:
	v_add_co_u32 v45, s0, 0x2800, v67
	v_add_co_ci_u32_e64 v46, null, 0, v68, s0
	global_load_dwordx2 v[45:46], v[45:46], off offset:512
.LBB376_44:
	s_or_b32 exec_lo, exec_lo, s1
	v_add_nc_u32_e32 v47, 0x580, v0
	v_mov_b32_e32 v49, 0
	v_mov_b32_e32 v50, 0xfff00000
	v_cmp_gt_i32_e64 s9, s42, v47
	v_mov_b32_e32 v47, 0
	v_mov_b32_e32 v48, 0xfff00000
	s_and_b32 s0, s31, s9
	s_and_saveexec_b32 s1, s0
	s_cbranch_execz .LBB376_46
; %bb.45:
	v_add_co_u32 v47, s0, 0x2800, v67
	v_add_co_ci_u32_e64 v48, null, 0, v68, s0
	global_load_dwordx2 v[47:48], v[47:48], off offset:1024
.LBB376_46:
	s_or_b32 exec_lo, exec_lo, s1
	v_add_nc_u32_e32 v51, 0x5c0, v0
	v_cmp_gt_i32_e64 s8, s42, v51
	s_and_b32 s0, s31, s8
	s_and_saveexec_b32 s1, s0
	s_cbranch_execz .LBB376_48
; %bb.47:
	v_add_co_u32 v49, s0, 0x2800, v67
	v_add_co_ci_u32_e64 v50, null, 0, v68, s0
	global_load_dwordx2 v[49:50], v[49:50], off offset:1536
.LBB376_48:
	s_or_b32 exec_lo, exec_lo, s1
	v_add_nc_u32_e32 v51, 0x600, v0
	;; [unrolled: 52-line block ×3, first 2 shown]
	v_mov_b32_e32 v65, 0
	v_mov_b32_e32 v61, 0
	v_mov_b32_e32 v66, 0xfff00000
	v_mov_b32_e32 v62, 0xfff00000
	v_cmp_gt_i32_e64 s3, s42, v57
	s_and_b32 s0, s31, s3
	s_and_saveexec_b32 s1, s0
	s_cbranch_execz .LBB376_58
; %bb.57:
	v_add_co_u32 v57, s0, 0x3800, v67
	v_add_co_ci_u32_e64 v58, null, 0, v68, s0
	global_load_dwordx2 v[61:62], v[57:58], off
.LBB376_58:
	s_or_b32 exec_lo, exec_lo, s1
	v_add_nc_u32_e32 v57, 0x740, v0
	v_cmp_gt_i32_e64 s2, s42, v57
	s_and_b32 s0, s31, s2
	s_and_saveexec_b32 s1, s0
	s_cbranch_execz .LBB376_60
; %bb.59:
	v_add_co_u32 v57, s0, 0x3800, v67
	v_add_co_ci_u32_e64 v58, null, 0, v68, s0
	global_load_dwordx2 v[65:66], v[57:58], off offset:512
.LBB376_60:
	s_or_b32 exec_lo, exec_lo, s1
	v_add_nc_u32_e32 v57, 0x780, v0
	v_mov_b32_e32 v63, 0
	v_mov_b32_e32 v64, 0xfff00000
	v_cmp_gt_i32_e64 s1, s42, v57
	v_mov_b32_e32 v57, 0
	v_mov_b32_e32 v58, 0xfff00000
	s_and_b32 s0, s31, s1
	s_and_saveexec_b32 s33, s0
	s_cbranch_execz .LBB376_62
; %bb.61:
	v_add_co_u32 v63, s0, 0x3800, v67
	v_add_co_ci_u32_e64 v64, null, 0, v68, s0
	global_load_dwordx2 v[63:64], v[63:64], off offset:1024
.LBB376_62:
	s_or_b32 exec_lo, exec_lo, s33
	v_add_nc_u32_e32 v0, 0x7c0, v0
	v_cmp_gt_i32_e64 s0, s42, v0
	s_and_b32 s31, s31, s0
	s_and_saveexec_b32 s33, s31
	s_cbranch_execz .LBB376_64
; %bb.63:
	v_add_co_u32 v57, s31, 0x3800, v67
	v_add_co_ci_u32_e64 v58, null, 0, v68, s31
	global_load_dwordx2 v[57:58], v[57:58], off offset:1536
.LBB376_64:
	s_or_b32 exec_lo, exec_lo, s33
	s_waitcnt vmcnt(0)
	v_cmp_gt_f64_e64 s31, v[3:4], v[5:6]
	v_mbcnt_lo_u32_b32 v76, -1, 0
	s_mov_b32 s34, 0x652b82fe
	s_mov_b32 s35, 0x3ff71547
	;; [unrolled: 1-line block ×4, first 2 shown]
	v_or_b32_e32 v0, 32, v76
	s_mov_b32 s40, 0x3b39803f
	s_mov_b32 s41, 0xbc7abc9e
	;; [unrolled: 1-line block ×15, first 2 shown]
	v_cndmask_b32_e64 v68, v6, v4, s31
	v_cndmask_b32_e64 v67, v5, v3, s31
	s_mov_b32 s55, 0x3f811111
	s_mov_b32 s56, 0x555502a1
	s_mov_b32 s57, 0x3fa55555
	s_mov_b32 s58, 0x55555511
	v_cmp_gt_f64_e64 s31, v[67:68], v[7:8]
	s_mov_b32 s59, 0x3fc55555
	s_mov_b32 s60, 11
	;; [unrolled: 1-line block ×3, first 2 shown]
	v_cndmask_b32_e64 v68, v8, v68, s31
	v_cndmask_b32_e64 v67, v7, v67, s31
	v_cmp_gt_f64_e64 s31, v[67:68], v[9:10]
	v_cndmask_b32_e64 v68, v10, v68, s31
	v_cndmask_b32_e64 v67, v9, v67, s31
	v_cmp_gt_f64_e64 s31, v[67:68], v[11:12]
	;; [unrolled: 3-line block ×29, first 2 shown]
	v_cndmask_b32_e64 v68, v58, v68, s31
	v_cndmask_b32_e64 v67, v57, v67, s31
	v_cmp_gt_i32_e64 s31, 64, v0
	v_cndmask_b32_e64 v0, v76, v0, s31
	v_lshlrev_b32_e32 v0, 2, v0
	ds_bpermute_b32 v69, v0, v67
	ds_bpermute_b32 v70, v0, v68
	s_waitcnt lgkmcnt(0)
	v_cmp_lt_f64_e64 s31, v[67:68], v[69:70]
	v_cndmask_b32_e64 v67, v67, v69, s31
	v_xor_b32_e32 v69, 16, v76
	v_cndmask_b32_e64 v68, v68, v70, s31
	v_cmp_gt_i32_e64 s31, 64, v69
	v_cndmask_b32_e64 v69, v76, v69, s31
	v_lshlrev_b32_e32 v72, 2, v69
	ds_bpermute_b32 v69, v72, v67
	ds_bpermute_b32 v70, v72, v68
	s_waitcnt lgkmcnt(0)
	v_cmp_lt_f64_e64 s31, v[67:68], v[69:70]
	v_cndmask_b32_e64 v67, v67, v69, s31
	v_xor_b32_e32 v69, 8, v76
	;; [unrolled: 10-line block ×5, first 2 shown]
	v_cndmask_b32_e64 v68, v68, v70, s31
	v_cmp_gt_i32_e64 s31, 64, v69
	v_cndmask_b32_e64 v69, v76, v69, s31
	v_lshlrev_b32_e32 v76, 2, v69
	ds_bpermute_b32 v69, v76, v67
	ds_bpermute_b32 v70, v76, v68
	s_waitcnt lgkmcnt(0)
	v_cmp_lt_f64_e64 s31, v[67:68], v[69:70]
	v_cndmask_b32_e64 v68, v68, v70, s31
	v_cndmask_b32_e64 v67, v67, v69, s31
	v_add_f64 v[3:4], v[3:4], -v[67:68]
	v_add_f64 v[5:6], v[5:6], -v[67:68]
	;; [unrolled: 1-line block ×22, first 2 shown]
	v_mul_f64 v[69:70], v[3:4], s[34:35]
	v_cmp_nlt_f64_e64 s31, 0x40900000, v[3:4]
	v_cmp_ngt_f64_e64 s33, 0xc090cc00, v[3:4]
	v_add_f64 v[47:48], v[47:48], -v[67:68]
	v_add_f64 v[49:50], v[49:50], -v[67:68]
	v_add_f64 v[51:52], v[51:52], -v[67:68]
	v_add_f64 v[53:54], v[53:54], -v[67:68]
	v_add_f64 v[55:56], v[55:56], -v[67:68]
	v_add_f64 v[59:60], v[59:60], -v[67:68]
	v_add_f64 v[61:62], v[61:62], -v[67:68]
	v_add_f64 v[65:66], v[65:66], -v[67:68]
	v_add_f64 v[63:64], v[63:64], -v[67:68]
	v_add_f64 v[57:58], v[57:58], -v[67:68]
	v_rndne_f64_e32 v[69:70], v[69:70]
	v_mul_f64 v[67:68], v[57:58], s[34:35]
	v_fma_f64 v[77:78], v[69:70], s[38:39], v[3:4]
	v_rndne_f64_e32 v[67:68], v[67:68]
	v_fma_f64 v[77:78], v[69:70], s[40:41], v[77:78]
	v_cvt_i32_f64_e32 v69, v[69:70]
	v_fma_f64 v[79:80], v[77:78], s[44:45], s[42:43]
	v_fma_f64 v[79:80], v[77:78], v[79:80], s[46:47]
	;; [unrolled: 1-line block ×9, first 2 shown]
	v_fma_f64 v[79:80], v[77:78], v[79:80], 1.0
	v_fma_f64 v[77:78], v[77:78], v[79:80], 1.0
	v_ldexp_f64 v[69:70], v[77:78], v69
	v_mul_f64 v[77:78], v[5:6], s[34:35]
	v_cndmask_b32_e64 v70, 0x7ff00000, v70, s31
	v_rndne_f64_e32 v[77:78], v[77:78]
	s_and_b32 s31, s33, s31
	v_cndmask_b32_e64 v3, 0, v69, s31
	v_cmp_nlt_f64_e64 s31, 0x40900000, v[5:6]
	v_cndmask_b32_e64 v4, 0, v70, s33
	v_cmp_ngt_f64_e64 s33, 0xc090cc00, v[5:6]
	v_add_f64 v[69:70], v[3:4], 0
	v_fma_f64 v[79:80], v[77:78], s[38:39], v[5:6]
	v_fma_f64 v[79:80], v[77:78], s[40:41], v[79:80]
	v_cvt_i32_f64_e32 v77, v[77:78]
	v_fma_f64 v[81:82], v[79:80], s[44:45], s[42:43]
	v_fma_f64 v[81:82], v[79:80], v[81:82], s[46:47]
	v_fma_f64 v[81:82], v[79:80], v[81:82], s[48:49]
	v_fma_f64 v[81:82], v[79:80], v[81:82], s[50:51]
	v_fma_f64 v[81:82], v[79:80], v[81:82], s[52:53]
	v_fma_f64 v[81:82], v[79:80], v[81:82], s[54:55]
	v_fma_f64 v[81:82], v[79:80], v[81:82], s[56:57]
	v_fma_f64 v[81:82], v[79:80], v[81:82], s[58:59]
	v_fma_f64 v[81:82], v[79:80], v[81:82], s[60:61]
	v_fma_f64 v[81:82], v[79:80], v[81:82], 1.0
	v_fma_f64 v[79:80], v[79:80], v[81:82], 1.0
	v_ldexp_f64 v[77:78], v[79:80], v77
	v_cndmask_b32_e64 v78, 0x7ff00000, v78, s31
	s_and_b32 s31, s33, s31
	v_cndmask_b32_e64 v5, 0, v77, s31
	v_cmp_nlt_f64_e64 s31, 0x40900000, v[7:8]
	v_cndmask_b32_e64 v6, 0, v78, s33
	v_mul_f64 v[77:78], v[7:8], s[34:35]
	v_cmp_ngt_f64_e64 s33, 0xc090cc00, v[7:8]
	v_add_f64 v[69:70], v[69:70], v[5:6]
	v_rndne_f64_e32 v[77:78], v[77:78]
	v_fma_f64 v[79:80], v[77:78], s[38:39], v[7:8]
	v_fma_f64 v[79:80], v[77:78], s[40:41], v[79:80]
	v_cvt_i32_f64_e32 v77, v[77:78]
	v_fma_f64 v[81:82], v[79:80], s[44:45], s[42:43]
	v_fma_f64 v[81:82], v[79:80], v[81:82], s[46:47]
	v_fma_f64 v[81:82], v[79:80], v[81:82], s[48:49]
	v_fma_f64 v[81:82], v[79:80], v[81:82], s[50:51]
	v_fma_f64 v[81:82], v[79:80], v[81:82], s[52:53]
	v_fma_f64 v[81:82], v[79:80], v[81:82], s[54:55]
	v_fma_f64 v[81:82], v[79:80], v[81:82], s[56:57]
	v_fma_f64 v[81:82], v[79:80], v[81:82], s[58:59]
	v_fma_f64 v[81:82], v[79:80], v[81:82], s[60:61]
	v_fma_f64 v[81:82], v[79:80], v[81:82], 1.0
	v_fma_f64 v[79:80], v[79:80], v[81:82], 1.0
	v_ldexp_f64 v[77:78], v[79:80], v77
	v_cndmask_b32_e64 v78, 0x7ff00000, v78, s31
	s_and_b32 s31, s33, s31
	v_cndmask_b32_e64 v7, 0, v77, s31
	v_cmp_nlt_f64_e64 s31, 0x40900000, v[9:10]
	v_cndmask_b32_e64 v8, 0, v78, s33
	v_mul_f64 v[77:78], v[9:10], s[34:35]
	v_cmp_ngt_f64_e64 s33, 0xc090cc00, v[9:10]
	v_add_f64 v[69:70], v[69:70], v[7:8]
	v_rndne_f64_e32 v[77:78], v[77:78]
	;; [unrolled: 24-line block ×29, first 2 shown]
	v_fma_f64 v[79:80], v[77:78], s[38:39], v[63:64]
	v_fma_f64 v[79:80], v[77:78], s[40:41], v[79:80]
	v_cvt_i32_f64_e32 v77, v[77:78]
	v_fma_f64 v[81:82], v[79:80], s[44:45], s[42:43]
	v_fma_f64 v[81:82], v[79:80], v[81:82], s[46:47]
	;; [unrolled: 1-line block ×9, first 2 shown]
	v_fma_f64 v[81:82], v[79:80], v[81:82], 1.0
	v_fma_f64 v[79:80], v[79:80], v[81:82], 1.0
	v_ldexp_f64 v[77:78], v[79:80], v77
	v_cndmask_b32_e64 v78, 0x7ff00000, v78, s31
	s_and_b32 s31, s33, s31
	v_cndmask_b32_e64 v63, 0, v77, s31
	v_cmp_ngt_f64_e64 s31, 0xc090cc00, v[57:58]
	v_cndmask_b32_e64 v64, 0, v78, s33
	v_fma_f64 v[77:78], v[67:68], s[38:39], v[57:58]
	v_cmp_nlt_f64_e64 s33, 0x40900000, v[57:58]
	v_add_f64 v[69:70], v[69:70], v[63:64]
	v_fma_f64 v[77:78], v[67:68], s[40:41], v[77:78]
	v_cvt_i32_f64_e32 v67, v[67:68]
	v_fma_f64 v[79:80], v[77:78], s[44:45], s[42:43]
	v_fma_f64 v[79:80], v[77:78], v[79:80], s[46:47]
	;; [unrolled: 1-line block ×9, first 2 shown]
	v_fma_f64 v[79:80], v[77:78], v[79:80], 1.0
	v_fma_f64 v[77:78], v[77:78], v[79:80], 1.0
	v_ldexp_f64 v[77:78], v[77:78], v67
	v_cndmask_b32_e64 v67, 0x7ff00000, v78, s33
	s_and_b32 s33, s31, s33
	v_cndmask_b32_e64 v57, 0, v77, s33
	s_mov_b32 s33, exec_lo
	v_cndmask_b32_e64 v58, 0, v67, s31
	v_add_f64 v[67:68], v[69:70], v[57:58]
	ds_bpermute_b32 v69, v0, v67
	ds_bpermute_b32 v70, v0, v68
	s_waitcnt lgkmcnt(0)
	v_add_f64 v[67:68], v[67:68], v[69:70]
	ds_bpermute_b32 v69, v72, v67
	ds_bpermute_b32 v70, v72, v68
	s_waitcnt lgkmcnt(0)
	;; [unrolled: 4-line block ×5, first 2 shown]
	v_add_f64 v[67:68], v[67:68], v[69:70]
	ds_bpermute_b32 v69, v76, v67
	ds_bpermute_b32 v70, v76, v68
	v_cmpx_lt_i32_e32 0, v71
	s_cbranch_execz .LBB376_98
; %bb.65:
	s_and_b32 exec_lo, exec_lo, vcc_lo
	s_cbranch_execz .LBB376_98
; %bb.66:
	s_waitcnt lgkmcnt(0)
	v_add_f64 v[67:68], v[67:68], v[69:70]
	v_div_scale_f64 v[69:70], null, v[67:68], v[67:68], v[3:4]
	v_div_scale_f64 v[75:76], vcc_lo, v[3:4], v[67:68], v[3:4]
	v_cmp_eq_f64_e64 s31, 0, v[67:68]
	v_rcp_f64_e32 v[71:72], v[69:70]
	v_fma_f64 v[73:74], -v[69:70], v[71:72], 1.0
	v_fma_f64 v[71:72], v[71:72], v[73:74], v[71:72]
	v_fma_f64 v[73:74], -v[69:70], v[71:72], 1.0
	v_fma_f64 v[71:72], v[71:72], v[73:74], v[71:72]
	v_mul_f64 v[73:74], v[75:76], v[71:72]
	v_fma_f64 v[69:70], -v[69:70], v[73:74], v[75:76]
	v_div_fmas_f64 v[69:70], v[69:70], v[71:72], v[73:74]
	v_add_co_u32 v0, vcc_lo, s36, v1
	v_add_co_ci_u32_e64 v1, null, s37, v2, vcc_lo
	v_div_fixup_f64 v[3:4], v[69:70], v[67:68], v[3:4]
	v_cndmask_b32_e64 v4, v4, 0x7ff80000, s31
	v_cndmask_b32_e64 v3, v3, 0, s31
	global_store_dwordx2 v[0:1], v[3:4], off
	s_and_b32 exec_lo, exec_lo, s30
	s_cbranch_execz .LBB376_98
; %bb.67:
	v_div_scale_f64 v[2:3], null, v[67:68], v[67:68], v[5:6]
	v_div_scale_f64 v[73:74], vcc_lo, v[5:6], v[67:68], v[5:6]
	v_rcp_f64_e32 v[69:70], v[2:3]
	v_fma_f64 v[71:72], -v[2:3], v[69:70], 1.0
	v_fma_f64 v[69:70], v[69:70], v[71:72], v[69:70]
	v_fma_f64 v[71:72], -v[2:3], v[69:70], 1.0
	v_fma_f64 v[69:70], v[69:70], v[71:72], v[69:70]
	v_mul_f64 v[71:72], v[73:74], v[69:70]
	v_fma_f64 v[2:3], -v[2:3], v[71:72], v[73:74]
	v_div_fmas_f64 v[2:3], v[2:3], v[69:70], v[71:72]
	v_div_fixup_f64 v[2:3], v[2:3], v[67:68], v[5:6]
	v_cndmask_b32_e64 v3, v3, 0x7ff80000, s31
	v_cndmask_b32_e64 v2, v2, 0, s31
	global_store_dwordx2 v[0:1], v[2:3], off offset:512
	s_and_b32 exec_lo, exec_lo, s29
	s_cbranch_execz .LBB376_98
; %bb.68:
	v_div_scale_f64 v[2:3], null, v[67:68], v[67:68], v[7:8]
	v_div_scale_f64 v[71:72], vcc_lo, v[7:8], v[67:68], v[7:8]
	v_rcp_f64_e32 v[4:5], v[2:3]
	v_fma_f64 v[69:70], -v[2:3], v[4:5], 1.0
	v_fma_f64 v[4:5], v[4:5], v[69:70], v[4:5]
	v_fma_f64 v[69:70], -v[2:3], v[4:5], 1.0
	v_fma_f64 v[4:5], v[4:5], v[69:70], v[4:5]
	v_mul_f64 v[69:70], v[71:72], v[4:5]
	v_fma_f64 v[2:3], -v[2:3], v[69:70], v[71:72]
	v_div_fmas_f64 v[2:3], v[2:3], v[4:5], v[69:70]
	v_div_fixup_f64 v[2:3], v[2:3], v[67:68], v[7:8]
	v_cndmask_b32_e64 v3, v3, 0x7ff80000, s31
	v_cndmask_b32_e64 v2, v2, 0, s31
	global_store_dwordx2 v[0:1], v[2:3], off offset:1024
	;; [unrolled: 17-line block ×3, first 2 shown]
	s_and_b32 exec_lo, exec_lo, s27
	s_cbranch_execz .LBB376_98
; %bb.70:
	v_div_scale_f64 v[2:3], null, v[67:68], v[67:68], v[11:12]
	v_div_scale_f64 v[8:9], vcc_lo, v[11:12], v[67:68], v[11:12]
	v_rcp_f64_e32 v[4:5], v[2:3]
	v_fma_f64 v[6:7], -v[2:3], v[4:5], 1.0
	v_fma_f64 v[4:5], v[4:5], v[6:7], v[4:5]
	v_fma_f64 v[6:7], -v[2:3], v[4:5], 1.0
	v_fma_f64 v[4:5], v[4:5], v[6:7], v[4:5]
	v_mul_f64 v[6:7], v[8:9], v[4:5]
	v_fma_f64 v[2:3], -v[2:3], v[6:7], v[8:9]
	v_div_fmas_f64 v[2:3], v[2:3], v[4:5], v[6:7]
	v_div_fixup_f64 v[2:3], v[2:3], v[67:68], v[11:12]
	v_cndmask_b32_e64 v4, v2, 0, s31
	v_add_co_u32 v2, vcc_lo, 0x800, v0
	v_cndmask_b32_e64 v5, v3, 0x7ff80000, s31
	v_add_co_ci_u32_e64 v3, null, 0, v1, vcc_lo
	global_store_dwordx2 v[2:3], v[4:5], off
	s_and_b32 exec_lo, exec_lo, s26
	s_cbranch_execz .LBB376_98
; %bb.71:
	v_div_scale_f64 v[4:5], null, v[67:68], v[67:68], v[13:14]
	v_div_scale_f64 v[10:11], vcc_lo, v[13:14], v[67:68], v[13:14]
	v_rcp_f64_e32 v[6:7], v[4:5]
	v_fma_f64 v[8:9], -v[4:5], v[6:7], 1.0
	v_fma_f64 v[6:7], v[6:7], v[8:9], v[6:7]
	v_fma_f64 v[8:9], -v[4:5], v[6:7], 1.0
	v_fma_f64 v[6:7], v[6:7], v[8:9], v[6:7]
	v_mul_f64 v[8:9], v[10:11], v[6:7]
	v_fma_f64 v[4:5], -v[4:5], v[8:9], v[10:11]
	v_div_fmas_f64 v[4:5], v[4:5], v[6:7], v[8:9]
	v_div_fixup_f64 v[4:5], v[4:5], v[67:68], v[13:14]
	v_cndmask_b32_e64 v5, v5, 0x7ff80000, s31
	v_cndmask_b32_e64 v4, v4, 0, s31
	global_store_dwordx2 v[2:3], v[4:5], off offset:512
	s_and_b32 exec_lo, exec_lo, s25
	s_cbranch_execz .LBB376_98
; %bb.72:
	v_div_scale_f64 v[4:5], null, v[67:68], v[67:68], v[15:16]
	v_div_scale_f64 v[10:11], vcc_lo, v[15:16], v[67:68], v[15:16]
	v_rcp_f64_e32 v[6:7], v[4:5]
	v_fma_f64 v[8:9], -v[4:5], v[6:7], 1.0
	v_fma_f64 v[6:7], v[6:7], v[8:9], v[6:7]
	v_fma_f64 v[8:9], -v[4:5], v[6:7], 1.0
	v_fma_f64 v[6:7], v[6:7], v[8:9], v[6:7]
	v_mul_f64 v[8:9], v[10:11], v[6:7]
	v_fma_f64 v[4:5], -v[4:5], v[8:9], v[10:11]
	v_div_fmas_f64 v[4:5], v[4:5], v[6:7], v[8:9]
	v_div_fixup_f64 v[4:5], v[4:5], v[67:68], v[15:16]
	v_cndmask_b32_e64 v5, v5, 0x7ff80000, s31
	v_cndmask_b32_e64 v4, v4, 0, s31
	global_store_dwordx2 v[2:3], v[4:5], off offset:1024
	;; [unrolled: 17-line block ×3, first 2 shown]
	s_and_b32 exec_lo, exec_lo, s23
	s_cbranch_execz .LBB376_98
; %bb.74:
	v_div_scale_f64 v[2:3], null, v[67:68], v[67:68], v[19:20]
	v_div_scale_f64 v[8:9], vcc_lo, v[19:20], v[67:68], v[19:20]
	v_rcp_f64_e32 v[4:5], v[2:3]
	v_fma_f64 v[6:7], -v[2:3], v[4:5], 1.0
	v_fma_f64 v[4:5], v[4:5], v[6:7], v[4:5]
	v_fma_f64 v[6:7], -v[2:3], v[4:5], 1.0
	v_fma_f64 v[4:5], v[4:5], v[6:7], v[4:5]
	v_mul_f64 v[6:7], v[8:9], v[4:5]
	v_fma_f64 v[2:3], -v[2:3], v[6:7], v[8:9]
	v_div_fmas_f64 v[2:3], v[2:3], v[4:5], v[6:7]
	v_div_fixup_f64 v[2:3], v[2:3], v[67:68], v[19:20]
	v_cndmask_b32_e64 v4, v2, 0, s31
	v_add_co_u32 v2, vcc_lo, 0x1000, v0
	v_cndmask_b32_e64 v5, v3, 0x7ff80000, s31
	v_add_co_ci_u32_e64 v3, null, 0, v1, vcc_lo
	global_store_dwordx2 v[2:3], v[4:5], off
	s_and_b32 exec_lo, exec_lo, s22
	s_cbranch_execz .LBB376_98
; %bb.75:
	v_div_scale_f64 v[4:5], null, v[67:68], v[67:68], v[21:22]
	v_div_scale_f64 v[10:11], vcc_lo, v[21:22], v[67:68], v[21:22]
	v_rcp_f64_e32 v[6:7], v[4:5]
	v_fma_f64 v[8:9], -v[4:5], v[6:7], 1.0
	v_fma_f64 v[6:7], v[6:7], v[8:9], v[6:7]
	v_fma_f64 v[8:9], -v[4:5], v[6:7], 1.0
	v_fma_f64 v[6:7], v[6:7], v[8:9], v[6:7]
	v_mul_f64 v[8:9], v[10:11], v[6:7]
	v_fma_f64 v[4:5], -v[4:5], v[8:9], v[10:11]
	v_div_fmas_f64 v[4:5], v[4:5], v[6:7], v[8:9]
	v_div_fixup_f64 v[4:5], v[4:5], v[67:68], v[21:22]
	v_cndmask_b32_e64 v5, v5, 0x7ff80000, s31
	v_cndmask_b32_e64 v4, v4, 0, s31
	global_store_dwordx2 v[2:3], v[4:5], off offset:512
	s_and_b32 exec_lo, exec_lo, s21
	s_cbranch_execz .LBB376_98
; %bb.76:
	v_div_scale_f64 v[4:5], null, v[67:68], v[67:68], v[23:24]
	v_div_scale_f64 v[10:11], vcc_lo, v[23:24], v[67:68], v[23:24]
	v_rcp_f64_e32 v[6:7], v[4:5]
	v_fma_f64 v[8:9], -v[4:5], v[6:7], 1.0
	v_fma_f64 v[6:7], v[6:7], v[8:9], v[6:7]
	v_fma_f64 v[8:9], -v[4:5], v[6:7], 1.0
	v_fma_f64 v[6:7], v[6:7], v[8:9], v[6:7]
	v_mul_f64 v[8:9], v[10:11], v[6:7]
	v_fma_f64 v[4:5], -v[4:5], v[8:9], v[10:11]
	v_div_fmas_f64 v[4:5], v[4:5], v[6:7], v[8:9]
	v_div_fixup_f64 v[4:5], v[4:5], v[67:68], v[23:24]
	v_cndmask_b32_e64 v5, v5, 0x7ff80000, s31
	v_cndmask_b32_e64 v4, v4, 0, s31
	global_store_dwordx2 v[2:3], v[4:5], off offset:1024
	;; [unrolled: 17-line block ×3, first 2 shown]
	s_and_b32 exec_lo, exec_lo, s19
	s_cbranch_execz .LBB376_98
; %bb.78:
	v_div_scale_f64 v[2:3], null, v[67:68], v[67:68], v[27:28]
	v_div_scale_f64 v[8:9], vcc_lo, v[27:28], v[67:68], v[27:28]
	v_rcp_f64_e32 v[4:5], v[2:3]
	v_fma_f64 v[6:7], -v[2:3], v[4:5], 1.0
	v_fma_f64 v[4:5], v[4:5], v[6:7], v[4:5]
	v_fma_f64 v[6:7], -v[2:3], v[4:5], 1.0
	v_fma_f64 v[4:5], v[4:5], v[6:7], v[4:5]
	v_mul_f64 v[6:7], v[8:9], v[4:5]
	v_fma_f64 v[2:3], -v[2:3], v[6:7], v[8:9]
	v_div_fmas_f64 v[2:3], v[2:3], v[4:5], v[6:7]
	v_div_fixup_f64 v[2:3], v[2:3], v[67:68], v[27:28]
	v_cndmask_b32_e64 v4, v2, 0, s31
	v_add_co_u32 v2, vcc_lo, 0x1800, v0
	v_cndmask_b32_e64 v5, v3, 0x7ff80000, s31
	v_add_co_ci_u32_e64 v3, null, 0, v1, vcc_lo
	global_store_dwordx2 v[2:3], v[4:5], off
	s_and_b32 exec_lo, exec_lo, s18
	s_cbranch_execz .LBB376_98
; %bb.79:
	v_div_scale_f64 v[4:5], null, v[67:68], v[67:68], v[29:30]
	v_div_scale_f64 v[10:11], vcc_lo, v[29:30], v[67:68], v[29:30]
	v_rcp_f64_e32 v[6:7], v[4:5]
	v_fma_f64 v[8:9], -v[4:5], v[6:7], 1.0
	v_fma_f64 v[6:7], v[6:7], v[8:9], v[6:7]
	v_fma_f64 v[8:9], -v[4:5], v[6:7], 1.0
	v_fma_f64 v[6:7], v[6:7], v[8:9], v[6:7]
	v_mul_f64 v[8:9], v[10:11], v[6:7]
	v_fma_f64 v[4:5], -v[4:5], v[8:9], v[10:11]
	v_div_fmas_f64 v[4:5], v[4:5], v[6:7], v[8:9]
	v_div_fixup_f64 v[4:5], v[4:5], v[67:68], v[29:30]
	v_cndmask_b32_e64 v5, v5, 0x7ff80000, s31
	v_cndmask_b32_e64 v4, v4, 0, s31
	global_store_dwordx2 v[2:3], v[4:5], off offset:512
	s_and_b32 exec_lo, exec_lo, s17
	s_cbranch_execz .LBB376_98
; %bb.80:
	v_div_scale_f64 v[4:5], null, v[67:68], v[67:68], v[31:32]
	v_div_scale_f64 v[10:11], vcc_lo, v[31:32], v[67:68], v[31:32]
	v_rcp_f64_e32 v[6:7], v[4:5]
	v_fma_f64 v[8:9], -v[4:5], v[6:7], 1.0
	v_fma_f64 v[6:7], v[6:7], v[8:9], v[6:7]
	v_fma_f64 v[8:9], -v[4:5], v[6:7], 1.0
	v_fma_f64 v[6:7], v[6:7], v[8:9], v[6:7]
	v_mul_f64 v[8:9], v[10:11], v[6:7]
	v_fma_f64 v[4:5], -v[4:5], v[8:9], v[10:11]
	v_div_fmas_f64 v[4:5], v[4:5], v[6:7], v[8:9]
	v_div_fixup_f64 v[4:5], v[4:5], v[67:68], v[31:32]
	v_cndmask_b32_e64 v5, v5, 0x7ff80000, s31
	v_cndmask_b32_e64 v4, v4, 0, s31
	global_store_dwordx2 v[2:3], v[4:5], off offset:1024
	;; [unrolled: 17-line block ×3, first 2 shown]
	s_and_b32 exec_lo, exec_lo, s15
	s_cbranch_execz .LBB376_98
; %bb.82:
	v_div_scale_f64 v[2:3], null, v[67:68], v[67:68], v[35:36]
	v_div_scale_f64 v[8:9], vcc_lo, v[35:36], v[67:68], v[35:36]
	v_rcp_f64_e32 v[4:5], v[2:3]
	v_fma_f64 v[6:7], -v[2:3], v[4:5], 1.0
	v_fma_f64 v[4:5], v[4:5], v[6:7], v[4:5]
	v_fma_f64 v[6:7], -v[2:3], v[4:5], 1.0
	v_fma_f64 v[4:5], v[4:5], v[6:7], v[4:5]
	v_mul_f64 v[6:7], v[8:9], v[4:5]
	v_fma_f64 v[2:3], -v[2:3], v[6:7], v[8:9]
	v_div_fmas_f64 v[2:3], v[2:3], v[4:5], v[6:7]
	v_div_fixup_f64 v[2:3], v[2:3], v[67:68], v[35:36]
	v_cndmask_b32_e64 v4, v2, 0, s31
	v_add_co_u32 v2, vcc_lo, 0x2000, v0
	v_cndmask_b32_e64 v5, v3, 0x7ff80000, s31
	v_add_co_ci_u32_e64 v3, null, 0, v1, vcc_lo
	global_store_dwordx2 v[2:3], v[4:5], off
	s_and_b32 exec_lo, exec_lo, s14
	s_cbranch_execz .LBB376_98
; %bb.83:
	v_div_scale_f64 v[4:5], null, v[67:68], v[67:68], v[37:38]
	v_div_scale_f64 v[10:11], vcc_lo, v[37:38], v[67:68], v[37:38]
	v_rcp_f64_e32 v[6:7], v[4:5]
	v_fma_f64 v[8:9], -v[4:5], v[6:7], 1.0
	v_fma_f64 v[6:7], v[6:7], v[8:9], v[6:7]
	v_fma_f64 v[8:9], -v[4:5], v[6:7], 1.0
	v_fma_f64 v[6:7], v[6:7], v[8:9], v[6:7]
	v_mul_f64 v[8:9], v[10:11], v[6:7]
	v_fma_f64 v[4:5], -v[4:5], v[8:9], v[10:11]
	v_div_fmas_f64 v[4:5], v[4:5], v[6:7], v[8:9]
	v_div_fixup_f64 v[4:5], v[4:5], v[67:68], v[37:38]
	v_cndmask_b32_e64 v5, v5, 0x7ff80000, s31
	v_cndmask_b32_e64 v4, v4, 0, s31
	global_store_dwordx2 v[2:3], v[4:5], off offset:512
	s_and_b32 exec_lo, exec_lo, s13
	s_cbranch_execz .LBB376_98
; %bb.84:
	v_div_scale_f64 v[4:5], null, v[67:68], v[67:68], v[39:40]
	v_div_scale_f64 v[10:11], vcc_lo, v[39:40], v[67:68], v[39:40]
	v_rcp_f64_e32 v[6:7], v[4:5]
	v_fma_f64 v[8:9], -v[4:5], v[6:7], 1.0
	v_fma_f64 v[6:7], v[6:7], v[8:9], v[6:7]
	v_fma_f64 v[8:9], -v[4:5], v[6:7], 1.0
	v_fma_f64 v[6:7], v[6:7], v[8:9], v[6:7]
	v_mul_f64 v[8:9], v[10:11], v[6:7]
	v_fma_f64 v[4:5], -v[4:5], v[8:9], v[10:11]
	v_div_fmas_f64 v[4:5], v[4:5], v[6:7], v[8:9]
	v_div_fixup_f64 v[4:5], v[4:5], v[67:68], v[39:40]
	v_cndmask_b32_e64 v5, v5, 0x7ff80000, s31
	v_cndmask_b32_e64 v4, v4, 0, s31
	global_store_dwordx2 v[2:3], v[4:5], off offset:1024
	;; [unrolled: 17-line block ×3, first 2 shown]
	s_and_b32 exec_lo, exec_lo, s11
	s_cbranch_execz .LBB376_98
; %bb.86:
	v_div_scale_f64 v[2:3], null, v[67:68], v[67:68], v[43:44]
	v_div_scale_f64 v[8:9], vcc_lo, v[43:44], v[67:68], v[43:44]
	v_rcp_f64_e32 v[4:5], v[2:3]
	v_fma_f64 v[6:7], -v[2:3], v[4:5], 1.0
	v_fma_f64 v[4:5], v[4:5], v[6:7], v[4:5]
	v_fma_f64 v[6:7], -v[2:3], v[4:5], 1.0
	v_fma_f64 v[4:5], v[4:5], v[6:7], v[4:5]
	v_mul_f64 v[6:7], v[8:9], v[4:5]
	v_fma_f64 v[2:3], -v[2:3], v[6:7], v[8:9]
	v_div_fmas_f64 v[2:3], v[2:3], v[4:5], v[6:7]
	v_div_fixup_f64 v[2:3], v[2:3], v[67:68], v[43:44]
	v_cndmask_b32_e64 v4, v2, 0, s31
	v_add_co_u32 v2, vcc_lo, 0x2800, v0
	v_cndmask_b32_e64 v5, v3, 0x7ff80000, s31
	v_add_co_ci_u32_e64 v3, null, 0, v1, vcc_lo
	global_store_dwordx2 v[2:3], v[4:5], off
	s_and_b32 exec_lo, exec_lo, s10
	s_cbranch_execz .LBB376_98
; %bb.87:
	v_div_scale_f64 v[4:5], null, v[67:68], v[67:68], v[45:46]
	v_div_scale_f64 v[10:11], vcc_lo, v[45:46], v[67:68], v[45:46]
	v_rcp_f64_e32 v[6:7], v[4:5]
	v_fma_f64 v[8:9], -v[4:5], v[6:7], 1.0
	v_fma_f64 v[6:7], v[6:7], v[8:9], v[6:7]
	v_fma_f64 v[8:9], -v[4:5], v[6:7], 1.0
	v_fma_f64 v[6:7], v[6:7], v[8:9], v[6:7]
	v_mul_f64 v[8:9], v[10:11], v[6:7]
	v_fma_f64 v[4:5], -v[4:5], v[8:9], v[10:11]
	v_div_fmas_f64 v[4:5], v[4:5], v[6:7], v[8:9]
	v_div_fixup_f64 v[4:5], v[4:5], v[67:68], v[45:46]
	v_cndmask_b32_e64 v5, v5, 0x7ff80000, s31
	v_cndmask_b32_e64 v4, v4, 0, s31
	global_store_dwordx2 v[2:3], v[4:5], off offset:512
	s_and_b32 exec_lo, exec_lo, s9
	s_cbranch_execz .LBB376_98
; %bb.88:
	v_div_scale_f64 v[4:5], null, v[67:68], v[67:68], v[47:48]
	v_div_scale_f64 v[10:11], vcc_lo, v[47:48], v[67:68], v[47:48]
	v_rcp_f64_e32 v[6:7], v[4:5]
	v_fma_f64 v[8:9], -v[4:5], v[6:7], 1.0
	v_fma_f64 v[6:7], v[6:7], v[8:9], v[6:7]
	v_fma_f64 v[8:9], -v[4:5], v[6:7], 1.0
	v_fma_f64 v[6:7], v[6:7], v[8:9], v[6:7]
	v_mul_f64 v[8:9], v[10:11], v[6:7]
	v_fma_f64 v[4:5], -v[4:5], v[8:9], v[10:11]
	v_div_fmas_f64 v[4:5], v[4:5], v[6:7], v[8:9]
	v_div_fixup_f64 v[4:5], v[4:5], v[67:68], v[47:48]
	v_cndmask_b32_e64 v5, v5, 0x7ff80000, s31
	v_cndmask_b32_e64 v4, v4, 0, s31
	global_store_dwordx2 v[2:3], v[4:5], off offset:1024
	;; [unrolled: 17-line block ×3, first 2 shown]
	s_and_b32 exec_lo, exec_lo, s7
	s_cbranch_execz .LBB376_98
; %bb.90:
	v_div_scale_f64 v[2:3], null, v[67:68], v[67:68], v[51:52]
	v_div_scale_f64 v[8:9], vcc_lo, v[51:52], v[67:68], v[51:52]
	v_rcp_f64_e32 v[4:5], v[2:3]
	v_fma_f64 v[6:7], -v[2:3], v[4:5], 1.0
	v_fma_f64 v[4:5], v[4:5], v[6:7], v[4:5]
	v_fma_f64 v[6:7], -v[2:3], v[4:5], 1.0
	v_fma_f64 v[4:5], v[4:5], v[6:7], v[4:5]
	v_mul_f64 v[6:7], v[8:9], v[4:5]
	v_fma_f64 v[2:3], -v[2:3], v[6:7], v[8:9]
	v_div_fmas_f64 v[2:3], v[2:3], v[4:5], v[6:7]
	v_div_fixup_f64 v[2:3], v[2:3], v[67:68], v[51:52]
	v_cndmask_b32_e64 v4, v2, 0, s31
	v_add_co_u32 v2, vcc_lo, 0x3000, v0
	v_cndmask_b32_e64 v5, v3, 0x7ff80000, s31
	v_add_co_ci_u32_e64 v3, null, 0, v1, vcc_lo
	global_store_dwordx2 v[2:3], v[4:5], off
	s_and_b32 exec_lo, exec_lo, s6
	s_cbranch_execz .LBB376_98
; %bb.91:
	v_div_scale_f64 v[4:5], null, v[67:68], v[67:68], v[53:54]
	v_div_scale_f64 v[10:11], vcc_lo, v[53:54], v[67:68], v[53:54]
	v_rcp_f64_e32 v[6:7], v[4:5]
	v_fma_f64 v[8:9], -v[4:5], v[6:7], 1.0
	v_fma_f64 v[6:7], v[6:7], v[8:9], v[6:7]
	v_fma_f64 v[8:9], -v[4:5], v[6:7], 1.0
	v_fma_f64 v[6:7], v[6:7], v[8:9], v[6:7]
	v_mul_f64 v[8:9], v[10:11], v[6:7]
	v_fma_f64 v[4:5], -v[4:5], v[8:9], v[10:11]
	v_div_fmas_f64 v[4:5], v[4:5], v[6:7], v[8:9]
	v_div_fixup_f64 v[4:5], v[4:5], v[67:68], v[53:54]
	v_cndmask_b32_e64 v5, v5, 0x7ff80000, s31
	v_cndmask_b32_e64 v4, v4, 0, s31
	global_store_dwordx2 v[2:3], v[4:5], off offset:512
	s_and_b32 exec_lo, exec_lo, s5
	s_cbranch_execz .LBB376_98
; %bb.92:
	v_div_scale_f64 v[4:5], null, v[67:68], v[67:68], v[55:56]
	v_div_scale_f64 v[10:11], vcc_lo, v[55:56], v[67:68], v[55:56]
	v_rcp_f64_e32 v[6:7], v[4:5]
	v_fma_f64 v[8:9], -v[4:5], v[6:7], 1.0
	v_fma_f64 v[6:7], v[6:7], v[8:9], v[6:7]
	v_fma_f64 v[8:9], -v[4:5], v[6:7], 1.0
	v_fma_f64 v[6:7], v[6:7], v[8:9], v[6:7]
	v_mul_f64 v[8:9], v[10:11], v[6:7]
	v_fma_f64 v[4:5], -v[4:5], v[8:9], v[10:11]
	v_div_fmas_f64 v[4:5], v[4:5], v[6:7], v[8:9]
	v_div_fixup_f64 v[4:5], v[4:5], v[67:68], v[55:56]
	v_cndmask_b32_e64 v5, v5, 0x7ff80000, s31
	v_cndmask_b32_e64 v4, v4, 0, s31
	global_store_dwordx2 v[2:3], v[4:5], off offset:1024
	;; [unrolled: 17-line block ×3, first 2 shown]
	s_and_b32 exec_lo, exec_lo, s3
	s_cbranch_execz .LBB376_98
; %bb.94:
	v_div_scale_f64 v[2:3], null, v[67:68], v[67:68], v[61:62]
	v_div_scale_f64 v[8:9], vcc_lo, v[61:62], v[67:68], v[61:62]
	v_rcp_f64_e32 v[4:5], v[2:3]
	v_fma_f64 v[6:7], -v[2:3], v[4:5], 1.0
	v_fma_f64 v[4:5], v[4:5], v[6:7], v[4:5]
	v_fma_f64 v[6:7], -v[2:3], v[4:5], 1.0
	v_fma_f64 v[4:5], v[4:5], v[6:7], v[4:5]
	v_mul_f64 v[6:7], v[8:9], v[4:5]
	v_fma_f64 v[2:3], -v[2:3], v[6:7], v[8:9]
	v_div_fmas_f64 v[2:3], v[2:3], v[4:5], v[6:7]
	v_add_co_u32 v0, vcc_lo, 0x3800, v0
	v_add_co_ci_u32_e64 v1, null, 0, v1, vcc_lo
	v_div_fixup_f64 v[2:3], v[2:3], v[67:68], v[61:62]
	v_cndmask_b32_e64 v3, v3, 0x7ff80000, s31
	v_cndmask_b32_e64 v2, v2, 0, s31
	global_store_dwordx2 v[0:1], v[2:3], off
	s_and_b32 exec_lo, exec_lo, s2
	s_cbranch_execz .LBB376_98
; %bb.95:
	v_div_scale_f64 v[2:3], null, v[67:68], v[67:68], v[65:66]
	v_div_scale_f64 v[8:9], vcc_lo, v[65:66], v[67:68], v[65:66]
	v_rcp_f64_e32 v[4:5], v[2:3]
	v_fma_f64 v[6:7], -v[2:3], v[4:5], 1.0
	v_fma_f64 v[4:5], v[4:5], v[6:7], v[4:5]
	v_fma_f64 v[6:7], -v[2:3], v[4:5], 1.0
	v_fma_f64 v[4:5], v[4:5], v[6:7], v[4:5]
	v_mul_f64 v[6:7], v[8:9], v[4:5]
	v_fma_f64 v[2:3], -v[2:3], v[6:7], v[8:9]
	v_div_fmas_f64 v[2:3], v[2:3], v[4:5], v[6:7]
	v_div_fixup_f64 v[2:3], v[2:3], v[67:68], v[65:66]
	v_cndmask_b32_e64 v3, v3, 0x7ff80000, s31
	v_cndmask_b32_e64 v2, v2, 0, s31
	global_store_dwordx2 v[0:1], v[2:3], off offset:512
	s_and_b32 exec_lo, exec_lo, s1
	s_cbranch_execz .LBB376_98
; %bb.96:
	v_div_scale_f64 v[2:3], null, v[67:68], v[67:68], v[63:64]
	v_div_scale_f64 v[8:9], vcc_lo, v[63:64], v[67:68], v[63:64]
	v_rcp_f64_e32 v[4:5], v[2:3]
	v_fma_f64 v[6:7], -v[2:3], v[4:5], 1.0
	v_fma_f64 v[4:5], v[4:5], v[6:7], v[4:5]
	v_fma_f64 v[6:7], -v[2:3], v[4:5], 1.0
	v_fma_f64 v[4:5], v[4:5], v[6:7], v[4:5]
	v_mul_f64 v[6:7], v[8:9], v[4:5]
	v_fma_f64 v[2:3], -v[2:3], v[6:7], v[8:9]
	v_div_fmas_f64 v[2:3], v[2:3], v[4:5], v[6:7]
	v_div_fixup_f64 v[2:3], v[2:3], v[67:68], v[63:64]
	v_cndmask_b32_e64 v3, v3, 0x7ff80000, s31
	v_cndmask_b32_e64 v2, v2, 0, s31
	global_store_dwordx2 v[0:1], v[2:3], off offset:1024
	;; [unrolled: 17-line block ×3, first 2 shown]
.LBB376_98:
	s_endpgm
	.section	.rodata,"a",@progbits
	.p2align	6, 0x0
	.amdhsa_kernel _ZN12_GLOBAL__N_120softmax_warp_forwardIdddLi11ELb0ELb0ELi64EEEvPT0_PKT_iiiPKbib
		.amdhsa_group_segment_fixed_size 0
		.amdhsa_private_segment_fixed_size 0
		.amdhsa_kernarg_size 304
		.amdhsa_user_sgpr_count 6
		.amdhsa_user_sgpr_private_segment_buffer 1
		.amdhsa_user_sgpr_dispatch_ptr 0
		.amdhsa_user_sgpr_queue_ptr 0
		.amdhsa_user_sgpr_kernarg_segment_ptr 1
		.amdhsa_user_sgpr_dispatch_id 0
		.amdhsa_user_sgpr_flat_scratch_init 0
		.amdhsa_user_sgpr_private_segment_size 0
		.amdhsa_wavefront_size32 1
		.amdhsa_uses_dynamic_stack 0
		.amdhsa_system_sgpr_private_segment_wavefront_offset 0
		.amdhsa_system_sgpr_workgroup_id_x 1
		.amdhsa_system_sgpr_workgroup_id_y 0
		.amdhsa_system_sgpr_workgroup_id_z 0
		.amdhsa_system_sgpr_workgroup_info 0
		.amdhsa_system_vgpr_workitem_id 1
		.amdhsa_next_free_vgpr 83
		.amdhsa_next_free_sgpr 62
		.amdhsa_reserve_vcc 1
		.amdhsa_reserve_flat_scratch 0
		.amdhsa_float_round_mode_32 0
		.amdhsa_float_round_mode_16_64 0
		.amdhsa_float_denorm_mode_32 3
		.amdhsa_float_denorm_mode_16_64 3
		.amdhsa_dx10_clamp 1
		.amdhsa_ieee_mode 1
		.amdhsa_fp16_overflow 0
		.amdhsa_workgroup_processor_mode 1
		.amdhsa_memory_ordered 1
		.amdhsa_forward_progress 1
		.amdhsa_shared_vgpr_count 0
		.amdhsa_exception_fp_ieee_invalid_op 0
		.amdhsa_exception_fp_denorm_src 0
		.amdhsa_exception_fp_ieee_div_zero 0
		.amdhsa_exception_fp_ieee_overflow 0
		.amdhsa_exception_fp_ieee_underflow 0
		.amdhsa_exception_fp_ieee_inexact 0
		.amdhsa_exception_int_div_zero 0
	.end_amdhsa_kernel
	.section	.text._ZN12_GLOBAL__N_120softmax_warp_forwardIdddLi11ELb0ELb0ELi64EEEvPT0_PKT_iiiPKbib,"axG",@progbits,_ZN12_GLOBAL__N_120softmax_warp_forwardIdddLi11ELb0ELb0ELi64EEEvPT0_PKT_iiiPKbib,comdat
.Lfunc_end376:
	.size	_ZN12_GLOBAL__N_120softmax_warp_forwardIdddLi11ELb0ELb0ELi64EEEvPT0_PKT_iiiPKbib, .Lfunc_end376-_ZN12_GLOBAL__N_120softmax_warp_forwardIdddLi11ELb0ELb0ELi64EEEvPT0_PKT_iiiPKbib
                                        ; -- End function
	.set _ZN12_GLOBAL__N_120softmax_warp_forwardIdddLi11ELb0ELb0ELi64EEEvPT0_PKT_iiiPKbib.num_vgpr, 83
	.set _ZN12_GLOBAL__N_120softmax_warp_forwardIdddLi11ELb0ELb0ELi64EEEvPT0_PKT_iiiPKbib.num_agpr, 0
	.set _ZN12_GLOBAL__N_120softmax_warp_forwardIdddLi11ELb0ELb0ELi64EEEvPT0_PKT_iiiPKbib.numbered_sgpr, 62
	.set _ZN12_GLOBAL__N_120softmax_warp_forwardIdddLi11ELb0ELb0ELi64EEEvPT0_PKT_iiiPKbib.num_named_barrier, 0
	.set _ZN12_GLOBAL__N_120softmax_warp_forwardIdddLi11ELb0ELb0ELi64EEEvPT0_PKT_iiiPKbib.private_seg_size, 0
	.set _ZN12_GLOBAL__N_120softmax_warp_forwardIdddLi11ELb0ELb0ELi64EEEvPT0_PKT_iiiPKbib.uses_vcc, 1
	.set _ZN12_GLOBAL__N_120softmax_warp_forwardIdddLi11ELb0ELb0ELi64EEEvPT0_PKT_iiiPKbib.uses_flat_scratch, 0
	.set _ZN12_GLOBAL__N_120softmax_warp_forwardIdddLi11ELb0ELb0ELi64EEEvPT0_PKT_iiiPKbib.has_dyn_sized_stack, 0
	.set _ZN12_GLOBAL__N_120softmax_warp_forwardIdddLi11ELb0ELb0ELi64EEEvPT0_PKT_iiiPKbib.has_recursion, 0
	.set _ZN12_GLOBAL__N_120softmax_warp_forwardIdddLi11ELb0ELb0ELi64EEEvPT0_PKT_iiiPKbib.has_indirect_call, 0
	.section	.AMDGPU.csdata,"",@progbits
; Kernel info:
; codeLenInByte = 14248
; TotalNumSgprs: 64
; NumVgprs: 83
; ScratchSize: 0
; MemoryBound: 0
; FloatMode: 240
; IeeeMode: 1
; LDSByteSize: 0 bytes/workgroup (compile time only)
; SGPRBlocks: 0
; VGPRBlocks: 10
; NumSGPRsForWavesPerEU: 64
; NumVGPRsForWavesPerEU: 83
; Occupancy: 10
; WaveLimiterHint : 0
; COMPUTE_PGM_RSRC2:SCRATCH_EN: 0
; COMPUTE_PGM_RSRC2:USER_SGPR: 6
; COMPUTE_PGM_RSRC2:TRAP_HANDLER: 0
; COMPUTE_PGM_RSRC2:TGID_X_EN: 1
; COMPUTE_PGM_RSRC2:TGID_Y_EN: 0
; COMPUTE_PGM_RSRC2:TGID_Z_EN: 0
; COMPUTE_PGM_RSRC2:TIDIG_COMP_CNT: 1
	.section	.text._ZN12_GLOBAL__N_120softmax_warp_forwardIdddLi11ELb0ELb0ELi32EEEvPT0_PKT_iiiPKbib,"axG",@progbits,_ZN12_GLOBAL__N_120softmax_warp_forwardIdddLi11ELb0ELb0ELi32EEEvPT0_PKT_iiiPKbib,comdat
	.globl	_ZN12_GLOBAL__N_120softmax_warp_forwardIdddLi11ELb0ELb0ELi32EEEvPT0_PKT_iiiPKbib ; -- Begin function _ZN12_GLOBAL__N_120softmax_warp_forwardIdddLi11ELb0ELb0ELi32EEEvPT0_PKT_iiiPKbib
	.p2align	8
	.type	_ZN12_GLOBAL__N_120softmax_warp_forwardIdddLi11ELb0ELb0ELi32EEEvPT0_PKT_iiiPKbib,@function
_ZN12_GLOBAL__N_120softmax_warp_forwardIdddLi11ELb0ELb0ELi32EEEvPT0_PKT_iiiPKbib: ; @_ZN12_GLOBAL__N_120softmax_warp_forwardIdddLi11ELb0ELb0ELi32EEEvPT0_PKT_iiiPKbib
; %bb.0:
	s_mov_b64 s[98:99], s[2:3]
	s_mov_b64 s[96:97], s[0:1]
	s_clause 0x1
	s_load_dword s0, s[4:5], 0x3c
	s_load_dwordx8 s[68:75], s[4:5], 0x0
	s_add_u32 s96, s96, s7
	s_addc_u32 s97, s97, 0
	v_mov_b32_e32 v5, 0
	v_mov_b32_e32 v6, 0xfff00000
	buffer_store_dword v5, off, s[96:99], 0 offset:16 ; 4-byte Folded Spill
	buffer_store_dword v6, off, s[96:99], 0 offset:20 ; 4-byte Folded Spill
	v_mov_b32_e32 v41, 0
	v_mov_b32_e32 v42, 0xfff00000
	s_waitcnt lgkmcnt(0)
	s_lshr_b32 s0, s0, 16
	v_cmp_gt_i32_e32 vcc_lo, s74, v0
	v_mad_u64_u32 v[1:2], null, s6, s0, v[1:2]
	v_mad_u64_u32 v[2:3], null, v1, s73, v[0:1]
	v_sub_nc_u32_e32 v4, s72, v1
	buffer_store_dword v4, off, s[96:99], 0 offset:40 ; 4-byte Folded Spill
	v_ashrrev_i32_e32 v3, 31, v2
	v_cmp_lt_i32_e64 s64, 0, v4
	v_lshlrev_b64 v[1:2], 3, v[2:3]
	s_and_b32 s1, s64, vcc_lo
	v_add_co_u32 v13, s0, s70, v1
	buffer_store_dword v1, off, s[96:99], 0 offset:272 ; 4-byte Folded Spill
	buffer_store_dword v2, off, s[96:99], 0 offset:276 ; 4-byte Folded Spill
	v_add_co_ci_u32_e64 v14, null, s71, v2, s0
	s_and_saveexec_b32 s0, s1
	s_cbranch_execz .LBB377_2
; %bb.1:
	global_load_dwordx2 v[41:42], v[13:14], off
.LBB377_2:
	s_or_b32 exec_lo, exec_lo, s0
	v_add_nc_u32_e32 v1, 32, v0
	v_cmp_gt_i32_e64 s63, s74, v1
	s_and_b32 s1, s64, s63
	s_and_saveexec_b32 s0, s1
	s_cbranch_execz .LBB377_4
; %bb.3:
	global_load_dwordx2 v[1:2], v[13:14], off offset:256
	s_waitcnt vmcnt(0)
	buffer_store_dword v1, off, s[96:99], 0 offset:16 ; 4-byte Folded Spill
	buffer_store_dword v2, off, s[96:99], 0 offset:20 ; 4-byte Folded Spill
.LBB377_4:
	s_or_b32 exec_lo, exec_lo, s0
	v_add_nc_u32_e32 v1, 64, v0
	v_mov_b32_e32 v117, 0
	v_mov_b32_e32 v121, 0
	;; [unrolled: 1-line block ×4, first 2 shown]
	v_cmp_gt_i32_e64 s62, s74, v1
	s_and_b32 s1, s64, s62
	s_and_saveexec_b32 s0, s1
	s_cbranch_execz .LBB377_6
; %bb.5:
	global_load_dwordx2 v[121:122], v[13:14], off offset:512
.LBB377_6:
	s_or_b32 exec_lo, exec_lo, s0
	v_add_nc_u32_e32 v1, 0x60, v0
	v_cmp_gt_i32_e64 s61, s74, v1
	s_and_b32 s1, s64, s61
	s_and_saveexec_b32 s0, s1
	s_cbranch_execz .LBB377_8
; %bb.7:
	global_load_dwordx2 v[117:118], v[13:14], off offset:768
.LBB377_8:
	s_or_b32 exec_lo, exec_lo, s0
	v_add_nc_u32_e32 v1, 0x80, v0
	v_mov_b32_e32 v15, 0
	v_mov_b32_e32 v3, 0
	;; [unrolled: 1-line block ×4, first 2 shown]
	v_cmp_gt_i32_e64 s60, s74, v1
	s_and_b32 s1, s64, s60
	s_and_saveexec_b32 s0, s1
	s_cbranch_execz .LBB377_10
; %bb.9:
	global_load_dwordx2 v[3:4], v[13:14], off offset:1024
.LBB377_10:
	s_or_b32 exec_lo, exec_lo, s0
	v_add_nc_u32_e32 v1, 0xa0, v0
	v_cmp_gt_i32_e64 s59, s74, v1
	s_and_b32 s1, s64, s59
	s_and_saveexec_b32 s0, s1
	s_cbranch_execz .LBB377_12
; %bb.11:
	global_load_dwordx2 v[15:16], v[13:14], off offset:1280
.LBB377_12:
	s_or_b32 exec_lo, exec_lo, s0
	v_add_nc_u32_e32 v1, 0xc0, v0
	v_mov_b32_e32 v37, 0
	v_mov_b32_e32 v38, 0xfff00000
	v_cmp_gt_i32_e64 s58, s74, v1
	v_mov_b32_e32 v1, 0
	v_mov_b32_e32 v2, 0xfff00000
	buffer_store_dword v1, off, s[96:99], 0 offset:24 ; 4-byte Folded Spill
	buffer_store_dword v2, off, s[96:99], 0 offset:28 ; 4-byte Folded Spill
	s_and_b32 s1, s64, s58
	s_and_saveexec_b32 s0, s1
	s_cbranch_execz .LBB377_14
; %bb.13:
	global_load_dwordx2 v[37:38], v[13:14], off offset:1536
.LBB377_14:
	s_or_b32 exec_lo, exec_lo, s0
	v_add_nc_u32_e32 v1, 0xe0, v0
	v_cmp_gt_i32_e64 s57, s74, v1
	s_and_b32 s1, s64, s57
	s_and_saveexec_b32 s0, s1
	s_cbranch_execz .LBB377_16
; %bb.15:
	global_load_dwordx2 v[1:2], v[13:14], off offset:1792
	s_waitcnt vmcnt(0)
	buffer_store_dword v1, off, s[96:99], 0 offset:24 ; 4-byte Folded Spill
	buffer_store_dword v2, off, s[96:99], 0 offset:28 ; 4-byte Folded Spill
.LBB377_16:
	s_or_b32 exec_lo, exec_lo, s0
	v_add_nc_u32_e32 v1, 0x100, v0
	v_mov_b32_e32 v19, 0
	v_mov_b32_e32 v75, 0
	;; [unrolled: 1-line block ×4, first 2 shown]
	v_cmp_gt_i32_e64 s56, s74, v1
	s_and_b32 s0, s64, s56
	s_and_saveexec_b32 s1, s0
	s_cbranch_execz .LBB377_18
; %bb.17:
	v_add_co_u32 v1, s0, 0x800, v13
	v_add_co_ci_u32_e64 v2, null, 0, v14, s0
	global_load_dwordx2 v[75:76], v[1:2], off
.LBB377_18:
	s_or_b32 exec_lo, exec_lo, s1
	v_add_nc_u32_e32 v1, 0x120, v0
	v_cmp_gt_i32_e64 s55, s74, v1
	s_and_b32 s0, s64, s55
	s_and_saveexec_b32 s1, s0
	s_cbranch_execz .LBB377_20
; %bb.19:
	v_add_co_u32 v1, s0, 0x800, v13
	v_add_co_ci_u32_e64 v2, null, 0, v14, s0
	global_load_dwordx2 v[19:20], v[1:2], off offset:256
.LBB377_20:
	s_or_b32 exec_lo, exec_lo, s1
	v_add_nc_u32_e32 v1, 0x140, v0
	v_mov_b32_e32 v23, 0
	v_mov_b32_e32 v24, 0xfff00000
	v_cmp_gt_i32_e64 s54, s74, v1
	v_mov_b32_e32 v1, 0
	v_mov_b32_e32 v2, 0xfff00000
	buffer_store_dword v1, off, s[96:99], 0 ; 4-byte Folded Spill
	buffer_store_dword v2, off, s[96:99], 0 offset:4 ; 4-byte Folded Spill
	s_and_b32 s0, s64, s54
	s_and_saveexec_b32 s1, s0
	s_cbranch_execz .LBB377_22
; %bb.21:
	v_add_co_u32 v1, s0, 0x800, v13
	v_add_co_ci_u32_e64 v2, null, 0, v14, s0
	global_load_dwordx2 v[23:24], v[1:2], off offset:512
.LBB377_22:
	s_or_b32 exec_lo, exec_lo, s1
	v_add_nc_u32_e32 v1, 0x160, v0
	v_cmp_gt_i32_e64 s53, s74, v1
	s_and_b32 s0, s64, s53
	s_and_saveexec_b32 s1, s0
	s_cbranch_execz .LBB377_24
; %bb.23:
	v_add_co_u32 v1, s0, 0x800, v13
	v_add_co_ci_u32_e64 v2, null, 0, v14, s0
	global_load_dwordx2 v[1:2], v[1:2], off offset:768
	s_waitcnt vmcnt(0)
	buffer_store_dword v1, off, s[96:99], 0 ; 4-byte Folded Spill
	buffer_store_dword v2, off, s[96:99], 0 offset:4 ; 4-byte Folded Spill
.LBB377_24:
	s_or_b32 exec_lo, exec_lo, s1
	v_add_nc_u32_e32 v1, 0x180, v0
	v_mov_b32_e32 v21, 0
	v_mov_b32_e32 v22, 0xfff00000
	v_cmp_gt_i32_e64 s52, s74, v1
	v_mov_b32_e32 v1, 0
	v_mov_b32_e32 v2, 0xfff00000
	buffer_store_dword v1, off, s[96:99], 0 offset:8 ; 4-byte Folded Spill
	buffer_store_dword v2, off, s[96:99], 0 offset:12 ; 4-byte Folded Spill
	s_and_b32 s0, s64, s52
	s_and_saveexec_b32 s1, s0
	s_cbranch_execz .LBB377_26
; %bb.25:
	v_add_co_u32 v1, s0, 0x800, v13
	v_add_co_ci_u32_e64 v2, null, 0, v14, s0
	global_load_dwordx2 v[21:22], v[1:2], off offset:1024
.LBB377_26:
	s_or_b32 exec_lo, exec_lo, s1
	v_add_nc_u32_e32 v1, 0x1a0, v0
	v_cmp_gt_i32_e64 s51, s74, v1
	s_and_b32 s0, s64, s51
	s_and_saveexec_b32 s1, s0
	s_cbranch_execz .LBB377_28
; %bb.27:
	v_add_co_u32 v1, s0, 0x800, v13
	v_add_co_ci_u32_e64 v2, null, 0, v14, s0
	global_load_dwordx2 v[1:2], v[1:2], off offset:1280
	s_waitcnt vmcnt(0)
	buffer_store_dword v1, off, s[96:99], 0 offset:8 ; 4-byte Folded Spill
	buffer_store_dword v2, off, s[96:99], 0 offset:12 ; 4-byte Folded Spill
.LBB377_28:
	s_or_b32 exec_lo, exec_lo, s1
	v_add_nc_u32_e32 v1, 0x1c0, v0
	v_mov_b32_e32 v27, 0
	v_mov_b32_e32 v25, 0
	;; [unrolled: 1-line block ×4, first 2 shown]
	v_cmp_gt_i32_e64 s50, s74, v1
	s_and_b32 s0, s64, s50
	s_and_saveexec_b32 s1, s0
	s_cbranch_execz .LBB377_30
; %bb.29:
	v_add_co_u32 v1, s0, 0x800, v13
	v_add_co_ci_u32_e64 v2, null, 0, v14, s0
	global_load_dwordx2 v[25:26], v[1:2], off offset:1536
.LBB377_30:
	s_or_b32 exec_lo, exec_lo, s1
	v_add_nc_u32_e32 v1, 0x1e0, v0
	v_cmp_gt_i32_e64 s49, s74, v1
	s_and_b32 s0, s64, s49
	s_and_saveexec_b32 s1, s0
	s_cbranch_execz .LBB377_32
; %bb.31:
	v_add_co_u32 v1, s0, 0x800, v13
	v_add_co_ci_u32_e64 v2, null, 0, v14, s0
	global_load_dwordx2 v[27:28], v[1:2], off offset:1792
.LBB377_32:
	s_or_b32 exec_lo, exec_lo, s1
	v_add_nc_u32_e32 v1, 0x200, v0
	v_mov_b32_e32 v31, 0
	v_mov_b32_e32 v29, 0
	;; [unrolled: 1-line block ×4, first 2 shown]
	v_cmp_gt_i32_e64 s48, s74, v1
	s_and_b32 s0, s64, s48
	s_and_saveexec_b32 s1, s0
	s_cbranch_execz .LBB377_34
; %bb.33:
	v_add_co_u32 v1, s0, 0x1000, v13
	v_add_co_ci_u32_e64 v2, null, 0, v14, s0
	global_load_dwordx2 v[29:30], v[1:2], off
.LBB377_34:
	s_or_b32 exec_lo, exec_lo, s1
	v_add_nc_u32_e32 v1, 0x220, v0
	v_cmp_gt_i32_e64 s47, s74, v1
	s_and_b32 s0, s64, s47
	s_and_saveexec_b32 s1, s0
	s_cbranch_execz .LBB377_36
; %bb.35:
	v_add_co_u32 v1, s0, 0x1000, v13
	v_add_co_ci_u32_e64 v2, null, 0, v14, s0
	global_load_dwordx2 v[31:32], v[1:2], off offset:256
.LBB377_36:
	s_or_b32 exec_lo, exec_lo, s1
	v_add_nc_u32_e32 v1, 0x240, v0
	v_mov_b32_e32 v35, 0
	v_mov_b32_e32 v33, 0
	;; [unrolled: 1-line block ×4, first 2 shown]
	v_cmp_gt_i32_e64 s46, s74, v1
	s_and_b32 s0, s64, s46
	s_and_saveexec_b32 s1, s0
	s_cbranch_execz .LBB377_38
; %bb.37:
	v_add_co_u32 v1, s0, 0x1000, v13
	v_add_co_ci_u32_e64 v2, null, 0, v14, s0
	global_load_dwordx2 v[33:34], v[1:2], off offset:512
.LBB377_38:
	s_or_b32 exec_lo, exec_lo, s1
	v_add_nc_u32_e32 v1, 0x260, v0
	v_cmp_gt_i32_e64 s45, s74, v1
	s_and_b32 s0, s64, s45
	s_and_saveexec_b32 s1, s0
	s_cbranch_execz .LBB377_40
; %bb.39:
	v_add_co_u32 v1, s0, 0x1000, v13
	v_add_co_ci_u32_e64 v2, null, 0, v14, s0
	global_load_dwordx2 v[35:36], v[1:2], off offset:768
.LBB377_40:
	s_or_b32 exec_lo, exec_lo, s1
	v_add_nc_u32_e32 v1, 0x280, v0
	v_mov_b32_e32 v39, 0
	v_mov_b32_e32 v40, 0xfff00000
	v_cmp_gt_i32_e64 s44, s74, v1
	v_mov_b32_e32 v1, 0
	v_mov_b32_e32 v2, 0xfff00000
	buffer_store_dword v1, off, s[96:99], 0 offset:32 ; 4-byte Folded Spill
	buffer_store_dword v2, off, s[96:99], 0 offset:36 ; 4-byte Folded Spill
	s_and_b32 s0, s64, s44
	s_and_saveexec_b32 s1, s0
	s_cbranch_execz .LBB377_42
; %bb.41:
	v_add_co_u32 v1, s0, 0x1000, v13
	v_add_co_ci_u32_e64 v2, null, 0, v14, s0
	global_load_dwordx2 v[39:40], v[1:2], off offset:1024
.LBB377_42:
	s_or_b32 exec_lo, exec_lo, s1
	v_add_nc_u32_e32 v1, 0x2a0, v0
	v_cmp_gt_i32_e64 s43, s74, v1
	s_and_b32 s0, s64, s43
	s_and_saveexec_b32 s1, s0
	s_cbranch_execz .LBB377_44
; %bb.43:
	v_add_co_u32 v1, s0, 0x1000, v13
	v_add_co_ci_u32_e64 v2, null, 0, v14, s0
	global_load_dwordx2 v[1:2], v[1:2], off offset:1280
	s_waitcnt vmcnt(0)
	buffer_store_dword v1, off, s[96:99], 0 offset:32 ; 4-byte Folded Spill
	buffer_store_dword v2, off, s[96:99], 0 offset:36 ; 4-byte Folded Spill
.LBB377_44:
	s_or_b32 exec_lo, exec_lo, s1
	v_add_nc_u32_e32 v1, 0x2c0, v0
	v_mov_b32_e32 v43, 0
	v_mov_b32_e32 v7, 0
	v_mov_b32_e32 v44, 0xfff00000
	v_mov_b32_e32 v8, 0xfff00000
	v_cmp_gt_i32_e64 s42, s74, v1
	s_and_b32 s0, s64, s42
	s_and_saveexec_b32 s1, s0
	s_cbranch_execz .LBB377_46
; %bb.45:
	v_add_co_u32 v1, s0, 0x1000, v13
	v_add_co_ci_u32_e64 v2, null, 0, v14, s0
	global_load_dwordx2 v[7:8], v[1:2], off offset:1536
.LBB377_46:
	s_or_b32 exec_lo, exec_lo, s1
	v_add_nc_u32_e32 v1, 0x2e0, v0
	v_cmp_gt_i32_e64 s41, s74, v1
	s_and_b32 s0, s64, s41
	s_and_saveexec_b32 s1, s0
	s_cbranch_execz .LBB377_48
; %bb.47:
	v_add_co_u32 v1, s0, 0x1000, v13
	v_add_co_ci_u32_e64 v2, null, 0, v14, s0
	global_load_dwordx2 v[43:44], v[1:2], off offset:1792
.LBB377_48:
	s_or_b32 exec_lo, exec_lo, s1
	v_add_nc_u32_e32 v1, 0x300, v0
	v_mov_b32_e32 v47, 0
	v_mov_b32_e32 v45, 0
	;; [unrolled: 1-line block ×4, first 2 shown]
	v_cmp_gt_i32_e64 s40, s74, v1
	s_and_b32 s0, s64, s40
	s_and_saveexec_b32 s1, s0
	s_cbranch_execz .LBB377_50
; %bb.49:
	v_add_co_u32 v1, s0, 0x1800, v13
	v_add_co_ci_u32_e64 v2, null, 0, v14, s0
	global_load_dwordx2 v[45:46], v[1:2], off
.LBB377_50:
	s_or_b32 exec_lo, exec_lo, s1
	v_add_nc_u32_e32 v1, 0x320, v0
	v_cmp_gt_i32_e64 s39, s74, v1
	s_and_b32 s0, s64, s39
	s_and_saveexec_b32 s1, s0
	s_cbranch_execz .LBB377_52
; %bb.51:
	v_add_co_u32 v1, s0, 0x1800, v13
	v_add_co_ci_u32_e64 v2, null, 0, v14, s0
	global_load_dwordx2 v[47:48], v[1:2], off offset:256
.LBB377_52:
	s_or_b32 exec_lo, exec_lo, s1
	v_add_nc_u32_e32 v1, 0x340, v0
	v_mov_b32_e32 v51, 0
	v_mov_b32_e32 v49, 0
	v_mov_b32_e32 v52, 0xfff00000
	v_mov_b32_e32 v50, 0xfff00000
	v_cmp_gt_i32_e64 s38, s74, v1
	s_and_b32 s0, s64, s38
	s_and_saveexec_b32 s1, s0
	s_cbranch_execz .LBB377_54
; %bb.53:
	v_add_co_u32 v1, s0, 0x1800, v13
	v_add_co_ci_u32_e64 v2, null, 0, v14, s0
	global_load_dwordx2 v[49:50], v[1:2], off offset:512
.LBB377_54:
	s_or_b32 exec_lo, exec_lo, s1
	v_add_nc_u32_e32 v1, 0x360, v0
	v_cmp_gt_i32_e64 s37, s74, v1
	s_and_b32 s0, s64, s37
	s_and_saveexec_b32 s1, s0
	s_cbranch_execz .LBB377_56
; %bb.55:
	v_add_co_u32 v1, s0, 0x1800, v13
	v_add_co_ci_u32_e64 v2, null, 0, v14, s0
	global_load_dwordx2 v[51:52], v[1:2], off offset:768
.LBB377_56:
	s_or_b32 exec_lo, exec_lo, s1
	v_add_nc_u32_e32 v1, 0x380, v0
	v_mov_b32_e32 v55, 0
	v_mov_b32_e32 v53, 0
	v_mov_b32_e32 v56, 0xfff00000
	v_mov_b32_e32 v54, 0xfff00000
	v_cmp_gt_i32_e64 s36, s74, v1
	s_and_b32 s0, s64, s36
	s_and_saveexec_b32 s1, s0
	s_cbranch_execz .LBB377_58
; %bb.57:
	v_add_co_u32 v1, s0, 0x1800, v13
	v_add_co_ci_u32_e64 v2, null, 0, v14, s0
	global_load_dwordx2 v[53:54], v[1:2], off offset:1024
.LBB377_58:
	;; [unrolled: 26-line block ×3, first 2 shown]
	s_or_b32 exec_lo, exec_lo, s1
	v_add_nc_u32_e32 v1, 0x3e0, v0
	v_cmp_gt_i32_e64 s33, s74, v1
	s_and_b32 s0, s64, s33
	s_and_saveexec_b32 s1, s0
	s_cbranch_execz .LBB377_64
; %bb.63:
	v_add_co_u32 v1, s0, 0x1800, v13
	v_add_co_ci_u32_e64 v2, null, 0, v14, s0
	global_load_dwordx2 v[59:60], v[1:2], off offset:1792
.LBB377_64:
	s_or_b32 exec_lo, exec_lo, s1
	v_or_b32_e32 v1, 0x400, v0
	v_mov_b32_e32 v63, 0
	v_mov_b32_e32 v61, 0
	;; [unrolled: 1-line block ×4, first 2 shown]
	v_cmp_gt_i32_e64 s31, s74, v1
	s_and_b32 s0, s64, s31
	s_and_saveexec_b32 s1, s0
	s_cbranch_execz .LBB377_66
; %bb.65:
	v_add_co_u32 v1, s0, 0x2000, v13
	v_add_co_ci_u32_e64 v2, null, 0, v14, s0
	global_load_dwordx2 v[61:62], v[1:2], off
.LBB377_66:
	s_or_b32 exec_lo, exec_lo, s1
	v_add_nc_u32_e32 v1, 0x420, v0
	v_cmp_gt_i32_e64 s30, s74, v1
	s_and_b32 s0, s64, s30
	s_and_saveexec_b32 s1, s0
	s_cbranch_execz .LBB377_68
; %bb.67:
	v_add_co_u32 v1, s0, 0x2000, v13
	v_add_co_ci_u32_e64 v2, null, 0, v14, s0
	global_load_dwordx2 v[63:64], v[1:2], off offset:256
.LBB377_68:
	s_or_b32 exec_lo, exec_lo, s1
	v_add_nc_u32_e32 v1, 0x440, v0
	v_mov_b32_e32 v67, 0
	v_mov_b32_e32 v65, 0
	v_mov_b32_e32 v68, 0xfff00000
	v_mov_b32_e32 v66, 0xfff00000
	v_cmp_gt_i32_e64 s29, s74, v1
	s_and_b32 s0, s64, s29
	s_and_saveexec_b32 s1, s0
	s_cbranch_execz .LBB377_70
; %bb.69:
	v_add_co_u32 v1, s0, 0x2000, v13
	v_add_co_ci_u32_e64 v2, null, 0, v14, s0
	global_load_dwordx2 v[65:66], v[1:2], off offset:512
.LBB377_70:
	s_or_b32 exec_lo, exec_lo, s1
	v_add_nc_u32_e32 v1, 0x460, v0
	v_cmp_gt_i32_e64 s28, s74, v1
	s_and_b32 s0, s64, s28
	s_and_saveexec_b32 s1, s0
	s_cbranch_execz .LBB377_72
; %bb.71:
	v_add_co_u32 v1, s0, 0x2000, v13
	v_add_co_ci_u32_e64 v2, null, 0, v14, s0
	global_load_dwordx2 v[67:68], v[1:2], off offset:768
.LBB377_72:
	s_or_b32 exec_lo, exec_lo, s1
	v_add_nc_u32_e32 v1, 0x480, v0
	v_mov_b32_e32 v71, 0
	v_mov_b32_e32 v69, 0
	v_mov_b32_e32 v72, 0xfff00000
	v_mov_b32_e32 v70, 0xfff00000
	v_cmp_gt_i32_e64 s27, s74, v1
	s_and_b32 s0, s64, s27
	s_and_saveexec_b32 s1, s0
	s_cbranch_execz .LBB377_74
; %bb.73:
	v_add_co_u32 v1, s0, 0x2000, v13
	v_add_co_ci_u32_e64 v2, null, 0, v14, s0
	global_load_dwordx2 v[69:70], v[1:2], off offset:1024
.LBB377_74:
	;; [unrolled: 26-line block ×3, first 2 shown]
	s_or_b32 exec_lo, exec_lo, s1
	v_add_nc_u32_e32 v1, 0x4e0, v0
	v_cmp_gt_i32_e64 s24, s74, v1
	s_and_b32 s0, s64, s24
	s_and_saveexec_b32 s1, s0
	s_cbranch_execz .LBB377_80
; %bb.79:
	v_add_co_u32 v1, s0, 0x2000, v13
	v_add_co_ci_u32_e64 v2, null, 0, v14, s0
	global_load_dwordx2 v[9:10], v[1:2], off offset:1792
.LBB377_80:
	s_or_b32 exec_lo, exec_lo, s1
	v_add_nc_u32_e32 v1, 0x500, v0
	v_mov_b32_e32 v79, 0
	v_mov_b32_e32 v77, 0
	;; [unrolled: 1-line block ×4, first 2 shown]
	v_cmp_gt_i32_e64 s23, s74, v1
	s_and_b32 s0, s64, s23
	s_and_saveexec_b32 s1, s0
	s_cbranch_execz .LBB377_82
; %bb.81:
	v_add_co_u32 v1, s0, 0x2800, v13
	v_add_co_ci_u32_e64 v2, null, 0, v14, s0
	global_load_dwordx2 v[77:78], v[1:2], off
.LBB377_82:
	s_or_b32 exec_lo, exec_lo, s1
	v_add_nc_u32_e32 v1, 0x520, v0
	v_cmp_gt_i32_e64 s22, s74, v1
	s_and_b32 s0, s64, s22
	s_and_saveexec_b32 s1, s0
	s_cbranch_execz .LBB377_84
; %bb.83:
	v_add_co_u32 v1, s0, 0x2800, v13
	v_add_co_ci_u32_e64 v2, null, 0, v14, s0
	global_load_dwordx2 v[79:80], v[1:2], off offset:256
.LBB377_84:
	s_or_b32 exec_lo, exec_lo, s1
	v_add_nc_u32_e32 v1, 0x540, v0
	v_mov_b32_e32 v83, 0
	v_mov_b32_e32 v81, 0
	v_mov_b32_e32 v84, 0xfff00000
	v_mov_b32_e32 v82, 0xfff00000
	v_cmp_gt_i32_e64 s21, s74, v1
	s_and_b32 s0, s64, s21
	s_and_saveexec_b32 s1, s0
	s_cbranch_execz .LBB377_86
; %bb.85:
	v_add_co_u32 v1, s0, 0x2800, v13
	v_add_co_ci_u32_e64 v2, null, 0, v14, s0
	global_load_dwordx2 v[81:82], v[1:2], off offset:512
.LBB377_86:
	s_or_b32 exec_lo, exec_lo, s1
	v_add_nc_u32_e32 v1, 0x560, v0
	v_cmp_gt_i32_e64 s20, s74, v1
	s_and_b32 s0, s64, s20
	s_and_saveexec_b32 s1, s0
	s_cbranch_execz .LBB377_88
; %bb.87:
	v_add_co_u32 v1, s0, 0x2800, v13
	v_add_co_ci_u32_e64 v2, null, 0, v14, s0
	global_load_dwordx2 v[83:84], v[1:2], off offset:768
.LBB377_88:
	s_or_b32 exec_lo, exec_lo, s1
	v_add_nc_u32_e32 v1, 0x580, v0
	v_mov_b32_e32 v87, 0
	v_mov_b32_e32 v85, 0
	v_mov_b32_e32 v88, 0xfff00000
	v_mov_b32_e32 v86, 0xfff00000
	v_cmp_gt_i32_e64 s19, s74, v1
	s_and_b32 s0, s64, s19
	s_and_saveexec_b32 s1, s0
	s_cbranch_execz .LBB377_90
; %bb.89:
	v_add_co_u32 v1, s0, 0x2800, v13
	v_add_co_ci_u32_e64 v2, null, 0, v14, s0
	global_load_dwordx2 v[85:86], v[1:2], off offset:1024
.LBB377_90:
	;; [unrolled: 26-line block ×3, first 2 shown]
	s_or_b32 exec_lo, exec_lo, s1
	v_add_nc_u32_e32 v1, 0x5e0, v0
	v_cmp_gt_i32_e64 s16, s74, v1
	s_and_b32 s0, s64, s16
	s_and_saveexec_b32 s1, s0
	s_cbranch_execz .LBB377_96
; %bb.95:
	v_add_co_u32 v1, s0, 0x2800, v13
	v_add_co_ci_u32_e64 v2, null, 0, v14, s0
	global_load_dwordx2 v[91:92], v[1:2], off offset:1792
.LBB377_96:
	s_or_b32 exec_lo, exec_lo, s1
	v_add_nc_u32_e32 v1, 0x600, v0
	v_mov_b32_e32 v95, 0
	v_mov_b32_e32 v93, 0
	;; [unrolled: 1-line block ×4, first 2 shown]
	v_cmp_gt_i32_e64 s15, s74, v1
	s_and_b32 s0, s64, s15
	s_and_saveexec_b32 s1, s0
	s_cbranch_execz .LBB377_98
; %bb.97:
	v_add_co_u32 v1, s0, 0x3000, v13
	v_add_co_ci_u32_e64 v2, null, 0, v14, s0
	global_load_dwordx2 v[93:94], v[1:2], off
.LBB377_98:
	s_or_b32 exec_lo, exec_lo, s1
	v_add_nc_u32_e32 v1, 0x620, v0
	v_cmp_gt_i32_e64 s14, s74, v1
	s_and_b32 s0, s64, s14
	s_and_saveexec_b32 s1, s0
	s_cbranch_execz .LBB377_100
; %bb.99:
	v_add_co_u32 v1, s0, 0x3000, v13
	v_add_co_ci_u32_e64 v2, null, 0, v14, s0
	global_load_dwordx2 v[95:96], v[1:2], off offset:256
.LBB377_100:
	s_or_b32 exec_lo, exec_lo, s1
	v_add_nc_u32_e32 v1, 0x640, v0
	v_mov_b32_e32 v99, 0
	v_mov_b32_e32 v97, 0
	v_mov_b32_e32 v100, 0xfff00000
	v_mov_b32_e32 v98, 0xfff00000
	v_cmp_gt_i32_e64 s13, s74, v1
	s_and_b32 s0, s64, s13
	s_and_saveexec_b32 s1, s0
	s_cbranch_execz .LBB377_102
; %bb.101:
	v_add_co_u32 v1, s0, 0x3000, v13
	v_add_co_ci_u32_e64 v2, null, 0, v14, s0
	global_load_dwordx2 v[97:98], v[1:2], off offset:512
.LBB377_102:
	s_or_b32 exec_lo, exec_lo, s1
	v_add_nc_u32_e32 v1, 0x660, v0
	v_cmp_gt_i32_e64 s12, s74, v1
	s_and_b32 s0, s64, s12
	s_and_saveexec_b32 s1, s0
	s_cbranch_execz .LBB377_104
; %bb.103:
	v_add_co_u32 v1, s0, 0x3000, v13
	v_add_co_ci_u32_e64 v2, null, 0, v14, s0
	global_load_dwordx2 v[99:100], v[1:2], off offset:768
.LBB377_104:
	s_or_b32 exec_lo, exec_lo, s1
	v_add_nc_u32_e32 v1, 0x680, v0
	v_mov_b32_e32 v103, 0
	v_mov_b32_e32 v101, 0
	v_mov_b32_e32 v104, 0xfff00000
	v_mov_b32_e32 v102, 0xfff00000
	v_cmp_gt_i32_e64 s11, s74, v1
	s_and_b32 s0, s64, s11
	s_and_saveexec_b32 s1, s0
	s_cbranch_execz .LBB377_106
; %bb.105:
	v_add_co_u32 v1, s0, 0x3000, v13
	v_add_co_ci_u32_e64 v2, null, 0, v14, s0
	global_load_dwordx2 v[101:102], v[1:2], off offset:1024
.LBB377_106:
	;; [unrolled: 26-line block ×3, first 2 shown]
	s_or_b32 exec_lo, exec_lo, s1
	v_add_nc_u32_e32 v1, 0x6e0, v0
	v_cmp_gt_i32_e64 s8, s74, v1
	s_and_b32 s0, s64, s8
	s_and_saveexec_b32 s1, s0
	s_cbranch_execz .LBB377_112
; %bb.111:
	v_add_co_u32 v1, s0, 0x3000, v13
	v_add_co_ci_u32_e64 v2, null, 0, v14, s0
	global_load_dwordx2 v[107:108], v[1:2], off offset:1792
.LBB377_112:
	s_or_b32 exec_lo, exec_lo, s1
	v_add_nc_u32_e32 v1, 0x700, v0
	v_mov_b32_e32 v111, 0
	v_mov_b32_e32 v109, 0
	;; [unrolled: 1-line block ×4, first 2 shown]
	v_cmp_gt_i32_e64 s7, s74, v1
	s_and_b32 s0, s64, s7
	s_and_saveexec_b32 s1, s0
	s_cbranch_execz .LBB377_114
; %bb.113:
	v_add_co_u32 v1, s0, 0x3800, v13
	v_add_co_ci_u32_e64 v2, null, 0, v14, s0
	global_load_dwordx2 v[109:110], v[1:2], off
.LBB377_114:
	s_or_b32 exec_lo, exec_lo, s1
	v_add_nc_u32_e32 v1, 0x720, v0
	v_cmp_gt_i32_e64 s6, s74, v1
	s_and_b32 s0, s64, s6
	s_and_saveexec_b32 s1, s0
	s_cbranch_execz .LBB377_116
; %bb.115:
	v_add_co_u32 v1, s0, 0x3800, v13
	v_add_co_ci_u32_e64 v2, null, 0, v14, s0
	global_load_dwordx2 v[111:112], v[1:2], off offset:256
.LBB377_116:
	s_or_b32 exec_lo, exec_lo, s1
	v_add_nc_u32_e32 v1, 0x740, v0
	v_mov_b32_e32 v119, 0
	v_mov_b32_e32 v113, 0
	;; [unrolled: 1-line block ×4, first 2 shown]
	v_cmp_gt_i32_e64 s5, s74, v1
	s_and_b32 s0, s64, s5
	s_and_saveexec_b32 s1, s0
	s_cbranch_execz .LBB377_118
; %bb.117:
	v_add_co_u32 v11, s0, 0x3800, v13
	v_add_co_ci_u32_e64 v12, null, 0, v14, s0
	global_load_dwordx2 v[113:114], v[11:12], off offset:512
.LBB377_118:
	s_or_b32 exec_lo, exec_lo, s1
	v_add_nc_u32_e32 v1, 0x760, v0
	v_cmp_gt_i32_e64 s4, s74, v1
	s_and_b32 s0, s64, s4
	s_and_saveexec_b32 s1, s0
	s_cbranch_execz .LBB377_120
; %bb.119:
	v_add_co_u32 v1, s0, 0x3800, v13
	v_add_co_ci_u32_e64 v2, null, 0, v14, s0
	global_load_dwordx2 v[119:120], v[1:2], off offset:768
.LBB377_120:
	s_or_b32 exec_lo, exec_lo, s1
	v_add_nc_u32_e32 v1, 0x780, v0
	v_mov_b32_e32 v125, 0
	v_mov_b32_e32 v123, 0
	v_mov_b32_e32 v126, 0xfff00000
	v_mov_b32_e32 v124, 0xfff00000
	v_cmp_gt_i32_e64 s3, s74, v1
	s_and_b32 s0, s64, s3
	s_and_saveexec_b32 s1, s0
	s_cbranch_execz .LBB377_122
; %bb.121:
	v_add_co_u32 v11, s0, 0x3800, v13
	v_add_co_ci_u32_e64 v12, null, 0, v14, s0
	global_load_dwordx2 v[123:124], v[11:12], off offset:1024
.LBB377_122:
	s_or_b32 exec_lo, exec_lo, s1
	v_add_nc_u32_e32 v1, 0x7a0, v0
	v_cmp_gt_i32_e64 s2, s74, v1
	s_and_b32 s0, s64, s2
	s_and_saveexec_b32 s1, s0
	s_cbranch_execz .LBB377_124
; %bb.123:
	v_add_co_u32 v125, s0, 0x3800, v13
	v_add_co_ci_u32_e64 v126, null, 0, v14, s0
	global_load_dwordx2 v[125:126], v[125:126], off offset:1280
.LBB377_124:
	s_or_b32 exec_lo, exec_lo, s1
	v_add_nc_u32_e32 v1, 0x7c0, v0
	v_mov_b32_e32 v11, 0
	v_mov_b32_e32 v12, 0xfff00000
	v_cmp_gt_i32_e64 s1, s74, v1
	v_mov_b32_e32 v1, 0
	v_mov_b32_e32 v2, 0xfff00000
	s_and_b32 s0, s64, s1
	s_and_saveexec_b32 s65, s0
	s_cbranch_execz .LBB377_126
; %bb.125:
	s_waitcnt vmcnt(0)
	buffer_store_dword v121, off, s[96:99], 0 offset:44 ; 4-byte Folded Spill
	buffer_store_dword v122, off, s[96:99], 0 offset:48 ; 4-byte Folded Spill
	v_mov_b32_e32 v115, v119
	v_mov_b32_e32 v122, v118
	;; [unrolled: 1-line block ×10, first 2 shown]
	v_add_co_u32 v125, s0, 0x3800, v13
	v_add_co_ci_u32_e64 v126, null, 0, v14, s0
	v_mov_b32_e32 v3, v117
	v_mov_b32_e32 v4, v118
	;; [unrolled: 1-line block ×3, first 2 shown]
	global_load_dwordx2 v[11:12], v[125:126], off offset:1536
	v_mov_b32_e32 v118, v122
	s_clause 0x1
	buffer_load_dword v121, off, s[96:99], 0 offset:44
	buffer_load_dword v122, off, s[96:99], 0 offset:48
	v_mov_b32_e32 v126, v124
	v_mov_b32_e32 v125, v123
	;; [unrolled: 1-line block ×6, first 2 shown]
.LBB377_126:
	s_or_b32 exec_lo, exec_lo, s65
	v_add_nc_u32_e32 v0, 0x7e0, v0
	v_cmp_gt_i32_e64 s0, s74, v0
	s_and_b32 s64, s64, s0
	s_and_saveexec_b32 s65, s64
	s_cbranch_execz .LBB377_128
; %bb.127:
	v_add_co_u32 v13, s64, 0x3800, v13
	v_add_co_ci_u32_e64 v14, null, 0, v14, s64
	global_load_dwordx2 v[1:2], v[13:14], off offset:1792
.LBB377_128:
	s_or_b32 exec_lo, exec_lo, s65
	s_waitcnt vmcnt(0)
	buffer_store_dword v1, off, s[96:99], 0 offset:64 ; 4-byte Folded Spill
	buffer_store_dword v2, off, s[96:99], 0 offset:68 ; 4-byte Folded Spill
	s_clause 0x5
	buffer_load_dword v115, off, s[96:99], 0 offset:16
	buffer_load_dword v116, off, s[96:99], 0 offset:20
	;; [unrolled: 1-line block ×4, first 2 shown]
	buffer_load_dword v5, off, s[96:99], 0
	buffer_load_dword v6, off, s[96:99], 0 offset:4
	v_mbcnt_lo_u32_b32 v0, -1, 0
	s_mov_b32 s66, 0x652b82fe
	s_mov_b32 s67, 0x3ff71547
	;; [unrolled: 1-line block ×26, first 2 shown]
	s_waitcnt vmcnt(4)
	v_cmp_gt_f64_e64 s64, v[41:42], v[115:116]
	v_cndmask_b32_e64 v14, v116, v42, s64
	v_cndmask_b32_e64 v13, v115, v41, s64
	v_cmp_gt_f64_e64 s64, v[13:14], v[121:122]
	v_cndmask_b32_e64 v14, v122, v14, s64
	v_cndmask_b32_e64 v13, v121, v13, s64
	;; [unrolled: 3-line block ×6, first 2 shown]
	s_waitcnt vmcnt(2)
	v_cmp_gt_f64_e64 s64, v[13:14], v[17:18]
	v_cndmask_b32_e64 v14, v18, v14, s64
	v_cndmask_b32_e64 v13, v17, v13, s64
	v_cmp_gt_f64_e64 s64, v[13:14], v[75:76]
	v_cndmask_b32_e64 v14, v76, v14, s64
	v_cndmask_b32_e64 v13, v75, v13, s64
	;; [unrolled: 3-line block ×4, first 2 shown]
	s_waitcnt vmcnt(0)
	v_cmp_gt_f64_e64 s64, v[13:14], v[5:6]
	v_cndmask_b32_e64 v14, v6, v14, s64
	v_cndmask_b32_e64 v13, v5, v13, s64
	s_clause 0x1
	buffer_load_dword v5, off, s[96:99], 0 offset:8
	buffer_load_dword v6, off, s[96:99], 0 offset:12
	buffer_store_dword v39, off, s[96:99], 0 offset:264 ; 4-byte Folded Spill
	buffer_store_dword v40, off, s[96:99], 0 offset:268 ; 4-byte Folded Spill
	v_cmp_gt_f64_e64 s64, v[13:14], v[21:22]
	v_cndmask_b32_e64 v14, v22, v14, s64
	v_cndmask_b32_e64 v13, v21, v13, s64
	s_waitcnt vmcnt(0)
	v_cmp_gt_f64_e64 s64, v[13:14], v[5:6]
	v_cndmask_b32_e64 v14, v6, v14, s64
	v_cndmask_b32_e64 v13, v5, v13, s64
	v_cmp_gt_f64_e64 s64, v[13:14], v[25:26]
	v_cndmask_b32_e64 v14, v26, v14, s64
	v_cndmask_b32_e64 v13, v25, v13, s64
	;; [unrolled: 3-line block ×8, first 2 shown]
	s_clause 0x1
	buffer_load_dword v39, off, s[96:99], 0 offset:32
	buffer_load_dword v40, off, s[96:99], 0 offset:36
	buffer_store_dword v7, off, s[96:99], 0 offset:256 ; 4-byte Folded Spill
	buffer_store_dword v8, off, s[96:99], 0 offset:260 ; 4-byte Folded Spill
	;; [unrolled: 1-line block ×44, first 2 shown]
	s_waitcnt vmcnt(0)
	v_cmp_gt_f64_e64 s64, v[13:14], v[39:40]
	v_cndmask_b32_e64 v14, v40, v14, s64
	v_cndmask_b32_e64 v13, v39, v13, s64
	v_cmp_gt_f64_e64 s64, v[13:14], v[7:8]
	v_cndmask_b32_e64 v14, v8, v14, s64
	v_cndmask_b32_e64 v13, v7, v13, s64
	;; [unrolled: 3-line block ×39, first 2 shown]
	v_mov_b32_e32 v119, v121
	v_mov_b32_e32 v120, v122
	v_cmp_gt_f64_e64 s64, v[13:14], v[123:124]
	v_cndmask_b32_e64 v14, v124, v14, s64
	v_cndmask_b32_e64 v13, v123, v13, s64
	v_mov_b32_e32 v124, v118
	v_mov_b32_e32 v123, v117
	v_cmp_gt_f64_e64 s64, v[13:14], v[125:126]
	v_cndmask_b32_e64 v14, v126, v14, s64
	v_cndmask_b32_e64 v13, v125, v13, s64
	v_cmp_gt_f64_e64 s64, v[13:14], v[11:12]
	v_cndmask_b32_e64 v14, v12, v14, s64
	v_cndmask_b32_e64 v13, v11, v13, s64
	v_cmp_gt_f64_e64 s64, v[13:14], v[1:2]
	v_cndmask_b32_e64 v13, v1, v13, s64
	v_xor_b32_e32 v1, 16, v0
	v_cndmask_b32_e64 v14, v2, v14, s64
	v_cmp_gt_i32_e64 s64, 32, v1
	v_cndmask_b32_e64 v1, v0, v1, s64
	v_lshlrev_b32_e32 v1, 2, v1
	buffer_store_dword v1, off, s[96:99], 0 offset:44 ; 4-byte Folded Spill
	buffer_store_dword v125, off, s[96:99], 0 offset:80 ; 4-byte Folded Spill
	;; [unrolled: 1-line block ×3, first 2 shown]
	ds_bpermute_b32 v125, v1, v13
	ds_bpermute_b32 v126, v1, v14
	v_xor_b32_e32 v1, 8, v0
	s_waitcnt lgkmcnt(0)
	v_cmp_lt_f64_e64 s64, v[13:14], v[125:126]
	v_cndmask_b32_e64 v14, v14, v126, s64
	v_cndmask_b32_e64 v13, v13, v125, s64
	v_cmp_gt_i32_e64 s64, 32, v1
	v_cndmask_b32_e64 v1, v0, v1, s64
	v_lshlrev_b32_e32 v1, 2, v1
	ds_bpermute_b32 v125, v1, v13
	ds_bpermute_b32 v126, v1, v14
	buffer_store_dword v1, off, s[96:99], 0 offset:52 ; 4-byte Folded Spill
	v_xor_b32_e32 v1, 4, v0
	s_waitcnt lgkmcnt(0)
	v_cmp_lt_f64_e64 s64, v[13:14], v[125:126]
	v_cndmask_b32_e64 v14, v14, v126, s64
	v_cndmask_b32_e64 v13, v13, v125, s64
	v_cmp_gt_i32_e64 s64, 32, v1
	v_cndmask_b32_e64 v1, v0, v1, s64
	v_lshlrev_b32_e32 v1, 2, v1
	ds_bpermute_b32 v125, v1, v13
	ds_bpermute_b32 v126, v1, v14
	buffer_store_dword v1, off, s[96:99], 0 offset:56 ; 4-byte Folded Spill
	;; [unrolled: 11-line block ×3, first 2 shown]
	v_xor_b32_e32 v1, 1, v0
	buffer_store_dword v11, off, s[96:99], 0 offset:72 ; 4-byte Folded Spill
	buffer_store_dword v12, off, s[96:99], 0 offset:76 ; 4-byte Folded Spill
	s_waitcnt lgkmcnt(0)
	v_cmp_lt_f64_e64 s64, v[13:14], v[125:126]
	v_cndmask_b32_e64 v14, v14, v126, s64
	v_cndmask_b32_e64 v13, v13, v125, s64
	v_cmp_gt_i32_e64 s64, 32, v1
	v_cndmask_b32_e64 v0, v0, v1, s64
	v_lshlrev_b32_e32 v127, 2, v0
	ds_bpermute_b32 v125, v127, v13
	ds_bpermute_b32 v126, v127, v14
	s_waitcnt lgkmcnt(0)
	v_cmp_lt_f64_e64 s64, v[13:14], v[125:126]
	v_cndmask_b32_e64 v14, v14, v126, s64
	v_cndmask_b32_e64 v13, v13, v125, s64
	v_add_f64 v[121:122], v[41:42], -v[13:14]
	v_mul_f64 v[125:126], v[121:122], s[66:67]
	v_cmp_nlt_f64_e64 s64, 0x40900000, v[121:122]
	v_cmp_ngt_f64_e64 s65, 0xc090cc00, v[121:122]
	v_rndne_f64_e32 v[125:126], v[125:126]
	v_fma_f64 v[11:12], v[125:126], s[70:71], v[121:122]
	v_cvt_i32_f64_e32 v2, v[125:126]
	v_fma_f64 v[11:12], v[125:126], s[72:73], v[11:12]
	v_fma_f64 v[0:1], v[11:12], s[76:77], s[74:75]
	;; [unrolled: 1-line block ×10, first 2 shown]
	v_fma_f64 v[0:1], v[11:12], v[0:1], 1.0
	v_fma_f64 v[0:1], v[11:12], v[0:1], 1.0
	v_add_f64 v[11:12], v[115:116], -v[13:14]
	v_ldexp_f64 v[0:1], v[0:1], v2
	v_mul_f64 v[117:118], v[11:12], s[66:67]
	v_cndmask_b32_e64 v1, 0x7ff00000, v1, s64
	v_rndne_f64_e32 v[117:118], v[117:118]
	s_and_b32 s64, s65, s64
	v_cndmask_b32_e64 v0, 0, v0, s64
	v_cmp_nlt_f64_e64 s64, 0x40900000, v[11:12]
	v_cndmask_b32_e64 v1, 0, v1, s65
	v_cmp_ngt_f64_e64 s65, 0xc090cc00, v[11:12]
	buffer_store_dword v0, off, s[96:99], 0 offset:280 ; 4-byte Folded Spill
	buffer_store_dword v1, off, s[96:99], 0 offset:284 ; 4-byte Folded Spill
	v_fma_f64 v[121:122], v[117:118], s[70:71], v[11:12]
	v_cvt_i32_f64_e32 v2, v[117:118]
	v_fma_f64 v[121:122], v[117:118], s[72:73], v[121:122]
	v_fma_f64 v[125:126], v[121:122], s[76:77], s[74:75]
	v_fma_f64 v[125:126], v[121:122], v[125:126], s[78:79]
	v_fma_f64 v[125:126], v[121:122], v[125:126], s[80:81]
	v_fma_f64 v[125:126], v[121:122], v[125:126], s[82:83]
	v_fma_f64 v[125:126], v[121:122], v[125:126], s[84:85]
	v_fma_f64 v[125:126], v[121:122], v[125:126], s[86:87]
	v_fma_f64 v[125:126], v[121:122], v[125:126], s[88:89]
	v_fma_f64 v[125:126], v[121:122], v[125:126], s[90:91]
	v_fma_f64 v[125:126], v[121:122], v[125:126], s[92:93]
	v_fma_f64 v[125:126], v[121:122], v[125:126], 1.0
	v_fma_f64 v[121:122], v[121:122], v[125:126], 1.0
	v_mov_b32_e32 v126, v4
	v_mov_b32_e32 v125, v3
	v_ldexp_f64 v[117:118], v[121:122], v2
	v_add_f64 v[0:1], v[0:1], 0
	v_cndmask_b32_e64 v2, 0x7ff00000, v118, s64
	s_and_b32 s64, s65, s64
	v_cndmask_b32_e64 v11, 0, v117, s64
	v_cndmask_b32_e64 v12, 0, v2, s65
	buffer_store_dword v11, off, s[96:99], 0 offset:16 ; 4-byte Folded Spill
	buffer_store_dword v12, off, s[96:99], 0 offset:20 ; 4-byte Folded Spill
	v_add_f64 v[2:3], v[119:120], -v[13:14]
	v_cmp_nlt_f64_e64 s64, 0x40900000, v[2:3]
	v_cmp_ngt_f64_e64 s65, 0xc090cc00, v[2:3]
	v_add_f64 v[0:1], v[0:1], v[11:12]
	v_mul_f64 v[11:12], v[2:3], s[66:67]
	v_rndne_f64_e32 v[11:12], v[11:12]
	v_fma_f64 v[117:118], v[11:12], s[70:71], v[2:3]
	v_cvt_i32_f64_e32 v4, v[11:12]
	v_fma_f64 v[117:118], v[11:12], s[72:73], v[117:118]
	v_fma_f64 v[121:122], v[117:118], s[76:77], s[74:75]
	;; [unrolled: 1-line block ×10, first 2 shown]
	v_fma_f64 v[121:122], v[117:118], v[121:122], 1.0
	v_fma_f64 v[117:118], v[117:118], v[121:122], 1.0
	v_ldexp_f64 v[11:12], v[117:118], v4
	v_cndmask_b32_e64 v4, 0x7ff00000, v12, s64
	s_and_b32 s64, s65, s64
	v_cndmask_b32_e64 v2, 0, v11, s64
	v_cndmask_b32_e64 v3, 0, v4, s65
	buffer_store_dword v2, off, s[96:99], 0 offset:288 ; 4-byte Folded Spill
	buffer_store_dword v3, off, s[96:99], 0 offset:292 ; 4-byte Folded Spill
	v_add_f64 v[0:1], v[0:1], v[2:3]
	v_add_f64 v[2:3], v[123:124], -v[13:14]
	v_mul_f64 v[4:5], v[2:3], s[66:67]
	v_cmp_nlt_f64_e64 s64, 0x40900000, v[2:3]
	v_cmp_ngt_f64_e64 s65, 0xc090cc00, v[2:3]
	v_rndne_f64_e32 v[4:5], v[4:5]
	v_fma_f64 v[11:12], v[4:5], s[70:71], v[2:3]
	v_fma_f64 v[11:12], v[4:5], s[72:73], v[11:12]
	v_cvt_i32_f64_e32 v4, v[4:5]
	v_fma_f64 v[117:118], v[11:12], s[76:77], s[74:75]
	v_fma_f64 v[117:118], v[11:12], v[117:118], s[78:79]
	v_fma_f64 v[117:118], v[11:12], v[117:118], s[80:81]
	v_fma_f64 v[117:118], v[11:12], v[117:118], s[82:83]
	v_fma_f64 v[117:118], v[11:12], v[117:118], s[84:85]
	v_fma_f64 v[117:118], v[11:12], v[117:118], s[86:87]
	v_fma_f64 v[117:118], v[11:12], v[117:118], s[88:89]
	v_fma_f64 v[117:118], v[11:12], v[117:118], s[90:91]
	v_fma_f64 v[117:118], v[11:12], v[117:118], s[92:93]
	v_fma_f64 v[117:118], v[11:12], v[117:118], 1.0
	v_fma_f64 v[11:12], v[11:12], v[117:118], 1.0
	v_ldexp_f64 v[4:5], v[11:12], v4
	v_cndmask_b32_e64 v5, 0x7ff00000, v5, s64
	s_and_b32 s64, s65, s64
	v_cndmask_b32_e64 v2, 0, v4, s64
	v_cndmask_b32_e64 v3, 0, v5, s65
	buffer_store_dword v2, off, s[96:99], 0 offset:296 ; 4-byte Folded Spill
	buffer_store_dword v3, off, s[96:99], 0 offset:300 ; 4-byte Folded Spill
	v_add_f64 v[0:1], v[0:1], v[2:3]
	v_add_f64 v[2:3], v[125:126], -v[13:14]
	v_mul_f64 v[4:5], v[2:3], s[66:67]
	v_cmp_nlt_f64_e64 s64, 0x40900000, v[2:3]
	v_cmp_ngt_f64_e64 s65, 0xc090cc00, v[2:3]
	v_rndne_f64_e32 v[4:5], v[4:5]
	v_fma_f64 v[6:7], v[4:5], s[70:71], v[2:3]
	v_fma_f64 v[6:7], v[4:5], s[72:73], v[6:7]
	v_cvt_i32_f64_e32 v4, v[4:5]
	v_fma_f64 v[11:12], v[6:7], s[76:77], s[74:75]
	v_fma_f64 v[11:12], v[6:7], v[11:12], s[78:79]
	v_fma_f64 v[11:12], v[6:7], v[11:12], s[80:81]
	v_fma_f64 v[11:12], v[6:7], v[11:12], s[82:83]
	v_fma_f64 v[11:12], v[6:7], v[11:12], s[84:85]
	v_fma_f64 v[11:12], v[6:7], v[11:12], s[86:87]
	v_fma_f64 v[11:12], v[6:7], v[11:12], s[88:89]
	v_fma_f64 v[11:12], v[6:7], v[11:12], s[90:91]
	v_fma_f64 v[11:12], v[6:7], v[11:12], s[92:93]
	;; [unrolled: 27-line block ×3, first 2 shown]
	v_fma_f64 v[11:12], v[6:7], v[11:12], 1.0
	v_fma_f64 v[6:7], v[6:7], v[11:12], 1.0
	v_ldexp_f64 v[4:5], v[6:7], v4
	v_cndmask_b32_e64 v5, 0x7ff00000, v5, s64
	s_and_b32 s64, s65, s64
	v_cndmask_b32_e64 v2, 0, v4, s64
	v_cndmask_b32_e64 v3, 0, v5, s65
	buffer_store_dword v2, off, s[96:99], 0 offset:312 ; 4-byte Folded Spill
	buffer_store_dword v3, off, s[96:99], 0 offset:316 ; 4-byte Folded Spill
	v_add_f64 v[0:1], v[0:1], v[2:3]
	v_add_f64 v[2:3], v[37:38], -v[13:14]
	v_mul_f64 v[4:5], v[2:3], s[66:67]
	v_cmp_nlt_f64_e64 s64, 0x40900000, v[2:3]
	v_cmp_ngt_f64_e64 s65, 0xc090cc00, v[2:3]
	v_rndne_f64_e32 v[4:5], v[4:5]
	v_fma_f64 v[6:7], v[4:5], s[70:71], v[2:3]
	v_add_f64 v[2:3], v[17:18], -v[13:14]
	v_fma_f64 v[6:7], v[4:5], s[72:73], v[6:7]
	v_cvt_i32_f64_e32 v4, v[4:5]
	v_fma_f64 v[11:12], v[6:7], s[76:77], s[74:75]
	v_fma_f64 v[11:12], v[6:7], v[11:12], s[78:79]
	;; [unrolled: 1-line block ×9, first 2 shown]
	v_fma_f64 v[11:12], v[6:7], v[11:12], 1.0
	v_fma_f64 v[6:7], v[6:7], v[11:12], 1.0
	v_ldexp_f64 v[4:5], v[6:7], v4
	v_cndmask_b32_e64 v5, 0x7ff00000, v5, s64
	s_and_b32 s64, s65, s64
	v_cndmask_b32_e64 v37, 0, v4, s64
	v_cmp_nlt_f64_e64 s64, 0x40900000, v[2:3]
	v_cndmask_b32_e64 v38, 0, v5, s65
	v_mul_f64 v[4:5], v[2:3], s[66:67]
	v_cmp_ngt_f64_e64 s65, 0xc090cc00, v[2:3]
	v_add_f64 v[0:1], v[0:1], v[37:38]
	v_rndne_f64_e32 v[4:5], v[4:5]
	v_fma_f64 v[6:7], v[4:5], s[70:71], v[2:3]
	v_fma_f64 v[6:7], v[4:5], s[72:73], v[6:7]
	v_cvt_i32_f64_e32 v4, v[4:5]
	v_fma_f64 v[11:12], v[6:7], s[76:77], s[74:75]
	v_fma_f64 v[11:12], v[6:7], v[11:12], s[78:79]
	;; [unrolled: 1-line block ×9, first 2 shown]
	v_fma_f64 v[11:12], v[6:7], v[11:12], 1.0
	v_fma_f64 v[6:7], v[6:7], v[11:12], 1.0
	v_ldexp_f64 v[4:5], v[6:7], v4
	v_cndmask_b32_e64 v5, 0x7ff00000, v5, s64
	s_and_b32 s64, s65, s64
	v_cndmask_b32_e64 v2, 0, v4, s64
	v_cndmask_b32_e64 v3, 0, v5, s65
	buffer_store_dword v2, off, s[96:99], 0 offset:24 ; 4-byte Folded Spill
	buffer_store_dword v3, off, s[96:99], 0 offset:28 ; 4-byte Folded Spill
	v_add_f64 v[0:1], v[0:1], v[2:3]
	v_add_f64 v[2:3], v[75:76], -v[13:14]
	v_mul_f64 v[4:5], v[2:3], s[66:67]
	v_cmp_nlt_f64_e64 s64, 0x40900000, v[2:3]
	v_cmp_ngt_f64_e64 s65, 0xc090cc00, v[2:3]
	v_rndne_f64_e32 v[4:5], v[4:5]
	v_fma_f64 v[6:7], v[4:5], s[70:71], v[2:3]
	v_fma_f64 v[6:7], v[4:5], s[72:73], v[6:7]
	v_cvt_i32_f64_e32 v4, v[4:5]
	v_fma_f64 v[11:12], v[6:7], s[76:77], s[74:75]
	v_fma_f64 v[11:12], v[6:7], v[11:12], s[78:79]
	;; [unrolled: 1-line block ×9, first 2 shown]
	v_fma_f64 v[11:12], v[6:7], v[11:12], 1.0
	v_fma_f64 v[6:7], v[6:7], v[11:12], 1.0
	v_ldexp_f64 v[4:5], v[6:7], v4
	v_cndmask_b32_e64 v5, 0x7ff00000, v5, s64
	s_and_b32 s64, s65, s64
	v_cndmask_b32_e64 v2, 0, v4, s64
	v_cndmask_b32_e64 v3, 0, v5, s65
	buffer_store_dword v2, off, s[96:99], 0 offset:320 ; 4-byte Folded Spill
	buffer_store_dword v3, off, s[96:99], 0 offset:324 ; 4-byte Folded Spill
	v_add_f64 v[0:1], v[0:1], v[2:3]
	v_add_f64 v[2:3], v[19:20], -v[13:14]
	v_mov_b32_e32 v19, v63
	v_mov_b32_e32 v20, v64
	v_mul_f64 v[4:5], v[2:3], s[66:67]
	v_cmp_nlt_f64_e64 s64, 0x40900000, v[2:3]
	v_cmp_ngt_f64_e64 s65, 0xc090cc00, v[2:3]
	v_rndne_f64_e32 v[4:5], v[4:5]
	v_fma_f64 v[6:7], v[4:5], s[70:71], v[2:3]
	v_fma_f64 v[6:7], v[4:5], s[72:73], v[6:7]
	v_cvt_i32_f64_e32 v4, v[4:5]
	v_fma_f64 v[11:12], v[6:7], s[76:77], s[74:75]
	v_fma_f64 v[11:12], v[6:7], v[11:12], s[78:79]
	;; [unrolled: 1-line block ×9, first 2 shown]
	v_fma_f64 v[11:12], v[6:7], v[11:12], 1.0
	v_fma_f64 v[6:7], v[6:7], v[11:12], 1.0
	v_ldexp_f64 v[4:5], v[6:7], v4
	v_cndmask_b32_e64 v5, 0x7ff00000, v5, s64
	s_and_b32 s64, s65, s64
	v_cndmask_b32_e64 v2, 0, v4, s64
	v_cndmask_b32_e64 v3, 0, v5, s65
	buffer_store_dword v2, off, s[96:99], 0 offset:328 ; 4-byte Folded Spill
	buffer_store_dword v3, off, s[96:99], 0 offset:332 ; 4-byte Folded Spill
	v_add_f64 v[0:1], v[0:1], v[2:3]
	v_add_f64 v[2:3], v[23:24], -v[13:14]
	v_mul_f64 v[4:5], v[2:3], s[66:67]
	v_cmp_nlt_f64_e64 s64, 0x40900000, v[2:3]
	v_cmp_ngt_f64_e64 s65, 0xc090cc00, v[2:3]
	v_rndne_f64_e32 v[4:5], v[4:5]
	v_fma_f64 v[6:7], v[4:5], s[70:71], v[2:3]
	s_clause 0x1
	buffer_load_dword v2, off, s[96:99], 0
	buffer_load_dword v3, off, s[96:99], 0 offset:4
	v_fma_f64 v[6:7], v[4:5], s[72:73], v[6:7]
	v_cvt_i32_f64_e32 v4, v[4:5]
	v_fma_f64 v[11:12], v[6:7], s[76:77], s[74:75]
	v_fma_f64 v[11:12], v[6:7], v[11:12], s[78:79]
	;; [unrolled: 1-line block ×9, first 2 shown]
	v_fma_f64 v[11:12], v[6:7], v[11:12], 1.0
	v_fma_f64 v[6:7], v[6:7], v[11:12], 1.0
	v_ldexp_f64 v[4:5], v[6:7], v4
	v_cndmask_b32_e64 v5, 0x7ff00000, v5, s64
	s_and_b32 s64, s65, s64
	v_cndmask_b32_e64 v17, 0, v4, s64
	v_cndmask_b32_e64 v18, 0, v5, s65
	v_add_f64 v[0:1], v[0:1], v[17:18]
	s_waitcnt vmcnt(0)
	v_add_f64 v[2:3], v[2:3], -v[13:14]
	v_mul_f64 v[4:5], v[2:3], s[66:67]
	v_cmp_nlt_f64_e64 s64, 0x40900000, v[2:3]
	v_cmp_ngt_f64_e64 s65, 0xc090cc00, v[2:3]
	v_rndne_f64_e32 v[4:5], v[4:5]
	v_fma_f64 v[6:7], v[4:5], s[70:71], v[2:3]
	v_add_f64 v[2:3], v[21:22], -v[13:14]
	v_fma_f64 v[6:7], v[4:5], s[72:73], v[6:7]
	v_cvt_i32_f64_e32 v4, v[4:5]
	v_fma_f64 v[11:12], v[6:7], s[76:77], s[74:75]
	v_fma_f64 v[11:12], v[6:7], v[11:12], s[78:79]
	;; [unrolled: 1-line block ×9, first 2 shown]
	v_fma_f64 v[11:12], v[6:7], v[11:12], 1.0
	v_fma_f64 v[6:7], v[6:7], v[11:12], 1.0
	v_ldexp_f64 v[4:5], v[6:7], v4
	v_cndmask_b32_e64 v5, 0x7ff00000, v5, s64
	s_and_b32 s64, s65, s64
	v_cndmask_b32_e64 v15, 0, v4, s64
	v_cmp_nlt_f64_e64 s64, 0x40900000, v[2:3]
	v_cndmask_b32_e64 v16, 0, v5, s65
	v_mul_f64 v[4:5], v[2:3], s[66:67]
	v_cmp_ngt_f64_e64 s65, 0xc090cc00, v[2:3]
	v_add_f64 v[0:1], v[0:1], v[15:16]
	v_rndne_f64_e32 v[4:5], v[4:5]
	v_fma_f64 v[6:7], v[4:5], s[70:71], v[2:3]
	v_fma_f64 v[6:7], v[4:5], s[72:73], v[6:7]
	v_cvt_i32_f64_e32 v4, v[4:5]
	v_fma_f64 v[11:12], v[6:7], s[76:77], s[74:75]
	v_fma_f64 v[11:12], v[6:7], v[11:12], s[78:79]
	;; [unrolled: 1-line block ×9, first 2 shown]
	v_fma_f64 v[11:12], v[6:7], v[11:12], 1.0
	v_fma_f64 v[6:7], v[6:7], v[11:12], 1.0
	v_ldexp_f64 v[4:5], v[6:7], v4
	v_cndmask_b32_e64 v5, 0x7ff00000, v5, s64
	s_and_b32 s64, s65, s64
	v_cndmask_b32_e64 v2, 0, v4, s64
	v_cndmask_b32_e64 v3, 0, v5, s65
	buffer_store_dword v2, off, s[96:99], 0 ; 4-byte Folded Spill
	buffer_store_dword v3, off, s[96:99], 0 offset:4 ; 4-byte Folded Spill
	v_add_f64 v[0:1], v[0:1], v[2:3]
	s_clause 0x1
	buffer_load_dword v2, off, s[96:99], 0 offset:8
	buffer_load_dword v3, off, s[96:99], 0 offset:12
	s_waitcnt vmcnt(0)
	v_add_f64 v[2:3], v[2:3], -v[13:14]
	v_mul_f64 v[4:5], v[2:3], s[66:67]
	v_cmp_nlt_f64_e64 s64, 0x40900000, v[2:3]
	v_cmp_ngt_f64_e64 s65, 0xc090cc00, v[2:3]
	v_rndne_f64_e32 v[4:5], v[4:5]
	v_fma_f64 v[6:7], v[4:5], s[70:71], v[2:3]
	v_fma_f64 v[6:7], v[4:5], s[72:73], v[6:7]
	v_cvt_i32_f64_e32 v4, v[4:5]
	v_fma_f64 v[11:12], v[6:7], s[76:77], s[74:75]
	v_fma_f64 v[11:12], v[6:7], v[11:12], s[78:79]
	v_fma_f64 v[11:12], v[6:7], v[11:12], s[80:81]
	v_fma_f64 v[11:12], v[6:7], v[11:12], s[82:83]
	v_fma_f64 v[11:12], v[6:7], v[11:12], s[84:85]
	v_fma_f64 v[11:12], v[6:7], v[11:12], s[86:87]
	v_fma_f64 v[11:12], v[6:7], v[11:12], s[88:89]
	v_fma_f64 v[11:12], v[6:7], v[11:12], s[90:91]
	v_fma_f64 v[11:12], v[6:7], v[11:12], s[92:93]
	v_fma_f64 v[11:12], v[6:7], v[11:12], 1.0
	v_fma_f64 v[6:7], v[6:7], v[11:12], 1.0
	v_ldexp_f64 v[4:5], v[6:7], v4
	v_cndmask_b32_e64 v5, 0x7ff00000, v5, s64
	s_and_b32 s64, s65, s64
	v_cndmask_b32_e64 v2, 0, v4, s64
	v_cndmask_b32_e64 v3, 0, v5, s65
	buffer_store_dword v2, off, s[96:99], 0 offset:8 ; 4-byte Folded Spill
	buffer_store_dword v3, off, s[96:99], 0 offset:12 ; 4-byte Folded Spill
	v_add_f64 v[0:1], v[0:1], v[2:3]
	v_add_f64 v[2:3], v[25:26], -v[13:14]
	v_mul_f64 v[4:5], v[2:3], s[66:67]
	v_cmp_nlt_f64_e64 s64, 0x40900000, v[2:3]
	v_cmp_ngt_f64_e64 s65, 0xc090cc00, v[2:3]
	v_rndne_f64_e32 v[4:5], v[4:5]
	v_fma_f64 v[6:7], v[4:5], s[70:71], v[2:3]
	v_fma_f64 v[6:7], v[4:5], s[72:73], v[6:7]
	v_cvt_i32_f64_e32 v4, v[4:5]
	v_fma_f64 v[11:12], v[6:7], s[76:77], s[74:75]
	v_fma_f64 v[11:12], v[6:7], v[11:12], s[78:79]
	v_fma_f64 v[11:12], v[6:7], v[11:12], s[80:81]
	v_fma_f64 v[11:12], v[6:7], v[11:12], s[82:83]
	v_fma_f64 v[11:12], v[6:7], v[11:12], s[84:85]
	v_fma_f64 v[11:12], v[6:7], v[11:12], s[86:87]
	v_fma_f64 v[11:12], v[6:7], v[11:12], s[88:89]
	v_fma_f64 v[11:12], v[6:7], v[11:12], s[90:91]
	v_fma_f64 v[11:12], v[6:7], v[11:12], s[92:93]
	v_fma_f64 v[11:12], v[6:7], v[11:12], 1.0
	v_fma_f64 v[6:7], v[6:7], v[11:12], 1.0
	v_ldexp_f64 v[4:5], v[6:7], v4
	v_cndmask_b32_e64 v5, 0x7ff00000, v5, s64
	s_and_b32 s64, s65, s64
	v_cndmask_b32_e64 v2, 0, v4, s64
	v_cndmask_b32_e64 v3, 0, v5, s65
	buffer_store_dword v2, off, s[96:99], 0 offset:336 ; 4-byte Folded Spill
	buffer_store_dword v3, off, s[96:99], 0 offset:340 ; 4-byte Folded Spill
	v_add_f64 v[0:1], v[0:1], v[2:3]
	;; [unrolled: 27-line block ×7, first 2 shown]
	s_clause 0x1
	buffer_load_dword v2, off, s[96:99], 0 offset:264
	buffer_load_dword v3, off, s[96:99], 0 offset:268
	s_waitcnt vmcnt(0)
	v_add_f64 v[2:3], v[2:3], -v[13:14]
	v_mul_f64 v[4:5], v[2:3], s[66:67]
	v_cmp_nlt_f64_e64 s64, 0x40900000, v[2:3]
	v_cmp_ngt_f64_e64 s65, 0xc090cc00, v[2:3]
	v_rndne_f64_e32 v[4:5], v[4:5]
	v_fma_f64 v[6:7], v[4:5], s[70:71], v[2:3]
	v_fma_f64 v[6:7], v[4:5], s[72:73], v[6:7]
	v_cvt_i32_f64_e32 v4, v[4:5]
	v_fma_f64 v[11:12], v[6:7], s[76:77], s[74:75]
	v_fma_f64 v[11:12], v[6:7], v[11:12], s[78:79]
	v_fma_f64 v[11:12], v[6:7], v[11:12], s[80:81]
	v_fma_f64 v[11:12], v[6:7], v[11:12], s[82:83]
	v_fma_f64 v[11:12], v[6:7], v[11:12], s[84:85]
	v_fma_f64 v[11:12], v[6:7], v[11:12], s[86:87]
	v_fma_f64 v[11:12], v[6:7], v[11:12], s[88:89]
	v_fma_f64 v[11:12], v[6:7], v[11:12], s[90:91]
	v_fma_f64 v[11:12], v[6:7], v[11:12], s[92:93]
	v_fma_f64 v[11:12], v[6:7], v[11:12], 1.0
	v_fma_f64 v[6:7], v[6:7], v[11:12], 1.0
	v_ldexp_f64 v[4:5], v[6:7], v4
	v_cndmask_b32_e64 v5, 0x7ff00000, v5, s64
	s_and_b32 s64, s65, s64
	v_cndmask_b32_e64 v2, 0, v4, s64
	v_cndmask_b32_e64 v3, 0, v5, s65
	buffer_store_dword v2, off, s[96:99], 0 offset:264 ; 4-byte Folded Spill
	buffer_store_dword v3, off, s[96:99], 0 offset:268 ; 4-byte Folded Spill
	v_add_f64 v[0:1], v[0:1], v[2:3]
	v_add_f64 v[2:3], v[39:40], -v[13:14]
	v_mul_f64 v[4:5], v[2:3], s[66:67]
	v_cmp_nlt_f64_e64 s64, 0x40900000, v[2:3]
	v_cmp_ngt_f64_e64 s65, 0xc090cc00, v[2:3]
	v_rndne_f64_e32 v[4:5], v[4:5]
	v_fma_f64 v[6:7], v[4:5], s[70:71], v[2:3]
	v_fma_f64 v[6:7], v[4:5], s[72:73], v[6:7]
	v_cvt_i32_f64_e32 v4, v[4:5]
	v_fma_f64 v[11:12], v[6:7], s[76:77], s[74:75]
	v_fma_f64 v[11:12], v[6:7], v[11:12], s[78:79]
	;; [unrolled: 1-line block ×9, first 2 shown]
	v_fma_f64 v[11:12], v[6:7], v[11:12], 1.0
	v_fma_f64 v[6:7], v[6:7], v[11:12], 1.0
	v_ldexp_f64 v[4:5], v[6:7], v4
	v_cndmask_b32_e64 v5, 0x7ff00000, v5, s64
	s_and_b32 s64, s65, s64
	v_cndmask_b32_e64 v2, 0, v4, s64
	v_cndmask_b32_e64 v3, 0, v5, s65
	buffer_store_dword v2, off, s[96:99], 0 offset:32 ; 4-byte Folded Spill
	buffer_store_dword v3, off, s[96:99], 0 offset:36 ; 4-byte Folded Spill
	v_add_f64 v[0:1], v[0:1], v[2:3]
	s_clause 0x1
	buffer_load_dword v2, off, s[96:99], 0 offset:256
	buffer_load_dword v3, off, s[96:99], 0 offset:260
	s_waitcnt vmcnt(0)
	v_add_f64 v[2:3], v[2:3], -v[13:14]
	v_mul_f64 v[4:5], v[2:3], s[66:67]
	v_cmp_nlt_f64_e64 s64, 0x40900000, v[2:3]
	v_cmp_ngt_f64_e64 s65, 0xc090cc00, v[2:3]
	v_rndne_f64_e32 v[4:5], v[4:5]
	v_fma_f64 v[6:7], v[4:5], s[70:71], v[2:3]
	v_add_f64 v[2:3], v[43:44], -v[13:14]
	v_fma_f64 v[6:7], v[4:5], s[72:73], v[6:7]
	v_cvt_i32_f64_e32 v4, v[4:5]
	v_fma_f64 v[11:12], v[6:7], s[76:77], s[74:75]
	v_fma_f64 v[11:12], v[6:7], v[11:12], s[78:79]
	v_fma_f64 v[11:12], v[6:7], v[11:12], s[80:81]
	v_fma_f64 v[11:12], v[6:7], v[11:12], s[82:83]
	v_fma_f64 v[11:12], v[6:7], v[11:12], s[84:85]
	v_fma_f64 v[11:12], v[6:7], v[11:12], s[86:87]
	v_fma_f64 v[11:12], v[6:7], v[11:12], s[88:89]
	v_fma_f64 v[11:12], v[6:7], v[11:12], s[90:91]
	v_fma_f64 v[11:12], v[6:7], v[11:12], s[92:93]
	v_fma_f64 v[11:12], v[6:7], v[11:12], 1.0
	v_fma_f64 v[6:7], v[6:7], v[11:12], 1.0
	v_ldexp_f64 v[4:5], v[6:7], v4
	v_cndmask_b32_e64 v5, 0x7ff00000, v5, s64
	s_and_b32 s64, s65, s64
	v_cndmask_b32_e64 v25, 0, v4, s64
	v_cmp_nlt_f64_e64 s64, 0x40900000, v[2:3]
	v_cndmask_b32_e64 v26, 0, v5, s65
	v_mul_f64 v[4:5], v[2:3], s[66:67]
	v_cmp_ngt_f64_e64 s65, 0xc090cc00, v[2:3]
	v_add_f64 v[0:1], v[0:1], v[25:26]
	v_rndne_f64_e32 v[4:5], v[4:5]
	v_fma_f64 v[6:7], v[4:5], s[70:71], v[2:3]
	v_add_f64 v[2:3], v[45:46], -v[13:14]
	v_fma_f64 v[6:7], v[4:5], s[72:73], v[6:7]
	v_cvt_i32_f64_e32 v4, v[4:5]
	v_fma_f64 v[11:12], v[6:7], s[76:77], s[74:75]
	v_fma_f64 v[11:12], v[6:7], v[11:12], s[78:79]
	v_fma_f64 v[11:12], v[6:7], v[11:12], s[80:81]
	v_fma_f64 v[11:12], v[6:7], v[11:12], s[82:83]
	v_fma_f64 v[11:12], v[6:7], v[11:12], s[84:85]
	v_fma_f64 v[11:12], v[6:7], v[11:12], s[86:87]
	v_fma_f64 v[11:12], v[6:7], v[11:12], s[88:89]
	v_fma_f64 v[11:12], v[6:7], v[11:12], s[90:91]
	v_fma_f64 v[11:12], v[6:7], v[11:12], s[92:93]
	v_fma_f64 v[11:12], v[6:7], v[11:12], 1.0
	v_fma_f64 v[6:7], v[6:7], v[11:12], 1.0
	v_ldexp_f64 v[4:5], v[6:7], v4
	v_cndmask_b32_e64 v5, 0x7ff00000, v5, s64
	s_and_b32 s64, s65, s64
	v_cndmask_b32_e64 v27, 0, v4, s64
	v_cmp_nlt_f64_e64 s64, 0x40900000, v[2:3]
	v_cndmask_b32_e64 v28, 0, v5, s65
	v_mul_f64 v[4:5], v[2:3], s[66:67]
	v_cmp_ngt_f64_e64 s65, 0xc090cc00, v[2:3]
	v_add_f64 v[0:1], v[0:1], v[27:28]
	;; [unrolled: 25-line block ×16, first 2 shown]
	v_rndne_f64_e32 v[4:5], v[4:5]
	v_fma_f64 v[6:7], v[4:5], s[70:71], v[2:3]
	s_clause 0x1
	buffer_load_dword v2, off, s[96:99], 0 offset:248
	buffer_load_dword v3, off, s[96:99], 0 offset:252
	v_fma_f64 v[6:7], v[4:5], s[72:73], v[6:7]
	v_cvt_i32_f64_e32 v4, v[4:5]
	v_fma_f64 v[8:9], v[6:7], s[76:77], s[74:75]
	v_fma_f64 v[8:9], v[6:7], v[8:9], s[78:79]
	;; [unrolled: 1-line block ×9, first 2 shown]
	v_fma_f64 v[8:9], v[6:7], v[8:9], 1.0
	v_fma_f64 v[6:7], v[6:7], v[8:9], 1.0
	v_ldexp_f64 v[4:5], v[6:7], v4
	v_cndmask_b32_e64 v5, 0x7ff00000, v5, s64
	s_and_b32 s64, s65, s64
	v_cndmask_b32_e64 v79, 0, v4, s64
	v_cndmask_b32_e64 v80, 0, v5, s65
	v_add_f64 v[0:1], v[0:1], v[79:80]
	s_waitcnt vmcnt(0)
	v_add_f64 v[2:3], v[2:3], -v[13:14]
	v_mul_f64 v[4:5], v[2:3], s[66:67]
	v_cmp_nlt_f64_e64 s64, 0x40900000, v[2:3]
	v_cmp_ngt_f64_e64 s65, 0xc090cc00, v[2:3]
	v_rndne_f64_e32 v[4:5], v[4:5]
	v_fma_f64 v[6:7], v[4:5], s[70:71], v[2:3]
	v_add_f64 v[2:3], v[77:78], -v[13:14]
	v_fma_f64 v[6:7], v[4:5], s[72:73], v[6:7]
	v_cvt_i32_f64_e32 v4, v[4:5]
	v_fma_f64 v[8:9], v[6:7], s[76:77], s[74:75]
	v_fma_f64 v[8:9], v[6:7], v[8:9], s[78:79]
	;; [unrolled: 1-line block ×9, first 2 shown]
	v_fma_f64 v[8:9], v[6:7], v[8:9], 1.0
	v_fma_f64 v[6:7], v[6:7], v[8:9], 1.0
	v_ldexp_f64 v[4:5], v[6:7], v4
	v_cndmask_b32_e64 v5, 0x7ff00000, v5, s64
	s_and_b32 s64, s65, s64
	v_cndmask_b32_e64 v81, 0, v4, s64
	v_cmp_nlt_f64_e64 s64, 0x40900000, v[2:3]
	v_cndmask_b32_e64 v82, 0, v5, s65
	v_mul_f64 v[4:5], v[2:3], s[66:67]
	v_cmp_ngt_f64_e64 s65, 0xc090cc00, v[2:3]
	v_add_f64 v[0:1], v[0:1], v[81:82]
	v_rndne_f64_e32 v[4:5], v[4:5]
	v_fma_f64 v[6:7], v[4:5], s[70:71], v[2:3]
	s_clause 0x1
	buffer_load_dword v2, off, s[96:99], 0 offset:240
	buffer_load_dword v3, off, s[96:99], 0 offset:244
	v_fma_f64 v[6:7], v[4:5], s[72:73], v[6:7]
	v_cvt_i32_f64_e32 v4, v[4:5]
	v_fma_f64 v[8:9], v[6:7], s[76:77], s[74:75]
	v_fma_f64 v[8:9], v[6:7], v[8:9], s[78:79]
	v_fma_f64 v[8:9], v[6:7], v[8:9], s[80:81]
	v_fma_f64 v[8:9], v[6:7], v[8:9], s[82:83]
	v_fma_f64 v[8:9], v[6:7], v[8:9], s[84:85]
	v_fma_f64 v[8:9], v[6:7], v[8:9], s[86:87]
	v_fma_f64 v[8:9], v[6:7], v[8:9], s[88:89]
	v_fma_f64 v[8:9], v[6:7], v[8:9], s[90:91]
	v_fma_f64 v[8:9], v[6:7], v[8:9], s[92:93]
	v_fma_f64 v[8:9], v[6:7], v[8:9], 1.0
	v_fma_f64 v[6:7], v[6:7], v[8:9], 1.0
	v_ldexp_f64 v[4:5], v[6:7], v4
	v_cndmask_b32_e64 v5, 0x7ff00000, v5, s64
	s_and_b32 s64, s65, s64
	v_cndmask_b32_e64 v83, 0, v4, s64
	v_cndmask_b32_e64 v84, 0, v5, s65
	v_add_f64 v[0:1], v[0:1], v[83:84]
	s_waitcnt vmcnt(0)
	v_add_f64 v[2:3], v[2:3], -v[13:14]
	v_mul_f64 v[4:5], v[2:3], s[66:67]
	v_cmp_nlt_f64_e64 s64, 0x40900000, v[2:3]
	v_cmp_ngt_f64_e64 s65, 0xc090cc00, v[2:3]
	v_rndne_f64_e32 v[4:5], v[4:5]
	v_fma_f64 v[6:7], v[4:5], s[70:71], v[2:3]
	s_clause 0x1
	buffer_load_dword v2, off, s[96:99], 0 offset:232
	buffer_load_dword v3, off, s[96:99], 0 offset:236
	v_fma_f64 v[6:7], v[4:5], s[72:73], v[6:7]
	v_cvt_i32_f64_e32 v4, v[4:5]
	v_fma_f64 v[8:9], v[6:7], s[76:77], s[74:75]
	v_fma_f64 v[8:9], v[6:7], v[8:9], s[78:79]
	v_fma_f64 v[8:9], v[6:7], v[8:9], s[80:81]
	v_fma_f64 v[8:9], v[6:7], v[8:9], s[82:83]
	v_fma_f64 v[8:9], v[6:7], v[8:9], s[84:85]
	v_fma_f64 v[8:9], v[6:7], v[8:9], s[86:87]
	v_fma_f64 v[8:9], v[6:7], v[8:9], s[88:89]
	v_fma_f64 v[8:9], v[6:7], v[8:9], s[90:91]
	v_fma_f64 v[8:9], v[6:7], v[8:9], s[92:93]
	v_fma_f64 v[8:9], v[6:7], v[8:9], 1.0
	v_fma_f64 v[6:7], v[6:7], v[8:9], 1.0
	v_ldexp_f64 v[4:5], v[6:7], v4
	v_cndmask_b32_e64 v5, 0x7ff00000, v5, s64
	s_and_b32 s64, s65, s64
	v_cndmask_b32_e64 v85, 0, v4, s64
	v_cndmask_b32_e64 v86, 0, v5, s65
	v_add_f64 v[0:1], v[0:1], v[85:86]
	s_waitcnt vmcnt(0)
	v_add_f64 v[2:3], v[2:3], -v[13:14]
	v_mul_f64 v[4:5], v[2:3], s[66:67]
	v_cmp_nlt_f64_e64 s64, 0x40900000, v[2:3]
	v_cmp_ngt_f64_e64 s65, 0xc090cc00, v[2:3]
	;; [unrolled: 29-line block ×18, first 2 shown]
	v_rndne_f64_e32 v[4:5], v[4:5]
	v_fma_f64 v[6:7], v[4:5], s[70:71], v[2:3]
	v_fma_f64 v[6:7], v[4:5], s[72:73], v[6:7]
	v_cvt_i32_f64_e32 v4, v[4:5]
	v_fma_f64 v[8:9], v[6:7], s[76:77], s[74:75]
	v_fma_f64 v[8:9], v[6:7], v[8:9], s[78:79]
	;; [unrolled: 1-line block ×9, first 2 shown]
	v_fma_f64 v[8:9], v[6:7], v[8:9], 1.0
	v_fma_f64 v[6:7], v[6:7], v[8:9], 1.0
	v_ldexp_f64 v[4:5], v[6:7], v4
	v_cndmask_b32_e64 v5, 0x7ff00000, v5, s64
	s_and_b32 s64, s65, s64
	v_cndmask_b32_e64 v123, 0, v4, s64
	v_cndmask_b32_e64 v124, 0, v5, s65
	v_add_f64 v[2:3], v[0:1], v[123:124]
	s_clause 0x1
	buffer_load_dword v0, off, s[96:99], 0 offset:96
	buffer_load_dword v1, off, s[96:99], 0 offset:100
	s_waitcnt vmcnt(0)
	v_add_f64 v[0:1], v[0:1], -v[13:14]
	v_mul_f64 v[4:5], v[0:1], s[66:67]
	v_cmp_nlt_f64_e64 s64, 0x40900000, v[0:1]
	v_cmp_ngt_f64_e64 s65, 0xc090cc00, v[0:1]
	v_rndne_f64_e32 v[4:5], v[4:5]
	v_fma_f64 v[6:7], v[4:5], s[70:71], v[0:1]
	v_fma_f64 v[6:7], v[4:5], s[72:73], v[6:7]
	v_cvt_i32_f64_e32 v4, v[4:5]
	v_fma_f64 v[8:9], v[6:7], s[76:77], s[74:75]
	v_fma_f64 v[8:9], v[6:7], v[8:9], s[78:79]
	;; [unrolled: 1-line block ×9, first 2 shown]
	v_fma_f64 v[8:9], v[6:7], v[8:9], 1.0
	v_fma_f64 v[6:7], v[6:7], v[8:9], 1.0
	v_ldexp_f64 v[4:5], v[6:7], v4
	v_cndmask_b32_e64 v5, 0x7ff00000, v5, s64
	s_and_b32 s64, s65, s64
	v_cndmask_b32_e64 v0, 0, v4, s64
	v_cndmask_b32_e64 v1, 0, v5, s65
	s_clause 0x1
	buffer_load_dword v4, off, s[96:99], 0 offset:88
	buffer_load_dword v5, off, s[96:99], 0 offset:92
	v_add_f64 v[2:3], v[2:3], v[0:1]
	s_waitcnt vmcnt(0)
	v_add_f64 v[4:5], v[4:5], -v[13:14]
	v_mul_f64 v[6:7], v[4:5], s[66:67]
	v_cmp_nlt_f64_e64 s64, 0x40900000, v[4:5]
	v_cmp_ngt_f64_e64 s65, 0xc090cc00, v[4:5]
	v_rndne_f64_e32 v[6:7], v[6:7]
	v_fma_f64 v[8:9], v[6:7], s[70:71], v[4:5]
	s_clause 0x1
	buffer_load_dword v4, off, s[96:99], 0 offset:80
	buffer_load_dword v5, off, s[96:99], 0 offset:84
	v_fma_f64 v[8:9], v[6:7], s[72:73], v[8:9]
	v_cvt_i32_f64_e32 v6, v[6:7]
	v_fma_f64 v[10:11], v[8:9], s[76:77], s[74:75]
	v_fma_f64 v[10:11], v[8:9], v[10:11], s[78:79]
	;; [unrolled: 1-line block ×9, first 2 shown]
	v_fma_f64 v[10:11], v[8:9], v[10:11], 1.0
	v_fma_f64 v[8:9], v[8:9], v[10:11], 1.0
	v_ldexp_f64 v[6:7], v[8:9], v6
	v_cndmask_b32_e64 v7, 0x7ff00000, v7, s64
	s_and_b32 s64, s65, s64
	v_cndmask_b32_e64 v11, 0, v6, s64
	v_cndmask_b32_e64 v12, 0, v7, s65
	v_add_f64 v[2:3], v[2:3], v[11:12]
	s_waitcnt vmcnt(0)
	v_add_f64 v[4:5], v[4:5], -v[13:14]
	v_mul_f64 v[6:7], v[4:5], s[66:67]
	v_cmp_nlt_f64_e64 s64, 0x40900000, v[4:5]
	v_cmp_ngt_f64_e64 s65, 0xc090cc00, v[4:5]
	v_rndne_f64_e32 v[6:7], v[6:7]
	v_fma_f64 v[8:9], v[6:7], s[70:71], v[4:5]
	s_clause 0x1
	buffer_load_dword v4, off, s[96:99], 0 offset:72
	buffer_load_dword v5, off, s[96:99], 0 offset:76
	v_fma_f64 v[8:9], v[6:7], s[72:73], v[8:9]
	v_cvt_i32_f64_e32 v6, v[6:7]
	v_fma_f64 v[117:118], v[8:9], s[76:77], s[74:75]
	v_fma_f64 v[117:118], v[8:9], v[117:118], s[78:79]
	;; [unrolled: 1-line block ×9, first 2 shown]
	v_fma_f64 v[117:118], v[8:9], v[117:118], 1.0
	v_fma_f64 v[8:9], v[8:9], v[117:118], 1.0
	v_ldexp_f64 v[6:7], v[8:9], v6
	v_cndmask_b32_e64 v7, 0x7ff00000, v7, s64
	s_and_b32 s64, s65, s64
	v_cndmask_b32_e64 v125, 0, v6, s64
	v_cndmask_b32_e64 v126, 0, v7, s65
	v_add_f64 v[2:3], v[2:3], v[125:126]
	s_waitcnt vmcnt(0)
	v_add_f64 v[4:5], v[4:5], -v[13:14]
	v_mul_f64 v[6:7], v[4:5], s[66:67]
	v_cmp_nlt_f64_e64 s64, 0x40900000, v[4:5]
	v_cmp_ngt_f64_e64 s65, 0xc090cc00, v[4:5]
	v_rndne_f64_e32 v[6:7], v[6:7]
	v_fma_f64 v[8:9], v[6:7], s[70:71], v[4:5]
	v_fma_f64 v[8:9], v[6:7], s[72:73], v[8:9]
	v_cvt_i32_f64_e32 v6, v[6:7]
	v_fma_f64 v[117:118], v[8:9], s[76:77], s[74:75]
	v_fma_f64 v[117:118], v[8:9], v[117:118], s[78:79]
	;; [unrolled: 1-line block ×9, first 2 shown]
	v_fma_f64 v[117:118], v[8:9], v[117:118], 1.0
	v_fma_f64 v[8:9], v[8:9], v[117:118], 1.0
	v_ldexp_f64 v[6:7], v[8:9], v6
	v_cndmask_b32_e64 v7, 0x7ff00000, v7, s64
	s_and_b32 s64, s65, s64
	v_cndmask_b32_e64 v121, 0, v6, s64
	v_cndmask_b32_e64 v122, 0, v7, s65
	v_add_f64 v[9:10], v[2:3], v[121:122]
	s_clause 0x1
	buffer_load_dword v2, off, s[96:99], 0 offset:64
	buffer_load_dword v3, off, s[96:99], 0 offset:68
	s_waitcnt vmcnt(0)
	v_add_f64 v[13:14], v[2:3], -v[13:14]
	v_mul_f64 v[2:3], v[13:14], s[66:67]
	v_cmp_nlt_f64_e64 s65, 0x40900000, v[13:14]
	v_cmp_ngt_f64_e64 s64, 0xc090cc00, v[13:14]
	v_rndne_f64_e32 v[2:3], v[2:3]
	v_fma_f64 v[4:5], v[2:3], s[70:71], v[13:14]
	v_fma_f64 v[4:5], v[2:3], s[72:73], v[4:5]
	v_cvt_i32_f64_e32 v2, v[2:3]
	v_fma_f64 v[6:7], v[4:5], s[76:77], s[74:75]
	v_fma_f64 v[6:7], v[4:5], v[6:7], s[78:79]
	;; [unrolled: 1-line block ×9, first 2 shown]
	v_fma_f64 v[6:7], v[4:5], v[6:7], 1.0
	v_fma_f64 v[4:5], v[4:5], v[6:7], 1.0
	buffer_load_dword v6, off, s[96:99], 0 offset:40 ; 4-byte Folded Reload
	v_ldexp_f64 v[2:3], v[4:5], v2
	buffer_load_dword v5, off, s[96:99], 0 offset:44 ; 4-byte Folded Reload
	v_cndmask_b32_e64 v3, 0x7ff00000, v3, s65
	s_and_b32 s65, s64, s65
	v_cndmask_b32_e64 v13, 0, v2, s65
	s_mov_b32 s65, exec_lo
	v_cndmask_b32_e64 v14, 0, v3, s64
	v_add_f64 v[2:3], v[9:10], v[13:14]
	s_waitcnt vmcnt(0)
	ds_bpermute_b32 v4, v5, v2
	ds_bpermute_b32 v5, v5, v3
	s_waitcnt lgkmcnt(0)
	v_add_f64 v[2:3], v[2:3], v[4:5]
	buffer_load_dword v5, off, s[96:99], 0 offset:52 ; 4-byte Folded Reload
	s_waitcnt vmcnt(0)
	ds_bpermute_b32 v4, v5, v2
	ds_bpermute_b32 v5, v5, v3
	s_waitcnt lgkmcnt(0)
	v_add_f64 v[2:3], v[2:3], v[4:5]
	buffer_load_dword v5, off, s[96:99], 0 offset:56 ; 4-byte Folded Reload
	;; [unrolled: 6-line block ×3, first 2 shown]
	s_waitcnt vmcnt(0)
	ds_bpermute_b32 v4, v5, v2
	ds_bpermute_b32 v5, v5, v3
	s_waitcnt lgkmcnt(0)
	v_add_f64 v[2:3], v[2:3], v[4:5]
	ds_bpermute_b32 v4, v127, v2
	ds_bpermute_b32 v5, v127, v3
	v_cmpx_lt_i32_e32 0, v6
	s_cbranch_execz .LBB377_194
; %bb.129:
	s_and_b32 exec_lo, exec_lo, vcc_lo
	s_cbranch_execz .LBB377_194
; %bb.130:
	v_mov_b32_e32 v46, v16
	v_mov_b32_e32 v45, v15
	s_clause 0x1
	buffer_load_dword v15, off, s[96:99], 0 offset:280
	buffer_load_dword v16, off, s[96:99], 0 offset:284
	s_waitcnt lgkmcnt(0)
	v_add_f64 v[2:3], v[2:3], v[4:5]
	v_mov_b32_e32 v19, v37
	v_mov_b32_e32 v20, v38
	v_cmp_eq_f64_e64 s64, 0, v[2:3]
	s_waitcnt vmcnt(0)
	v_div_scale_f64 v[4:5], null, v[2:3], v[2:3], v[15:16]
	v_div_scale_f64 v[117:118], vcc_lo, v[15:16], v[2:3], v[15:16]
	v_rcp_f64_e32 v[6:7], v[4:5]
	v_fma_f64 v[8:9], -v[4:5], v[6:7], 1.0
	v_fma_f64 v[6:7], v[6:7], v[8:9], v[6:7]
	v_fma_f64 v[8:9], -v[4:5], v[6:7], 1.0
	v_fma_f64 v[6:7], v[6:7], v[8:9], v[6:7]
	v_mul_f64 v[8:9], v[117:118], v[6:7]
	v_fma_f64 v[4:5], -v[4:5], v[8:9], v[117:118]
	v_div_fmas_f64 v[4:5], v[4:5], v[6:7], v[8:9]
	v_div_fixup_f64 v[6:7], v[4:5], v[2:3], v[15:16]
	s_clause 0x1
	buffer_load_dword v4, off, s[96:99], 0 offset:272
	buffer_load_dword v5, off, s[96:99], 0 offset:276
	v_cndmask_b32_e64 v7, v7, 0x7ff80000, s64
	v_cndmask_b32_e64 v6, v6, 0, s64
	s_waitcnt vmcnt(1)
	v_add_co_u32 v4, vcc_lo, s68, v4
	s_waitcnt vmcnt(0)
	v_add_co_ci_u32_e64 v5, null, s69, v5, vcc_lo
	global_store_dwordx2 v[4:5], v[6:7], off
	s_and_b32 exec_lo, exec_lo, s63
	s_cbranch_execz .LBB377_194
; %bb.131:
	v_mov_b32_e32 v38, v18
	s_clause 0x1
	buffer_load_dword v21, off, s[96:99], 0 offset:24
	buffer_load_dword v22, off, s[96:99], 0 offset:28
	v_mov_b32_e32 v37, v17
	s_clause 0x1
	buffer_load_dword v17, off, s[96:99], 0 offset:16
	buffer_load_dword v18, off, s[96:99], 0 offset:20
	s_waitcnt vmcnt(0)
	v_div_scale_f64 v[6:7], null, v[2:3], v[2:3], v[17:18]
	v_div_scale_f64 v[15:16], vcc_lo, v[17:18], v[2:3], v[17:18]
	v_rcp_f64_e32 v[8:9], v[6:7]
	v_fma_f64 v[117:118], -v[6:7], v[8:9], 1.0
	v_fma_f64 v[8:9], v[8:9], v[117:118], v[8:9]
	v_fma_f64 v[117:118], -v[6:7], v[8:9], 1.0
	v_fma_f64 v[8:9], v[8:9], v[117:118], v[8:9]
	v_mul_f64 v[117:118], v[15:16], v[8:9]
	v_fma_f64 v[6:7], -v[6:7], v[117:118], v[15:16]
	v_div_fmas_f64 v[6:7], v[6:7], v[8:9], v[117:118]
	v_div_fixup_f64 v[6:7], v[6:7], v[2:3], v[17:18]
	v_cndmask_b32_e64 v7, v7, 0x7ff80000, s64
	v_cndmask_b32_e64 v6, v6, 0, s64
	global_store_dwordx2 v[4:5], v[6:7], off offset:256
	s_and_b32 exec_lo, exec_lo, s62
	s_cbranch_execz .LBB377_194
; %bb.132:
	s_clause 0x1
	buffer_load_dword v17, off, s[96:99], 0 offset:288
	buffer_load_dword v18, off, s[96:99], 0 offset:292
	s_waitcnt vmcnt(0)
	v_div_scale_f64 v[6:7], null, v[2:3], v[2:3], v[17:18]
	v_div_scale_f64 v[117:118], vcc_lo, v[17:18], v[2:3], v[17:18]
	v_rcp_f64_e32 v[8:9], v[6:7]
	v_fma_f64 v[15:16], -v[6:7], v[8:9], 1.0
	v_fma_f64 v[8:9], v[8:9], v[15:16], v[8:9]
	v_fma_f64 v[15:16], -v[6:7], v[8:9], 1.0
	v_fma_f64 v[8:9], v[8:9], v[15:16], v[8:9]
	v_mul_f64 v[15:16], v[117:118], v[8:9]
	v_fma_f64 v[6:7], -v[6:7], v[15:16], v[117:118]
	v_div_fmas_f64 v[6:7], v[6:7], v[8:9], v[15:16]
	v_div_fixup_f64 v[6:7], v[6:7], v[2:3], v[17:18]
	v_cndmask_b32_e64 v7, v7, 0x7ff80000, s64
	v_cndmask_b32_e64 v6, v6, 0, s64
	global_store_dwordx2 v[4:5], v[6:7], off offset:512
	s_and_b32 exec_lo, exec_lo, s61
	s_cbranch_execz .LBB377_194
; %bb.133:
	;; [unrolled: 21-line block ×5, first 2 shown]
	v_div_scale_f64 v[6:7], null, v[2:3], v[2:3], v[19:20]
	v_div_scale_f64 v[117:118], vcc_lo, v[19:20], v[2:3], v[19:20]
	v_rcp_f64_e32 v[8:9], v[6:7]
	v_fma_f64 v[15:16], -v[6:7], v[8:9], 1.0
	v_fma_f64 v[8:9], v[8:9], v[15:16], v[8:9]
	v_fma_f64 v[15:16], -v[6:7], v[8:9], 1.0
	v_fma_f64 v[8:9], v[8:9], v[15:16], v[8:9]
	v_mul_f64 v[15:16], v[117:118], v[8:9]
	v_fma_f64 v[6:7], -v[6:7], v[15:16], v[117:118]
	v_div_fmas_f64 v[6:7], v[6:7], v[8:9], v[15:16]
	v_div_fixup_f64 v[6:7], v[6:7], v[2:3], v[19:20]
	v_cndmask_b32_e64 v7, v7, 0x7ff80000, s64
	v_cndmask_b32_e64 v6, v6, 0, s64
	global_store_dwordx2 v[4:5], v[6:7], off offset:1536
	s_and_b32 exec_lo, exec_lo, s57
	s_cbranch_execz .LBB377_194
; %bb.137:
	v_div_scale_f64 v[6:7], null, v[2:3], v[2:3], v[21:22]
	v_div_scale_f64 v[117:118], vcc_lo, v[21:22], v[2:3], v[21:22]
	v_rcp_f64_e32 v[8:9], v[6:7]
	v_fma_f64 v[15:16], -v[6:7], v[8:9], 1.0
	v_fma_f64 v[8:9], v[8:9], v[15:16], v[8:9]
	v_fma_f64 v[15:16], -v[6:7], v[8:9], 1.0
	v_fma_f64 v[8:9], v[8:9], v[15:16], v[8:9]
	v_mul_f64 v[15:16], v[117:118], v[8:9]
	v_fma_f64 v[6:7], -v[6:7], v[15:16], v[117:118]
	v_div_fmas_f64 v[6:7], v[6:7], v[8:9], v[15:16]
	v_div_fixup_f64 v[6:7], v[6:7], v[2:3], v[21:22]
	v_cndmask_b32_e64 v7, v7, 0x7ff80000, s64
	v_cndmask_b32_e64 v6, v6, 0, s64
	global_store_dwordx2 v[4:5], v[6:7], off offset:1792
	s_and_b32 exec_lo, exec_lo, s56
	s_cbranch_execz .LBB377_194
; %bb.138:
	s_clause 0x1
	buffer_load_dword v19, off, s[96:99], 0 offset:320
	buffer_load_dword v20, off, s[96:99], 0 offset:324
	s_waitcnt vmcnt(0)
	v_div_scale_f64 v[6:7], null, v[2:3], v[2:3], v[19:20]
	v_div_scale_f64 v[17:18], vcc_lo, v[19:20], v[2:3], v[19:20]
	v_rcp_f64_e32 v[8:9], v[6:7]
	v_fma_f64 v[15:16], -v[6:7], v[8:9], 1.0
	v_fma_f64 v[8:9], v[8:9], v[15:16], v[8:9]
	v_fma_f64 v[15:16], -v[6:7], v[8:9], 1.0
	v_fma_f64 v[8:9], v[8:9], v[15:16], v[8:9]
	v_mul_f64 v[15:16], v[17:18], v[8:9]
	v_fma_f64 v[6:7], -v[6:7], v[15:16], v[17:18]
	v_div_fmas_f64 v[6:7], v[6:7], v[8:9], v[15:16]
	v_div_fixup_f64 v[6:7], v[6:7], v[2:3], v[19:20]
	v_cndmask_b32_e64 v8, v6, 0, s64
	v_add_co_u32 v6, vcc_lo, 0x800, v4
	v_cndmask_b32_e64 v9, v7, 0x7ff80000, s64
	v_add_co_ci_u32_e64 v7, null, 0, v5, vcc_lo
	global_store_dwordx2 v[6:7], v[8:9], off
	s_and_b32 exec_lo, exec_lo, s55
	s_cbranch_execz .LBB377_194
; %bb.139:
	s_clause 0x1
	buffer_load_dword v21, off, s[96:99], 0 offset:328
	buffer_load_dword v22, off, s[96:99], 0 offset:332
	s_waitcnt vmcnt(0)
	v_div_scale_f64 v[8:9], null, v[2:3], v[2:3], v[21:22]
	v_div_scale_f64 v[19:20], vcc_lo, v[21:22], v[2:3], v[21:22]
	v_rcp_f64_e32 v[15:16], v[8:9]
	v_fma_f64 v[17:18], -v[8:9], v[15:16], 1.0
	v_fma_f64 v[15:16], v[15:16], v[17:18], v[15:16]
	v_fma_f64 v[17:18], -v[8:9], v[15:16], 1.0
	v_fma_f64 v[15:16], v[15:16], v[17:18], v[15:16]
	v_mul_f64 v[17:18], v[19:20], v[15:16]
	v_fma_f64 v[8:9], -v[8:9], v[17:18], v[19:20]
	v_div_fmas_f64 v[8:9], v[8:9], v[15:16], v[17:18]
	v_div_fixup_f64 v[8:9], v[8:9], v[2:3], v[21:22]
	v_cndmask_b32_e64 v9, v9, 0x7ff80000, s64
	v_cndmask_b32_e64 v8, v8, 0, s64
	global_store_dwordx2 v[6:7], v[8:9], off offset:256
	s_and_b32 exec_lo, exec_lo, s54
	s_cbranch_execz .LBB377_194
; %bb.140:
	v_div_scale_f64 v[8:9], null, v[2:3], v[2:3], v[37:38]
	v_div_scale_f64 v[19:20], vcc_lo, v[37:38], v[2:3], v[37:38]
	v_rcp_f64_e32 v[15:16], v[8:9]
	v_fma_f64 v[17:18], -v[8:9], v[15:16], 1.0
	v_fma_f64 v[15:16], v[15:16], v[17:18], v[15:16]
	v_fma_f64 v[17:18], -v[8:9], v[15:16], 1.0
	v_fma_f64 v[15:16], v[15:16], v[17:18], v[15:16]
	v_mul_f64 v[17:18], v[19:20], v[15:16]
	v_fma_f64 v[8:9], -v[8:9], v[17:18], v[19:20]
	v_div_fmas_f64 v[8:9], v[8:9], v[15:16], v[17:18]
	v_div_fixup_f64 v[8:9], v[8:9], v[2:3], v[37:38]
	v_cndmask_b32_e64 v9, v9, 0x7ff80000, s64
	v_cndmask_b32_e64 v8, v8, 0, s64
	global_store_dwordx2 v[6:7], v[8:9], off offset:512
	s_and_b32 exec_lo, exec_lo, s53
	s_cbranch_execz .LBB377_194
; %bb.141:
	;; [unrolled: 17-line block ×3, first 2 shown]
	s_clause 0x1
	buffer_load_dword v21, off, s[96:99], 0
	buffer_load_dword v22, off, s[96:99], 0 offset:4
	s_waitcnt vmcnt(0)
	v_div_scale_f64 v[8:9], null, v[2:3], v[2:3], v[21:22]
	v_div_scale_f64 v[19:20], vcc_lo, v[21:22], v[2:3], v[21:22]
	v_rcp_f64_e32 v[15:16], v[8:9]
	v_fma_f64 v[17:18], -v[8:9], v[15:16], 1.0
	v_fma_f64 v[15:16], v[15:16], v[17:18], v[15:16]
	v_fma_f64 v[17:18], -v[8:9], v[15:16], 1.0
	v_fma_f64 v[15:16], v[15:16], v[17:18], v[15:16]
	v_mul_f64 v[17:18], v[19:20], v[15:16]
	v_fma_f64 v[8:9], -v[8:9], v[17:18], v[19:20]
	v_div_fmas_f64 v[8:9], v[8:9], v[15:16], v[17:18]
	v_div_fixup_f64 v[8:9], v[8:9], v[2:3], v[21:22]
	v_cndmask_b32_e64 v9, v9, 0x7ff80000, s64
	v_cndmask_b32_e64 v8, v8, 0, s64
	global_store_dwordx2 v[6:7], v[8:9], off offset:1024
	s_and_b32 exec_lo, exec_lo, s51
	s_cbranch_execz .LBB377_194
; %bb.143:
	s_clause 0x1
	buffer_load_dword v21, off, s[96:99], 0 offset:8
	buffer_load_dword v22, off, s[96:99], 0 offset:12
	s_waitcnt vmcnt(0)
	v_div_scale_f64 v[8:9], null, v[2:3], v[2:3], v[21:22]
	v_div_scale_f64 v[19:20], vcc_lo, v[21:22], v[2:3], v[21:22]
	v_rcp_f64_e32 v[15:16], v[8:9]
	v_fma_f64 v[17:18], -v[8:9], v[15:16], 1.0
	v_fma_f64 v[15:16], v[15:16], v[17:18], v[15:16]
	v_fma_f64 v[17:18], -v[8:9], v[15:16], 1.0
	v_fma_f64 v[15:16], v[15:16], v[17:18], v[15:16]
	v_mul_f64 v[17:18], v[19:20], v[15:16]
	v_fma_f64 v[8:9], -v[8:9], v[17:18], v[19:20]
	v_div_fmas_f64 v[8:9], v[8:9], v[15:16], v[17:18]
	v_div_fixup_f64 v[8:9], v[8:9], v[2:3], v[21:22]
	v_cndmask_b32_e64 v9, v9, 0x7ff80000, s64
	v_cndmask_b32_e64 v8, v8, 0, s64
	global_store_dwordx2 v[6:7], v[8:9], off offset:1280
	s_and_b32 exec_lo, exec_lo, s50
	s_cbranch_execz .LBB377_194
; %bb.144:
	s_clause 0x1
	buffer_load_dword v21, off, s[96:99], 0 offset:336
	;; [unrolled: 21-line block ×4, first 2 shown]
	buffer_load_dword v20, off, s[96:99], 0 offset:356
	s_waitcnt vmcnt(0)
	v_div_scale_f64 v[6:7], null, v[2:3], v[2:3], v[19:20]
	v_div_scale_f64 v[17:18], vcc_lo, v[19:20], v[2:3], v[19:20]
	v_rcp_f64_e32 v[8:9], v[6:7]
	v_fma_f64 v[15:16], -v[6:7], v[8:9], 1.0
	v_fma_f64 v[8:9], v[8:9], v[15:16], v[8:9]
	v_fma_f64 v[15:16], -v[6:7], v[8:9], 1.0
	v_fma_f64 v[8:9], v[8:9], v[15:16], v[8:9]
	v_mul_f64 v[15:16], v[17:18], v[8:9]
	v_fma_f64 v[6:7], -v[6:7], v[15:16], v[17:18]
	v_div_fmas_f64 v[6:7], v[6:7], v[8:9], v[15:16]
	v_div_fixup_f64 v[6:7], v[6:7], v[2:3], v[19:20]
	v_cndmask_b32_e64 v8, v6, 0, s64
	v_add_co_u32 v6, vcc_lo, 0x1000, v4
	v_cndmask_b32_e64 v9, v7, 0x7ff80000, s64
	v_add_co_ci_u32_e64 v7, null, 0, v5, vcc_lo
	global_store_dwordx2 v[6:7], v[8:9], off
	s_and_b32 exec_lo, exec_lo, s47
	s_cbranch_execz .LBB377_194
; %bb.147:
	s_clause 0x1
	buffer_load_dword v21, off, s[96:99], 0 offset:360
	buffer_load_dword v22, off, s[96:99], 0 offset:364
	s_waitcnt vmcnt(0)
	v_div_scale_f64 v[8:9], null, v[2:3], v[2:3], v[21:22]
	v_div_scale_f64 v[19:20], vcc_lo, v[21:22], v[2:3], v[21:22]
	v_rcp_f64_e32 v[15:16], v[8:9]
	v_fma_f64 v[17:18], -v[8:9], v[15:16], 1.0
	v_fma_f64 v[15:16], v[15:16], v[17:18], v[15:16]
	v_fma_f64 v[17:18], -v[8:9], v[15:16], 1.0
	v_fma_f64 v[15:16], v[15:16], v[17:18], v[15:16]
	v_mul_f64 v[17:18], v[19:20], v[15:16]
	v_fma_f64 v[8:9], -v[8:9], v[17:18], v[19:20]
	v_div_fmas_f64 v[8:9], v[8:9], v[15:16], v[17:18]
	v_div_fixup_f64 v[8:9], v[8:9], v[2:3], v[21:22]
	v_cndmask_b32_e64 v9, v9, 0x7ff80000, s64
	v_cndmask_b32_e64 v8, v8, 0, s64
	global_store_dwordx2 v[6:7], v[8:9], off offset:256
	s_and_b32 exec_lo, exec_lo, s46
	s_cbranch_execz .LBB377_194
; %bb.148:
	s_clause 0x1
	buffer_load_dword v21, off, s[96:99], 0 offset:368
	buffer_load_dword v22, off, s[96:99], 0 offset:372
	s_waitcnt vmcnt(0)
	v_div_scale_f64 v[8:9], null, v[2:3], v[2:3], v[21:22]
	v_div_scale_f64 v[19:20], vcc_lo, v[21:22], v[2:3], v[21:22]
	v_rcp_f64_e32 v[15:16], v[8:9]
	v_fma_f64 v[17:18], -v[8:9], v[15:16], 1.0
	v_fma_f64 v[15:16], v[15:16], v[17:18], v[15:16]
	v_fma_f64 v[17:18], -v[8:9], v[15:16], 1.0
	v_fma_f64 v[15:16], v[15:16], v[17:18], v[15:16]
	v_mul_f64 v[17:18], v[19:20], v[15:16]
	v_fma_f64 v[8:9], -v[8:9], v[17:18], v[19:20]
	v_div_fmas_f64 v[8:9], v[8:9], v[15:16], v[17:18]
	v_div_fixup_f64 v[8:9], v[8:9], v[2:3], v[21:22]
	v_cndmask_b32_e64 v9, v9, 0x7ff80000, s64
	v_cndmask_b32_e64 v8, v8, 0, s64
	global_store_dwordx2 v[6:7], v[8:9], off offset:512
	;; [unrolled: 21-line block ×5, first 2 shown]
	s_and_b32 exec_lo, exec_lo, s42
	s_cbranch_execz .LBB377_194
; %bb.152:
	v_div_scale_f64 v[8:9], null, v[2:3], v[2:3], v[25:26]
	v_div_scale_f64 v[19:20], vcc_lo, v[25:26], v[2:3], v[25:26]
	v_rcp_f64_e32 v[15:16], v[8:9]
	v_fma_f64 v[17:18], -v[8:9], v[15:16], 1.0
	v_fma_f64 v[15:16], v[15:16], v[17:18], v[15:16]
	v_fma_f64 v[17:18], -v[8:9], v[15:16], 1.0
	v_fma_f64 v[15:16], v[15:16], v[17:18], v[15:16]
	v_mul_f64 v[17:18], v[19:20], v[15:16]
	v_fma_f64 v[8:9], -v[8:9], v[17:18], v[19:20]
	v_div_fmas_f64 v[8:9], v[8:9], v[15:16], v[17:18]
	v_div_fixup_f64 v[8:9], v[8:9], v[2:3], v[25:26]
	v_cndmask_b32_e64 v9, v9, 0x7ff80000, s64
	v_cndmask_b32_e64 v8, v8, 0, s64
	global_store_dwordx2 v[6:7], v[8:9], off offset:1536
	s_and_b32 exec_lo, exec_lo, s41
	s_cbranch_execz .LBB377_194
; %bb.153:
	v_div_scale_f64 v[8:9], null, v[2:3], v[2:3], v[27:28]
	v_div_scale_f64 v[19:20], vcc_lo, v[27:28], v[2:3], v[27:28]
	v_rcp_f64_e32 v[15:16], v[8:9]
	v_fma_f64 v[17:18], -v[8:9], v[15:16], 1.0
	v_fma_f64 v[15:16], v[15:16], v[17:18], v[15:16]
	v_fma_f64 v[17:18], -v[8:9], v[15:16], 1.0
	v_fma_f64 v[15:16], v[15:16], v[17:18], v[15:16]
	v_mul_f64 v[17:18], v[19:20], v[15:16]
	v_fma_f64 v[8:9], -v[8:9], v[17:18], v[19:20]
	v_div_fmas_f64 v[8:9], v[8:9], v[15:16], v[17:18]
	v_div_fixup_f64 v[8:9], v[8:9], v[2:3], v[27:28]
	v_cndmask_b32_e64 v9, v9, 0x7ff80000, s64
	v_cndmask_b32_e64 v8, v8, 0, s64
	global_store_dwordx2 v[6:7], v[8:9], off offset:1792
	s_and_b32 exec_lo, exec_lo, s40
	s_cbranch_execz .LBB377_194
; %bb.154:
	v_div_scale_f64 v[6:7], null, v[2:3], v[2:3], v[29:30]
	v_div_scale_f64 v[17:18], vcc_lo, v[29:30], v[2:3], v[29:30]
	v_rcp_f64_e32 v[8:9], v[6:7]
	v_fma_f64 v[15:16], -v[6:7], v[8:9], 1.0
	v_fma_f64 v[8:9], v[8:9], v[15:16], v[8:9]
	v_fma_f64 v[15:16], -v[6:7], v[8:9], 1.0
	v_fma_f64 v[8:9], v[8:9], v[15:16], v[8:9]
	v_mul_f64 v[15:16], v[17:18], v[8:9]
	v_fma_f64 v[6:7], -v[6:7], v[15:16], v[17:18]
	v_div_fmas_f64 v[6:7], v[6:7], v[8:9], v[15:16]
	v_div_fixup_f64 v[6:7], v[6:7], v[2:3], v[29:30]
	v_cndmask_b32_e64 v8, v6, 0, s64
	v_add_co_u32 v6, vcc_lo, 0x1800, v4
	v_cndmask_b32_e64 v9, v7, 0x7ff80000, s64
	v_add_co_ci_u32_e64 v7, null, 0, v5, vcc_lo
	global_store_dwordx2 v[6:7], v[8:9], off
	s_and_b32 exec_lo, exec_lo, s39
	s_cbranch_execz .LBB377_194
; %bb.155:
	v_div_scale_f64 v[8:9], null, v[2:3], v[2:3], v[41:42]
	v_div_scale_f64 v[19:20], vcc_lo, v[41:42], v[2:3], v[41:42]
	v_rcp_f64_e32 v[15:16], v[8:9]
	v_fma_f64 v[17:18], -v[8:9], v[15:16], 1.0
	v_fma_f64 v[15:16], v[15:16], v[17:18], v[15:16]
	v_fma_f64 v[17:18], -v[8:9], v[15:16], 1.0
	v_fma_f64 v[15:16], v[15:16], v[17:18], v[15:16]
	v_mul_f64 v[17:18], v[19:20], v[15:16]
	v_fma_f64 v[8:9], -v[8:9], v[17:18], v[19:20]
	v_div_fmas_f64 v[8:9], v[8:9], v[15:16], v[17:18]
	v_div_fixup_f64 v[8:9], v[8:9], v[2:3], v[41:42]
	v_cndmask_b32_e64 v9, v9, 0x7ff80000, s64
	v_cndmask_b32_e64 v8, v8, 0, s64
	global_store_dwordx2 v[6:7], v[8:9], off offset:256
	s_and_b32 exec_lo, exec_lo, s38
	s_cbranch_execz .LBB377_194
; %bb.156:
	v_div_scale_f64 v[8:9], null, v[2:3], v[2:3], v[31:32]
	v_div_scale_f64 v[19:20], vcc_lo, v[31:32], v[2:3], v[31:32]
	v_rcp_f64_e32 v[15:16], v[8:9]
	v_fma_f64 v[17:18], -v[8:9], v[15:16], 1.0
	v_fma_f64 v[15:16], v[15:16], v[17:18], v[15:16]
	v_fma_f64 v[17:18], -v[8:9], v[15:16], 1.0
	v_fma_f64 v[15:16], v[15:16], v[17:18], v[15:16]
	v_mul_f64 v[17:18], v[19:20], v[15:16]
	v_fma_f64 v[8:9], -v[8:9], v[17:18], v[19:20]
	v_div_fmas_f64 v[8:9], v[8:9], v[15:16], v[17:18]
	v_div_fixup_f64 v[8:9], v[8:9], v[2:3], v[31:32]
	v_cndmask_b32_e64 v9, v9, 0x7ff80000, s64
	v_cndmask_b32_e64 v8, v8, 0, s64
	global_store_dwordx2 v[6:7], v[8:9], off offset:512
	;; [unrolled: 17-line block ×7, first 2 shown]
	s_and_b32 exec_lo, exec_lo, s31
	s_cbranch_execz .LBB377_194
; %bb.162:
	v_div_scale_f64 v[6:7], null, v[2:3], v[2:3], v[63:64]
	v_div_scale_f64 v[17:18], vcc_lo, v[63:64], v[2:3], v[63:64]
	v_rcp_f64_e32 v[8:9], v[6:7]
	v_fma_f64 v[15:16], -v[6:7], v[8:9], 1.0
	v_fma_f64 v[8:9], v[8:9], v[15:16], v[8:9]
	v_fma_f64 v[15:16], -v[6:7], v[8:9], 1.0
	v_fma_f64 v[8:9], v[8:9], v[15:16], v[8:9]
	v_mul_f64 v[15:16], v[17:18], v[8:9]
	v_fma_f64 v[6:7], -v[6:7], v[15:16], v[17:18]
	v_div_fmas_f64 v[6:7], v[6:7], v[8:9], v[15:16]
	v_div_fixup_f64 v[6:7], v[6:7], v[2:3], v[63:64]
	v_cndmask_b32_e64 v8, v6, 0, s64
	v_add_co_u32 v6, vcc_lo, 0x2000, v4
	v_cndmask_b32_e64 v9, v7, 0x7ff80000, s64
	v_add_co_ci_u32_e64 v7, null, 0, v5, vcc_lo
	global_store_dwordx2 v[6:7], v[8:9], off
	s_and_b32 exec_lo, exec_lo, s30
	s_cbranch_execz .LBB377_194
; %bb.163:
	v_div_scale_f64 v[8:9], null, v[2:3], v[2:3], v[61:62]
	v_div_scale_f64 v[19:20], vcc_lo, v[61:62], v[2:3], v[61:62]
	v_rcp_f64_e32 v[15:16], v[8:9]
	v_fma_f64 v[17:18], -v[8:9], v[15:16], 1.0
	v_fma_f64 v[15:16], v[15:16], v[17:18], v[15:16]
	v_fma_f64 v[17:18], -v[8:9], v[15:16], 1.0
	v_fma_f64 v[15:16], v[15:16], v[17:18], v[15:16]
	v_mul_f64 v[17:18], v[19:20], v[15:16]
	v_fma_f64 v[8:9], -v[8:9], v[17:18], v[19:20]
	v_div_fmas_f64 v[8:9], v[8:9], v[15:16], v[17:18]
	v_div_fixup_f64 v[8:9], v[8:9], v[2:3], v[61:62]
	v_cndmask_b32_e64 v9, v9, 0x7ff80000, s64
	v_cndmask_b32_e64 v8, v8, 0, s64
	global_store_dwordx2 v[6:7], v[8:9], off offset:256
	s_and_b32 exec_lo, exec_lo, s29
	s_cbranch_execz .LBB377_194
; %bb.164:
	v_div_scale_f64 v[8:9], null, v[2:3], v[2:3], v[65:66]
	v_div_scale_f64 v[19:20], vcc_lo, v[65:66], v[2:3], v[65:66]
	v_rcp_f64_e32 v[15:16], v[8:9]
	v_fma_f64 v[17:18], -v[8:9], v[15:16], 1.0
	v_fma_f64 v[15:16], v[15:16], v[17:18], v[15:16]
	v_fma_f64 v[17:18], -v[8:9], v[15:16], 1.0
	v_fma_f64 v[15:16], v[15:16], v[17:18], v[15:16]
	v_mul_f64 v[17:18], v[19:20], v[15:16]
	v_fma_f64 v[8:9], -v[8:9], v[17:18], v[19:20]
	v_div_fmas_f64 v[8:9], v[8:9], v[15:16], v[17:18]
	v_div_fixup_f64 v[8:9], v[8:9], v[2:3], v[65:66]
	v_cndmask_b32_e64 v9, v9, 0x7ff80000, s64
	v_cndmask_b32_e64 v8, v8, 0, s64
	global_store_dwordx2 v[6:7], v[8:9], off offset:512
	;; [unrolled: 17-line block ×7, first 2 shown]
	s_and_b32 exec_lo, exec_lo, s23
	s_cbranch_execz .LBB377_194
; %bb.170:
	v_div_scale_f64 v[6:7], null, v[2:3], v[2:3], v[83:84]
	v_div_scale_f64 v[17:18], vcc_lo, v[83:84], v[2:3], v[83:84]
	v_rcp_f64_e32 v[8:9], v[6:7]
	v_fma_f64 v[15:16], -v[6:7], v[8:9], 1.0
	v_fma_f64 v[8:9], v[8:9], v[15:16], v[8:9]
	v_fma_f64 v[15:16], -v[6:7], v[8:9], 1.0
	v_fma_f64 v[8:9], v[8:9], v[15:16], v[8:9]
	v_mul_f64 v[15:16], v[17:18], v[8:9]
	v_fma_f64 v[6:7], -v[6:7], v[15:16], v[17:18]
	v_div_fmas_f64 v[6:7], v[6:7], v[8:9], v[15:16]
	v_div_fixup_f64 v[6:7], v[6:7], v[2:3], v[83:84]
	v_cndmask_b32_e64 v8, v6, 0, s64
	v_add_co_u32 v6, vcc_lo, 0x2800, v4
	v_cndmask_b32_e64 v9, v7, 0x7ff80000, s64
	v_add_co_ci_u32_e64 v7, null, 0, v5, vcc_lo
	global_store_dwordx2 v[6:7], v[8:9], off
	s_and_b32 exec_lo, exec_lo, s22
	s_cbranch_execz .LBB377_194
; %bb.171:
	v_div_scale_f64 v[8:9], null, v[2:3], v[2:3], v[85:86]
	v_div_scale_f64 v[19:20], vcc_lo, v[85:86], v[2:3], v[85:86]
	v_rcp_f64_e32 v[15:16], v[8:9]
	v_fma_f64 v[17:18], -v[8:9], v[15:16], 1.0
	v_fma_f64 v[15:16], v[15:16], v[17:18], v[15:16]
	v_fma_f64 v[17:18], -v[8:9], v[15:16], 1.0
	v_fma_f64 v[15:16], v[15:16], v[17:18], v[15:16]
	v_mul_f64 v[17:18], v[19:20], v[15:16]
	v_fma_f64 v[8:9], -v[8:9], v[17:18], v[19:20]
	v_div_fmas_f64 v[8:9], v[8:9], v[15:16], v[17:18]
	v_div_fixup_f64 v[8:9], v[8:9], v[2:3], v[85:86]
	v_cndmask_b32_e64 v9, v9, 0x7ff80000, s64
	v_cndmask_b32_e64 v8, v8, 0, s64
	global_store_dwordx2 v[6:7], v[8:9], off offset:256
	s_and_b32 exec_lo, exec_lo, s21
	s_cbranch_execz .LBB377_194
; %bb.172:
	v_div_scale_f64 v[8:9], null, v[2:3], v[2:3], v[87:88]
	v_div_scale_f64 v[19:20], vcc_lo, v[87:88], v[2:3], v[87:88]
	v_rcp_f64_e32 v[15:16], v[8:9]
	v_fma_f64 v[17:18], -v[8:9], v[15:16], 1.0
	v_fma_f64 v[15:16], v[15:16], v[17:18], v[15:16]
	v_fma_f64 v[17:18], -v[8:9], v[15:16], 1.0
	v_fma_f64 v[15:16], v[15:16], v[17:18], v[15:16]
	v_mul_f64 v[17:18], v[19:20], v[15:16]
	v_fma_f64 v[8:9], -v[8:9], v[17:18], v[19:20]
	v_div_fmas_f64 v[8:9], v[8:9], v[15:16], v[17:18]
	v_div_fixup_f64 v[8:9], v[8:9], v[2:3], v[87:88]
	v_cndmask_b32_e64 v9, v9, 0x7ff80000, s64
	v_cndmask_b32_e64 v8, v8, 0, s64
	global_store_dwordx2 v[6:7], v[8:9], off offset:512
	;; [unrolled: 17-line block ×7, first 2 shown]
	s_and_b32 exec_lo, exec_lo, s15
	s_cbranch_execz .LBB377_194
; %bb.178:
	v_div_scale_f64 v[6:7], null, v[2:3], v[2:3], v[99:100]
	v_div_scale_f64 v[17:18], vcc_lo, v[99:100], v[2:3], v[99:100]
	v_rcp_f64_e32 v[8:9], v[6:7]
	v_fma_f64 v[15:16], -v[6:7], v[8:9], 1.0
	v_fma_f64 v[8:9], v[8:9], v[15:16], v[8:9]
	v_fma_f64 v[15:16], -v[6:7], v[8:9], 1.0
	v_fma_f64 v[8:9], v[8:9], v[15:16], v[8:9]
	v_mul_f64 v[15:16], v[17:18], v[8:9]
	v_fma_f64 v[6:7], -v[6:7], v[15:16], v[17:18]
	v_div_fmas_f64 v[6:7], v[6:7], v[8:9], v[15:16]
	v_div_fixup_f64 v[6:7], v[6:7], v[2:3], v[99:100]
	v_cndmask_b32_e64 v8, v6, 0, s64
	v_add_co_u32 v6, vcc_lo, 0x3000, v4
	v_cndmask_b32_e64 v9, v7, 0x7ff80000, s64
	v_add_co_ci_u32_e64 v7, null, 0, v5, vcc_lo
	global_store_dwordx2 v[6:7], v[8:9], off
	s_and_b32 exec_lo, exec_lo, s14
	s_cbranch_execz .LBB377_194
; %bb.179:
	v_div_scale_f64 v[8:9], null, v[2:3], v[2:3], v[101:102]
	v_div_scale_f64 v[19:20], vcc_lo, v[101:102], v[2:3], v[101:102]
	v_rcp_f64_e32 v[15:16], v[8:9]
	v_fma_f64 v[17:18], -v[8:9], v[15:16], 1.0
	v_fma_f64 v[15:16], v[15:16], v[17:18], v[15:16]
	v_fma_f64 v[17:18], -v[8:9], v[15:16], 1.0
	v_fma_f64 v[15:16], v[15:16], v[17:18], v[15:16]
	v_mul_f64 v[17:18], v[19:20], v[15:16]
	v_fma_f64 v[8:9], -v[8:9], v[17:18], v[19:20]
	v_div_fmas_f64 v[8:9], v[8:9], v[15:16], v[17:18]
	v_div_fixup_f64 v[8:9], v[8:9], v[2:3], v[101:102]
	v_cndmask_b32_e64 v9, v9, 0x7ff80000, s64
	v_cndmask_b32_e64 v8, v8, 0, s64
	global_store_dwordx2 v[6:7], v[8:9], off offset:256
	s_and_b32 exec_lo, exec_lo, s13
	s_cbranch_execz .LBB377_194
; %bb.180:
	v_div_scale_f64 v[8:9], null, v[2:3], v[2:3], v[103:104]
	v_div_scale_f64 v[19:20], vcc_lo, v[103:104], v[2:3], v[103:104]
	v_rcp_f64_e32 v[15:16], v[8:9]
	v_fma_f64 v[17:18], -v[8:9], v[15:16], 1.0
	v_fma_f64 v[15:16], v[15:16], v[17:18], v[15:16]
	v_fma_f64 v[17:18], -v[8:9], v[15:16], 1.0
	v_fma_f64 v[15:16], v[15:16], v[17:18], v[15:16]
	v_mul_f64 v[17:18], v[19:20], v[15:16]
	v_fma_f64 v[8:9], -v[8:9], v[17:18], v[19:20]
	v_div_fmas_f64 v[8:9], v[8:9], v[15:16], v[17:18]
	v_div_fixup_f64 v[8:9], v[8:9], v[2:3], v[103:104]
	v_cndmask_b32_e64 v9, v9, 0x7ff80000, s64
	v_cndmask_b32_e64 v8, v8, 0, s64
	global_store_dwordx2 v[6:7], v[8:9], off offset:512
	;; [unrolled: 17-line block ×7, first 2 shown]
	s_and_b32 exec_lo, exec_lo, s7
	s_cbranch_execz .LBB377_194
; %bb.186:
	v_div_scale_f64 v[6:7], null, v[2:3], v[2:3], v[115:116]
	v_div_scale_f64 v[17:18], vcc_lo, v[115:116], v[2:3], v[115:116]
	v_rcp_f64_e32 v[8:9], v[6:7]
	v_fma_f64 v[15:16], -v[6:7], v[8:9], 1.0
	v_fma_f64 v[8:9], v[8:9], v[15:16], v[8:9]
	v_fma_f64 v[15:16], -v[6:7], v[8:9], 1.0
	v_fma_f64 v[8:9], v[8:9], v[15:16], v[8:9]
	v_mul_f64 v[15:16], v[17:18], v[8:9]
	v_fma_f64 v[6:7], -v[6:7], v[15:16], v[17:18]
	v_div_fmas_f64 v[6:7], v[6:7], v[8:9], v[15:16]
	v_add_co_u32 v4, vcc_lo, 0x3800, v4
	v_add_co_ci_u32_e64 v5, null, 0, v5, vcc_lo
	v_div_fixup_f64 v[6:7], v[6:7], v[2:3], v[115:116]
	v_cndmask_b32_e64 v7, v7, 0x7ff80000, s64
	v_cndmask_b32_e64 v6, v6, 0, s64
	global_store_dwordx2 v[4:5], v[6:7], off
	s_and_b32 exec_lo, exec_lo, s6
	s_cbranch_execz .LBB377_194
; %bb.187:
	v_div_scale_f64 v[6:7], null, v[2:3], v[2:3], v[119:120]
	v_div_scale_f64 v[17:18], vcc_lo, v[119:120], v[2:3], v[119:120]
	v_rcp_f64_e32 v[8:9], v[6:7]
	v_fma_f64 v[15:16], -v[6:7], v[8:9], 1.0
	v_fma_f64 v[8:9], v[8:9], v[15:16], v[8:9]
	v_fma_f64 v[15:16], -v[6:7], v[8:9], 1.0
	v_fma_f64 v[8:9], v[8:9], v[15:16], v[8:9]
	v_mul_f64 v[15:16], v[17:18], v[8:9]
	v_fma_f64 v[6:7], -v[6:7], v[15:16], v[17:18]
	v_div_fmas_f64 v[6:7], v[6:7], v[8:9], v[15:16]
	v_div_fixup_f64 v[6:7], v[6:7], v[2:3], v[119:120]
	v_cndmask_b32_e64 v7, v7, 0x7ff80000, s64
	v_cndmask_b32_e64 v6, v6, 0, s64
	global_store_dwordx2 v[4:5], v[6:7], off offset:256
	s_and_b32 exec_lo, exec_lo, s5
	s_cbranch_execz .LBB377_194
; %bb.188:
	v_div_scale_f64 v[6:7], null, v[2:3], v[2:3], v[123:124]
	v_div_scale_f64 v[17:18], vcc_lo, v[123:124], v[2:3], v[123:124]
	v_rcp_f64_e32 v[8:9], v[6:7]
	v_fma_f64 v[15:16], -v[6:7], v[8:9], 1.0
	v_fma_f64 v[8:9], v[8:9], v[15:16], v[8:9]
	v_fma_f64 v[15:16], -v[6:7], v[8:9], 1.0
	v_fma_f64 v[8:9], v[8:9], v[15:16], v[8:9]
	v_mul_f64 v[15:16], v[17:18], v[8:9]
	v_fma_f64 v[6:7], -v[6:7], v[15:16], v[17:18]
	v_div_fmas_f64 v[6:7], v[6:7], v[8:9], v[15:16]
	v_div_fixup_f64 v[6:7], v[6:7], v[2:3], v[123:124]
	v_cndmask_b32_e64 v7, v7, 0x7ff80000, s64
	v_cndmask_b32_e64 v6, v6, 0, s64
	global_store_dwordx2 v[4:5], v[6:7], off offset:512
	;; [unrolled: 17-line block ×7, first 2 shown]
.LBB377_194:
	s_endpgm
	.section	.rodata,"a",@progbits
	.p2align	6, 0x0
	.amdhsa_kernel _ZN12_GLOBAL__N_120softmax_warp_forwardIdddLi11ELb0ELb0ELi32EEEvPT0_PKT_iiiPKbib
		.amdhsa_group_segment_fixed_size 0
		.amdhsa_private_segment_fixed_size 388
		.amdhsa_kernarg_size 304
		.amdhsa_user_sgpr_count 6
		.amdhsa_user_sgpr_private_segment_buffer 1
		.amdhsa_user_sgpr_dispatch_ptr 0
		.amdhsa_user_sgpr_queue_ptr 0
		.amdhsa_user_sgpr_kernarg_segment_ptr 1
		.amdhsa_user_sgpr_dispatch_id 0
		.amdhsa_user_sgpr_flat_scratch_init 0
		.amdhsa_user_sgpr_private_segment_size 0
		.amdhsa_wavefront_size32 1
		.amdhsa_uses_dynamic_stack 0
		.amdhsa_system_sgpr_private_segment_wavefront_offset 1
		.amdhsa_system_sgpr_workgroup_id_x 1
		.amdhsa_system_sgpr_workgroup_id_y 0
		.amdhsa_system_sgpr_workgroup_id_z 0
		.amdhsa_system_sgpr_workgroup_info 0
		.amdhsa_system_vgpr_workitem_id 1
		.amdhsa_next_free_vgpr 128
		.amdhsa_next_free_sgpr 100
		.amdhsa_reserve_vcc 1
		.amdhsa_reserve_flat_scratch 0
		.amdhsa_float_round_mode_32 0
		.amdhsa_float_round_mode_16_64 0
		.amdhsa_float_denorm_mode_32 3
		.amdhsa_float_denorm_mode_16_64 3
		.amdhsa_dx10_clamp 1
		.amdhsa_ieee_mode 1
		.amdhsa_fp16_overflow 0
		.amdhsa_workgroup_processor_mode 1
		.amdhsa_memory_ordered 1
		.amdhsa_forward_progress 1
		.amdhsa_shared_vgpr_count 0
		.amdhsa_exception_fp_ieee_invalid_op 0
		.amdhsa_exception_fp_denorm_src 0
		.amdhsa_exception_fp_ieee_div_zero 0
		.amdhsa_exception_fp_ieee_overflow 0
		.amdhsa_exception_fp_ieee_underflow 0
		.amdhsa_exception_fp_ieee_inexact 0
		.amdhsa_exception_int_div_zero 0
	.end_amdhsa_kernel
	.section	.text._ZN12_GLOBAL__N_120softmax_warp_forwardIdddLi11ELb0ELb0ELi32EEEvPT0_PKT_iiiPKbib,"axG",@progbits,_ZN12_GLOBAL__N_120softmax_warp_forwardIdddLi11ELb0ELb0ELi32EEEvPT0_PKT_iiiPKbib,comdat
.Lfunc_end377:
	.size	_ZN12_GLOBAL__N_120softmax_warp_forwardIdddLi11ELb0ELb0ELi32EEEvPT0_PKT_iiiPKbib, .Lfunc_end377-_ZN12_GLOBAL__N_120softmax_warp_forwardIdddLi11ELb0ELb0ELi32EEEvPT0_PKT_iiiPKbib
                                        ; -- End function
	.set _ZN12_GLOBAL__N_120softmax_warp_forwardIdddLi11ELb0ELb0ELi32EEEvPT0_PKT_iiiPKbib.num_vgpr, 128
	.set _ZN12_GLOBAL__N_120softmax_warp_forwardIdddLi11ELb0ELb0ELi32EEEvPT0_PKT_iiiPKbib.num_agpr, 0
	.set _ZN12_GLOBAL__N_120softmax_warp_forwardIdddLi11ELb0ELb0ELi32EEEvPT0_PKT_iiiPKbib.numbered_sgpr, 100
	.set _ZN12_GLOBAL__N_120softmax_warp_forwardIdddLi11ELb0ELb0ELi32EEEvPT0_PKT_iiiPKbib.num_named_barrier, 0
	.set _ZN12_GLOBAL__N_120softmax_warp_forwardIdddLi11ELb0ELb0ELi32EEEvPT0_PKT_iiiPKbib.private_seg_size, 388
	.set _ZN12_GLOBAL__N_120softmax_warp_forwardIdddLi11ELb0ELb0ELi32EEEvPT0_PKT_iiiPKbib.uses_vcc, 1
	.set _ZN12_GLOBAL__N_120softmax_warp_forwardIdddLi11ELb0ELb0ELi32EEEvPT0_PKT_iiiPKbib.uses_flat_scratch, 0
	.set _ZN12_GLOBAL__N_120softmax_warp_forwardIdddLi11ELb0ELb0ELi32EEEvPT0_PKT_iiiPKbib.has_dyn_sized_stack, 0
	.set _ZN12_GLOBAL__N_120softmax_warp_forwardIdddLi11ELb0ELb0ELi32EEEvPT0_PKT_iiiPKbib.has_recursion, 0
	.set _ZN12_GLOBAL__N_120softmax_warp_forwardIdddLi11ELb0ELb0ELi32EEEvPT0_PKT_iiiPKbib.has_indirect_call, 0
	.section	.AMDGPU.csdata,"",@progbits
; Kernel info:
; codeLenInByte = 29848
; TotalNumSgprs: 102
; NumVgprs: 128
; ScratchSize: 388
; MemoryBound: 0
; FloatMode: 240
; IeeeMode: 1
; LDSByteSize: 0 bytes/workgroup (compile time only)
; SGPRBlocks: 0
; VGPRBlocks: 15
; NumSGPRsForWavesPerEU: 102
; NumVGPRsForWavesPerEU: 128
; Occupancy: 8
; WaveLimiterHint : 0
; COMPUTE_PGM_RSRC2:SCRATCH_EN: 1
; COMPUTE_PGM_RSRC2:USER_SGPR: 6
; COMPUTE_PGM_RSRC2:TRAP_HANDLER: 0
; COMPUTE_PGM_RSRC2:TGID_X_EN: 1
; COMPUTE_PGM_RSRC2:TGID_Y_EN: 0
; COMPUTE_PGM_RSRC2:TGID_Z_EN: 0
; COMPUTE_PGM_RSRC2:TIDIG_COMP_CNT: 1
	.section	.text._ZN2at6native12_GLOBAL__N_123cunn_SoftMaxForwardGmemILi2EdddNS1_29SoftMaxForwardWithMulEpilogueElEEvPT2_PKT0_T4_,"axG",@progbits,_ZN2at6native12_GLOBAL__N_123cunn_SoftMaxForwardGmemILi2EdddNS1_29SoftMaxForwardWithMulEpilogueElEEvPT2_PKT0_T4_,comdat
	.globl	_ZN2at6native12_GLOBAL__N_123cunn_SoftMaxForwardGmemILi2EdddNS1_29SoftMaxForwardWithMulEpilogueElEEvPT2_PKT0_T4_ ; -- Begin function _ZN2at6native12_GLOBAL__N_123cunn_SoftMaxForwardGmemILi2EdddNS1_29SoftMaxForwardWithMulEpilogueElEEvPT2_PKT0_T4_
	.p2align	8
	.type	_ZN2at6native12_GLOBAL__N_123cunn_SoftMaxForwardGmemILi2EdddNS1_29SoftMaxForwardWithMulEpilogueElEEvPT2_PKT0_T4_,@function
_ZN2at6native12_GLOBAL__N_123cunn_SoftMaxForwardGmemILi2EdddNS1_29SoftMaxForwardWithMulEpilogueElEEvPT2_PKT0_T4_: ; @_ZN2at6native12_GLOBAL__N_123cunn_SoftMaxForwardGmemILi2EdddNS1_29SoftMaxForwardWithMulEpilogueElEEvPT2_PKT0_T4_
; %bb.0:
	s_clause 0x1
	s_load_dwordx2 s[12:13], s[4:5], 0x10
	s_load_dwordx4 s[8:11], s[4:5], 0x0
	v_mov_b32_e32 v1, 0
	v_lshlrev_b32_e32 v3, 1, v0
	v_mov_b32_e32 v2, -1
	v_lshlrev_b32_e32 v10, 4, v0
	s_mov_b32 s2, 0
	v_mov_b32_e32 v4, v1
	s_waitcnt lgkmcnt(0)
	v_cmp_gt_i64_e64 s0, s[12:13], v[3:4]
	v_mov_b32_e32 v3, 0xffefffff
	s_mul_i32 s14, s13, s6
	s_mul_hi_u32 s15, s12, s6
	s_mul_i32 s6, s12, s6
	s_and_saveexec_b32 s3, s0
	s_cbranch_execz .LBB378_4
; %bb.1:
	s_load_dword s1, s[4:5], 0x24
	s_add_i32 s7, s15, s14
	v_mov_b32_e32 v7, v1
	s_lshl_b64 s[16:17], s[6:7], 3
	v_mov_b32_e32 v6, v0
	s_waitcnt lgkmcnt(0)
	s_and_b32 s7, s1, 0xffff
	s_add_u32 s1, s10, s16
	s_addc_u32 s16, s11, s17
	v_add_co_u32 v4, s1, s1, v10
	v_add_co_ci_u32_e64 v5, null, s16, 0, s1
	s_lshl_b32 s16, s7, 4
	v_add_co_u32 v4, vcc_lo, v4, 8
	v_add_co_ci_u32_e64 v5, null, 0, v5, vcc_lo
	.p2align	6
.LBB378_2:                              ; =>This Inner Loop Header: Depth=1
	global_load_dwordx4 v[11:14], v[4:5], off offset:-8
	v_max_f64 v[2:3], v[2:3], v[2:3]
	v_add_co_u32 v6, vcc_lo, v6, s7
	v_add_co_ci_u32_e64 v7, null, 0, v7, vcc_lo
	v_add_co_u32 v4, s1, v4, s16
	v_add_co_ci_u32_e64 v5, null, 0, v5, s1
	s_waitcnt vmcnt(0)
	v_max_f64 v[8:9], v[11:12], v[11:12]
	v_max_f64 v[11:12], v[13:14], v[13:14]
	;; [unrolled: 1-line block ×3, first 2 shown]
	v_lshlrev_b64 v[8:9], 1, v[6:7]
	v_cmp_le_i64_e32 vcc_lo, s[12:13], v[8:9]
	s_or_b32 s2, vcc_lo, s2
	v_max_f64 v[2:3], v[2:3], v[11:12]
	s_andn2_b32 exec_lo, exec_lo, s2
	s_cbranch_execnz .LBB378_2
; %bb.3:
	s_or_b32 exec_lo, exec_lo, s2
.LBB378_4:
	s_or_b32 exec_lo, exec_lo, s3
	v_mbcnt_lo_u32_b32 v6, -1, 0
	v_lshrrev_b32_e32 v16, 2, v0
	s_barrier
	buffer_gl0_inv
	v_lshl_or_b32 v11, v6, 2, 64
	v_cmp_gt_u32_e64 s1, 24, v6
	ds_bpermute_b32 v4, v11, v2
	ds_bpermute_b32 v5, v11, v3
	v_cndmask_b32_e64 v7, 0, 8, s1
	v_cmp_gt_u32_e64 s1, 28, v6
	v_add_lshl_u32 v12, v7, v6, 2
	v_cndmask_b32_e64 v7, 0, 4, s1
	v_cmp_gt_u32_e64 s1, 30, v6
	v_add_lshl_u32 v13, v7, v6, 2
	v_cndmask_b32_e64 v7, 0, 2, s1
	v_cmp_ne_u32_e64 s1, 31, v6
	v_add_lshl_u32 v14, v7, v6, 2
	v_add_co_ci_u32_e64 v6, null, 0, v6, s1
	s_waitcnt lgkmcnt(0)
	v_cmp_lt_f64_e32 vcc_lo, v[2:3], v[4:5]
	v_lshlrev_b32_e32 v15, 2, v6
	v_and_b32_e32 v6, 31, v0
	v_cndmask_b32_e32 v3, v3, v5, vcc_lo
	v_cndmask_b32_e32 v2, v2, v4, vcc_lo
	ds_bpermute_b32 v5, v12, v3
	ds_bpermute_b32 v4, v12, v2
	s_waitcnt lgkmcnt(0)
	v_cmp_lt_f64_e32 vcc_lo, v[2:3], v[4:5]
	v_cndmask_b32_e32 v3, v3, v5, vcc_lo
	v_cndmask_b32_e32 v2, v2, v4, vcc_lo
	ds_bpermute_b32 v5, v13, v3
	ds_bpermute_b32 v4, v13, v2
	s_waitcnt lgkmcnt(0)
	v_cmp_lt_f64_e32 vcc_lo, v[2:3], v[4:5]
	;; [unrolled: 6-line block ×3, first 2 shown]
	v_cndmask_b32_e32 v3, v3, v5, vcc_lo
	v_cndmask_b32_e32 v2, v2, v4, vcc_lo
	v_cmp_eq_u32_e32 vcc_lo, 0, v6
	ds_bpermute_b32 v7, v15, v3
	ds_bpermute_b32 v4, v15, v2
	s_and_saveexec_b32 s2, vcc_lo
	s_cbranch_execz .LBB378_6
; %bb.5:
	s_waitcnt lgkmcnt(1)
	v_mov_b32_e32 v5, v7
	s_waitcnt lgkmcnt(0)
	v_cmp_lt_f64_e64 s1, v[2:3], v[4:5]
	v_add_nc_u32_e32 v5, 0, v16
	v_cndmask_b32_e64 v3, v3, v7, s1
	v_cndmask_b32_e64 v2, v2, v4, s1
	ds_write_b64 v5, v[2:3]
.LBB378_6:
	s_or_b32 exec_lo, exec_lo, s2
	s_waitcnt lgkmcnt(0)
	s_barrier
	buffer_gl0_inv
	s_load_dword s16, s[4:5], 0x24
	v_mov_b32_e32 v2, -1
	v_mov_b32_e32 v3, 0xffefffff
	v_lshl_add_u32 v17, v6, 3, 0
	s_waitcnt lgkmcnt(0)
	s_bfe_u32 s1, s16, 0xb0005
	v_cmp_gt_u32_e64 s1, s1, v0
	s_and_saveexec_b32 s2, s1
	s_cbranch_execnz .LBB378_24
; %bb.7:
	s_or_b32 exec_lo, exec_lo, s2
	v_cmp_gt_u32_e64 s2, 32, v0
	s_and_saveexec_b32 s4, s2
	s_cbranch_execnz .LBB378_25
.LBB378_8:
	s_or_b32 exec_lo, exec_lo, s4
	v_cmp_eq_u32_e64 s3, 0, v0
	s_and_saveexec_b32 s4, s3
	s_cbranch_execz .LBB378_10
.LBB378_9:
	v_mov_b32_e32 v4, 0
	s_waitcnt lgkmcnt(0)
	ds_write_b64 v4, v[2:3]
.LBB378_10:
	s_or_b32 exec_lo, exec_lo, s4
	s_waitcnt lgkmcnt(0)
	v_mov_b32_e32 v2, 0
	s_barrier
	buffer_gl0_inv
	v_mov_b32_e32 v4, 0
	ds_read_b64 v[2:3], v2
	v_mov_b32_e32 v5, 0
	s_mov_b32 s18, 0
	s_and_saveexec_b32 s17, s0
	s_cbranch_execz .LBB378_14
; %bb.11:
	s_add_i32 s7, s15, s14
	v_mov_b32_e32 v9, v1
	s_lshl_b64 s[4:5], s[6:7], 3
	s_and_b32 s7, s16, 0xffff
	s_add_u32 s4, s10, s4
	s_addc_u32 s5, s11, s5
	v_add_co_u32 v4, s4, s4, v10
	v_add_co_ci_u32_e64 v5, null, s5, 0, s4
	v_mov_b32_e32 v8, v0
	v_add_co_u32 v6, s4, v4, 8
	v_add_co_ci_u32_e64 v7, null, 0, v5, s4
	v_mov_b32_e32 v4, 0
	v_mov_b32_e32 v5, 0
	s_lshl_b32 s19, s7, 4
	s_inst_prefetch 0x1
	.p2align	6
.LBB378_12:                             ; =>This Inner Loop Header: Depth=1
	global_load_dwordx4 v[18:21], v[6:7], off offset:-8
	v_add_co_u32 v8, s4, v8, s7
	v_add_co_ci_u32_e64 v9, null, 0, v9, s4
	v_add_co_u32 v6, s5, v6, s19
	v_add_co_ci_u32_e64 v7, null, 0, v7, s5
	s_waitcnt vmcnt(0) lgkmcnt(0)
	v_add_f64 v[18:19], v[18:19], -v[2:3]
	v_add_f64 v[20:21], v[20:21], -v[2:3]
	v_cvt_f32_f64_e32 v18, v[18:19]
	v_cvt_f32_f64_e32 v20, v[20:21]
	v_mul_f32_e32 v18, 0x3fb8aa3b, v18
	v_mul_f32_e32 v20, 0x3fb8aa3b, v20
	v_exp_f32_e32 v18, v18
	v_exp_f32_e32 v20, v20
	v_cvt_f64_f32_e32 v[18:19], v18
	v_cvt_f64_f32_e32 v[20:21], v20
	v_add_f64 v[4:5], v[4:5], v[18:19]
	v_lshlrev_b64 v[18:19], 1, v[8:9]
	v_cmp_le_i64_e64 s4, s[12:13], v[18:19]
	s_or_b32 s18, s4, s18
	v_add_f64 v[4:5], v[4:5], v[20:21]
	s_andn2_b32 exec_lo, exec_lo, s18
	s_cbranch_execnz .LBB378_12
; %bb.13:
	s_inst_prefetch 0x2
	s_or_b32 exec_lo, exec_lo, s18
.LBB378_14:
	s_or_b32 exec_lo, exec_lo, s17
	ds_bpermute_b32 v6, v11, v4
	ds_bpermute_b32 v7, v11, v5
	s_waitcnt lgkmcnt(0)
	s_barrier
	buffer_gl0_inv
	v_add_f64 v[4:5], v[4:5], v[6:7]
	ds_bpermute_b32 v6, v12, v4
	ds_bpermute_b32 v7, v12, v5
	s_waitcnt lgkmcnt(0)
	v_add_f64 v[4:5], v[4:5], v[6:7]
	ds_bpermute_b32 v6, v13, v4
	ds_bpermute_b32 v7, v13, v5
	s_waitcnt lgkmcnt(0)
	;; [unrolled: 4-line block ×3, first 2 shown]
	v_add_f64 v[4:5], v[4:5], v[6:7]
	ds_bpermute_b32 v6, v15, v4
	ds_bpermute_b32 v7, v15, v5
	s_and_saveexec_b32 s4, vcc_lo
	s_cbranch_execz .LBB378_16
; %bb.15:
	s_waitcnt lgkmcnt(0)
	v_add_f64 v[4:5], v[4:5], v[6:7]
	v_add_nc_u32_e32 v6, 0, v16
	ds_write_b64 v6, v[4:5]
.LBB378_16:
	s_or_b32 exec_lo, exec_lo, s4
	v_mov_b32_e32 v4, 0
	v_mov_b32_e32 v5, 0
	s_waitcnt lgkmcnt(0)
	s_barrier
	buffer_gl0_inv
	s_and_saveexec_b32 s4, s1
	s_cbranch_execnz .LBB378_26
; %bb.17:
	s_or_b32 exec_lo, exec_lo, s4
	s_and_saveexec_b32 s1, s2
	s_cbranch_execnz .LBB378_27
.LBB378_18:
	s_or_b32 exec_lo, exec_lo, s1
	s_and_saveexec_b32 s1, s3
	s_cbranch_execz .LBB378_20
.LBB378_19:
	s_waitcnt lgkmcnt(0)
	v_div_scale_f64 v[6:7], null, v[4:5], v[4:5], 1.0
	v_rcp_f64_e32 v[8:9], v[6:7]
	v_fma_f64 v[11:12], -v[6:7], v[8:9], 1.0
	v_fma_f64 v[8:9], v[8:9], v[11:12], v[8:9]
	v_fma_f64 v[11:12], -v[6:7], v[8:9], 1.0
	v_fma_f64 v[8:9], v[8:9], v[11:12], v[8:9]
	v_div_scale_f64 v[11:12], vcc_lo, 1.0, v[4:5], 1.0
	v_mul_f64 v[13:14], v[11:12], v[8:9]
	v_fma_f64 v[6:7], -v[6:7], v[13:14], v[11:12]
	v_div_fmas_f64 v[6:7], v[6:7], v[8:9], v[13:14]
	v_div_fixup_f64 v[4:5], v[6:7], v[4:5], 1.0
	v_mov_b32_e32 v6, 0
	ds_write_b64 v6, v[4:5]
.LBB378_20:
	s_or_b32 exec_lo, exec_lo, s1
	s_waitcnt lgkmcnt(0)
	s_barrier
	buffer_gl0_inv
	s_and_saveexec_b32 s1, s0
	s_cbranch_execz .LBB378_23
; %bb.21:
	v_mov_b32_e32 v4, 0
	s_and_b32 s1, s16, 0xffff
	s_add_u32 s2, s10, 8
	s_addc_u32 s3, s11, 0
	s_add_i32 s7, s15, s14
	ds_read_b64 v[4:5], v4
	s_lshl_b64 s[4:5], s[6:7], 3
	v_add_co_u32 v6, s0, s4, v10
	v_add_co_ci_u32_e64 v7, null, s5, 0, s0
	s_mov_b32 s4, 0
	s_lshl_b32 s5, s1, 4
	s_inst_prefetch 0x1
	.p2align	6
.LBB378_22:                             ; =>This Inner Loop Header: Depth=1
	v_add_co_u32 v8, vcc_lo, s2, v6
	v_add_co_ci_u32_e64 v9, null, s3, v7, vcc_lo
	v_add_co_u32 v0, vcc_lo, v0, s1
	v_add_co_ci_u32_e64 v1, null, 0, v1, vcc_lo
	global_load_dwordx4 v[8:11], v[8:9], off offset:-8
	v_add_co_u32 v14, vcc_lo, s8, v6
	v_lshlrev_b64 v[12:13], 1, v[0:1]
	v_add_co_ci_u32_e64 v15, null, s9, v7, vcc_lo
	v_add_co_u32 v6, s0, v6, s5
	v_add_co_ci_u32_e64 v7, null, 0, v7, s0
	v_cmp_le_i64_e32 vcc_lo, s[12:13], v[12:13]
	s_or_b32 s4, vcc_lo, s4
	s_waitcnt vmcnt(0)
	v_add_f64 v[8:9], v[8:9], -v[2:3]
	v_add_f64 v[10:11], v[10:11], -v[2:3]
	v_cvt_f32_f64_e32 v8, v[8:9]
	v_cvt_f32_f64_e32 v9, v[10:11]
	v_mul_f32_e32 v8, 0x3fb8aa3b, v8
	v_mul_f32_e32 v9, 0x3fb8aa3b, v9
	v_exp_f32_e32 v8, v8
	v_exp_f32_e32 v10, v9
	v_cvt_f64_f32_e32 v[8:9], v8
	v_cvt_f64_f32_e32 v[10:11], v10
	s_waitcnt lgkmcnt(0)
	v_mul_f64 v[8:9], v[4:5], v[8:9]
	v_mul_f64 v[10:11], v[4:5], v[10:11]
	global_store_dwordx4 v[14:15], v[8:11], off
	s_andn2_b32 exec_lo, exec_lo, s4
	s_cbranch_execnz .LBB378_22
.LBB378_23:
	s_inst_prefetch 0x2
	s_endpgm
.LBB378_24:
	ds_read_b64 v[2:3], v17
	s_or_b32 exec_lo, exec_lo, s2
	v_cmp_gt_u32_e64 s2, 32, v0
	s_and_saveexec_b32 s4, s2
	s_cbranch_execz .LBB378_8
.LBB378_25:
	s_waitcnt lgkmcnt(0)
	ds_bpermute_b32 v6, v11, v3
	ds_bpermute_b32 v4, v11, v2
	s_waitcnt lgkmcnt(1)
	v_mov_b32_e32 v5, v6
	s_waitcnt lgkmcnt(0)
	v_cmp_lt_f64_e64 s3, v[2:3], v[4:5]
	v_cndmask_b32_e64 v3, v3, v6, s3
	v_cndmask_b32_e64 v2, v2, v4, s3
	ds_bpermute_b32 v6, v12, v3
	ds_bpermute_b32 v4, v12, v2
	s_waitcnt lgkmcnt(1)
	v_mov_b32_e32 v5, v6
	s_waitcnt lgkmcnt(0)
	v_cmp_lt_f64_e64 s3, v[2:3], v[4:5]
	v_cndmask_b32_e64 v3, v3, v6, s3
	v_cndmask_b32_e64 v2, v2, v4, s3
	;; [unrolled: 8-line block ×5, first 2 shown]
	s_or_b32 exec_lo, exec_lo, s4
	v_cmp_eq_u32_e64 s3, 0, v0
	s_and_saveexec_b32 s4, s3
	s_cbranch_execnz .LBB378_9
	s_branch .LBB378_10
.LBB378_26:
	ds_read_b64 v[4:5], v17
	s_or_b32 exec_lo, exec_lo, s4
	s_and_saveexec_b32 s1, s2
	s_cbranch_execz .LBB378_18
.LBB378_27:
	s_waitcnt lgkmcnt(0)
	ds_bpermute_b32 v6, v11, v4
	ds_bpermute_b32 v7, v11, v5
	s_waitcnt lgkmcnt(0)
	v_add_f64 v[4:5], v[4:5], v[6:7]
	ds_bpermute_b32 v6, v12, v4
	ds_bpermute_b32 v7, v12, v5
	s_waitcnt lgkmcnt(0)
	v_add_f64 v[4:5], v[4:5], v[6:7]
	;; [unrolled: 4-line block ×5, first 2 shown]
	s_or_b32 exec_lo, exec_lo, s1
	s_and_saveexec_b32 s1, s3
	s_cbranch_execnz .LBB378_19
	s_branch .LBB378_20
	.section	.rodata,"a",@progbits
	.p2align	6, 0x0
	.amdhsa_kernel _ZN2at6native12_GLOBAL__N_123cunn_SoftMaxForwardGmemILi2EdddNS1_29SoftMaxForwardWithMulEpilogueElEEvPT2_PKT0_T4_
		.amdhsa_group_segment_fixed_size 0
		.amdhsa_private_segment_fixed_size 0
		.amdhsa_kernarg_size 280
		.amdhsa_user_sgpr_count 6
		.amdhsa_user_sgpr_private_segment_buffer 1
		.amdhsa_user_sgpr_dispatch_ptr 0
		.amdhsa_user_sgpr_queue_ptr 0
		.amdhsa_user_sgpr_kernarg_segment_ptr 1
		.amdhsa_user_sgpr_dispatch_id 0
		.amdhsa_user_sgpr_flat_scratch_init 0
		.amdhsa_user_sgpr_private_segment_size 0
		.amdhsa_wavefront_size32 1
		.amdhsa_uses_dynamic_stack 0
		.amdhsa_system_sgpr_private_segment_wavefront_offset 0
		.amdhsa_system_sgpr_workgroup_id_x 1
		.amdhsa_system_sgpr_workgroup_id_y 0
		.amdhsa_system_sgpr_workgroup_id_z 0
		.amdhsa_system_sgpr_workgroup_info 0
		.amdhsa_system_vgpr_workitem_id 0
		.amdhsa_next_free_vgpr 22
		.amdhsa_next_free_sgpr 20
		.amdhsa_reserve_vcc 1
		.amdhsa_reserve_flat_scratch 0
		.amdhsa_float_round_mode_32 0
		.amdhsa_float_round_mode_16_64 0
		.amdhsa_float_denorm_mode_32 3
		.amdhsa_float_denorm_mode_16_64 3
		.amdhsa_dx10_clamp 1
		.amdhsa_ieee_mode 1
		.amdhsa_fp16_overflow 0
		.amdhsa_workgroup_processor_mode 1
		.amdhsa_memory_ordered 1
		.amdhsa_forward_progress 1
		.amdhsa_shared_vgpr_count 0
		.amdhsa_exception_fp_ieee_invalid_op 0
		.amdhsa_exception_fp_denorm_src 0
		.amdhsa_exception_fp_ieee_div_zero 0
		.amdhsa_exception_fp_ieee_overflow 0
		.amdhsa_exception_fp_ieee_underflow 0
		.amdhsa_exception_fp_ieee_inexact 0
		.amdhsa_exception_int_div_zero 0
	.end_amdhsa_kernel
	.section	.text._ZN2at6native12_GLOBAL__N_123cunn_SoftMaxForwardGmemILi2EdddNS1_29SoftMaxForwardWithMulEpilogueElEEvPT2_PKT0_T4_,"axG",@progbits,_ZN2at6native12_GLOBAL__N_123cunn_SoftMaxForwardGmemILi2EdddNS1_29SoftMaxForwardWithMulEpilogueElEEvPT2_PKT0_T4_,comdat
.Lfunc_end378:
	.size	_ZN2at6native12_GLOBAL__N_123cunn_SoftMaxForwardGmemILi2EdddNS1_29SoftMaxForwardWithMulEpilogueElEEvPT2_PKT0_T4_, .Lfunc_end378-_ZN2at6native12_GLOBAL__N_123cunn_SoftMaxForwardGmemILi2EdddNS1_29SoftMaxForwardWithMulEpilogueElEEvPT2_PKT0_T4_
                                        ; -- End function
	.set _ZN2at6native12_GLOBAL__N_123cunn_SoftMaxForwardGmemILi2EdddNS1_29SoftMaxForwardWithMulEpilogueElEEvPT2_PKT0_T4_.num_vgpr, 22
	.set _ZN2at6native12_GLOBAL__N_123cunn_SoftMaxForwardGmemILi2EdddNS1_29SoftMaxForwardWithMulEpilogueElEEvPT2_PKT0_T4_.num_agpr, 0
	.set _ZN2at6native12_GLOBAL__N_123cunn_SoftMaxForwardGmemILi2EdddNS1_29SoftMaxForwardWithMulEpilogueElEEvPT2_PKT0_T4_.numbered_sgpr, 20
	.set _ZN2at6native12_GLOBAL__N_123cunn_SoftMaxForwardGmemILi2EdddNS1_29SoftMaxForwardWithMulEpilogueElEEvPT2_PKT0_T4_.num_named_barrier, 0
	.set _ZN2at6native12_GLOBAL__N_123cunn_SoftMaxForwardGmemILi2EdddNS1_29SoftMaxForwardWithMulEpilogueElEEvPT2_PKT0_T4_.private_seg_size, 0
	.set _ZN2at6native12_GLOBAL__N_123cunn_SoftMaxForwardGmemILi2EdddNS1_29SoftMaxForwardWithMulEpilogueElEEvPT2_PKT0_T4_.uses_vcc, 1
	.set _ZN2at6native12_GLOBAL__N_123cunn_SoftMaxForwardGmemILi2EdddNS1_29SoftMaxForwardWithMulEpilogueElEEvPT2_PKT0_T4_.uses_flat_scratch, 0
	.set _ZN2at6native12_GLOBAL__N_123cunn_SoftMaxForwardGmemILi2EdddNS1_29SoftMaxForwardWithMulEpilogueElEEvPT2_PKT0_T4_.has_dyn_sized_stack, 0
	.set _ZN2at6native12_GLOBAL__N_123cunn_SoftMaxForwardGmemILi2EdddNS1_29SoftMaxForwardWithMulEpilogueElEEvPT2_PKT0_T4_.has_recursion, 0
	.set _ZN2at6native12_GLOBAL__N_123cunn_SoftMaxForwardGmemILi2EdddNS1_29SoftMaxForwardWithMulEpilogueElEEvPT2_PKT0_T4_.has_indirect_call, 0
	.section	.AMDGPU.csdata,"",@progbits
; Kernel info:
; codeLenInByte = 2288
; TotalNumSgprs: 22
; NumVgprs: 22
; ScratchSize: 0
; MemoryBound: 0
; FloatMode: 240
; IeeeMode: 1
; LDSByteSize: 0 bytes/workgroup (compile time only)
; SGPRBlocks: 0
; VGPRBlocks: 2
; NumSGPRsForWavesPerEU: 22
; NumVGPRsForWavesPerEU: 22
; Occupancy: 16
; WaveLimiterHint : 0
; COMPUTE_PGM_RSRC2:SCRATCH_EN: 0
; COMPUTE_PGM_RSRC2:USER_SGPR: 6
; COMPUTE_PGM_RSRC2:TRAP_HANDLER: 0
; COMPUTE_PGM_RSRC2:TGID_X_EN: 1
; COMPUTE_PGM_RSRC2:TGID_Y_EN: 0
; COMPUTE_PGM_RSRC2:TGID_Z_EN: 0
; COMPUTE_PGM_RSRC2:TIDIG_COMP_CNT: 0
	.section	.text._ZN2at6native12_GLOBAL__N_123cunn_SoftMaxForwardFastILi2EdddNS1_29SoftMaxForwardWithMulEpilogueEEEvPT2_PKT0_i,"axG",@progbits,_ZN2at6native12_GLOBAL__N_123cunn_SoftMaxForwardFastILi2EdddNS1_29SoftMaxForwardWithMulEpilogueEEEvPT2_PKT0_i,comdat
	.globl	_ZN2at6native12_GLOBAL__N_123cunn_SoftMaxForwardFastILi2EdddNS1_29SoftMaxForwardWithMulEpilogueEEEvPT2_PKT0_i ; -- Begin function _ZN2at6native12_GLOBAL__N_123cunn_SoftMaxForwardFastILi2EdddNS1_29SoftMaxForwardWithMulEpilogueEEEvPT2_PKT0_i
	.p2align	8
	.type	_ZN2at6native12_GLOBAL__N_123cunn_SoftMaxForwardFastILi2EdddNS1_29SoftMaxForwardWithMulEpilogueEEEvPT2_PKT0_i,@function
_ZN2at6native12_GLOBAL__N_123cunn_SoftMaxForwardFastILi2EdddNS1_29SoftMaxForwardWithMulEpilogueEEEvPT2_PKT0_i: ; @_ZN2at6native12_GLOBAL__N_123cunn_SoftMaxForwardFastILi2EdddNS1_29SoftMaxForwardWithMulEpilogueEEEvPT2_PKT0_i
; %bb.0:
	s_clause 0x1
	s_load_dword s7, s[4:5], 0x10
	s_load_dwordx4 s[8:11], s[4:5], 0x0
	s_waitcnt lgkmcnt(0)
	s_ashr_i32 s0, s7, 31
	s_mul_hi_u32 s1, s7, s6
	s_mul_i32 s2, s0, s6
	s_mul_i32 s0, s7, s6
	s_add_i32 s1, s1, s2
	s_lshl_b64 s[12:13], s[0:1], 3
	v_cmp_ge_i32_e64 s0, s7, v0
	s_add_u32 s10, s10, s12
	s_addc_u32 s11, s11, s13
	s_bitcmp1_b32 s10, 3
	s_cselect_b32 s14, -1, 0
	s_add_u32 s2, s4, 24
	s_addc_u32 s3, s5, 0
	s_and_b32 vcc_lo, exec_lo, s14
	s_cbranch_vccz .LBB379_4
; %bb.1:
	v_cmp_ne_u32_e32 vcc_lo, 0, v0
	v_mov_b32_e32 v1, -1
	v_mov_b32_e32 v2, 0xffefffff
	s_mov_b32 s2, -1
	s_mov_b32 s16, 0
	s_mov_b32 s3, 0xffefffff
	s_and_b32 s1, vcc_lo, s0
	s_and_saveexec_b32 s0, s1
	s_cbranch_execz .LBB379_3
; %bb.2:
	v_lshlrev_b32_e32 v1, 3, v0
	global_load_dwordx2 v[1:2], v1, s[10:11] offset:-8
	s_waitcnt vmcnt(0)
	v_max_f64 v[1:2], v[1:2], v[1:2]
	v_max_f64 v[1:2], v[1:2], s[2:3]
.LBB379_3:
	s_or_b32 exec_lo, exec_lo, s0
	s_load_dword s0, s[4:5], 0x24
	s_add_i32 s1, s7, 1
	s_add_u32 s2, s4, 24
	s_addc_u32 s3, s5, 0
	s_waitcnt lgkmcnt(0)
	s_and_b32 s0, s0, 0xffff
	v_sub_nc_u32_e64 v3, s1, s0 clamp
	s_lshl_b32 s0, s0, 3
	s_add_u32 s0, s10, s0
	s_addc_u32 s1, s11, 0
	s_add_u32 s0, s0, -8
	v_readfirstlane_b32 s15, v3
	s_addc_u32 s1, s1, -1
	s_and_b32 vcc_lo, exec_lo, s16
	s_cbranch_vccnz .LBB379_5
	s_branch .LBB379_6
.LBB379_4:
                                        ; implicit-def: $sgpr0_sgpr1
                                        ; implicit-def: $sgpr15
                                        ; implicit-def: $vgpr1_vgpr2
	s_cbranch_execz .LBB379_6
.LBB379_5:
	v_mov_b32_e32 v1, -1
	v_mov_b32_e32 v2, 0xffefffff
	s_mov_b32 s15, s7
	s_mov_b64 s[0:1], s[10:11]
.LBB379_6:
	s_load_dword s16, s[2:3], 0x0
	v_mov_b32_e32 v3, 0
	v_lshlrev_b32_e32 v6, 1, v0
	s_waitcnt lgkmcnt(0)
	s_cmp_lt_u32 s6, s16
	s_cselect_b32 s16, 12, 18
	s_add_u32 s2, s2, s16
	s_addc_u32 s3, s3, 0
	global_load_ushort v5, v3, s[2:3]
	s_waitcnt vmcnt(0)
	v_readfirstlane_b32 s2, v5
	s_lshl_b32 s2, s2, 1
	v_cvt_f32_u32_e32 v3, s2
	s_sub_i32 s16, 0, s2
	v_rcp_iflag_f32_e32 v3, v3
	v_mul_f32_e32 v3, 0x4f7ffffe, v3
	v_cvt_u32_f32_e32 v3, v3
	v_readfirstlane_b32 s3, v3
	s_mul_i32 s16, s16, s3
	s_mul_hi_u32 s16, s3, s16
	s_add_i32 s3, s3, s16
	s_mul_hi_u32 s3, s15, s3
	s_mul_i32 s3, s3, s2
	s_sub_i32 s3, s15, s3
	s_sub_i32 s16, s3, s2
	s_cmp_ge_u32 s3, s2
	s_cselect_b32 s3, s16, s3
	s_sub_i32 s16, s3, s2
	s_cmp_ge_u32 s3, s2
	s_cselect_b32 s2, s16, s3
	s_mov_b32 s16, 0
	s_sub_i32 s2, s15, s2
	s_mov_b32 s3, exec_lo
	v_cmpx_gt_i32_e64 s2, v6
	s_cbranch_execz .LBB379_10
; %bb.7:
	v_mov_b32_e32 v3, v0
	.p2align	6
.LBB379_8:                              ; =>This Inner Loop Header: Depth=1
	v_ashrrev_i32_e32 v4, 31, v3
	v_max_f64 v[1:2], v[1:2], v[1:2]
	v_lshlrev_b64 v[7:8], 4, v[3:4]
	v_add_nc_u32_e32 v3, v3, v5
	v_lshlrev_b32_e32 v4, 1, v3
	v_add_co_u32 v7, vcc_lo, s0, v7
	v_add_co_ci_u32_e64 v8, null, s1, v8, vcc_lo
	v_cmp_le_i32_e32 vcc_lo, s2, v4
	global_load_dwordx4 v[7:10], v[7:8], off
	s_or_b32 s16, vcc_lo, s16
	s_waitcnt vmcnt(0)
	v_max_f64 v[7:8], v[7:8], v[7:8]
	v_max_f64 v[9:10], v[9:10], v[9:10]
	;; [unrolled: 1-line block ×4, first 2 shown]
	s_andn2_b32 exec_lo, exec_lo, s16
	s_cbranch_execnz .LBB379_8
; %bb.9:
	s_or_b32 exec_lo, exec_lo, s16
.LBB379_10:
	s_or_b32 exec_lo, exec_lo, s3
	v_add_nc_u32_e32 v3, s2, v0
	s_mov_b32 s2, exec_lo
	v_cmpx_gt_i32_e64 s15, v3
	s_cbranch_execz .LBB379_14
; %bb.11:
	s_mov_b32 s3, 0
	.p2align	6
.LBB379_12:                             ; =>This Inner Loop Header: Depth=1
	v_ashrrev_i32_e32 v4, 31, v3
	v_max_f64 v[1:2], v[1:2], v[1:2]
	v_lshlrev_b64 v[7:8], 3, v[3:4]
	v_add_nc_u32_e32 v3, v3, v5
	v_add_co_u32 v7, vcc_lo, s0, v7
	v_add_co_ci_u32_e64 v8, null, s1, v8, vcc_lo
	v_cmp_le_i32_e32 vcc_lo, s15, v3
	global_load_dwordx2 v[7:8], v[7:8], off
	s_or_b32 s3, vcc_lo, s3
	s_waitcnt vmcnt(0)
	v_max_f64 v[7:8], v[7:8], v[7:8]
	v_max_f64 v[1:2], v[1:2], v[7:8]
	s_andn2_b32 exec_lo, exec_lo, s3
	s_cbranch_execnz .LBB379_12
; %bb.13:
	s_or_b32 exec_lo, exec_lo, s3
.LBB379_14:
	s_or_b32 exec_lo, exec_lo, s2
	v_mbcnt_lo_u32_b32 v5, -1, 0
	v_lshrrev_b32_e32 v13, 2, v0
	s_barrier
	buffer_gl0_inv
	v_lshl_or_b32 v8, v5, 2, 64
	v_cmp_gt_u32_e64 s0, 24, v5
	ds_bpermute_b32 v3, v8, v1
	ds_bpermute_b32 v4, v8, v2
	v_cndmask_b32_e64 v7, 0, 8, s0
	v_cmp_gt_u32_e64 s0, 28, v5
	v_add_lshl_u32 v9, v7, v5, 2
	v_cndmask_b32_e64 v7, 0, 4, s0
	v_cmp_gt_u32_e64 s0, 30, v5
	v_add_lshl_u32 v10, v7, v5, 2
	v_cndmask_b32_e64 v7, 0, 2, s0
	v_cmp_ne_u32_e64 s0, 31, v5
	v_add_lshl_u32 v11, v7, v5, 2
	v_add_co_ci_u32_e64 v5, null, 0, v5, s0
	s_waitcnt lgkmcnt(0)
	v_cmp_lt_f64_e32 vcc_lo, v[1:2], v[3:4]
	v_lshlrev_b32_e32 v12, 2, v5
	v_and_b32_e32 v5, 31, v0
	v_cmp_eq_u32_e64 s0, 0, v5
	v_cndmask_b32_e32 v2, v2, v4, vcc_lo
	v_cndmask_b32_e32 v1, v1, v3, vcc_lo
	ds_bpermute_b32 v4, v9, v2
	ds_bpermute_b32 v3, v9, v1
	s_waitcnt lgkmcnt(0)
	v_cmp_lt_f64_e32 vcc_lo, v[1:2], v[3:4]
	v_cndmask_b32_e32 v2, v2, v4, vcc_lo
	v_cndmask_b32_e32 v1, v1, v3, vcc_lo
	ds_bpermute_b32 v4, v10, v2
	ds_bpermute_b32 v3, v10, v1
	s_waitcnt lgkmcnt(0)
	v_cmp_lt_f64_e32 vcc_lo, v[1:2], v[3:4]
	;; [unrolled: 6-line block ×3, first 2 shown]
	v_cndmask_b32_e32 v2, v2, v4, vcc_lo
	v_cndmask_b32_e32 v1, v1, v3, vcc_lo
	ds_bpermute_b32 v7, v12, v2
	ds_bpermute_b32 v3, v12, v1
	s_and_saveexec_b32 s1, s0
	s_cbranch_execz .LBB379_16
; %bb.15:
	s_waitcnt lgkmcnt(1)
	v_mov_b32_e32 v4, v7
	s_waitcnt lgkmcnt(0)
	v_cmp_lt_f64_e32 vcc_lo, v[1:2], v[3:4]
	v_add_nc_u32_e32 v4, 0, v13
	v_cndmask_b32_e32 v2, v2, v7, vcc_lo
	v_cndmask_b32_e32 v1, v1, v3, vcc_lo
	ds_write_b64 v4, v[1:2]
.LBB379_16:
	s_or_b32 exec_lo, exec_lo, s1
	s_waitcnt lgkmcnt(0)
	s_barrier
	buffer_gl0_inv
	s_load_dword s16, s[4:5], 0x24
	s_add_u32 s4, s4, 24
	s_addc_u32 s5, s5, 0
	v_mov_b32_e32 v1, -1
	v_mov_b32_e32 v2, 0xffefffff
	v_lshl_add_u32 v14, v5, 3, 0
	s_waitcnt lgkmcnt(0)
	s_bfe_u32 s1, s16, 0xb0005
	v_cmp_gt_u32_e64 s1, s1, v0
	s_and_saveexec_b32 s2, s1
	s_cbranch_execnz .LBB379_24
; %bb.17:
	s_or_b32 exec_lo, exec_lo, s2
	v_cmp_gt_u32_e64 s2, 32, v0
	s_and_saveexec_b32 s3, s2
	s_cbranch_execnz .LBB379_25
.LBB379_18:
	s_or_b32 exec_lo, exec_lo, s3
	v_cmp_eq_u32_e64 s3, 0, v0
	s_and_saveexec_b32 s15, s3
	s_cbranch_execz .LBB379_20
.LBB379_19:
	v_mov_b32_e32 v3, 0
	s_waitcnt lgkmcnt(0)
	ds_write_b64 v3, v[1:2]
.LBB379_20:
	s_or_b32 exec_lo, exec_lo, s15
	s_waitcnt lgkmcnt(0)
	v_mov_b32_e32 v1, 0
	s_barrier
	buffer_gl0_inv
	v_mov_b32_e32 v4, 0
	ds_read_b64 v[2:3], v1
	v_mov_b32_e32 v5, 0
	s_andn2_b32 vcc_lo, exec_lo, s14
	s_cbranch_vccnz .LBB379_26
; %bb.21:
	v_cmp_ge_i32_e32 vcc_lo, s7, v0
	v_mov_b32_e32 v4, 0
	v_mov_b32_e32 v5, 0
	s_xor_b32 s14, s3, -1
	s_and_b32 s15, s14, vcc_lo
	s_and_saveexec_b32 s14, s15
	s_cbranch_execz .LBB379_23
; %bb.22:
	v_lshlrev_b32_e32 v1, 3, v0
	global_load_dwordx2 v[4:5], v1, s[10:11] offset:-8
	s_waitcnt vmcnt(0) lgkmcnt(0)
	v_add_f64 v[4:5], v[4:5], -v[2:3]
	v_cvt_f32_f64_e32 v1, v[4:5]
	v_mul_f32_e32 v1, 0x3fb8aa3b, v1
	v_exp_f32_e32 v1, v1
	v_cvt_f64_f32_e32 v[4:5], v1
	v_add_f64 v[4:5], v[4:5], 0
.LBB379_23:
	s_or_b32 exec_lo, exec_lo, s14
	s_add_i32 s14, s7, 1
	s_and_b32 s15, 0xffff, s16
	v_sub_nc_u32_e64 v1, s14, s15 clamp
	s_lshl_b32 s14, s15, 3
	s_add_u32 s14, s10, s14
	s_addc_u32 s15, s11, 0
	v_readfirstlane_b32 s17, v1
	s_add_u32 s14, s14, -8
	s_addc_u32 s15, s15, -1
	s_branch .LBB379_27
.LBB379_24:
	ds_read_b64 v[1:2], v14
	s_or_b32 exec_lo, exec_lo, s2
	v_cmp_gt_u32_e64 s2, 32, v0
	s_and_saveexec_b32 s3, s2
	s_cbranch_execz .LBB379_18
.LBB379_25:
	s_waitcnt lgkmcnt(0)
	ds_bpermute_b32 v5, v8, v2
	ds_bpermute_b32 v3, v8, v1
	s_waitcnt lgkmcnt(1)
	v_mov_b32_e32 v4, v5
	s_waitcnt lgkmcnt(0)
	v_cmp_lt_f64_e32 vcc_lo, v[1:2], v[3:4]
	v_cndmask_b32_e32 v2, v2, v5, vcc_lo
	v_cndmask_b32_e32 v1, v1, v3, vcc_lo
	ds_bpermute_b32 v5, v9, v2
	ds_bpermute_b32 v3, v9, v1
	s_waitcnt lgkmcnt(1)
	v_mov_b32_e32 v4, v5
	s_waitcnt lgkmcnt(0)
	v_cmp_lt_f64_e32 vcc_lo, v[1:2], v[3:4]
	v_cndmask_b32_e32 v2, v2, v5, vcc_lo
	v_cndmask_b32_e32 v1, v1, v3, vcc_lo
	;; [unrolled: 8-line block ×5, first 2 shown]
	s_or_b32 exec_lo, exec_lo, s3
	v_cmp_eq_u32_e64 s3, 0, v0
	s_and_saveexec_b32 s15, s3
	s_cbranch_execnz .LBB379_19
	s_branch .LBB379_20
.LBB379_26:
	s_mov_b64 s[14:15], s[10:11]
	s_mov_b32 s17, s7
.LBB379_27:
	s_load_dword s18, s[4:5], 0x0
	v_mov_b32_e32 v1, 0
	s_waitcnt lgkmcnt(0)
	s_cmp_lt_u32 s6, s18
	s_cselect_b32 s6, 12, 18
	s_add_u32 s4, s4, s6
	s_addc_u32 s5, s5, 0
	global_load_ushort v1, v1, s[4:5]
	s_waitcnt vmcnt(0)
	v_readfirstlane_b32 s4, v1
	s_lshl_b32 s4, s4, 1
	v_cvt_f32_u32_e32 v7, s4
	s_sub_i32 s6, 0, s4
	v_rcp_iflag_f32_e32 v7, v7
	v_mul_f32_e32 v7, 0x4f7ffffe, v7
	v_cvt_u32_f32_e32 v7, v7
	v_readfirstlane_b32 s5, v7
	s_mul_i32 s6, s6, s5
	s_mul_hi_u32 s6, s5, s6
	s_add_i32 s5, s5, s6
	s_mul_hi_u32 s5, s17, s5
	s_mul_i32 s5, s5, s4
	s_sub_i32 s5, s17, s5
	s_sub_i32 s6, s5, s4
	s_cmp_ge_u32 s5, s4
	s_cselect_b32 s5, s6, s5
	s_sub_i32 s6, s5, s4
	s_cmp_ge_u32 s5, s4
	s_cselect_b32 s4, s6, s5
	s_mov_b32 s6, 0
	s_sub_i32 s4, s17, s4
	s_mov_b32 s5, exec_lo
	v_cmpx_gt_i32_e64 s4, v6
	s_cbranch_execz .LBB379_31
; %bb.28:
	v_mov_b32_e32 v6, v0
	s_inst_prefetch 0x1
	.p2align	6
.LBB379_29:                             ; =>This Inner Loop Header: Depth=1
	v_ashrrev_i32_e32 v7, 31, v6
	v_lshlrev_b64 v[15:16], 4, v[6:7]
	v_add_nc_u32_e32 v6, v6, v1
	v_add_co_u32 v15, vcc_lo, s14, v15
	v_add_co_ci_u32_e64 v16, null, s15, v16, vcc_lo
	global_load_dwordx4 v[15:18], v[15:16], off
	s_waitcnt vmcnt(0)
	v_add_f64 v[15:16], v[15:16], -v[2:3]
	v_add_f64 v[17:18], v[17:18], -v[2:3]
	v_cvt_f32_f64_e32 v7, v[15:16]
	v_cvt_f32_f64_e32 v17, v[17:18]
	v_mul_f32_e32 v7, 0x3fb8aa3b, v7
	v_exp_f32_e32 v7, v7
	v_cvt_f64_f32_e32 v[15:16], v7
	v_mul_f32_e32 v7, 0x3fb8aa3b, v17
	v_exp_f32_e32 v7, v7
	v_cvt_f64_f32_e32 v[17:18], v7
	v_lshlrev_b32_e32 v7, 1, v6
	v_cmp_le_i32_e32 vcc_lo, s4, v7
	v_add_f64 v[4:5], v[4:5], v[15:16]
	s_or_b32 s6, vcc_lo, s6
	v_add_f64 v[4:5], v[4:5], v[17:18]
	s_andn2_b32 exec_lo, exec_lo, s6
	s_cbranch_execnz .LBB379_29
; %bb.30:
	s_inst_prefetch 0x2
	s_or_b32 exec_lo, exec_lo, s6
.LBB379_31:
	s_or_b32 exec_lo, exec_lo, s5
	v_add_nc_u32_e32 v6, s4, v0
	s_mov_b32 s4, exec_lo
	v_cmpx_gt_i32_e64 s17, v6
	s_cbranch_execz .LBB379_35
; %bb.32:
	s_mov_b32 s5, 0
	.p2align	6
.LBB379_33:                             ; =>This Inner Loop Header: Depth=1
	v_ashrrev_i32_e32 v7, 31, v6
	v_lshlrev_b64 v[15:16], 3, v[6:7]
	v_add_nc_u32_e32 v6, v6, v1
	v_add_co_u32 v15, vcc_lo, s14, v15
	v_add_co_ci_u32_e64 v16, null, s15, v16, vcc_lo
	v_cmp_le_i32_e32 vcc_lo, s17, v6
	global_load_dwordx2 v[15:16], v[15:16], off
	s_or_b32 s5, vcc_lo, s5
	s_waitcnt vmcnt(0)
	v_add_f64 v[15:16], v[15:16], -v[2:3]
	v_cvt_f32_f64_e32 v7, v[15:16]
	v_mul_f32_e32 v7, 0x3fb8aa3b, v7
	v_exp_f32_e32 v7, v7
	v_cvt_f64_f32_e32 v[15:16], v7
	v_add_f64 v[4:5], v[4:5], v[15:16]
	s_andn2_b32 exec_lo, exec_lo, s5
	s_cbranch_execnz .LBB379_33
; %bb.34:
	s_or_b32 exec_lo, exec_lo, s5
.LBB379_35:
	s_or_b32 exec_lo, exec_lo, s4
	ds_bpermute_b32 v6, v8, v4
	ds_bpermute_b32 v7, v8, v5
	s_waitcnt lgkmcnt(0)
	s_barrier
	buffer_gl0_inv
	v_add_f64 v[4:5], v[4:5], v[6:7]
	ds_bpermute_b32 v6, v9, v4
	ds_bpermute_b32 v7, v9, v5
	s_waitcnt lgkmcnt(0)
	v_add_f64 v[4:5], v[4:5], v[6:7]
	ds_bpermute_b32 v6, v10, v4
	ds_bpermute_b32 v7, v10, v5
	s_waitcnt lgkmcnt(0)
	;; [unrolled: 4-line block ×3, first 2 shown]
	v_add_f64 v[4:5], v[4:5], v[6:7]
	ds_bpermute_b32 v6, v12, v4
	ds_bpermute_b32 v7, v12, v5
	s_and_saveexec_b32 s4, s0
	s_cbranch_execz .LBB379_37
; %bb.36:
	s_waitcnt lgkmcnt(0)
	v_add_f64 v[4:5], v[4:5], v[6:7]
	v_add_nc_u32_e32 v1, 0, v13
	ds_write_b64 v1, v[4:5]
.LBB379_37:
	s_or_b32 exec_lo, exec_lo, s4
	v_mov_b32_e32 v4, 0
	v_mov_b32_e32 v5, 0
	s_waitcnt lgkmcnt(0)
	s_barrier
	buffer_gl0_inv
	s_and_saveexec_b32 s0, s1
	s_cbranch_execnz .LBB379_45
; %bb.38:
	s_or_b32 exec_lo, exec_lo, s0
	s_and_saveexec_b32 s0, s2
	s_cbranch_execnz .LBB379_46
.LBB379_39:
	s_or_b32 exec_lo, exec_lo, s0
	s_and_saveexec_b32 s0, s3
	s_cbranch_execz .LBB379_41
.LBB379_40:
	s_waitcnt lgkmcnt(0)
	v_div_scale_f64 v[6:7], null, v[4:5], v[4:5], 1.0
	v_mov_b32_e32 v1, 0
	v_rcp_f64_e32 v[8:9], v[6:7]
	v_fma_f64 v[10:11], -v[6:7], v[8:9], 1.0
	v_fma_f64 v[8:9], v[8:9], v[10:11], v[8:9]
	v_fma_f64 v[10:11], -v[6:7], v[8:9], 1.0
	v_fma_f64 v[8:9], v[8:9], v[10:11], v[8:9]
	v_div_scale_f64 v[10:11], vcc_lo, 1.0, v[4:5], 1.0
	v_mul_f64 v[12:13], v[10:11], v[8:9]
	v_fma_f64 v[6:7], -v[6:7], v[12:13], v[10:11]
	v_div_fmas_f64 v[6:7], v[6:7], v[8:9], v[12:13]
	v_div_fixup_f64 v[4:5], v[6:7], v[4:5], 1.0
	ds_write_b64 v1, v[4:5]
.LBB379_41:
	s_or_b32 exec_lo, exec_lo, s0
	s_waitcnt lgkmcnt(0)
	s_barrier
	buffer_gl0_inv
	s_mov_b32 s0, exec_lo
	v_cmpx_gt_i32_e64 s7, v0
	s_cbranch_execz .LBB379_44
; %bb.42:
	v_mov_b32_e32 v1, 0
	s_and_b32 s2, 0xffff, s16
	s_add_u32 s3, s8, s12
	s_mov_b32 s1, 0
	s_addc_u32 s4, s9, s13
	ds_read_b64 v[4:5], v1
	.p2align	6
.LBB379_43:                             ; =>This Inner Loop Header: Depth=1
	v_ashrrev_i32_e32 v1, 31, v0
	v_lshlrev_b64 v[6:7], 3, v[0:1]
	v_add_nc_u32_e32 v0, s2, v0
	v_add_co_u32 v8, vcc_lo, s10, v6
	v_add_co_ci_u32_e64 v9, null, s11, v7, vcc_lo
	v_cmp_le_i32_e32 vcc_lo, s7, v0
	v_add_co_u32 v6, s0, s3, v6
	global_load_dwordx2 v[8:9], v[8:9], off
	v_add_co_ci_u32_e64 v7, null, s4, v7, s0
	s_or_b32 s1, vcc_lo, s1
	s_waitcnt vmcnt(0)
	v_add_f64 v[8:9], v[8:9], -v[2:3]
	v_cvt_f32_f64_e32 v1, v[8:9]
	v_mul_f32_e32 v1, 0x3fb8aa3b, v1
	v_exp_f32_e32 v1, v1
	v_cvt_f64_f32_e32 v[8:9], v1
	s_waitcnt lgkmcnt(0)
	v_mul_f64 v[8:9], v[4:5], v[8:9]
	global_store_dwordx2 v[6:7], v[8:9], off
	s_andn2_b32 exec_lo, exec_lo, s1
	s_cbranch_execnz .LBB379_43
.LBB379_44:
	s_endpgm
.LBB379_45:
	ds_read_b64 v[4:5], v14
	s_or_b32 exec_lo, exec_lo, s0
	s_and_saveexec_b32 s0, s2
	s_cbranch_execz .LBB379_39
.LBB379_46:
	s_waitcnt lgkmcnt(0)
	ds_bpermute_b32 v6, v8, v4
	ds_bpermute_b32 v7, v8, v5
	s_waitcnt lgkmcnt(0)
	v_add_f64 v[4:5], v[4:5], v[6:7]
	ds_bpermute_b32 v6, v9, v4
	ds_bpermute_b32 v7, v9, v5
	s_waitcnt lgkmcnt(0)
	v_add_f64 v[4:5], v[4:5], v[6:7]
	;; [unrolled: 4-line block ×5, first 2 shown]
	s_or_b32 exec_lo, exec_lo, s0
	s_and_saveexec_b32 s0, s3
	s_cbranch_execnz .LBB379_40
	s_branch .LBB379_41
	.section	.rodata,"a",@progbits
	.p2align	6, 0x0
	.amdhsa_kernel _ZN2at6native12_GLOBAL__N_123cunn_SoftMaxForwardFastILi2EdddNS1_29SoftMaxForwardWithMulEpilogueEEEvPT2_PKT0_i
		.amdhsa_group_segment_fixed_size 0
		.amdhsa_private_segment_fixed_size 0
		.amdhsa_kernarg_size 280
		.amdhsa_user_sgpr_count 6
		.amdhsa_user_sgpr_private_segment_buffer 1
		.amdhsa_user_sgpr_dispatch_ptr 0
		.amdhsa_user_sgpr_queue_ptr 0
		.amdhsa_user_sgpr_kernarg_segment_ptr 1
		.amdhsa_user_sgpr_dispatch_id 0
		.amdhsa_user_sgpr_flat_scratch_init 0
		.amdhsa_user_sgpr_private_segment_size 0
		.amdhsa_wavefront_size32 1
		.amdhsa_uses_dynamic_stack 0
		.amdhsa_system_sgpr_private_segment_wavefront_offset 0
		.amdhsa_system_sgpr_workgroup_id_x 1
		.amdhsa_system_sgpr_workgroup_id_y 0
		.amdhsa_system_sgpr_workgroup_id_z 0
		.amdhsa_system_sgpr_workgroup_info 0
		.amdhsa_system_vgpr_workitem_id 0
		.amdhsa_next_free_vgpr 19
		.amdhsa_next_free_sgpr 19
		.amdhsa_reserve_vcc 1
		.amdhsa_reserve_flat_scratch 0
		.amdhsa_float_round_mode_32 0
		.amdhsa_float_round_mode_16_64 0
		.amdhsa_float_denorm_mode_32 3
		.amdhsa_float_denorm_mode_16_64 3
		.amdhsa_dx10_clamp 1
		.amdhsa_ieee_mode 1
		.amdhsa_fp16_overflow 0
		.amdhsa_workgroup_processor_mode 1
		.amdhsa_memory_ordered 1
		.amdhsa_forward_progress 1
		.amdhsa_shared_vgpr_count 0
		.amdhsa_exception_fp_ieee_invalid_op 0
		.amdhsa_exception_fp_denorm_src 0
		.amdhsa_exception_fp_ieee_div_zero 0
		.amdhsa_exception_fp_ieee_overflow 0
		.amdhsa_exception_fp_ieee_underflow 0
		.amdhsa_exception_fp_ieee_inexact 0
		.amdhsa_exception_int_div_zero 0
	.end_amdhsa_kernel
	.section	.text._ZN2at6native12_GLOBAL__N_123cunn_SoftMaxForwardFastILi2EdddNS1_29SoftMaxForwardWithMulEpilogueEEEvPT2_PKT0_i,"axG",@progbits,_ZN2at6native12_GLOBAL__N_123cunn_SoftMaxForwardFastILi2EdddNS1_29SoftMaxForwardWithMulEpilogueEEEvPT2_PKT0_i,comdat
.Lfunc_end379:
	.size	_ZN2at6native12_GLOBAL__N_123cunn_SoftMaxForwardFastILi2EdddNS1_29SoftMaxForwardWithMulEpilogueEEEvPT2_PKT0_i, .Lfunc_end379-_ZN2at6native12_GLOBAL__N_123cunn_SoftMaxForwardFastILi2EdddNS1_29SoftMaxForwardWithMulEpilogueEEEvPT2_PKT0_i
                                        ; -- End function
	.set _ZN2at6native12_GLOBAL__N_123cunn_SoftMaxForwardFastILi2EdddNS1_29SoftMaxForwardWithMulEpilogueEEEvPT2_PKT0_i.num_vgpr, 19
	.set _ZN2at6native12_GLOBAL__N_123cunn_SoftMaxForwardFastILi2EdddNS1_29SoftMaxForwardWithMulEpilogueEEEvPT2_PKT0_i.num_agpr, 0
	.set _ZN2at6native12_GLOBAL__N_123cunn_SoftMaxForwardFastILi2EdddNS1_29SoftMaxForwardWithMulEpilogueEEEvPT2_PKT0_i.numbered_sgpr, 19
	.set _ZN2at6native12_GLOBAL__N_123cunn_SoftMaxForwardFastILi2EdddNS1_29SoftMaxForwardWithMulEpilogueEEEvPT2_PKT0_i.num_named_barrier, 0
	.set _ZN2at6native12_GLOBAL__N_123cunn_SoftMaxForwardFastILi2EdddNS1_29SoftMaxForwardWithMulEpilogueEEEvPT2_PKT0_i.private_seg_size, 0
	.set _ZN2at6native12_GLOBAL__N_123cunn_SoftMaxForwardFastILi2EdddNS1_29SoftMaxForwardWithMulEpilogueEEEvPT2_PKT0_i.uses_vcc, 1
	.set _ZN2at6native12_GLOBAL__N_123cunn_SoftMaxForwardFastILi2EdddNS1_29SoftMaxForwardWithMulEpilogueEEEvPT2_PKT0_i.uses_flat_scratch, 0
	.set _ZN2at6native12_GLOBAL__N_123cunn_SoftMaxForwardFastILi2EdddNS1_29SoftMaxForwardWithMulEpilogueEEEvPT2_PKT0_i.has_dyn_sized_stack, 0
	.set _ZN2at6native12_GLOBAL__N_123cunn_SoftMaxForwardFastILi2EdddNS1_29SoftMaxForwardWithMulEpilogueEEEvPT2_PKT0_i.has_recursion, 0
	.set _ZN2at6native12_GLOBAL__N_123cunn_SoftMaxForwardFastILi2EdddNS1_29SoftMaxForwardWithMulEpilogueEEEvPT2_PKT0_i.has_indirect_call, 0
	.section	.AMDGPU.csdata,"",@progbits
; Kernel info:
; codeLenInByte = 2868
; TotalNumSgprs: 21
; NumVgprs: 19
; ScratchSize: 0
; MemoryBound: 0
; FloatMode: 240
; IeeeMode: 1
; LDSByteSize: 0 bytes/workgroup (compile time only)
; SGPRBlocks: 0
; VGPRBlocks: 2
; NumSGPRsForWavesPerEU: 21
; NumVGPRsForWavesPerEU: 19
; Occupancy: 16
; WaveLimiterHint : 0
; COMPUTE_PGM_RSRC2:SCRATCH_EN: 0
; COMPUTE_PGM_RSRC2:USER_SGPR: 6
; COMPUTE_PGM_RSRC2:TRAP_HANDLER: 0
; COMPUTE_PGM_RSRC2:TGID_X_EN: 1
; COMPUTE_PGM_RSRC2:TGID_Y_EN: 0
; COMPUTE_PGM_RSRC2:TGID_Z_EN: 0
; COMPUTE_PGM_RSRC2:TIDIG_COMP_CNT: 0
	.section	.text._ZN12_GLOBAL__N_120softmax_warp_forwardIfffLi0ELb0ELb0ELi64EEEvPT0_PKT_iiiPKbib,"axG",@progbits,_ZN12_GLOBAL__N_120softmax_warp_forwardIfffLi0ELb0ELb0ELi64EEEvPT0_PKT_iiiPKbib,comdat
	.globl	_ZN12_GLOBAL__N_120softmax_warp_forwardIfffLi0ELb0ELb0ELi64EEEvPT0_PKT_iiiPKbib ; -- Begin function _ZN12_GLOBAL__N_120softmax_warp_forwardIfffLi0ELb0ELb0ELi64EEEvPT0_PKT_iiiPKbib
	.p2align	8
	.type	_ZN12_GLOBAL__N_120softmax_warp_forwardIfffLi0ELb0ELb0ELi64EEEvPT0_PKT_iiiPKbib,@function
_ZN12_GLOBAL__N_120softmax_warp_forwardIfffLi0ELb0ELb0ELi64EEEvPT0_PKT_iiiPKbib: ; @_ZN12_GLOBAL__N_120softmax_warp_forwardIfffLi0ELb0ELb0ELi64EEEvPT0_PKT_iiiPKbib
; %bb.0:
	s_clause 0x1
	s_load_dword s0, s[4:5], 0x3c
	s_load_dwordx8 s[8:15], s[4:5], 0x0
	v_mov_b32_e32 v6, 0xff800000
	v_mov_b32_e32 v7, 0xff800000
	s_waitcnt lgkmcnt(0)
	s_lshr_b32 s0, s0, 16
	s_and_b32 s0, s0, 0xffff
	s_mul_i32 s6, s6, s0
	v_cmp_gt_i32_e64 s0, s14, v0
	v_add_lshl_u32 v3, s6, v1, 1
	v_mad_u64_u32 v[1:2], null, v3, s13, v[0:1]
	v_sub_nc_u32_e32 v5, s12, v3
	v_cmp_lt_i32_e32 vcc_lo, 0, v5
	v_ashrrev_i32_e32 v2, 31, v1
	s_and_b32 s2, s0, vcc_lo
	v_lshlrev_b64 v[1:2], 2, v[1:2]
	v_add_co_u32 v3, s1, s10, v1
	v_add_co_ci_u32_e64 v4, null, s11, v2, s1
	s_and_saveexec_b32 s1, s2
	s_cbranch_execz .LBB380_2
; %bb.1:
	global_load_dword v7, v[3:4], off
.LBB380_2:
	s_or_b32 exec_lo, exec_lo, s1
	v_cmp_lt_i32_e64 s1, 1, v5
	s_and_b32 s1, s0, s1
	s_and_saveexec_b32 s2, s1
	s_cbranch_execz .LBB380_4
; %bb.3:
	s_mov_b32 s15, 0
	s_lshl_b64 s[4:5], s[14:15], 2
	v_add_co_u32 v3, s1, v3, s4
	v_add_co_ci_u32_e64 v4, null, s5, v4, s1
	global_load_dword v6, v[3:4], off
.LBB380_4:
	s_or_b32 exec_lo, exec_lo, s2
	s_and_saveexec_b32 s1, vcc_lo
	s_cbranch_execz .LBB380_9
; %bb.5:
	v_add_co_u32 v0, vcc_lo, s8, v1
	v_add_co_ci_u32_e64 v1, null, s9, v2, vcc_lo
	s_and_saveexec_b32 s1, s0
	s_cbranch_execz .LBB380_7
; %bb.6:
	s_waitcnt vmcnt(0)
	v_sub_f32_e32 v2, v7, v7
	v_mul_f32_e32 v3, 0x3fb8aa3b, v2
	v_cmp_ngt_f32_e32 vcc_lo, 0xc2ce8ed0, v2
	v_rndne_f32_e32 v4, v3
	v_fma_f32 v7, 0x3fb8aa3b, v2, -v3
	v_sub_f32_e32 v3, v3, v4
	v_fmamk_f32 v7, v2, 0x32a5705f, v7
	v_cvt_i32_f32_e32 v4, v4
	v_add_f32_e32 v3, v3, v7
	v_exp_f32_e32 v3, v3
	v_ldexp_f32 v3, v3, v4
	v_cndmask_b32_e32 v3, 0, v3, vcc_lo
	v_cmp_nlt_f32_e32 vcc_lo, 0x42b17218, v2
	v_cndmask_b32_e32 v2, 0x7f800000, v3, vcc_lo
	v_div_scale_f32 v3, vcc_lo, v2, v2, v2
	v_rcp_f32_e32 v4, v3
	v_fma_f32 v7, -v3, v4, 1.0
	v_fmac_f32_e32 v4, v7, v4
	v_mul_f32_e32 v7, v3, v4
	v_fma_f32 v8, -v3, v7, v3
	v_fmac_f32_e32 v7, v8, v4
	v_fma_f32 v3, -v3, v7, v3
	v_div_fmas_f32 v3, v3, v4, v7
	v_cmp_neq_f32_e32 vcc_lo, 0, v2
	v_div_fixup_f32 v3, v3, v2, v2
	v_cndmask_b32_e32 v2, 0x7fc00000, v3, vcc_lo
	global_store_dword v[0:1], v2, off
.LBB380_7:
	s_or_b32 exec_lo, exec_lo, s1
	v_cmp_ne_u32_e32 vcc_lo, 1, v5
	s_and_b32 s0, vcc_lo, s0
	s_and_b32 exec_lo, exec_lo, s0
	s_cbranch_execz .LBB380_9
; %bb.8:
	s_waitcnt vmcnt(0)
	v_sub_f32_e32 v2, v6, v6
	s_mov_b32 s15, 0
	s_lshl_b64 s[0:1], s[14:15], 2
	v_mul_f32_e32 v3, 0x3fb8aa3b, v2
	v_cmp_ngt_f32_e32 vcc_lo, 0xc2ce8ed0, v2
	v_rndne_f32_e32 v4, v3
	v_fma_f32 v5, 0x3fb8aa3b, v2, -v3
	v_sub_f32_e32 v3, v3, v4
	v_fmamk_f32 v5, v2, 0x32a5705f, v5
	v_cvt_i32_f32_e32 v4, v4
	v_add_f32_e32 v3, v3, v5
	v_exp_f32_e32 v3, v3
	v_ldexp_f32 v3, v3, v4
	v_cndmask_b32_e32 v3, 0, v3, vcc_lo
	v_cmp_nlt_f32_e32 vcc_lo, 0x42b17218, v2
	v_cndmask_b32_e32 v2, 0x7f800000, v3, vcc_lo
	v_div_scale_f32 v3, vcc_lo, v2, v2, v2
	v_rcp_f32_e32 v4, v3
	v_fma_f32 v5, -v3, v4, 1.0
	v_fmac_f32_e32 v4, v5, v4
	v_mul_f32_e32 v5, v3, v4
	v_fma_f32 v6, -v3, v5, v3
	v_fmac_f32_e32 v5, v6, v4
	v_fma_f32 v3, -v3, v5, v3
	v_div_fmas_f32 v3, v3, v4, v5
	v_add_co_u32 v0, vcc_lo, v0, s0
	v_add_co_ci_u32_e64 v1, null, s1, v1, vcc_lo
	v_div_fixup_f32 v3, v3, v2, v2
	v_cmp_neq_f32_e32 vcc_lo, 0, v2
	v_cndmask_b32_e32 v2, 0x7fc00000, v3, vcc_lo
	global_store_dword v[0:1], v2, off
.LBB380_9:
	s_endpgm
	.section	.rodata,"a",@progbits
	.p2align	6, 0x0
	.amdhsa_kernel _ZN12_GLOBAL__N_120softmax_warp_forwardIfffLi0ELb0ELb0ELi64EEEvPT0_PKT_iiiPKbib
		.amdhsa_group_segment_fixed_size 0
		.amdhsa_private_segment_fixed_size 0
		.amdhsa_kernarg_size 304
		.amdhsa_user_sgpr_count 6
		.amdhsa_user_sgpr_private_segment_buffer 1
		.amdhsa_user_sgpr_dispatch_ptr 0
		.amdhsa_user_sgpr_queue_ptr 0
		.amdhsa_user_sgpr_kernarg_segment_ptr 1
		.amdhsa_user_sgpr_dispatch_id 0
		.amdhsa_user_sgpr_flat_scratch_init 0
		.amdhsa_user_sgpr_private_segment_size 0
		.amdhsa_wavefront_size32 1
		.amdhsa_uses_dynamic_stack 0
		.amdhsa_system_sgpr_private_segment_wavefront_offset 0
		.amdhsa_system_sgpr_workgroup_id_x 1
		.amdhsa_system_sgpr_workgroup_id_y 0
		.amdhsa_system_sgpr_workgroup_id_z 0
		.amdhsa_system_sgpr_workgroup_info 0
		.amdhsa_system_vgpr_workitem_id 1
		.amdhsa_next_free_vgpr 9
		.amdhsa_next_free_sgpr 16
		.amdhsa_reserve_vcc 1
		.amdhsa_reserve_flat_scratch 0
		.amdhsa_float_round_mode_32 0
		.amdhsa_float_round_mode_16_64 0
		.amdhsa_float_denorm_mode_32 3
		.amdhsa_float_denorm_mode_16_64 3
		.amdhsa_dx10_clamp 1
		.amdhsa_ieee_mode 1
		.amdhsa_fp16_overflow 0
		.amdhsa_workgroup_processor_mode 1
		.amdhsa_memory_ordered 1
		.amdhsa_forward_progress 1
		.amdhsa_shared_vgpr_count 0
		.amdhsa_exception_fp_ieee_invalid_op 0
		.amdhsa_exception_fp_denorm_src 0
		.amdhsa_exception_fp_ieee_div_zero 0
		.amdhsa_exception_fp_ieee_overflow 0
		.amdhsa_exception_fp_ieee_underflow 0
		.amdhsa_exception_fp_ieee_inexact 0
		.amdhsa_exception_int_div_zero 0
	.end_amdhsa_kernel
	.section	.text._ZN12_GLOBAL__N_120softmax_warp_forwardIfffLi0ELb0ELb0ELi64EEEvPT0_PKT_iiiPKbib,"axG",@progbits,_ZN12_GLOBAL__N_120softmax_warp_forwardIfffLi0ELb0ELb0ELi64EEEvPT0_PKT_iiiPKbib,comdat
.Lfunc_end380:
	.size	_ZN12_GLOBAL__N_120softmax_warp_forwardIfffLi0ELb0ELb0ELi64EEEvPT0_PKT_iiiPKbib, .Lfunc_end380-_ZN12_GLOBAL__N_120softmax_warp_forwardIfffLi0ELb0ELb0ELi64EEEvPT0_PKT_iiiPKbib
                                        ; -- End function
	.set _ZN12_GLOBAL__N_120softmax_warp_forwardIfffLi0ELb0ELb0ELi64EEEvPT0_PKT_iiiPKbib.num_vgpr, 9
	.set _ZN12_GLOBAL__N_120softmax_warp_forwardIfffLi0ELb0ELb0ELi64EEEvPT0_PKT_iiiPKbib.num_agpr, 0
	.set _ZN12_GLOBAL__N_120softmax_warp_forwardIfffLi0ELb0ELb0ELi64EEEvPT0_PKT_iiiPKbib.numbered_sgpr, 16
	.set _ZN12_GLOBAL__N_120softmax_warp_forwardIfffLi0ELb0ELb0ELi64EEEvPT0_PKT_iiiPKbib.num_named_barrier, 0
	.set _ZN12_GLOBAL__N_120softmax_warp_forwardIfffLi0ELb0ELb0ELi64EEEvPT0_PKT_iiiPKbib.private_seg_size, 0
	.set _ZN12_GLOBAL__N_120softmax_warp_forwardIfffLi0ELb0ELb0ELi64EEEvPT0_PKT_iiiPKbib.uses_vcc, 1
	.set _ZN12_GLOBAL__N_120softmax_warp_forwardIfffLi0ELb0ELb0ELi64EEEvPT0_PKT_iiiPKbib.uses_flat_scratch, 0
	.set _ZN12_GLOBAL__N_120softmax_warp_forwardIfffLi0ELb0ELb0ELi64EEEvPT0_PKT_iiiPKbib.has_dyn_sized_stack, 0
	.set _ZN12_GLOBAL__N_120softmax_warp_forwardIfffLi0ELb0ELb0ELi64EEEvPT0_PKT_iiiPKbib.has_recursion, 0
	.set _ZN12_GLOBAL__N_120softmax_warp_forwardIfffLi0ELb0ELb0ELi64EEEvPT0_PKT_iiiPKbib.has_indirect_call, 0
	.section	.AMDGPU.csdata,"",@progbits
; Kernel info:
; codeLenInByte = 628
; TotalNumSgprs: 18
; NumVgprs: 9
; ScratchSize: 0
; MemoryBound: 0
; FloatMode: 240
; IeeeMode: 1
; LDSByteSize: 0 bytes/workgroup (compile time only)
; SGPRBlocks: 0
; VGPRBlocks: 1
; NumSGPRsForWavesPerEU: 18
; NumVGPRsForWavesPerEU: 9
; Occupancy: 16
; WaveLimiterHint : 0
; COMPUTE_PGM_RSRC2:SCRATCH_EN: 0
; COMPUTE_PGM_RSRC2:USER_SGPR: 6
; COMPUTE_PGM_RSRC2:TRAP_HANDLER: 0
; COMPUTE_PGM_RSRC2:TGID_X_EN: 1
; COMPUTE_PGM_RSRC2:TGID_Y_EN: 0
; COMPUTE_PGM_RSRC2:TGID_Z_EN: 0
; COMPUTE_PGM_RSRC2:TIDIG_COMP_CNT: 1
	.section	.text._ZN12_GLOBAL__N_120softmax_warp_forwardIfffLi0ELb0ELb0ELi32EEEvPT0_PKT_iiiPKbib,"axG",@progbits,_ZN12_GLOBAL__N_120softmax_warp_forwardIfffLi0ELb0ELb0ELi32EEEvPT0_PKT_iiiPKbib,comdat
	.globl	_ZN12_GLOBAL__N_120softmax_warp_forwardIfffLi0ELb0ELb0ELi32EEEvPT0_PKT_iiiPKbib ; -- Begin function _ZN12_GLOBAL__N_120softmax_warp_forwardIfffLi0ELb0ELb0ELi32EEEvPT0_PKT_iiiPKbib
	.p2align	8
	.type	_ZN12_GLOBAL__N_120softmax_warp_forwardIfffLi0ELb0ELb0ELi32EEEvPT0_PKT_iiiPKbib,@function
_ZN12_GLOBAL__N_120softmax_warp_forwardIfffLi0ELb0ELb0ELi32EEEvPT0_PKT_iiiPKbib: ; @_ZN12_GLOBAL__N_120softmax_warp_forwardIfffLi0ELb0ELb0ELi32EEEvPT0_PKT_iiiPKbib
; %bb.0:
	s_clause 0x1
	s_load_dword s0, s[4:5], 0x3c
	s_load_dwordx8 s[8:15], s[4:5], 0x0
	v_mov_b32_e32 v6, 0xff800000
	v_mov_b32_e32 v7, 0xff800000
	s_waitcnt lgkmcnt(0)
	s_lshr_b32 s0, s0, 16
	s_and_b32 s0, s0, 0xffff
	s_mul_i32 s6, s6, s0
	v_cmp_gt_i32_e64 s0, s14, v0
	v_add_lshl_u32 v3, s6, v1, 1
	v_mad_u64_u32 v[1:2], null, v3, s13, v[0:1]
	v_sub_nc_u32_e32 v5, s12, v3
	v_cmp_lt_i32_e32 vcc_lo, 0, v5
	v_ashrrev_i32_e32 v2, 31, v1
	s_and_b32 s2, s0, vcc_lo
	v_lshlrev_b64 v[1:2], 2, v[1:2]
	v_add_co_u32 v3, s1, s10, v1
	v_add_co_ci_u32_e64 v4, null, s11, v2, s1
	s_and_saveexec_b32 s1, s2
	s_cbranch_execz .LBB381_2
; %bb.1:
	global_load_dword v7, v[3:4], off
.LBB381_2:
	s_or_b32 exec_lo, exec_lo, s1
	v_cmp_lt_i32_e64 s1, 1, v5
	s_and_b32 s1, s0, s1
	s_and_saveexec_b32 s2, s1
	s_cbranch_execz .LBB381_4
; %bb.3:
	s_mov_b32 s15, 0
	s_lshl_b64 s[4:5], s[14:15], 2
	v_add_co_u32 v3, s1, v3, s4
	v_add_co_ci_u32_e64 v4, null, s5, v4, s1
	global_load_dword v6, v[3:4], off
.LBB381_4:
	s_or_b32 exec_lo, exec_lo, s2
	s_and_saveexec_b32 s1, vcc_lo
	s_cbranch_execz .LBB381_9
; %bb.5:
	v_add_co_u32 v0, vcc_lo, s8, v1
	v_add_co_ci_u32_e64 v1, null, s9, v2, vcc_lo
	s_and_saveexec_b32 s1, s0
	s_cbranch_execz .LBB381_7
; %bb.6:
	s_waitcnt vmcnt(0)
	v_sub_f32_e32 v2, v7, v7
	v_mul_f32_e32 v3, 0x3fb8aa3b, v2
	v_cmp_ngt_f32_e32 vcc_lo, 0xc2ce8ed0, v2
	v_rndne_f32_e32 v4, v3
	v_fma_f32 v7, 0x3fb8aa3b, v2, -v3
	v_sub_f32_e32 v3, v3, v4
	v_fmamk_f32 v7, v2, 0x32a5705f, v7
	v_cvt_i32_f32_e32 v4, v4
	v_add_f32_e32 v3, v3, v7
	v_exp_f32_e32 v3, v3
	v_ldexp_f32 v3, v3, v4
	v_cndmask_b32_e32 v3, 0, v3, vcc_lo
	v_cmp_nlt_f32_e32 vcc_lo, 0x42b17218, v2
	v_cndmask_b32_e32 v2, 0x7f800000, v3, vcc_lo
	v_div_scale_f32 v3, vcc_lo, v2, v2, v2
	v_rcp_f32_e32 v4, v3
	v_fma_f32 v7, -v3, v4, 1.0
	v_fmac_f32_e32 v4, v7, v4
	v_mul_f32_e32 v7, v3, v4
	v_fma_f32 v8, -v3, v7, v3
	v_fmac_f32_e32 v7, v8, v4
	v_fma_f32 v3, -v3, v7, v3
	v_div_fmas_f32 v3, v3, v4, v7
	v_cmp_neq_f32_e32 vcc_lo, 0, v2
	v_div_fixup_f32 v3, v3, v2, v2
	v_cndmask_b32_e32 v2, 0x7fc00000, v3, vcc_lo
	global_store_dword v[0:1], v2, off
.LBB381_7:
	s_or_b32 exec_lo, exec_lo, s1
	v_cmp_ne_u32_e32 vcc_lo, 1, v5
	s_and_b32 s0, vcc_lo, s0
	s_and_b32 exec_lo, exec_lo, s0
	s_cbranch_execz .LBB381_9
; %bb.8:
	s_waitcnt vmcnt(0)
	v_sub_f32_e32 v2, v6, v6
	s_mov_b32 s15, 0
	s_lshl_b64 s[0:1], s[14:15], 2
	v_mul_f32_e32 v3, 0x3fb8aa3b, v2
	v_cmp_ngt_f32_e32 vcc_lo, 0xc2ce8ed0, v2
	v_rndne_f32_e32 v4, v3
	v_fma_f32 v5, 0x3fb8aa3b, v2, -v3
	v_sub_f32_e32 v3, v3, v4
	v_fmamk_f32 v5, v2, 0x32a5705f, v5
	v_cvt_i32_f32_e32 v4, v4
	v_add_f32_e32 v3, v3, v5
	v_exp_f32_e32 v3, v3
	v_ldexp_f32 v3, v3, v4
	v_cndmask_b32_e32 v3, 0, v3, vcc_lo
	v_cmp_nlt_f32_e32 vcc_lo, 0x42b17218, v2
	v_cndmask_b32_e32 v2, 0x7f800000, v3, vcc_lo
	v_div_scale_f32 v3, vcc_lo, v2, v2, v2
	v_rcp_f32_e32 v4, v3
	v_fma_f32 v5, -v3, v4, 1.0
	v_fmac_f32_e32 v4, v5, v4
	v_mul_f32_e32 v5, v3, v4
	v_fma_f32 v6, -v3, v5, v3
	v_fmac_f32_e32 v5, v6, v4
	v_fma_f32 v3, -v3, v5, v3
	v_div_fmas_f32 v3, v3, v4, v5
	v_add_co_u32 v0, vcc_lo, v0, s0
	v_add_co_ci_u32_e64 v1, null, s1, v1, vcc_lo
	v_div_fixup_f32 v3, v3, v2, v2
	v_cmp_neq_f32_e32 vcc_lo, 0, v2
	v_cndmask_b32_e32 v2, 0x7fc00000, v3, vcc_lo
	global_store_dword v[0:1], v2, off
.LBB381_9:
	s_endpgm
	.section	.rodata,"a",@progbits
	.p2align	6, 0x0
	.amdhsa_kernel _ZN12_GLOBAL__N_120softmax_warp_forwardIfffLi0ELb0ELb0ELi32EEEvPT0_PKT_iiiPKbib
		.amdhsa_group_segment_fixed_size 0
		.amdhsa_private_segment_fixed_size 0
		.amdhsa_kernarg_size 304
		.amdhsa_user_sgpr_count 6
		.amdhsa_user_sgpr_private_segment_buffer 1
		.amdhsa_user_sgpr_dispatch_ptr 0
		.amdhsa_user_sgpr_queue_ptr 0
		.amdhsa_user_sgpr_kernarg_segment_ptr 1
		.amdhsa_user_sgpr_dispatch_id 0
		.amdhsa_user_sgpr_flat_scratch_init 0
		.amdhsa_user_sgpr_private_segment_size 0
		.amdhsa_wavefront_size32 1
		.amdhsa_uses_dynamic_stack 0
		.amdhsa_system_sgpr_private_segment_wavefront_offset 0
		.amdhsa_system_sgpr_workgroup_id_x 1
		.amdhsa_system_sgpr_workgroup_id_y 0
		.amdhsa_system_sgpr_workgroup_id_z 0
		.amdhsa_system_sgpr_workgroup_info 0
		.amdhsa_system_vgpr_workitem_id 1
		.amdhsa_next_free_vgpr 9
		.amdhsa_next_free_sgpr 16
		.amdhsa_reserve_vcc 1
		.amdhsa_reserve_flat_scratch 0
		.amdhsa_float_round_mode_32 0
		.amdhsa_float_round_mode_16_64 0
		.amdhsa_float_denorm_mode_32 3
		.amdhsa_float_denorm_mode_16_64 3
		.amdhsa_dx10_clamp 1
		.amdhsa_ieee_mode 1
		.amdhsa_fp16_overflow 0
		.amdhsa_workgroup_processor_mode 1
		.amdhsa_memory_ordered 1
		.amdhsa_forward_progress 1
		.amdhsa_shared_vgpr_count 0
		.amdhsa_exception_fp_ieee_invalid_op 0
		.amdhsa_exception_fp_denorm_src 0
		.amdhsa_exception_fp_ieee_div_zero 0
		.amdhsa_exception_fp_ieee_overflow 0
		.amdhsa_exception_fp_ieee_underflow 0
		.amdhsa_exception_fp_ieee_inexact 0
		.amdhsa_exception_int_div_zero 0
	.end_amdhsa_kernel
	.section	.text._ZN12_GLOBAL__N_120softmax_warp_forwardIfffLi0ELb0ELb0ELi32EEEvPT0_PKT_iiiPKbib,"axG",@progbits,_ZN12_GLOBAL__N_120softmax_warp_forwardIfffLi0ELb0ELb0ELi32EEEvPT0_PKT_iiiPKbib,comdat
.Lfunc_end381:
	.size	_ZN12_GLOBAL__N_120softmax_warp_forwardIfffLi0ELb0ELb0ELi32EEEvPT0_PKT_iiiPKbib, .Lfunc_end381-_ZN12_GLOBAL__N_120softmax_warp_forwardIfffLi0ELb0ELb0ELi32EEEvPT0_PKT_iiiPKbib
                                        ; -- End function
	.set _ZN12_GLOBAL__N_120softmax_warp_forwardIfffLi0ELb0ELb0ELi32EEEvPT0_PKT_iiiPKbib.num_vgpr, 9
	.set _ZN12_GLOBAL__N_120softmax_warp_forwardIfffLi0ELb0ELb0ELi32EEEvPT0_PKT_iiiPKbib.num_agpr, 0
	.set _ZN12_GLOBAL__N_120softmax_warp_forwardIfffLi0ELb0ELb0ELi32EEEvPT0_PKT_iiiPKbib.numbered_sgpr, 16
	.set _ZN12_GLOBAL__N_120softmax_warp_forwardIfffLi0ELb0ELb0ELi32EEEvPT0_PKT_iiiPKbib.num_named_barrier, 0
	.set _ZN12_GLOBAL__N_120softmax_warp_forwardIfffLi0ELb0ELb0ELi32EEEvPT0_PKT_iiiPKbib.private_seg_size, 0
	.set _ZN12_GLOBAL__N_120softmax_warp_forwardIfffLi0ELb0ELb0ELi32EEEvPT0_PKT_iiiPKbib.uses_vcc, 1
	.set _ZN12_GLOBAL__N_120softmax_warp_forwardIfffLi0ELb0ELb0ELi32EEEvPT0_PKT_iiiPKbib.uses_flat_scratch, 0
	.set _ZN12_GLOBAL__N_120softmax_warp_forwardIfffLi0ELb0ELb0ELi32EEEvPT0_PKT_iiiPKbib.has_dyn_sized_stack, 0
	.set _ZN12_GLOBAL__N_120softmax_warp_forwardIfffLi0ELb0ELb0ELi32EEEvPT0_PKT_iiiPKbib.has_recursion, 0
	.set _ZN12_GLOBAL__N_120softmax_warp_forwardIfffLi0ELb0ELb0ELi32EEEvPT0_PKT_iiiPKbib.has_indirect_call, 0
	.section	.AMDGPU.csdata,"",@progbits
; Kernel info:
; codeLenInByte = 628
; TotalNumSgprs: 18
; NumVgprs: 9
; ScratchSize: 0
; MemoryBound: 0
; FloatMode: 240
; IeeeMode: 1
; LDSByteSize: 0 bytes/workgroup (compile time only)
; SGPRBlocks: 0
; VGPRBlocks: 1
; NumSGPRsForWavesPerEU: 18
; NumVGPRsForWavesPerEU: 9
; Occupancy: 16
; WaveLimiterHint : 0
; COMPUTE_PGM_RSRC2:SCRATCH_EN: 0
; COMPUTE_PGM_RSRC2:USER_SGPR: 6
; COMPUTE_PGM_RSRC2:TRAP_HANDLER: 0
; COMPUTE_PGM_RSRC2:TGID_X_EN: 1
; COMPUTE_PGM_RSRC2:TGID_Y_EN: 0
; COMPUTE_PGM_RSRC2:TGID_Z_EN: 0
; COMPUTE_PGM_RSRC2:TIDIG_COMP_CNT: 1
	.section	.text._ZN12_GLOBAL__N_120softmax_warp_forwardIfffLi1ELb0ELb0ELi64EEEvPT0_PKT_iiiPKbib,"axG",@progbits,_ZN12_GLOBAL__N_120softmax_warp_forwardIfffLi1ELb0ELb0ELi64EEEvPT0_PKT_iiiPKbib,comdat
	.globl	_ZN12_GLOBAL__N_120softmax_warp_forwardIfffLi1ELb0ELb0ELi64EEEvPT0_PKT_iiiPKbib ; -- Begin function _ZN12_GLOBAL__N_120softmax_warp_forwardIfffLi1ELb0ELb0ELi64EEEvPT0_PKT_iiiPKbib
	.p2align	8
	.type	_ZN12_GLOBAL__N_120softmax_warp_forwardIfffLi1ELb0ELb0ELi64EEEvPT0_PKT_iiiPKbib,@function
_ZN12_GLOBAL__N_120softmax_warp_forwardIfffLi1ELb0ELb0ELi64EEEvPT0_PKT_iiiPKbib: ; @_ZN12_GLOBAL__N_120softmax_warp_forwardIfffLi1ELb0ELb0ELi64EEEvPT0_PKT_iiiPKbib
; %bb.0:
	s_clause 0x1
	s_load_dword s0, s[4:5], 0x3c
	s_load_dwordx8 s[8:15], s[4:5], 0x0
	v_mov_b32_e32 v6, 0xff800000
	s_waitcnt lgkmcnt(0)
	s_lshr_b32 s0, s0, 16
	s_and_b32 s0, s0, 0xffff
	s_mul_i32 s6, s6, s0
	v_cmp_gt_i32_e64 s0, s14, v0
	v_add_lshl_u32 v3, s6, v1, 1
	v_mad_u64_u32 v[1:2], null, v3, s13, v[0:1]
	v_sub_nc_u32_e32 v5, s12, v3
	v_mov_b32_e32 v0, 0xff800000
	v_cmp_lt_i32_e32 vcc_lo, 0, v5
	v_ashrrev_i32_e32 v2, 31, v1
	s_and_b32 s2, s0, vcc_lo
	v_lshlrev_b64 v[1:2], 2, v[1:2]
	v_add_co_u32 v3, s1, s10, v1
	v_add_co_ci_u32_e64 v4, null, s11, v2, s1
	s_and_saveexec_b32 s1, s2
	s_cbranch_execz .LBB382_2
; %bb.1:
	global_load_dword v0, v[3:4], off
.LBB382_2:
	s_or_b32 exec_lo, exec_lo, s1
	v_cmp_lt_i32_e64 s1, 1, v5
	s_and_b32 s1, s0, s1
	s_and_saveexec_b32 s2, s1
	s_cbranch_execz .LBB382_4
; %bb.3:
	s_mov_b32 s15, 0
	s_lshl_b64 s[4:5], s[14:15], 2
	v_add_co_u32 v3, s1, v3, s4
	v_add_co_ci_u32_e64 v4, null, s5, v4, s1
	global_load_dword v6, v[3:4], off
.LBB382_4:
	s_or_b32 exec_lo, exec_lo, s2
	v_mbcnt_lo_u32_b32 v3, -1, 0
	v_and_b32_e32 v4, 30, v3
	v_xor_b32_e32 v7, 1, v3
	v_add_nc_u32_e32 v4, 2, v4
	v_cmp_lt_i32_e64 s1, v7, v4
	v_cndmask_b32_e64 v3, v3, v7, s1
	v_lshlrev_b32_e32 v4, 2, v3
	s_waitcnt vmcnt(0)
	ds_bpermute_b32 v3, v4, v0
	ds_bpermute_b32 v7, v4, v6
	s_waitcnt lgkmcnt(1)
	v_cmp_lt_f32_e64 s1, v0, v3
	v_cndmask_b32_e64 v3, v0, v3, s1
	s_waitcnt lgkmcnt(0)
	v_cmp_lt_f32_e64 s1, v6, v7
	v_sub_f32_e32 v0, v0, v3
	v_cndmask_b32_e64 v7, v6, v7, s1
	v_cmp_ngt_f32_e64 s1, 0xc2ce8ed0, v0
	v_sub_f32_e32 v3, v6, v7
	v_mul_f32_e32 v6, 0x3fb8aa3b, v0
	v_mul_f32_e32 v7, 0x3fb8aa3b, v3
	v_fma_f32 v8, 0x3fb8aa3b, v0, -v6
	v_rndne_f32_e32 v9, v6
	v_fma_f32 v10, 0x3fb8aa3b, v3, -v7
	v_rndne_f32_e32 v11, v7
	v_fmac_f32_e32 v8, 0x32a5705f, v0
	v_sub_f32_e32 v6, v6, v9
	v_fmac_f32_e32 v10, 0x32a5705f, v3
	v_sub_f32_e32 v7, v7, v11
	v_add_f32_e32 v6, v6, v8
	v_cvt_i32_f32_e32 v8, v9
	v_cvt_i32_f32_e32 v9, v11
	v_add_f32_e32 v7, v7, v10
	v_exp_f32_e32 v6, v6
	v_exp_f32_e32 v7, v7
	v_ldexp_f32 v6, v6, v8
	v_ldexp_f32 v7, v7, v9
	v_cndmask_b32_e64 v6, 0, v6, s1
	v_cmp_ngt_f32_e64 s1, 0xc2ce8ed0, v3
	v_cndmask_b32_e64 v7, 0, v7, s1
	v_cmp_nlt_f32_e64 s1, 0x42b17218, v0
	v_cndmask_b32_e64 v6, 0x7f800000, v6, s1
	v_cmp_nlt_f32_e64 s1, 0x42b17218, v3
	v_cndmask_b32_e64 v3, 0x7f800000, v7, s1
	ds_bpermute_b32 v7, v4, v6
	ds_bpermute_b32 v4, v4, v3
	s_and_saveexec_b32 s1, vcc_lo
	s_cbranch_execz .LBB382_9
; %bb.5:
	v_add_co_u32 v0, vcc_lo, s8, v1
	v_add_co_ci_u32_e64 v1, null, s9, v2, vcc_lo
	s_and_saveexec_b32 s1, s0
	s_cbranch_execz .LBB382_7
; %bb.6:
	s_waitcnt lgkmcnt(1)
	v_add_f32_e32 v2, v6, v7
	v_div_scale_f32 v7, null, v2, v2, v6
	v_rcp_f32_e32 v8, v7
	v_fma_f32 v9, -v7, v8, 1.0
	v_fmac_f32_e32 v8, v9, v8
	v_div_scale_f32 v9, vcc_lo, v6, v2, v6
	v_mul_f32_e32 v10, v9, v8
	v_fma_f32 v11, -v7, v10, v9
	v_fmac_f32_e32 v10, v11, v8
	v_fma_f32 v7, -v7, v10, v9
	v_div_fmas_f32 v7, v7, v8, v10
	v_cmp_neq_f32_e32 vcc_lo, 0, v2
	v_div_fixup_f32 v6, v7, v2, v6
	v_cndmask_b32_e32 v2, 0x7fc00000, v6, vcc_lo
	global_store_dword v[0:1], v2, off
.LBB382_7:
	s_or_b32 exec_lo, exec_lo, s1
	v_cmp_ne_u32_e32 vcc_lo, 1, v5
	s_and_b32 s0, vcc_lo, s0
	s_and_b32 exec_lo, exec_lo, s0
	s_cbranch_execz .LBB382_9
; %bb.8:
	s_waitcnt lgkmcnt(0)
	v_add_f32_e32 v2, v3, v4
	s_mov_b32 s15, 0
	s_lshl_b64 s[0:1], s[14:15], 2
	v_div_scale_f32 v4, null, v2, v2, v3
	v_div_scale_f32 v7, vcc_lo, v3, v2, v3
	v_rcp_f32_e32 v5, v4
	v_fma_f32 v6, -v4, v5, 1.0
	v_fmac_f32_e32 v5, v6, v5
	v_mul_f32_e32 v6, v7, v5
	v_fma_f32 v8, -v4, v6, v7
	v_fmac_f32_e32 v6, v8, v5
	v_fma_f32 v4, -v4, v6, v7
	v_div_fmas_f32 v4, v4, v5, v6
	v_add_co_u32 v0, vcc_lo, v0, s0
	v_add_co_ci_u32_e64 v1, null, s1, v1, vcc_lo
	v_div_fixup_f32 v3, v4, v2, v3
	v_cmp_neq_f32_e32 vcc_lo, 0, v2
	v_cndmask_b32_e32 v2, 0x7fc00000, v3, vcc_lo
	global_store_dword v[0:1], v2, off
.LBB382_9:
	s_endpgm
	.section	.rodata,"a",@progbits
	.p2align	6, 0x0
	.amdhsa_kernel _ZN12_GLOBAL__N_120softmax_warp_forwardIfffLi1ELb0ELb0ELi64EEEvPT0_PKT_iiiPKbib
		.amdhsa_group_segment_fixed_size 0
		.amdhsa_private_segment_fixed_size 0
		.amdhsa_kernarg_size 304
		.amdhsa_user_sgpr_count 6
		.amdhsa_user_sgpr_private_segment_buffer 1
		.amdhsa_user_sgpr_dispatch_ptr 0
		.amdhsa_user_sgpr_queue_ptr 0
		.amdhsa_user_sgpr_kernarg_segment_ptr 1
		.amdhsa_user_sgpr_dispatch_id 0
		.amdhsa_user_sgpr_flat_scratch_init 0
		.amdhsa_user_sgpr_private_segment_size 0
		.amdhsa_wavefront_size32 1
		.amdhsa_uses_dynamic_stack 0
		.amdhsa_system_sgpr_private_segment_wavefront_offset 0
		.amdhsa_system_sgpr_workgroup_id_x 1
		.amdhsa_system_sgpr_workgroup_id_y 0
		.amdhsa_system_sgpr_workgroup_id_z 0
		.amdhsa_system_sgpr_workgroup_info 0
		.amdhsa_system_vgpr_workitem_id 1
		.amdhsa_next_free_vgpr 12
		.amdhsa_next_free_sgpr 16
		.amdhsa_reserve_vcc 1
		.amdhsa_reserve_flat_scratch 0
		.amdhsa_float_round_mode_32 0
		.amdhsa_float_round_mode_16_64 0
		.amdhsa_float_denorm_mode_32 3
		.amdhsa_float_denorm_mode_16_64 3
		.amdhsa_dx10_clamp 1
		.amdhsa_ieee_mode 1
		.amdhsa_fp16_overflow 0
		.amdhsa_workgroup_processor_mode 1
		.amdhsa_memory_ordered 1
		.amdhsa_forward_progress 1
		.amdhsa_shared_vgpr_count 0
		.amdhsa_exception_fp_ieee_invalid_op 0
		.amdhsa_exception_fp_denorm_src 0
		.amdhsa_exception_fp_ieee_div_zero 0
		.amdhsa_exception_fp_ieee_overflow 0
		.amdhsa_exception_fp_ieee_underflow 0
		.amdhsa_exception_fp_ieee_inexact 0
		.amdhsa_exception_int_div_zero 0
	.end_amdhsa_kernel
	.section	.text._ZN12_GLOBAL__N_120softmax_warp_forwardIfffLi1ELb0ELb0ELi64EEEvPT0_PKT_iiiPKbib,"axG",@progbits,_ZN12_GLOBAL__N_120softmax_warp_forwardIfffLi1ELb0ELb0ELi64EEEvPT0_PKT_iiiPKbib,comdat
.Lfunc_end382:
	.size	_ZN12_GLOBAL__N_120softmax_warp_forwardIfffLi1ELb0ELb0ELi64EEEvPT0_PKT_iiiPKbib, .Lfunc_end382-_ZN12_GLOBAL__N_120softmax_warp_forwardIfffLi1ELb0ELb0ELi64EEEvPT0_PKT_iiiPKbib
                                        ; -- End function
	.set _ZN12_GLOBAL__N_120softmax_warp_forwardIfffLi1ELb0ELb0ELi64EEEvPT0_PKT_iiiPKbib.num_vgpr, 12
	.set _ZN12_GLOBAL__N_120softmax_warp_forwardIfffLi1ELb0ELb0ELi64EEEvPT0_PKT_iiiPKbib.num_agpr, 0
	.set _ZN12_GLOBAL__N_120softmax_warp_forwardIfffLi1ELb0ELb0ELi64EEEvPT0_PKT_iiiPKbib.numbered_sgpr, 16
	.set _ZN12_GLOBAL__N_120softmax_warp_forwardIfffLi1ELb0ELb0ELi64EEEvPT0_PKT_iiiPKbib.num_named_barrier, 0
	.set _ZN12_GLOBAL__N_120softmax_warp_forwardIfffLi1ELb0ELb0ELi64EEEvPT0_PKT_iiiPKbib.private_seg_size, 0
	.set _ZN12_GLOBAL__N_120softmax_warp_forwardIfffLi1ELb0ELb0ELi64EEEvPT0_PKT_iiiPKbib.uses_vcc, 1
	.set _ZN12_GLOBAL__N_120softmax_warp_forwardIfffLi1ELb0ELb0ELi64EEEvPT0_PKT_iiiPKbib.uses_flat_scratch, 0
	.set _ZN12_GLOBAL__N_120softmax_warp_forwardIfffLi1ELb0ELb0ELi64EEEvPT0_PKT_iiiPKbib.has_dyn_sized_stack, 0
	.set _ZN12_GLOBAL__N_120softmax_warp_forwardIfffLi1ELb0ELb0ELi64EEEvPT0_PKT_iiiPKbib.has_recursion, 0
	.set _ZN12_GLOBAL__N_120softmax_warp_forwardIfffLi1ELb0ELb0ELi64EEEvPT0_PKT_iiiPKbib.has_indirect_call, 0
	.section	.AMDGPU.csdata,"",@progbits
; Kernel info:
; codeLenInByte = 800
; TotalNumSgprs: 18
; NumVgprs: 12
; ScratchSize: 0
; MemoryBound: 0
; FloatMode: 240
; IeeeMode: 1
; LDSByteSize: 0 bytes/workgroup (compile time only)
; SGPRBlocks: 0
; VGPRBlocks: 1
; NumSGPRsForWavesPerEU: 18
; NumVGPRsForWavesPerEU: 12
; Occupancy: 16
; WaveLimiterHint : 0
; COMPUTE_PGM_RSRC2:SCRATCH_EN: 0
; COMPUTE_PGM_RSRC2:USER_SGPR: 6
; COMPUTE_PGM_RSRC2:TRAP_HANDLER: 0
; COMPUTE_PGM_RSRC2:TGID_X_EN: 1
; COMPUTE_PGM_RSRC2:TGID_Y_EN: 0
; COMPUTE_PGM_RSRC2:TGID_Z_EN: 0
; COMPUTE_PGM_RSRC2:TIDIG_COMP_CNT: 1
	.section	.text._ZN12_GLOBAL__N_120softmax_warp_forwardIfffLi1ELb0ELb0ELi32EEEvPT0_PKT_iiiPKbib,"axG",@progbits,_ZN12_GLOBAL__N_120softmax_warp_forwardIfffLi1ELb0ELb0ELi32EEEvPT0_PKT_iiiPKbib,comdat
	.globl	_ZN12_GLOBAL__N_120softmax_warp_forwardIfffLi1ELb0ELb0ELi32EEEvPT0_PKT_iiiPKbib ; -- Begin function _ZN12_GLOBAL__N_120softmax_warp_forwardIfffLi1ELb0ELb0ELi32EEEvPT0_PKT_iiiPKbib
	.p2align	8
	.type	_ZN12_GLOBAL__N_120softmax_warp_forwardIfffLi1ELb0ELb0ELi32EEEvPT0_PKT_iiiPKbib,@function
_ZN12_GLOBAL__N_120softmax_warp_forwardIfffLi1ELb0ELb0ELi32EEEvPT0_PKT_iiiPKbib: ; @_ZN12_GLOBAL__N_120softmax_warp_forwardIfffLi1ELb0ELb0ELi32EEEvPT0_PKT_iiiPKbib
; %bb.0:
	s_clause 0x1
	s_load_dword s0, s[4:5], 0x3c
	s_load_dwordx8 s[8:15], s[4:5], 0x0
	v_mov_b32_e32 v6, 0xff800000
	s_waitcnt lgkmcnt(0)
	s_lshr_b32 s0, s0, 16
	s_and_b32 s0, s0, 0xffff
	s_mul_i32 s6, s6, s0
	v_cmp_gt_i32_e64 s0, s14, v0
	v_add_lshl_u32 v3, s6, v1, 1
	v_mad_u64_u32 v[1:2], null, v3, s13, v[0:1]
	v_sub_nc_u32_e32 v5, s12, v3
	v_mov_b32_e32 v0, 0xff800000
	v_cmp_lt_i32_e32 vcc_lo, 0, v5
	v_ashrrev_i32_e32 v2, 31, v1
	s_and_b32 s2, s0, vcc_lo
	v_lshlrev_b64 v[1:2], 2, v[1:2]
	v_add_co_u32 v3, s1, s10, v1
	v_add_co_ci_u32_e64 v4, null, s11, v2, s1
	s_and_saveexec_b32 s1, s2
	s_cbranch_execz .LBB383_2
; %bb.1:
	global_load_dword v0, v[3:4], off
.LBB383_2:
	s_or_b32 exec_lo, exec_lo, s1
	v_cmp_lt_i32_e64 s1, 1, v5
	s_and_b32 s1, s0, s1
	s_and_saveexec_b32 s2, s1
	s_cbranch_execz .LBB383_4
; %bb.3:
	s_mov_b32 s15, 0
	s_lshl_b64 s[4:5], s[14:15], 2
	v_add_co_u32 v3, s1, v3, s4
	v_add_co_ci_u32_e64 v4, null, s5, v4, s1
	global_load_dword v6, v[3:4], off
.LBB383_4:
	s_or_b32 exec_lo, exec_lo, s2
	v_mbcnt_lo_u32_b32 v3, -1, 0
	v_and_b32_e32 v4, 30, v3
	v_xor_b32_e32 v7, 1, v3
	v_add_nc_u32_e32 v4, 2, v4
	v_cmp_lt_i32_e64 s1, v7, v4
	v_cndmask_b32_e64 v3, v3, v7, s1
	v_lshlrev_b32_e32 v4, 2, v3
	s_waitcnt vmcnt(0)
	ds_bpermute_b32 v3, v4, v0
	ds_bpermute_b32 v7, v4, v6
	s_waitcnt lgkmcnt(1)
	v_cmp_lt_f32_e64 s1, v0, v3
	v_cndmask_b32_e64 v3, v0, v3, s1
	s_waitcnt lgkmcnt(0)
	v_cmp_lt_f32_e64 s1, v6, v7
	v_sub_f32_e32 v0, v0, v3
	v_cndmask_b32_e64 v7, v6, v7, s1
	v_cmp_ngt_f32_e64 s1, 0xc2ce8ed0, v0
	v_sub_f32_e32 v3, v6, v7
	v_mul_f32_e32 v6, 0x3fb8aa3b, v0
	v_mul_f32_e32 v7, 0x3fb8aa3b, v3
	v_fma_f32 v8, 0x3fb8aa3b, v0, -v6
	v_rndne_f32_e32 v9, v6
	v_fma_f32 v10, 0x3fb8aa3b, v3, -v7
	v_rndne_f32_e32 v11, v7
	v_fmac_f32_e32 v8, 0x32a5705f, v0
	v_sub_f32_e32 v6, v6, v9
	v_fmac_f32_e32 v10, 0x32a5705f, v3
	v_sub_f32_e32 v7, v7, v11
	v_add_f32_e32 v6, v6, v8
	v_cvt_i32_f32_e32 v8, v9
	v_cvt_i32_f32_e32 v9, v11
	v_add_f32_e32 v7, v7, v10
	v_exp_f32_e32 v6, v6
	v_exp_f32_e32 v7, v7
	v_ldexp_f32 v6, v6, v8
	v_ldexp_f32 v7, v7, v9
	v_cndmask_b32_e64 v6, 0, v6, s1
	v_cmp_ngt_f32_e64 s1, 0xc2ce8ed0, v3
	v_cndmask_b32_e64 v7, 0, v7, s1
	v_cmp_nlt_f32_e64 s1, 0x42b17218, v0
	v_cndmask_b32_e64 v6, 0x7f800000, v6, s1
	v_cmp_nlt_f32_e64 s1, 0x42b17218, v3
	v_cndmask_b32_e64 v3, 0x7f800000, v7, s1
	ds_bpermute_b32 v7, v4, v6
	ds_bpermute_b32 v4, v4, v3
	s_and_saveexec_b32 s1, vcc_lo
	s_cbranch_execz .LBB383_9
; %bb.5:
	v_add_co_u32 v0, vcc_lo, s8, v1
	v_add_co_ci_u32_e64 v1, null, s9, v2, vcc_lo
	s_and_saveexec_b32 s1, s0
	s_cbranch_execz .LBB383_7
; %bb.6:
	s_waitcnt lgkmcnt(1)
	v_add_f32_e32 v2, v6, v7
	v_div_scale_f32 v7, null, v2, v2, v6
	v_rcp_f32_e32 v8, v7
	v_fma_f32 v9, -v7, v8, 1.0
	v_fmac_f32_e32 v8, v9, v8
	v_div_scale_f32 v9, vcc_lo, v6, v2, v6
	v_mul_f32_e32 v10, v9, v8
	v_fma_f32 v11, -v7, v10, v9
	v_fmac_f32_e32 v10, v11, v8
	v_fma_f32 v7, -v7, v10, v9
	v_div_fmas_f32 v7, v7, v8, v10
	v_cmp_neq_f32_e32 vcc_lo, 0, v2
	v_div_fixup_f32 v6, v7, v2, v6
	v_cndmask_b32_e32 v2, 0x7fc00000, v6, vcc_lo
	global_store_dword v[0:1], v2, off
.LBB383_7:
	s_or_b32 exec_lo, exec_lo, s1
	v_cmp_ne_u32_e32 vcc_lo, 1, v5
	s_and_b32 s0, vcc_lo, s0
	s_and_b32 exec_lo, exec_lo, s0
	s_cbranch_execz .LBB383_9
; %bb.8:
	s_waitcnt lgkmcnt(0)
	v_add_f32_e32 v2, v3, v4
	s_mov_b32 s15, 0
	s_lshl_b64 s[0:1], s[14:15], 2
	v_div_scale_f32 v4, null, v2, v2, v3
	v_div_scale_f32 v7, vcc_lo, v3, v2, v3
	v_rcp_f32_e32 v5, v4
	v_fma_f32 v6, -v4, v5, 1.0
	v_fmac_f32_e32 v5, v6, v5
	v_mul_f32_e32 v6, v7, v5
	v_fma_f32 v8, -v4, v6, v7
	v_fmac_f32_e32 v6, v8, v5
	v_fma_f32 v4, -v4, v6, v7
	v_div_fmas_f32 v4, v4, v5, v6
	v_add_co_u32 v0, vcc_lo, v0, s0
	v_add_co_ci_u32_e64 v1, null, s1, v1, vcc_lo
	v_div_fixup_f32 v3, v4, v2, v3
	v_cmp_neq_f32_e32 vcc_lo, 0, v2
	v_cndmask_b32_e32 v2, 0x7fc00000, v3, vcc_lo
	global_store_dword v[0:1], v2, off
.LBB383_9:
	s_endpgm
	.section	.rodata,"a",@progbits
	.p2align	6, 0x0
	.amdhsa_kernel _ZN12_GLOBAL__N_120softmax_warp_forwardIfffLi1ELb0ELb0ELi32EEEvPT0_PKT_iiiPKbib
		.amdhsa_group_segment_fixed_size 0
		.amdhsa_private_segment_fixed_size 0
		.amdhsa_kernarg_size 304
		.amdhsa_user_sgpr_count 6
		.amdhsa_user_sgpr_private_segment_buffer 1
		.amdhsa_user_sgpr_dispatch_ptr 0
		.amdhsa_user_sgpr_queue_ptr 0
		.amdhsa_user_sgpr_kernarg_segment_ptr 1
		.amdhsa_user_sgpr_dispatch_id 0
		.amdhsa_user_sgpr_flat_scratch_init 0
		.amdhsa_user_sgpr_private_segment_size 0
		.amdhsa_wavefront_size32 1
		.amdhsa_uses_dynamic_stack 0
		.amdhsa_system_sgpr_private_segment_wavefront_offset 0
		.amdhsa_system_sgpr_workgroup_id_x 1
		.amdhsa_system_sgpr_workgroup_id_y 0
		.amdhsa_system_sgpr_workgroup_id_z 0
		.amdhsa_system_sgpr_workgroup_info 0
		.amdhsa_system_vgpr_workitem_id 1
		.amdhsa_next_free_vgpr 12
		.amdhsa_next_free_sgpr 16
		.amdhsa_reserve_vcc 1
		.amdhsa_reserve_flat_scratch 0
		.amdhsa_float_round_mode_32 0
		.amdhsa_float_round_mode_16_64 0
		.amdhsa_float_denorm_mode_32 3
		.amdhsa_float_denorm_mode_16_64 3
		.amdhsa_dx10_clamp 1
		.amdhsa_ieee_mode 1
		.amdhsa_fp16_overflow 0
		.amdhsa_workgroup_processor_mode 1
		.amdhsa_memory_ordered 1
		.amdhsa_forward_progress 1
		.amdhsa_shared_vgpr_count 0
		.amdhsa_exception_fp_ieee_invalid_op 0
		.amdhsa_exception_fp_denorm_src 0
		.amdhsa_exception_fp_ieee_div_zero 0
		.amdhsa_exception_fp_ieee_overflow 0
		.amdhsa_exception_fp_ieee_underflow 0
		.amdhsa_exception_fp_ieee_inexact 0
		.amdhsa_exception_int_div_zero 0
	.end_amdhsa_kernel
	.section	.text._ZN12_GLOBAL__N_120softmax_warp_forwardIfffLi1ELb0ELb0ELi32EEEvPT0_PKT_iiiPKbib,"axG",@progbits,_ZN12_GLOBAL__N_120softmax_warp_forwardIfffLi1ELb0ELb0ELi32EEEvPT0_PKT_iiiPKbib,comdat
.Lfunc_end383:
	.size	_ZN12_GLOBAL__N_120softmax_warp_forwardIfffLi1ELb0ELb0ELi32EEEvPT0_PKT_iiiPKbib, .Lfunc_end383-_ZN12_GLOBAL__N_120softmax_warp_forwardIfffLi1ELb0ELb0ELi32EEEvPT0_PKT_iiiPKbib
                                        ; -- End function
	.set _ZN12_GLOBAL__N_120softmax_warp_forwardIfffLi1ELb0ELb0ELi32EEEvPT0_PKT_iiiPKbib.num_vgpr, 12
	.set _ZN12_GLOBAL__N_120softmax_warp_forwardIfffLi1ELb0ELb0ELi32EEEvPT0_PKT_iiiPKbib.num_agpr, 0
	.set _ZN12_GLOBAL__N_120softmax_warp_forwardIfffLi1ELb0ELb0ELi32EEEvPT0_PKT_iiiPKbib.numbered_sgpr, 16
	.set _ZN12_GLOBAL__N_120softmax_warp_forwardIfffLi1ELb0ELb0ELi32EEEvPT0_PKT_iiiPKbib.num_named_barrier, 0
	.set _ZN12_GLOBAL__N_120softmax_warp_forwardIfffLi1ELb0ELb0ELi32EEEvPT0_PKT_iiiPKbib.private_seg_size, 0
	.set _ZN12_GLOBAL__N_120softmax_warp_forwardIfffLi1ELb0ELb0ELi32EEEvPT0_PKT_iiiPKbib.uses_vcc, 1
	.set _ZN12_GLOBAL__N_120softmax_warp_forwardIfffLi1ELb0ELb0ELi32EEEvPT0_PKT_iiiPKbib.uses_flat_scratch, 0
	.set _ZN12_GLOBAL__N_120softmax_warp_forwardIfffLi1ELb0ELb0ELi32EEEvPT0_PKT_iiiPKbib.has_dyn_sized_stack, 0
	.set _ZN12_GLOBAL__N_120softmax_warp_forwardIfffLi1ELb0ELb0ELi32EEEvPT0_PKT_iiiPKbib.has_recursion, 0
	.set _ZN12_GLOBAL__N_120softmax_warp_forwardIfffLi1ELb0ELb0ELi32EEEvPT0_PKT_iiiPKbib.has_indirect_call, 0
	.section	.AMDGPU.csdata,"",@progbits
; Kernel info:
; codeLenInByte = 800
; TotalNumSgprs: 18
; NumVgprs: 12
; ScratchSize: 0
; MemoryBound: 0
; FloatMode: 240
; IeeeMode: 1
; LDSByteSize: 0 bytes/workgroup (compile time only)
; SGPRBlocks: 0
; VGPRBlocks: 1
; NumSGPRsForWavesPerEU: 18
; NumVGPRsForWavesPerEU: 12
; Occupancy: 16
; WaveLimiterHint : 0
; COMPUTE_PGM_RSRC2:SCRATCH_EN: 0
; COMPUTE_PGM_RSRC2:USER_SGPR: 6
; COMPUTE_PGM_RSRC2:TRAP_HANDLER: 0
; COMPUTE_PGM_RSRC2:TGID_X_EN: 1
; COMPUTE_PGM_RSRC2:TGID_Y_EN: 0
; COMPUTE_PGM_RSRC2:TGID_Z_EN: 0
; COMPUTE_PGM_RSRC2:TIDIG_COMP_CNT: 1
	.section	.text._ZN12_GLOBAL__N_120softmax_warp_forwardIfffLi2ELb0ELb0ELi64EEEvPT0_PKT_iiiPKbib,"axG",@progbits,_ZN12_GLOBAL__N_120softmax_warp_forwardIfffLi2ELb0ELb0ELi64EEEvPT0_PKT_iiiPKbib,comdat
	.globl	_ZN12_GLOBAL__N_120softmax_warp_forwardIfffLi2ELb0ELb0ELi64EEEvPT0_PKT_iiiPKbib ; -- Begin function _ZN12_GLOBAL__N_120softmax_warp_forwardIfffLi2ELb0ELb0ELi64EEEvPT0_PKT_iiiPKbib
	.p2align	8
	.type	_ZN12_GLOBAL__N_120softmax_warp_forwardIfffLi2ELb0ELb0ELi64EEEvPT0_PKT_iiiPKbib,@function
_ZN12_GLOBAL__N_120softmax_warp_forwardIfffLi2ELb0ELb0ELi64EEEvPT0_PKT_iiiPKbib: ; @_ZN12_GLOBAL__N_120softmax_warp_forwardIfffLi2ELb0ELb0ELi64EEEvPT0_PKT_iiiPKbib
; %bb.0:
	s_clause 0x1
	s_load_dword s0, s[4:5], 0x3c
	s_load_dwordx8 s[8:15], s[4:5], 0x0
	v_mov_b32_e32 v6, 0xff800000
	s_waitcnt lgkmcnt(0)
	s_lshr_b32 s0, s0, 16
	s_and_b32 s0, s0, 0xffff
	s_mul_i32 s6, s6, s0
	v_cmp_gt_i32_e64 s0, s14, v0
	v_add_lshl_u32 v3, s6, v1, 1
	v_mad_u64_u32 v[1:2], null, v3, s13, v[0:1]
	v_sub_nc_u32_e32 v5, s12, v3
	v_mov_b32_e32 v0, 0xff800000
	v_cmp_lt_i32_e32 vcc_lo, 0, v5
	v_ashrrev_i32_e32 v2, 31, v1
	s_and_b32 s2, s0, vcc_lo
	v_lshlrev_b64 v[1:2], 2, v[1:2]
	v_add_co_u32 v3, s1, s10, v1
	v_add_co_ci_u32_e64 v4, null, s11, v2, s1
	s_and_saveexec_b32 s1, s2
	s_cbranch_execz .LBB384_2
; %bb.1:
	global_load_dword v0, v[3:4], off
.LBB384_2:
	s_or_b32 exec_lo, exec_lo, s1
	v_cmp_lt_i32_e64 s1, 1, v5
	s_and_b32 s1, s0, s1
	s_and_saveexec_b32 s2, s1
	s_cbranch_execz .LBB384_4
; %bb.3:
	s_mov_b32 s15, 0
	s_lshl_b64 s[4:5], s[14:15], 2
	v_add_co_u32 v3, s1, v3, s4
	v_add_co_ci_u32_e64 v4, null, s5, v4, s1
	global_load_dword v6, v[3:4], off
.LBB384_4:
	s_or_b32 exec_lo, exec_lo, s2
	v_mbcnt_lo_u32_b32 v3, -1, 0
	v_and_b32_e32 v4, 28, v3
	v_xor_b32_e32 v7, 2, v3
	v_xor_b32_e32 v10, 1, v3
	v_add_nc_u32_e32 v4, 4, v4
	v_cmp_lt_i32_e64 s1, v7, v4
	v_cndmask_b32_e64 v7, v3, v7, s1
	v_cmp_lt_i32_e64 s1, v10, v4
	v_lshlrev_b32_e32 v8, 2, v7
	v_cndmask_b32_e64 v3, v3, v10, s1
	s_waitcnt vmcnt(0)
	ds_bpermute_b32 v7, v8, v0
	ds_bpermute_b32 v9, v8, v6
	v_lshlrev_b32_e32 v10, 2, v3
	s_waitcnt lgkmcnt(1)
	v_cmp_lt_f32_e64 s1, v0, v7
	v_cndmask_b32_e64 v3, v0, v7, s1
	s_waitcnt lgkmcnt(0)
	v_cmp_lt_f32_e64 s1, v6, v9
	ds_bpermute_b32 v7, v10, v3
	v_cndmask_b32_e64 v4, v6, v9, s1
	ds_bpermute_b32 v9, v10, v4
	s_waitcnt lgkmcnt(1)
	v_cmp_lt_f32_e64 s1, v3, v7
	v_cndmask_b32_e64 v3, v3, v7, s1
	s_waitcnt lgkmcnt(0)
	v_cmp_lt_f32_e64 s1, v4, v9
	v_sub_f32_e32 v0, v0, v3
	v_cndmask_b32_e64 v4, v4, v9, s1
	v_cmp_ngt_f32_e64 s1, 0xc2ce8ed0, v0
	v_sub_f32_e32 v3, v6, v4
	v_mul_f32_e32 v4, 0x3fb8aa3b, v0
	v_mul_f32_e32 v6, 0x3fb8aa3b, v3
	v_fma_f32 v7, 0x3fb8aa3b, v0, -v4
	v_rndne_f32_e32 v9, v4
	v_fma_f32 v11, 0x3fb8aa3b, v3, -v6
	v_rndne_f32_e32 v12, v6
	v_fmac_f32_e32 v7, 0x32a5705f, v0
	v_sub_f32_e32 v4, v4, v9
	v_fmac_f32_e32 v11, 0x32a5705f, v3
	v_sub_f32_e32 v6, v6, v12
	v_add_f32_e32 v4, v4, v7
	v_cvt_i32_f32_e32 v7, v9
	v_cvt_i32_f32_e32 v9, v12
	v_add_f32_e32 v6, v6, v11
	v_exp_f32_e32 v4, v4
	v_exp_f32_e32 v6, v6
	v_ldexp_f32 v4, v4, v7
	v_ldexp_f32 v6, v6, v9
	v_cndmask_b32_e64 v4, 0, v4, s1
	v_cmp_ngt_f32_e64 s1, 0xc2ce8ed0, v3
	v_cndmask_b32_e64 v6, 0, v6, s1
	v_cmp_nlt_f32_e64 s1, 0x42b17218, v0
	v_cndmask_b32_e64 v7, 0x7f800000, v4, s1
	v_cmp_nlt_f32_e64 s1, 0x42b17218, v3
	ds_bpermute_b32 v0, v8, v7
	v_cndmask_b32_e64 v3, 0x7f800000, v6, s1
	ds_bpermute_b32 v4, v8, v3
	s_waitcnt lgkmcnt(1)
	v_add_f32_e32 v8, v7, v0
	ds_bpermute_b32 v9, v10, v8
	s_waitcnt lgkmcnt(1)
	v_add_f32_e32 v4, v3, v4
	ds_bpermute_b32 v6, v10, v4
	s_and_saveexec_b32 s1, vcc_lo
	s_cbranch_execz .LBB384_9
; %bb.5:
	v_add_co_u32 v0, vcc_lo, s8, v1
	v_add_co_ci_u32_e64 v1, null, s9, v2, vcc_lo
	s_and_saveexec_b32 s1, s0
	s_cbranch_execz .LBB384_7
; %bb.6:
	s_waitcnt lgkmcnt(1)
	v_add_f32_e32 v2, v8, v9
	v_div_scale_f32 v8, null, v2, v2, v7
	v_rcp_f32_e32 v9, v8
	v_fma_f32 v10, -v8, v9, 1.0
	v_fmac_f32_e32 v9, v10, v9
	v_div_scale_f32 v10, vcc_lo, v7, v2, v7
	v_mul_f32_e32 v11, v10, v9
	v_fma_f32 v12, -v8, v11, v10
	v_fmac_f32_e32 v11, v12, v9
	v_fma_f32 v8, -v8, v11, v10
	v_div_fmas_f32 v8, v8, v9, v11
	v_cmp_neq_f32_e32 vcc_lo, 0, v2
	v_div_fixup_f32 v7, v8, v2, v7
	v_cndmask_b32_e32 v2, 0x7fc00000, v7, vcc_lo
	global_store_dword v[0:1], v2, off
.LBB384_7:
	s_or_b32 exec_lo, exec_lo, s1
	v_cmp_ne_u32_e32 vcc_lo, 1, v5
	s_and_b32 s0, vcc_lo, s0
	s_and_b32 exec_lo, exec_lo, s0
	s_cbranch_execz .LBB384_9
; %bb.8:
	s_waitcnt lgkmcnt(0)
	v_add_f32_e32 v2, v4, v6
	s_mov_b32 s15, 0
	s_lshl_b64 s[0:1], s[14:15], 2
	v_div_scale_f32 v4, null, v2, v2, v3
	v_div_scale_f32 v7, vcc_lo, v3, v2, v3
	v_rcp_f32_e32 v5, v4
	v_fma_f32 v6, -v4, v5, 1.0
	v_fmac_f32_e32 v5, v6, v5
	v_mul_f32_e32 v6, v7, v5
	v_fma_f32 v8, -v4, v6, v7
	v_fmac_f32_e32 v6, v8, v5
	v_fma_f32 v4, -v4, v6, v7
	v_div_fmas_f32 v4, v4, v5, v6
	v_add_co_u32 v0, vcc_lo, v0, s0
	v_add_co_ci_u32_e64 v1, null, s1, v1, vcc_lo
	v_div_fixup_f32 v3, v4, v2, v3
	v_cmp_neq_f32_e32 vcc_lo, 0, v2
	v_cndmask_b32_e32 v2, 0x7fc00000, v3, vcc_lo
	global_store_dword v[0:1], v2, off
.LBB384_9:
	s_endpgm
	.section	.rodata,"a",@progbits
	.p2align	6, 0x0
	.amdhsa_kernel _ZN12_GLOBAL__N_120softmax_warp_forwardIfffLi2ELb0ELb0ELi64EEEvPT0_PKT_iiiPKbib
		.amdhsa_group_segment_fixed_size 0
		.amdhsa_private_segment_fixed_size 0
		.amdhsa_kernarg_size 304
		.amdhsa_user_sgpr_count 6
		.amdhsa_user_sgpr_private_segment_buffer 1
		.amdhsa_user_sgpr_dispatch_ptr 0
		.amdhsa_user_sgpr_queue_ptr 0
		.amdhsa_user_sgpr_kernarg_segment_ptr 1
		.amdhsa_user_sgpr_dispatch_id 0
		.amdhsa_user_sgpr_flat_scratch_init 0
		.amdhsa_user_sgpr_private_segment_size 0
		.amdhsa_wavefront_size32 1
		.amdhsa_uses_dynamic_stack 0
		.amdhsa_system_sgpr_private_segment_wavefront_offset 0
		.amdhsa_system_sgpr_workgroup_id_x 1
		.amdhsa_system_sgpr_workgroup_id_y 0
		.amdhsa_system_sgpr_workgroup_id_z 0
		.amdhsa_system_sgpr_workgroup_info 0
		.amdhsa_system_vgpr_workitem_id 1
		.amdhsa_next_free_vgpr 13
		.amdhsa_next_free_sgpr 16
		.amdhsa_reserve_vcc 1
		.amdhsa_reserve_flat_scratch 0
		.amdhsa_float_round_mode_32 0
		.amdhsa_float_round_mode_16_64 0
		.amdhsa_float_denorm_mode_32 3
		.amdhsa_float_denorm_mode_16_64 3
		.amdhsa_dx10_clamp 1
		.amdhsa_ieee_mode 1
		.amdhsa_fp16_overflow 0
		.amdhsa_workgroup_processor_mode 1
		.amdhsa_memory_ordered 1
		.amdhsa_forward_progress 1
		.amdhsa_shared_vgpr_count 0
		.amdhsa_exception_fp_ieee_invalid_op 0
		.amdhsa_exception_fp_denorm_src 0
		.amdhsa_exception_fp_ieee_div_zero 0
		.amdhsa_exception_fp_ieee_overflow 0
		.amdhsa_exception_fp_ieee_underflow 0
		.amdhsa_exception_fp_ieee_inexact 0
		.amdhsa_exception_int_div_zero 0
	.end_amdhsa_kernel
	.section	.text._ZN12_GLOBAL__N_120softmax_warp_forwardIfffLi2ELb0ELb0ELi64EEEvPT0_PKT_iiiPKbib,"axG",@progbits,_ZN12_GLOBAL__N_120softmax_warp_forwardIfffLi2ELb0ELb0ELi64EEEvPT0_PKT_iiiPKbib,comdat
.Lfunc_end384:
	.size	_ZN12_GLOBAL__N_120softmax_warp_forwardIfffLi2ELb0ELb0ELi64EEEvPT0_PKT_iiiPKbib, .Lfunc_end384-_ZN12_GLOBAL__N_120softmax_warp_forwardIfffLi2ELb0ELb0ELi64EEEvPT0_PKT_iiiPKbib
                                        ; -- End function
	.set _ZN12_GLOBAL__N_120softmax_warp_forwardIfffLi2ELb0ELb0ELi64EEEvPT0_PKT_iiiPKbib.num_vgpr, 13
	.set _ZN12_GLOBAL__N_120softmax_warp_forwardIfffLi2ELb0ELb0ELi64EEEvPT0_PKT_iiiPKbib.num_agpr, 0
	.set _ZN12_GLOBAL__N_120softmax_warp_forwardIfffLi2ELb0ELb0ELi64EEEvPT0_PKT_iiiPKbib.numbered_sgpr, 16
	.set _ZN12_GLOBAL__N_120softmax_warp_forwardIfffLi2ELb0ELb0ELi64EEEvPT0_PKT_iiiPKbib.num_named_barrier, 0
	.set _ZN12_GLOBAL__N_120softmax_warp_forwardIfffLi2ELb0ELb0ELi64EEEvPT0_PKT_iiiPKbib.private_seg_size, 0
	.set _ZN12_GLOBAL__N_120softmax_warp_forwardIfffLi2ELb0ELb0ELi64EEEvPT0_PKT_iiiPKbib.uses_vcc, 1
	.set _ZN12_GLOBAL__N_120softmax_warp_forwardIfffLi2ELb0ELb0ELi64EEEvPT0_PKT_iiiPKbib.uses_flat_scratch, 0
	.set _ZN12_GLOBAL__N_120softmax_warp_forwardIfffLi2ELb0ELb0ELi64EEEvPT0_PKT_iiiPKbib.has_dyn_sized_stack, 0
	.set _ZN12_GLOBAL__N_120softmax_warp_forwardIfffLi2ELb0ELb0ELi64EEEvPT0_PKT_iiiPKbib.has_recursion, 0
	.set _ZN12_GLOBAL__N_120softmax_warp_forwardIfffLi2ELb0ELb0ELi64EEEvPT0_PKT_iiiPKbib.has_indirect_call, 0
	.section	.AMDGPU.csdata,"",@progbits
; Kernel info:
; codeLenInByte = 912
; TotalNumSgprs: 18
; NumVgprs: 13
; ScratchSize: 0
; MemoryBound: 0
; FloatMode: 240
; IeeeMode: 1
; LDSByteSize: 0 bytes/workgroup (compile time only)
; SGPRBlocks: 0
; VGPRBlocks: 1
; NumSGPRsForWavesPerEU: 18
; NumVGPRsForWavesPerEU: 13
; Occupancy: 16
; WaveLimiterHint : 0
; COMPUTE_PGM_RSRC2:SCRATCH_EN: 0
; COMPUTE_PGM_RSRC2:USER_SGPR: 6
; COMPUTE_PGM_RSRC2:TRAP_HANDLER: 0
; COMPUTE_PGM_RSRC2:TGID_X_EN: 1
; COMPUTE_PGM_RSRC2:TGID_Y_EN: 0
; COMPUTE_PGM_RSRC2:TGID_Z_EN: 0
; COMPUTE_PGM_RSRC2:TIDIG_COMP_CNT: 1
	.section	.text._ZN12_GLOBAL__N_120softmax_warp_forwardIfffLi2ELb0ELb0ELi32EEEvPT0_PKT_iiiPKbib,"axG",@progbits,_ZN12_GLOBAL__N_120softmax_warp_forwardIfffLi2ELb0ELb0ELi32EEEvPT0_PKT_iiiPKbib,comdat
	.globl	_ZN12_GLOBAL__N_120softmax_warp_forwardIfffLi2ELb0ELb0ELi32EEEvPT0_PKT_iiiPKbib ; -- Begin function _ZN12_GLOBAL__N_120softmax_warp_forwardIfffLi2ELb0ELb0ELi32EEEvPT0_PKT_iiiPKbib
	.p2align	8
	.type	_ZN12_GLOBAL__N_120softmax_warp_forwardIfffLi2ELb0ELb0ELi32EEEvPT0_PKT_iiiPKbib,@function
_ZN12_GLOBAL__N_120softmax_warp_forwardIfffLi2ELb0ELb0ELi32EEEvPT0_PKT_iiiPKbib: ; @_ZN12_GLOBAL__N_120softmax_warp_forwardIfffLi2ELb0ELb0ELi32EEEvPT0_PKT_iiiPKbib
; %bb.0:
	s_clause 0x1
	s_load_dword s0, s[4:5], 0x3c
	s_load_dwordx8 s[8:15], s[4:5], 0x0
	v_mov_b32_e32 v6, 0xff800000
	s_waitcnt lgkmcnt(0)
	s_lshr_b32 s0, s0, 16
	s_and_b32 s0, s0, 0xffff
	s_mul_i32 s6, s6, s0
	v_cmp_gt_i32_e64 s0, s14, v0
	v_add_lshl_u32 v3, s6, v1, 1
	v_mad_u64_u32 v[1:2], null, v3, s13, v[0:1]
	v_sub_nc_u32_e32 v5, s12, v3
	v_mov_b32_e32 v0, 0xff800000
	v_cmp_lt_i32_e32 vcc_lo, 0, v5
	v_ashrrev_i32_e32 v2, 31, v1
	s_and_b32 s2, s0, vcc_lo
	v_lshlrev_b64 v[1:2], 2, v[1:2]
	v_add_co_u32 v3, s1, s10, v1
	v_add_co_ci_u32_e64 v4, null, s11, v2, s1
	s_and_saveexec_b32 s1, s2
	s_cbranch_execz .LBB385_2
; %bb.1:
	global_load_dword v0, v[3:4], off
.LBB385_2:
	s_or_b32 exec_lo, exec_lo, s1
	v_cmp_lt_i32_e64 s1, 1, v5
	s_and_b32 s1, s0, s1
	s_and_saveexec_b32 s2, s1
	s_cbranch_execz .LBB385_4
; %bb.3:
	s_mov_b32 s15, 0
	s_lshl_b64 s[4:5], s[14:15], 2
	v_add_co_u32 v3, s1, v3, s4
	v_add_co_ci_u32_e64 v4, null, s5, v4, s1
	global_load_dword v6, v[3:4], off
.LBB385_4:
	s_or_b32 exec_lo, exec_lo, s2
	v_mbcnt_lo_u32_b32 v3, -1, 0
	v_and_b32_e32 v4, 28, v3
	v_xor_b32_e32 v7, 2, v3
	v_xor_b32_e32 v10, 1, v3
	v_add_nc_u32_e32 v4, 4, v4
	v_cmp_lt_i32_e64 s1, v7, v4
	v_cndmask_b32_e64 v7, v3, v7, s1
	v_cmp_lt_i32_e64 s1, v10, v4
	v_lshlrev_b32_e32 v8, 2, v7
	v_cndmask_b32_e64 v3, v3, v10, s1
	s_waitcnt vmcnt(0)
	ds_bpermute_b32 v7, v8, v0
	ds_bpermute_b32 v9, v8, v6
	v_lshlrev_b32_e32 v10, 2, v3
	s_waitcnt lgkmcnt(1)
	v_cmp_lt_f32_e64 s1, v0, v7
	v_cndmask_b32_e64 v3, v0, v7, s1
	s_waitcnt lgkmcnt(0)
	v_cmp_lt_f32_e64 s1, v6, v9
	ds_bpermute_b32 v7, v10, v3
	v_cndmask_b32_e64 v4, v6, v9, s1
	ds_bpermute_b32 v9, v10, v4
	s_waitcnt lgkmcnt(1)
	v_cmp_lt_f32_e64 s1, v3, v7
	v_cndmask_b32_e64 v3, v3, v7, s1
	s_waitcnt lgkmcnt(0)
	v_cmp_lt_f32_e64 s1, v4, v9
	v_sub_f32_e32 v0, v0, v3
	v_cndmask_b32_e64 v4, v4, v9, s1
	v_cmp_ngt_f32_e64 s1, 0xc2ce8ed0, v0
	v_sub_f32_e32 v3, v6, v4
	v_mul_f32_e32 v4, 0x3fb8aa3b, v0
	v_mul_f32_e32 v6, 0x3fb8aa3b, v3
	v_fma_f32 v7, 0x3fb8aa3b, v0, -v4
	v_rndne_f32_e32 v9, v4
	v_fma_f32 v11, 0x3fb8aa3b, v3, -v6
	v_rndne_f32_e32 v12, v6
	v_fmac_f32_e32 v7, 0x32a5705f, v0
	v_sub_f32_e32 v4, v4, v9
	v_fmac_f32_e32 v11, 0x32a5705f, v3
	v_sub_f32_e32 v6, v6, v12
	v_add_f32_e32 v4, v4, v7
	v_cvt_i32_f32_e32 v7, v9
	v_cvt_i32_f32_e32 v9, v12
	v_add_f32_e32 v6, v6, v11
	v_exp_f32_e32 v4, v4
	v_exp_f32_e32 v6, v6
	v_ldexp_f32 v4, v4, v7
	v_ldexp_f32 v6, v6, v9
	v_cndmask_b32_e64 v4, 0, v4, s1
	v_cmp_ngt_f32_e64 s1, 0xc2ce8ed0, v3
	v_cndmask_b32_e64 v6, 0, v6, s1
	v_cmp_nlt_f32_e64 s1, 0x42b17218, v0
	v_cndmask_b32_e64 v7, 0x7f800000, v4, s1
	v_cmp_nlt_f32_e64 s1, 0x42b17218, v3
	ds_bpermute_b32 v0, v8, v7
	v_cndmask_b32_e64 v3, 0x7f800000, v6, s1
	ds_bpermute_b32 v4, v8, v3
	s_waitcnt lgkmcnt(1)
	v_add_f32_e32 v8, v7, v0
	ds_bpermute_b32 v9, v10, v8
	s_waitcnt lgkmcnt(1)
	v_add_f32_e32 v4, v3, v4
	ds_bpermute_b32 v6, v10, v4
	s_and_saveexec_b32 s1, vcc_lo
	s_cbranch_execz .LBB385_9
; %bb.5:
	v_add_co_u32 v0, vcc_lo, s8, v1
	v_add_co_ci_u32_e64 v1, null, s9, v2, vcc_lo
	s_and_saveexec_b32 s1, s0
	s_cbranch_execz .LBB385_7
; %bb.6:
	s_waitcnt lgkmcnt(1)
	v_add_f32_e32 v2, v8, v9
	v_div_scale_f32 v8, null, v2, v2, v7
	v_rcp_f32_e32 v9, v8
	v_fma_f32 v10, -v8, v9, 1.0
	v_fmac_f32_e32 v9, v10, v9
	v_div_scale_f32 v10, vcc_lo, v7, v2, v7
	v_mul_f32_e32 v11, v10, v9
	v_fma_f32 v12, -v8, v11, v10
	v_fmac_f32_e32 v11, v12, v9
	v_fma_f32 v8, -v8, v11, v10
	v_div_fmas_f32 v8, v8, v9, v11
	v_cmp_neq_f32_e32 vcc_lo, 0, v2
	v_div_fixup_f32 v7, v8, v2, v7
	v_cndmask_b32_e32 v2, 0x7fc00000, v7, vcc_lo
	global_store_dword v[0:1], v2, off
.LBB385_7:
	s_or_b32 exec_lo, exec_lo, s1
	v_cmp_ne_u32_e32 vcc_lo, 1, v5
	s_and_b32 s0, vcc_lo, s0
	s_and_b32 exec_lo, exec_lo, s0
	s_cbranch_execz .LBB385_9
; %bb.8:
	s_waitcnt lgkmcnt(0)
	v_add_f32_e32 v2, v4, v6
	s_mov_b32 s15, 0
	s_lshl_b64 s[0:1], s[14:15], 2
	v_div_scale_f32 v4, null, v2, v2, v3
	v_div_scale_f32 v7, vcc_lo, v3, v2, v3
	v_rcp_f32_e32 v5, v4
	v_fma_f32 v6, -v4, v5, 1.0
	v_fmac_f32_e32 v5, v6, v5
	v_mul_f32_e32 v6, v7, v5
	v_fma_f32 v8, -v4, v6, v7
	v_fmac_f32_e32 v6, v8, v5
	v_fma_f32 v4, -v4, v6, v7
	v_div_fmas_f32 v4, v4, v5, v6
	v_add_co_u32 v0, vcc_lo, v0, s0
	v_add_co_ci_u32_e64 v1, null, s1, v1, vcc_lo
	v_div_fixup_f32 v3, v4, v2, v3
	v_cmp_neq_f32_e32 vcc_lo, 0, v2
	v_cndmask_b32_e32 v2, 0x7fc00000, v3, vcc_lo
	global_store_dword v[0:1], v2, off
.LBB385_9:
	s_endpgm
	.section	.rodata,"a",@progbits
	.p2align	6, 0x0
	.amdhsa_kernel _ZN12_GLOBAL__N_120softmax_warp_forwardIfffLi2ELb0ELb0ELi32EEEvPT0_PKT_iiiPKbib
		.amdhsa_group_segment_fixed_size 0
		.amdhsa_private_segment_fixed_size 0
		.amdhsa_kernarg_size 304
		.amdhsa_user_sgpr_count 6
		.amdhsa_user_sgpr_private_segment_buffer 1
		.amdhsa_user_sgpr_dispatch_ptr 0
		.amdhsa_user_sgpr_queue_ptr 0
		.amdhsa_user_sgpr_kernarg_segment_ptr 1
		.amdhsa_user_sgpr_dispatch_id 0
		.amdhsa_user_sgpr_flat_scratch_init 0
		.amdhsa_user_sgpr_private_segment_size 0
		.amdhsa_wavefront_size32 1
		.amdhsa_uses_dynamic_stack 0
		.amdhsa_system_sgpr_private_segment_wavefront_offset 0
		.amdhsa_system_sgpr_workgroup_id_x 1
		.amdhsa_system_sgpr_workgroup_id_y 0
		.amdhsa_system_sgpr_workgroup_id_z 0
		.amdhsa_system_sgpr_workgroup_info 0
		.amdhsa_system_vgpr_workitem_id 1
		.amdhsa_next_free_vgpr 13
		.amdhsa_next_free_sgpr 16
		.amdhsa_reserve_vcc 1
		.amdhsa_reserve_flat_scratch 0
		.amdhsa_float_round_mode_32 0
		.amdhsa_float_round_mode_16_64 0
		.amdhsa_float_denorm_mode_32 3
		.amdhsa_float_denorm_mode_16_64 3
		.amdhsa_dx10_clamp 1
		.amdhsa_ieee_mode 1
		.amdhsa_fp16_overflow 0
		.amdhsa_workgroup_processor_mode 1
		.amdhsa_memory_ordered 1
		.amdhsa_forward_progress 1
		.amdhsa_shared_vgpr_count 0
		.amdhsa_exception_fp_ieee_invalid_op 0
		.amdhsa_exception_fp_denorm_src 0
		.amdhsa_exception_fp_ieee_div_zero 0
		.amdhsa_exception_fp_ieee_overflow 0
		.amdhsa_exception_fp_ieee_underflow 0
		.amdhsa_exception_fp_ieee_inexact 0
		.amdhsa_exception_int_div_zero 0
	.end_amdhsa_kernel
	.section	.text._ZN12_GLOBAL__N_120softmax_warp_forwardIfffLi2ELb0ELb0ELi32EEEvPT0_PKT_iiiPKbib,"axG",@progbits,_ZN12_GLOBAL__N_120softmax_warp_forwardIfffLi2ELb0ELb0ELi32EEEvPT0_PKT_iiiPKbib,comdat
.Lfunc_end385:
	.size	_ZN12_GLOBAL__N_120softmax_warp_forwardIfffLi2ELb0ELb0ELi32EEEvPT0_PKT_iiiPKbib, .Lfunc_end385-_ZN12_GLOBAL__N_120softmax_warp_forwardIfffLi2ELb0ELb0ELi32EEEvPT0_PKT_iiiPKbib
                                        ; -- End function
	.set _ZN12_GLOBAL__N_120softmax_warp_forwardIfffLi2ELb0ELb0ELi32EEEvPT0_PKT_iiiPKbib.num_vgpr, 13
	.set _ZN12_GLOBAL__N_120softmax_warp_forwardIfffLi2ELb0ELb0ELi32EEEvPT0_PKT_iiiPKbib.num_agpr, 0
	.set _ZN12_GLOBAL__N_120softmax_warp_forwardIfffLi2ELb0ELb0ELi32EEEvPT0_PKT_iiiPKbib.numbered_sgpr, 16
	.set _ZN12_GLOBAL__N_120softmax_warp_forwardIfffLi2ELb0ELb0ELi32EEEvPT0_PKT_iiiPKbib.num_named_barrier, 0
	.set _ZN12_GLOBAL__N_120softmax_warp_forwardIfffLi2ELb0ELb0ELi32EEEvPT0_PKT_iiiPKbib.private_seg_size, 0
	.set _ZN12_GLOBAL__N_120softmax_warp_forwardIfffLi2ELb0ELb0ELi32EEEvPT0_PKT_iiiPKbib.uses_vcc, 1
	.set _ZN12_GLOBAL__N_120softmax_warp_forwardIfffLi2ELb0ELb0ELi32EEEvPT0_PKT_iiiPKbib.uses_flat_scratch, 0
	.set _ZN12_GLOBAL__N_120softmax_warp_forwardIfffLi2ELb0ELb0ELi32EEEvPT0_PKT_iiiPKbib.has_dyn_sized_stack, 0
	.set _ZN12_GLOBAL__N_120softmax_warp_forwardIfffLi2ELb0ELb0ELi32EEEvPT0_PKT_iiiPKbib.has_recursion, 0
	.set _ZN12_GLOBAL__N_120softmax_warp_forwardIfffLi2ELb0ELb0ELi32EEEvPT0_PKT_iiiPKbib.has_indirect_call, 0
	.section	.AMDGPU.csdata,"",@progbits
; Kernel info:
; codeLenInByte = 912
; TotalNumSgprs: 18
; NumVgprs: 13
; ScratchSize: 0
; MemoryBound: 0
; FloatMode: 240
; IeeeMode: 1
; LDSByteSize: 0 bytes/workgroup (compile time only)
; SGPRBlocks: 0
; VGPRBlocks: 1
; NumSGPRsForWavesPerEU: 18
; NumVGPRsForWavesPerEU: 13
; Occupancy: 16
; WaveLimiterHint : 0
; COMPUTE_PGM_RSRC2:SCRATCH_EN: 0
; COMPUTE_PGM_RSRC2:USER_SGPR: 6
; COMPUTE_PGM_RSRC2:TRAP_HANDLER: 0
; COMPUTE_PGM_RSRC2:TGID_X_EN: 1
; COMPUTE_PGM_RSRC2:TGID_Y_EN: 0
; COMPUTE_PGM_RSRC2:TGID_Z_EN: 0
; COMPUTE_PGM_RSRC2:TIDIG_COMP_CNT: 1
	.section	.text._ZN12_GLOBAL__N_120softmax_warp_forwardIfffLi3ELb0ELb0ELi64EEEvPT0_PKT_iiiPKbib,"axG",@progbits,_ZN12_GLOBAL__N_120softmax_warp_forwardIfffLi3ELb0ELb0ELi64EEEvPT0_PKT_iiiPKbib,comdat
	.globl	_ZN12_GLOBAL__N_120softmax_warp_forwardIfffLi3ELb0ELb0ELi64EEEvPT0_PKT_iiiPKbib ; -- Begin function _ZN12_GLOBAL__N_120softmax_warp_forwardIfffLi3ELb0ELb0ELi64EEEvPT0_PKT_iiiPKbib
	.p2align	8
	.type	_ZN12_GLOBAL__N_120softmax_warp_forwardIfffLi3ELb0ELb0ELi64EEEvPT0_PKT_iiiPKbib,@function
_ZN12_GLOBAL__N_120softmax_warp_forwardIfffLi3ELb0ELb0ELi64EEEvPT0_PKT_iiiPKbib: ; @_ZN12_GLOBAL__N_120softmax_warp_forwardIfffLi3ELb0ELb0ELi64EEEvPT0_PKT_iiiPKbib
; %bb.0:
	s_clause 0x1
	s_load_dword s0, s[4:5], 0x3c
	s_load_dwordx8 s[8:15], s[4:5], 0x0
	v_mov_b32_e32 v6, 0xff800000
	s_waitcnt lgkmcnt(0)
	s_lshr_b32 s0, s0, 16
	s_and_b32 s0, s0, 0xffff
	s_mul_i32 s6, s6, s0
	v_cmp_gt_i32_e64 s0, s14, v0
	v_add_lshl_u32 v3, s6, v1, 1
	v_mad_u64_u32 v[1:2], null, v3, s13, v[0:1]
	v_sub_nc_u32_e32 v5, s12, v3
	v_mov_b32_e32 v0, 0xff800000
	v_cmp_lt_i32_e32 vcc_lo, 0, v5
	v_ashrrev_i32_e32 v2, 31, v1
	s_and_b32 s2, s0, vcc_lo
	v_lshlrev_b64 v[1:2], 2, v[1:2]
	v_add_co_u32 v3, s1, s10, v1
	v_add_co_ci_u32_e64 v4, null, s11, v2, s1
	s_and_saveexec_b32 s1, s2
	s_cbranch_execz .LBB386_2
; %bb.1:
	global_load_dword v0, v[3:4], off
.LBB386_2:
	s_or_b32 exec_lo, exec_lo, s1
	v_cmp_lt_i32_e64 s1, 1, v5
	s_and_b32 s1, s0, s1
	s_and_saveexec_b32 s2, s1
	s_cbranch_execz .LBB386_4
; %bb.3:
	s_mov_b32 s15, 0
	s_lshl_b64 s[4:5], s[14:15], 2
	v_add_co_u32 v3, s1, v3, s4
	v_add_co_ci_u32_e64 v4, null, s5, v4, s1
	global_load_dword v6, v[3:4], off
.LBB386_4:
	s_or_b32 exec_lo, exec_lo, s2
	v_mbcnt_lo_u32_b32 v3, -1, 0
	v_and_b32_e32 v4, 24, v3
	v_xor_b32_e32 v7, 4, v3
	v_xor_b32_e32 v10, 2, v3
	;; [unrolled: 1-line block ×3, first 2 shown]
	v_add_nc_u32_e32 v4, 8, v4
	v_cmp_lt_i32_e64 s1, v7, v4
	v_cndmask_b32_e64 v7, v3, v7, s1
	v_cmp_lt_i32_e64 s1, v10, v4
	v_lshlrev_b32_e32 v8, 2, v7
	v_cndmask_b32_e64 v10, v3, v10, s1
	s_waitcnt vmcnt(0)
	ds_bpermute_b32 v7, v8, v0
	ds_bpermute_b32 v9, v8, v6
	v_lshlrev_b32_e32 v10, 2, v10
	s_waitcnt lgkmcnt(1)
	v_cmp_lt_f32_e64 s1, v0, v7
	v_cndmask_b32_e64 v7, v0, v7, s1
	s_waitcnt lgkmcnt(0)
	v_cmp_lt_f32_e64 s1, v6, v9
	ds_bpermute_b32 v11, v10, v7
	v_cndmask_b32_e64 v9, v6, v9, s1
	v_cmp_lt_i32_e64 s1, v13, v4
	ds_bpermute_b32 v12, v10, v9
	v_cndmask_b32_e64 v3, v3, v13, s1
	v_lshlrev_b32_e32 v13, 2, v3
	s_waitcnt lgkmcnt(1)
	v_cmp_lt_f32_e64 s1, v7, v11
	v_cndmask_b32_e64 v3, v7, v11, s1
	s_waitcnt lgkmcnt(0)
	v_cmp_lt_f32_e64 s1, v9, v12
	ds_bpermute_b32 v7, v13, v3
	v_cndmask_b32_e64 v4, v9, v12, s1
	ds_bpermute_b32 v9, v13, v4
	s_waitcnt lgkmcnt(1)
	v_cmp_lt_f32_e64 s1, v3, v7
	v_cndmask_b32_e64 v3, v3, v7, s1
	s_waitcnt lgkmcnt(0)
	v_cmp_lt_f32_e64 s1, v4, v9
	v_sub_f32_e32 v0, v0, v3
	v_cndmask_b32_e64 v4, v4, v9, s1
	v_cmp_ngt_f32_e64 s1, 0xc2ce8ed0, v0
	v_sub_f32_e32 v3, v6, v4
	v_mul_f32_e32 v4, 0x3fb8aa3b, v0
	v_mul_f32_e32 v6, 0x3fb8aa3b, v3
	v_fma_f32 v7, 0x3fb8aa3b, v0, -v4
	v_rndne_f32_e32 v9, v4
	v_fma_f32 v11, 0x3fb8aa3b, v3, -v6
	v_rndne_f32_e32 v12, v6
	v_fmac_f32_e32 v7, 0x32a5705f, v0
	v_sub_f32_e32 v4, v4, v9
	v_fmac_f32_e32 v11, 0x32a5705f, v3
	v_sub_f32_e32 v6, v6, v12
	v_add_f32_e32 v4, v4, v7
	v_cvt_i32_f32_e32 v7, v9
	v_cvt_i32_f32_e32 v9, v12
	v_add_f32_e32 v6, v6, v11
	v_exp_f32_e32 v4, v4
	v_exp_f32_e32 v6, v6
	v_ldexp_f32 v4, v4, v7
	v_ldexp_f32 v6, v6, v9
	v_cndmask_b32_e64 v4, 0, v4, s1
	v_cmp_ngt_f32_e64 s1, 0xc2ce8ed0, v3
	v_cndmask_b32_e64 v6, 0, v6, s1
	v_cmp_nlt_f32_e64 s1, 0x42b17218, v0
	v_cndmask_b32_e64 v7, 0x7f800000, v4, s1
	v_cmp_nlt_f32_e64 s1, 0x42b17218, v3
	ds_bpermute_b32 v0, v8, v7
	v_cndmask_b32_e64 v3, 0x7f800000, v6, s1
	ds_bpermute_b32 v4, v8, v3
	s_waitcnt lgkmcnt(1)
	v_add_f32_e32 v0, v7, v0
	ds_bpermute_b32 v6, v10, v0
	s_waitcnt lgkmcnt(1)
	v_add_f32_e32 v4, v3, v4
	;; [unrolled: 3-line block ×3, first 2 shown]
	s_waitcnt lgkmcnt(0)
	v_add_f32_e32 v4, v4, v9
	ds_bpermute_b32 v9, v13, v8
	ds_bpermute_b32 v6, v13, v4
	s_and_saveexec_b32 s1, vcc_lo
	s_cbranch_execz .LBB386_9
; %bb.5:
	v_add_co_u32 v0, vcc_lo, s8, v1
	v_add_co_ci_u32_e64 v1, null, s9, v2, vcc_lo
	s_and_saveexec_b32 s1, s0
	s_cbranch_execz .LBB386_7
; %bb.6:
	s_waitcnt lgkmcnt(1)
	v_add_f32_e32 v2, v8, v9
	v_div_scale_f32 v8, null, v2, v2, v7
	v_rcp_f32_e32 v9, v8
	v_fma_f32 v10, -v8, v9, 1.0
	v_fmac_f32_e32 v9, v10, v9
	v_div_scale_f32 v10, vcc_lo, v7, v2, v7
	v_mul_f32_e32 v11, v10, v9
	v_fma_f32 v12, -v8, v11, v10
	v_fmac_f32_e32 v11, v12, v9
	v_fma_f32 v8, -v8, v11, v10
	v_div_fmas_f32 v8, v8, v9, v11
	v_cmp_neq_f32_e32 vcc_lo, 0, v2
	v_div_fixup_f32 v7, v8, v2, v7
	v_cndmask_b32_e32 v2, 0x7fc00000, v7, vcc_lo
	global_store_dword v[0:1], v2, off
.LBB386_7:
	s_or_b32 exec_lo, exec_lo, s1
	v_cmp_ne_u32_e32 vcc_lo, 1, v5
	s_and_b32 s0, vcc_lo, s0
	s_and_b32 exec_lo, exec_lo, s0
	s_cbranch_execz .LBB386_9
; %bb.8:
	s_waitcnt lgkmcnt(0)
	v_add_f32_e32 v2, v4, v6
	s_mov_b32 s15, 0
	s_lshl_b64 s[0:1], s[14:15], 2
	v_div_scale_f32 v4, null, v2, v2, v3
	v_div_scale_f32 v7, vcc_lo, v3, v2, v3
	v_rcp_f32_e32 v5, v4
	v_fma_f32 v6, -v4, v5, 1.0
	v_fmac_f32_e32 v5, v6, v5
	v_mul_f32_e32 v6, v7, v5
	v_fma_f32 v8, -v4, v6, v7
	v_fmac_f32_e32 v6, v8, v5
	v_fma_f32 v4, -v4, v6, v7
	v_div_fmas_f32 v4, v4, v5, v6
	v_add_co_u32 v0, vcc_lo, v0, s0
	v_add_co_ci_u32_e64 v1, null, s1, v1, vcc_lo
	v_div_fixup_f32 v3, v4, v2, v3
	v_cmp_neq_f32_e32 vcc_lo, 0, v2
	v_cndmask_b32_e32 v2, 0x7fc00000, v3, vcc_lo
	global_store_dword v[0:1], v2, off
.LBB386_9:
	s_endpgm
	.section	.rodata,"a",@progbits
	.p2align	6, 0x0
	.amdhsa_kernel _ZN12_GLOBAL__N_120softmax_warp_forwardIfffLi3ELb0ELb0ELi64EEEvPT0_PKT_iiiPKbib
		.amdhsa_group_segment_fixed_size 0
		.amdhsa_private_segment_fixed_size 0
		.amdhsa_kernarg_size 304
		.amdhsa_user_sgpr_count 6
		.amdhsa_user_sgpr_private_segment_buffer 1
		.amdhsa_user_sgpr_dispatch_ptr 0
		.amdhsa_user_sgpr_queue_ptr 0
		.amdhsa_user_sgpr_kernarg_segment_ptr 1
		.amdhsa_user_sgpr_dispatch_id 0
		.amdhsa_user_sgpr_flat_scratch_init 0
		.amdhsa_user_sgpr_private_segment_size 0
		.amdhsa_wavefront_size32 1
		.amdhsa_uses_dynamic_stack 0
		.amdhsa_system_sgpr_private_segment_wavefront_offset 0
		.amdhsa_system_sgpr_workgroup_id_x 1
		.amdhsa_system_sgpr_workgroup_id_y 0
		.amdhsa_system_sgpr_workgroup_id_z 0
		.amdhsa_system_sgpr_workgroup_info 0
		.amdhsa_system_vgpr_workitem_id 1
		.amdhsa_next_free_vgpr 14
		.amdhsa_next_free_sgpr 16
		.amdhsa_reserve_vcc 1
		.amdhsa_reserve_flat_scratch 0
		.amdhsa_float_round_mode_32 0
		.amdhsa_float_round_mode_16_64 0
		.amdhsa_float_denorm_mode_32 3
		.amdhsa_float_denorm_mode_16_64 3
		.amdhsa_dx10_clamp 1
		.amdhsa_ieee_mode 1
		.amdhsa_fp16_overflow 0
		.amdhsa_workgroup_processor_mode 1
		.amdhsa_memory_ordered 1
		.amdhsa_forward_progress 1
		.amdhsa_shared_vgpr_count 0
		.amdhsa_exception_fp_ieee_invalid_op 0
		.amdhsa_exception_fp_denorm_src 0
		.amdhsa_exception_fp_ieee_div_zero 0
		.amdhsa_exception_fp_ieee_overflow 0
		.amdhsa_exception_fp_ieee_underflow 0
		.amdhsa_exception_fp_ieee_inexact 0
		.amdhsa_exception_int_div_zero 0
	.end_amdhsa_kernel
	.section	.text._ZN12_GLOBAL__N_120softmax_warp_forwardIfffLi3ELb0ELb0ELi64EEEvPT0_PKT_iiiPKbib,"axG",@progbits,_ZN12_GLOBAL__N_120softmax_warp_forwardIfffLi3ELb0ELb0ELi64EEEvPT0_PKT_iiiPKbib,comdat
.Lfunc_end386:
	.size	_ZN12_GLOBAL__N_120softmax_warp_forwardIfffLi3ELb0ELb0ELi64EEEvPT0_PKT_iiiPKbib, .Lfunc_end386-_ZN12_GLOBAL__N_120softmax_warp_forwardIfffLi3ELb0ELb0ELi64EEEvPT0_PKT_iiiPKbib
                                        ; -- End function
	.set _ZN12_GLOBAL__N_120softmax_warp_forwardIfffLi3ELb0ELb0ELi64EEEvPT0_PKT_iiiPKbib.num_vgpr, 14
	.set _ZN12_GLOBAL__N_120softmax_warp_forwardIfffLi3ELb0ELb0ELi64EEEvPT0_PKT_iiiPKbib.num_agpr, 0
	.set _ZN12_GLOBAL__N_120softmax_warp_forwardIfffLi3ELb0ELb0ELi64EEEvPT0_PKT_iiiPKbib.numbered_sgpr, 16
	.set _ZN12_GLOBAL__N_120softmax_warp_forwardIfffLi3ELb0ELb0ELi64EEEvPT0_PKT_iiiPKbib.num_named_barrier, 0
	.set _ZN12_GLOBAL__N_120softmax_warp_forwardIfffLi3ELb0ELb0ELi64EEEvPT0_PKT_iiiPKbib.private_seg_size, 0
	.set _ZN12_GLOBAL__N_120softmax_warp_forwardIfffLi3ELb0ELb0ELi64EEEvPT0_PKT_iiiPKbib.uses_vcc, 1
	.set _ZN12_GLOBAL__N_120softmax_warp_forwardIfffLi3ELb0ELb0ELi64EEEvPT0_PKT_iiiPKbib.uses_flat_scratch, 0
	.set _ZN12_GLOBAL__N_120softmax_warp_forwardIfffLi3ELb0ELb0ELi64EEEvPT0_PKT_iiiPKbib.has_dyn_sized_stack, 0
	.set _ZN12_GLOBAL__N_120softmax_warp_forwardIfffLi3ELb0ELb0ELi64EEEvPT0_PKT_iiiPKbib.has_recursion, 0
	.set _ZN12_GLOBAL__N_120softmax_warp_forwardIfffLi3ELb0ELb0ELi64EEEvPT0_PKT_iiiPKbib.has_indirect_call, 0
	.section	.AMDGPU.csdata,"",@progbits
; Kernel info:
; codeLenInByte = 1024
; TotalNumSgprs: 18
; NumVgprs: 14
; ScratchSize: 0
; MemoryBound: 0
; FloatMode: 240
; IeeeMode: 1
; LDSByteSize: 0 bytes/workgroup (compile time only)
; SGPRBlocks: 0
; VGPRBlocks: 1
; NumSGPRsForWavesPerEU: 18
; NumVGPRsForWavesPerEU: 14
; Occupancy: 16
; WaveLimiterHint : 0
; COMPUTE_PGM_RSRC2:SCRATCH_EN: 0
; COMPUTE_PGM_RSRC2:USER_SGPR: 6
; COMPUTE_PGM_RSRC2:TRAP_HANDLER: 0
; COMPUTE_PGM_RSRC2:TGID_X_EN: 1
; COMPUTE_PGM_RSRC2:TGID_Y_EN: 0
; COMPUTE_PGM_RSRC2:TGID_Z_EN: 0
; COMPUTE_PGM_RSRC2:TIDIG_COMP_CNT: 1
	.section	.text._ZN12_GLOBAL__N_120softmax_warp_forwardIfffLi3ELb0ELb0ELi32EEEvPT0_PKT_iiiPKbib,"axG",@progbits,_ZN12_GLOBAL__N_120softmax_warp_forwardIfffLi3ELb0ELb0ELi32EEEvPT0_PKT_iiiPKbib,comdat
	.globl	_ZN12_GLOBAL__N_120softmax_warp_forwardIfffLi3ELb0ELb0ELi32EEEvPT0_PKT_iiiPKbib ; -- Begin function _ZN12_GLOBAL__N_120softmax_warp_forwardIfffLi3ELb0ELb0ELi32EEEvPT0_PKT_iiiPKbib
	.p2align	8
	.type	_ZN12_GLOBAL__N_120softmax_warp_forwardIfffLi3ELb0ELb0ELi32EEEvPT0_PKT_iiiPKbib,@function
_ZN12_GLOBAL__N_120softmax_warp_forwardIfffLi3ELb0ELb0ELi32EEEvPT0_PKT_iiiPKbib: ; @_ZN12_GLOBAL__N_120softmax_warp_forwardIfffLi3ELb0ELb0ELi32EEEvPT0_PKT_iiiPKbib
; %bb.0:
	s_clause 0x1
	s_load_dword s0, s[4:5], 0x3c
	s_load_dwordx8 s[8:15], s[4:5], 0x0
	v_mov_b32_e32 v6, 0xff800000
	s_waitcnt lgkmcnt(0)
	s_lshr_b32 s0, s0, 16
	s_and_b32 s0, s0, 0xffff
	s_mul_i32 s6, s6, s0
	v_cmp_gt_i32_e64 s0, s14, v0
	v_add_lshl_u32 v3, s6, v1, 1
	v_mad_u64_u32 v[1:2], null, v3, s13, v[0:1]
	v_sub_nc_u32_e32 v5, s12, v3
	v_mov_b32_e32 v0, 0xff800000
	v_cmp_lt_i32_e32 vcc_lo, 0, v5
	v_ashrrev_i32_e32 v2, 31, v1
	s_and_b32 s2, s0, vcc_lo
	v_lshlrev_b64 v[1:2], 2, v[1:2]
	v_add_co_u32 v3, s1, s10, v1
	v_add_co_ci_u32_e64 v4, null, s11, v2, s1
	s_and_saveexec_b32 s1, s2
	s_cbranch_execz .LBB387_2
; %bb.1:
	global_load_dword v0, v[3:4], off
.LBB387_2:
	s_or_b32 exec_lo, exec_lo, s1
	v_cmp_lt_i32_e64 s1, 1, v5
	s_and_b32 s1, s0, s1
	s_and_saveexec_b32 s2, s1
	s_cbranch_execz .LBB387_4
; %bb.3:
	s_mov_b32 s15, 0
	s_lshl_b64 s[4:5], s[14:15], 2
	v_add_co_u32 v3, s1, v3, s4
	v_add_co_ci_u32_e64 v4, null, s5, v4, s1
	global_load_dword v6, v[3:4], off
.LBB387_4:
	s_or_b32 exec_lo, exec_lo, s2
	v_mbcnt_lo_u32_b32 v3, -1, 0
	v_and_b32_e32 v4, 24, v3
	v_xor_b32_e32 v7, 4, v3
	v_xor_b32_e32 v10, 2, v3
	;; [unrolled: 1-line block ×3, first 2 shown]
	v_add_nc_u32_e32 v4, 8, v4
	v_cmp_lt_i32_e64 s1, v7, v4
	v_cndmask_b32_e64 v7, v3, v7, s1
	v_cmp_lt_i32_e64 s1, v10, v4
	v_lshlrev_b32_e32 v8, 2, v7
	v_cndmask_b32_e64 v10, v3, v10, s1
	s_waitcnt vmcnt(0)
	ds_bpermute_b32 v7, v8, v0
	ds_bpermute_b32 v9, v8, v6
	v_lshlrev_b32_e32 v10, 2, v10
	s_waitcnt lgkmcnt(1)
	v_cmp_lt_f32_e64 s1, v0, v7
	v_cndmask_b32_e64 v7, v0, v7, s1
	s_waitcnt lgkmcnt(0)
	v_cmp_lt_f32_e64 s1, v6, v9
	ds_bpermute_b32 v11, v10, v7
	v_cndmask_b32_e64 v9, v6, v9, s1
	v_cmp_lt_i32_e64 s1, v13, v4
	ds_bpermute_b32 v12, v10, v9
	v_cndmask_b32_e64 v3, v3, v13, s1
	v_lshlrev_b32_e32 v13, 2, v3
	s_waitcnt lgkmcnt(1)
	v_cmp_lt_f32_e64 s1, v7, v11
	v_cndmask_b32_e64 v3, v7, v11, s1
	s_waitcnt lgkmcnt(0)
	v_cmp_lt_f32_e64 s1, v9, v12
	ds_bpermute_b32 v7, v13, v3
	v_cndmask_b32_e64 v4, v9, v12, s1
	ds_bpermute_b32 v9, v13, v4
	s_waitcnt lgkmcnt(1)
	v_cmp_lt_f32_e64 s1, v3, v7
	v_cndmask_b32_e64 v3, v3, v7, s1
	s_waitcnt lgkmcnt(0)
	v_cmp_lt_f32_e64 s1, v4, v9
	v_sub_f32_e32 v0, v0, v3
	v_cndmask_b32_e64 v4, v4, v9, s1
	v_cmp_ngt_f32_e64 s1, 0xc2ce8ed0, v0
	v_sub_f32_e32 v3, v6, v4
	v_mul_f32_e32 v4, 0x3fb8aa3b, v0
	v_mul_f32_e32 v6, 0x3fb8aa3b, v3
	v_fma_f32 v7, 0x3fb8aa3b, v0, -v4
	v_rndne_f32_e32 v9, v4
	v_fma_f32 v11, 0x3fb8aa3b, v3, -v6
	v_rndne_f32_e32 v12, v6
	v_fmac_f32_e32 v7, 0x32a5705f, v0
	v_sub_f32_e32 v4, v4, v9
	v_fmac_f32_e32 v11, 0x32a5705f, v3
	v_sub_f32_e32 v6, v6, v12
	v_add_f32_e32 v4, v4, v7
	v_cvt_i32_f32_e32 v7, v9
	v_cvt_i32_f32_e32 v9, v12
	v_add_f32_e32 v6, v6, v11
	v_exp_f32_e32 v4, v4
	v_exp_f32_e32 v6, v6
	v_ldexp_f32 v4, v4, v7
	v_ldexp_f32 v6, v6, v9
	v_cndmask_b32_e64 v4, 0, v4, s1
	v_cmp_ngt_f32_e64 s1, 0xc2ce8ed0, v3
	v_cndmask_b32_e64 v6, 0, v6, s1
	v_cmp_nlt_f32_e64 s1, 0x42b17218, v0
	v_cndmask_b32_e64 v7, 0x7f800000, v4, s1
	v_cmp_nlt_f32_e64 s1, 0x42b17218, v3
	ds_bpermute_b32 v0, v8, v7
	v_cndmask_b32_e64 v3, 0x7f800000, v6, s1
	ds_bpermute_b32 v4, v8, v3
	s_waitcnt lgkmcnt(1)
	v_add_f32_e32 v0, v7, v0
	ds_bpermute_b32 v6, v10, v0
	s_waitcnt lgkmcnt(1)
	v_add_f32_e32 v4, v3, v4
	;; [unrolled: 3-line block ×3, first 2 shown]
	s_waitcnt lgkmcnt(0)
	v_add_f32_e32 v4, v4, v9
	ds_bpermute_b32 v9, v13, v8
	ds_bpermute_b32 v6, v13, v4
	s_and_saveexec_b32 s1, vcc_lo
	s_cbranch_execz .LBB387_9
; %bb.5:
	v_add_co_u32 v0, vcc_lo, s8, v1
	v_add_co_ci_u32_e64 v1, null, s9, v2, vcc_lo
	s_and_saveexec_b32 s1, s0
	s_cbranch_execz .LBB387_7
; %bb.6:
	s_waitcnt lgkmcnt(1)
	v_add_f32_e32 v2, v8, v9
	v_div_scale_f32 v8, null, v2, v2, v7
	v_rcp_f32_e32 v9, v8
	v_fma_f32 v10, -v8, v9, 1.0
	v_fmac_f32_e32 v9, v10, v9
	v_div_scale_f32 v10, vcc_lo, v7, v2, v7
	v_mul_f32_e32 v11, v10, v9
	v_fma_f32 v12, -v8, v11, v10
	v_fmac_f32_e32 v11, v12, v9
	v_fma_f32 v8, -v8, v11, v10
	v_div_fmas_f32 v8, v8, v9, v11
	v_cmp_neq_f32_e32 vcc_lo, 0, v2
	v_div_fixup_f32 v7, v8, v2, v7
	v_cndmask_b32_e32 v2, 0x7fc00000, v7, vcc_lo
	global_store_dword v[0:1], v2, off
.LBB387_7:
	s_or_b32 exec_lo, exec_lo, s1
	v_cmp_ne_u32_e32 vcc_lo, 1, v5
	s_and_b32 s0, vcc_lo, s0
	s_and_b32 exec_lo, exec_lo, s0
	s_cbranch_execz .LBB387_9
; %bb.8:
	s_waitcnt lgkmcnt(0)
	v_add_f32_e32 v2, v4, v6
	s_mov_b32 s15, 0
	s_lshl_b64 s[0:1], s[14:15], 2
	v_div_scale_f32 v4, null, v2, v2, v3
	v_div_scale_f32 v7, vcc_lo, v3, v2, v3
	v_rcp_f32_e32 v5, v4
	v_fma_f32 v6, -v4, v5, 1.0
	v_fmac_f32_e32 v5, v6, v5
	v_mul_f32_e32 v6, v7, v5
	v_fma_f32 v8, -v4, v6, v7
	v_fmac_f32_e32 v6, v8, v5
	v_fma_f32 v4, -v4, v6, v7
	v_div_fmas_f32 v4, v4, v5, v6
	v_add_co_u32 v0, vcc_lo, v0, s0
	v_add_co_ci_u32_e64 v1, null, s1, v1, vcc_lo
	v_div_fixup_f32 v3, v4, v2, v3
	v_cmp_neq_f32_e32 vcc_lo, 0, v2
	v_cndmask_b32_e32 v2, 0x7fc00000, v3, vcc_lo
	global_store_dword v[0:1], v2, off
.LBB387_9:
	s_endpgm
	.section	.rodata,"a",@progbits
	.p2align	6, 0x0
	.amdhsa_kernel _ZN12_GLOBAL__N_120softmax_warp_forwardIfffLi3ELb0ELb0ELi32EEEvPT0_PKT_iiiPKbib
		.amdhsa_group_segment_fixed_size 0
		.amdhsa_private_segment_fixed_size 0
		.amdhsa_kernarg_size 304
		.amdhsa_user_sgpr_count 6
		.amdhsa_user_sgpr_private_segment_buffer 1
		.amdhsa_user_sgpr_dispatch_ptr 0
		.amdhsa_user_sgpr_queue_ptr 0
		.amdhsa_user_sgpr_kernarg_segment_ptr 1
		.amdhsa_user_sgpr_dispatch_id 0
		.amdhsa_user_sgpr_flat_scratch_init 0
		.amdhsa_user_sgpr_private_segment_size 0
		.amdhsa_wavefront_size32 1
		.amdhsa_uses_dynamic_stack 0
		.amdhsa_system_sgpr_private_segment_wavefront_offset 0
		.amdhsa_system_sgpr_workgroup_id_x 1
		.amdhsa_system_sgpr_workgroup_id_y 0
		.amdhsa_system_sgpr_workgroup_id_z 0
		.amdhsa_system_sgpr_workgroup_info 0
		.amdhsa_system_vgpr_workitem_id 1
		.amdhsa_next_free_vgpr 14
		.amdhsa_next_free_sgpr 16
		.amdhsa_reserve_vcc 1
		.amdhsa_reserve_flat_scratch 0
		.amdhsa_float_round_mode_32 0
		.amdhsa_float_round_mode_16_64 0
		.amdhsa_float_denorm_mode_32 3
		.amdhsa_float_denorm_mode_16_64 3
		.amdhsa_dx10_clamp 1
		.amdhsa_ieee_mode 1
		.amdhsa_fp16_overflow 0
		.amdhsa_workgroup_processor_mode 1
		.amdhsa_memory_ordered 1
		.amdhsa_forward_progress 1
		.amdhsa_shared_vgpr_count 0
		.amdhsa_exception_fp_ieee_invalid_op 0
		.amdhsa_exception_fp_denorm_src 0
		.amdhsa_exception_fp_ieee_div_zero 0
		.amdhsa_exception_fp_ieee_overflow 0
		.amdhsa_exception_fp_ieee_underflow 0
		.amdhsa_exception_fp_ieee_inexact 0
		.amdhsa_exception_int_div_zero 0
	.end_amdhsa_kernel
	.section	.text._ZN12_GLOBAL__N_120softmax_warp_forwardIfffLi3ELb0ELb0ELi32EEEvPT0_PKT_iiiPKbib,"axG",@progbits,_ZN12_GLOBAL__N_120softmax_warp_forwardIfffLi3ELb0ELb0ELi32EEEvPT0_PKT_iiiPKbib,comdat
.Lfunc_end387:
	.size	_ZN12_GLOBAL__N_120softmax_warp_forwardIfffLi3ELb0ELb0ELi32EEEvPT0_PKT_iiiPKbib, .Lfunc_end387-_ZN12_GLOBAL__N_120softmax_warp_forwardIfffLi3ELb0ELb0ELi32EEEvPT0_PKT_iiiPKbib
                                        ; -- End function
	.set _ZN12_GLOBAL__N_120softmax_warp_forwardIfffLi3ELb0ELb0ELi32EEEvPT0_PKT_iiiPKbib.num_vgpr, 14
	.set _ZN12_GLOBAL__N_120softmax_warp_forwardIfffLi3ELb0ELb0ELi32EEEvPT0_PKT_iiiPKbib.num_agpr, 0
	.set _ZN12_GLOBAL__N_120softmax_warp_forwardIfffLi3ELb0ELb0ELi32EEEvPT0_PKT_iiiPKbib.numbered_sgpr, 16
	.set _ZN12_GLOBAL__N_120softmax_warp_forwardIfffLi3ELb0ELb0ELi32EEEvPT0_PKT_iiiPKbib.num_named_barrier, 0
	.set _ZN12_GLOBAL__N_120softmax_warp_forwardIfffLi3ELb0ELb0ELi32EEEvPT0_PKT_iiiPKbib.private_seg_size, 0
	.set _ZN12_GLOBAL__N_120softmax_warp_forwardIfffLi3ELb0ELb0ELi32EEEvPT0_PKT_iiiPKbib.uses_vcc, 1
	.set _ZN12_GLOBAL__N_120softmax_warp_forwardIfffLi3ELb0ELb0ELi32EEEvPT0_PKT_iiiPKbib.uses_flat_scratch, 0
	.set _ZN12_GLOBAL__N_120softmax_warp_forwardIfffLi3ELb0ELb0ELi32EEEvPT0_PKT_iiiPKbib.has_dyn_sized_stack, 0
	.set _ZN12_GLOBAL__N_120softmax_warp_forwardIfffLi3ELb0ELb0ELi32EEEvPT0_PKT_iiiPKbib.has_recursion, 0
	.set _ZN12_GLOBAL__N_120softmax_warp_forwardIfffLi3ELb0ELb0ELi32EEEvPT0_PKT_iiiPKbib.has_indirect_call, 0
	.section	.AMDGPU.csdata,"",@progbits
; Kernel info:
; codeLenInByte = 1024
; TotalNumSgprs: 18
; NumVgprs: 14
; ScratchSize: 0
; MemoryBound: 0
; FloatMode: 240
; IeeeMode: 1
; LDSByteSize: 0 bytes/workgroup (compile time only)
; SGPRBlocks: 0
; VGPRBlocks: 1
; NumSGPRsForWavesPerEU: 18
; NumVGPRsForWavesPerEU: 14
; Occupancy: 16
; WaveLimiterHint : 0
; COMPUTE_PGM_RSRC2:SCRATCH_EN: 0
; COMPUTE_PGM_RSRC2:USER_SGPR: 6
; COMPUTE_PGM_RSRC2:TRAP_HANDLER: 0
; COMPUTE_PGM_RSRC2:TGID_X_EN: 1
; COMPUTE_PGM_RSRC2:TGID_Y_EN: 0
; COMPUTE_PGM_RSRC2:TGID_Z_EN: 0
; COMPUTE_PGM_RSRC2:TIDIG_COMP_CNT: 1
	.section	.text._ZN12_GLOBAL__N_120softmax_warp_forwardIfffLi4ELb0ELb0ELi64EEEvPT0_PKT_iiiPKbib,"axG",@progbits,_ZN12_GLOBAL__N_120softmax_warp_forwardIfffLi4ELb0ELb0ELi64EEEvPT0_PKT_iiiPKbib,comdat
	.globl	_ZN12_GLOBAL__N_120softmax_warp_forwardIfffLi4ELb0ELb0ELi64EEEvPT0_PKT_iiiPKbib ; -- Begin function _ZN12_GLOBAL__N_120softmax_warp_forwardIfffLi4ELb0ELb0ELi64EEEvPT0_PKT_iiiPKbib
	.p2align	8
	.type	_ZN12_GLOBAL__N_120softmax_warp_forwardIfffLi4ELb0ELb0ELi64EEEvPT0_PKT_iiiPKbib,@function
_ZN12_GLOBAL__N_120softmax_warp_forwardIfffLi4ELb0ELb0ELi64EEEvPT0_PKT_iiiPKbib: ; @_ZN12_GLOBAL__N_120softmax_warp_forwardIfffLi4ELb0ELb0ELi64EEEvPT0_PKT_iiiPKbib
; %bb.0:
	s_clause 0x1
	s_load_dword s0, s[4:5], 0x3c
	s_load_dwordx8 s[8:15], s[4:5], 0x0
	v_mov_b32_e32 v6, 0xff800000
	s_waitcnt lgkmcnt(0)
	s_lshr_b32 s0, s0, 16
	s_and_b32 s0, s0, 0xffff
	s_mul_i32 s6, s6, s0
	v_cmp_gt_i32_e64 s0, s14, v0
	v_add_lshl_u32 v3, s6, v1, 1
	v_mad_u64_u32 v[1:2], null, v3, s13, v[0:1]
	v_sub_nc_u32_e32 v5, s12, v3
	v_mov_b32_e32 v0, 0xff800000
	v_cmp_lt_i32_e32 vcc_lo, 0, v5
	v_ashrrev_i32_e32 v2, 31, v1
	s_and_b32 s2, s0, vcc_lo
	v_lshlrev_b64 v[1:2], 2, v[1:2]
	v_add_co_u32 v3, s1, s10, v1
	v_add_co_ci_u32_e64 v4, null, s11, v2, s1
	s_and_saveexec_b32 s1, s2
	s_cbranch_execz .LBB388_2
; %bb.1:
	global_load_dword v0, v[3:4], off
.LBB388_2:
	s_or_b32 exec_lo, exec_lo, s1
	v_cmp_lt_i32_e64 s1, 1, v5
	s_and_b32 s1, s0, s1
	s_and_saveexec_b32 s2, s1
	s_cbranch_execz .LBB388_4
; %bb.3:
	s_mov_b32 s15, 0
	s_lshl_b64 s[4:5], s[14:15], 2
	v_add_co_u32 v3, s1, v3, s4
	v_add_co_ci_u32_e64 v4, null, s5, v4, s1
	global_load_dword v6, v[3:4], off
.LBB388_4:
	s_or_b32 exec_lo, exec_lo, s2
	v_mbcnt_lo_u32_b32 v3, -1, 0
	v_and_b32_e32 v4, 16, v3
	v_xor_b32_e32 v7, 8, v3
	v_xor_b32_e32 v10, 4, v3
	v_xor_b32_e32 v13, 2, v3
	v_xor_b32_e32 v14, 1, v3
	v_add_nc_u32_e32 v4, 16, v4
	v_cmp_lt_i32_e64 s1, v7, v4
	v_cndmask_b32_e64 v7, v3, v7, s1
	v_cmp_lt_i32_e64 s1, v10, v4
	v_lshlrev_b32_e32 v7, 2, v7
	v_cndmask_b32_e64 v10, v3, v10, s1
	s_waitcnt vmcnt(0)
	ds_bpermute_b32 v8, v7, v0
	ds_bpermute_b32 v9, v7, v6
	v_lshlrev_b32_e32 v10, 2, v10
	s_waitcnt lgkmcnt(1)
	v_cmp_lt_f32_e64 s1, v0, v8
	v_cndmask_b32_e64 v8, v0, v8, s1
	s_waitcnt lgkmcnt(0)
	v_cmp_lt_f32_e64 s1, v6, v9
	ds_bpermute_b32 v11, v10, v8
	v_cndmask_b32_e64 v9, v6, v9, s1
	v_cmp_lt_i32_e64 s1, v13, v4
	ds_bpermute_b32 v12, v10, v9
	v_cndmask_b32_e64 v13, v3, v13, s1
	v_lshlrev_b32_e32 v13, 2, v13
	s_waitcnt lgkmcnt(1)
	v_cmp_lt_f32_e64 s1, v8, v11
	v_cndmask_b32_e64 v8, v8, v11, s1
	s_waitcnt lgkmcnt(0)
	v_cmp_lt_f32_e64 s1, v9, v12
	ds_bpermute_b32 v11, v13, v8
	v_cndmask_b32_e64 v9, v9, v12, s1
	v_cmp_lt_i32_e64 s1, v14, v4
	ds_bpermute_b32 v12, v13, v9
	v_cndmask_b32_e64 v3, v3, v14, s1
	v_lshlrev_b32_e32 v14, 2, v3
	s_waitcnt lgkmcnt(1)
	v_cmp_lt_f32_e64 s1, v8, v11
	v_cndmask_b32_e64 v3, v8, v11, s1
	s_waitcnt lgkmcnt(0)
	v_cmp_lt_f32_e64 s1, v9, v12
	ds_bpermute_b32 v8, v14, v3
	v_cndmask_b32_e64 v4, v9, v12, s1
	ds_bpermute_b32 v9, v14, v4
	s_waitcnt lgkmcnt(1)
	v_cmp_lt_f32_e64 s1, v3, v8
	v_cndmask_b32_e64 v3, v3, v8, s1
	s_waitcnt lgkmcnt(0)
	v_cmp_lt_f32_e64 s1, v4, v9
	v_sub_f32_e32 v0, v0, v3
	v_cndmask_b32_e64 v4, v4, v9, s1
	v_cmp_ngt_f32_e64 s1, 0xc2ce8ed0, v0
	v_sub_f32_e32 v3, v6, v4
	v_mul_f32_e32 v4, 0x3fb8aa3b, v0
	v_mul_f32_e32 v6, 0x3fb8aa3b, v3
	v_fma_f32 v8, 0x3fb8aa3b, v0, -v4
	v_rndne_f32_e32 v9, v4
	v_fma_f32 v11, 0x3fb8aa3b, v3, -v6
	v_rndne_f32_e32 v12, v6
	v_fmac_f32_e32 v8, 0x32a5705f, v0
	v_sub_f32_e32 v4, v4, v9
	v_fmac_f32_e32 v11, 0x32a5705f, v3
	v_sub_f32_e32 v6, v6, v12
	v_add_f32_e32 v4, v4, v8
	v_cvt_i32_f32_e32 v8, v9
	v_cvt_i32_f32_e32 v9, v12
	v_add_f32_e32 v6, v6, v11
	v_exp_f32_e32 v4, v4
	v_exp_f32_e32 v6, v6
	v_ldexp_f32 v4, v4, v8
	v_ldexp_f32 v6, v6, v9
	v_cndmask_b32_e64 v4, 0, v4, s1
	v_cmp_ngt_f32_e64 s1, 0xc2ce8ed0, v3
	v_cndmask_b32_e64 v6, 0, v6, s1
	v_cmp_nlt_f32_e64 s1, 0x42b17218, v0
	v_cndmask_b32_e64 v4, 0x7f800000, v4, s1
	v_cmp_nlt_f32_e64 s1, 0x42b17218, v3
	ds_bpermute_b32 v0, v7, v4
	v_cndmask_b32_e64 v3, 0x7f800000, v6, s1
	ds_bpermute_b32 v6, v7, v3
	s_waitcnt lgkmcnt(1)
	v_add_f32_e32 v0, v4, v0
	ds_bpermute_b32 v7, v10, v0
	s_waitcnt lgkmcnt(1)
	v_add_f32_e32 v6, v3, v6
	;; [unrolled: 3-line block ×5, first 2 shown]
	s_waitcnt lgkmcnt(0)
	v_add_f32_e32 v6, v6, v9
	ds_bpermute_b32 v9, v14, v8
	ds_bpermute_b32 v7, v14, v6
	s_and_saveexec_b32 s1, vcc_lo
	s_cbranch_execz .LBB388_9
; %bb.5:
	v_add_co_u32 v0, vcc_lo, s8, v1
	v_add_co_ci_u32_e64 v1, null, s9, v2, vcc_lo
	s_and_saveexec_b32 s1, s0
	s_cbranch_execz .LBB388_7
; %bb.6:
	s_waitcnt lgkmcnt(1)
	v_add_f32_e32 v2, v8, v9
	v_div_scale_f32 v8, null, v2, v2, v4
	v_rcp_f32_e32 v9, v8
	v_fma_f32 v10, -v8, v9, 1.0
	v_fmac_f32_e32 v9, v10, v9
	v_div_scale_f32 v10, vcc_lo, v4, v2, v4
	v_mul_f32_e32 v11, v10, v9
	v_fma_f32 v12, -v8, v11, v10
	v_fmac_f32_e32 v11, v12, v9
	v_fma_f32 v8, -v8, v11, v10
	v_div_fmas_f32 v8, v8, v9, v11
	v_cmp_neq_f32_e32 vcc_lo, 0, v2
	v_div_fixup_f32 v4, v8, v2, v4
	v_cndmask_b32_e32 v2, 0x7fc00000, v4, vcc_lo
	global_store_dword v[0:1], v2, off
.LBB388_7:
	s_or_b32 exec_lo, exec_lo, s1
	v_cmp_ne_u32_e32 vcc_lo, 1, v5
	s_and_b32 s0, vcc_lo, s0
	s_and_b32 exec_lo, exec_lo, s0
	s_cbranch_execz .LBB388_9
; %bb.8:
	s_waitcnt lgkmcnt(0)
	v_add_f32_e32 v2, v6, v7
	s_mov_b32 s15, 0
	s_lshl_b64 s[0:1], s[14:15], 2
	v_div_scale_f32 v4, null, v2, v2, v3
	v_div_scale_f32 v7, vcc_lo, v3, v2, v3
	v_rcp_f32_e32 v5, v4
	v_fma_f32 v6, -v4, v5, 1.0
	v_fmac_f32_e32 v5, v6, v5
	v_mul_f32_e32 v6, v7, v5
	v_fma_f32 v8, -v4, v6, v7
	v_fmac_f32_e32 v6, v8, v5
	v_fma_f32 v4, -v4, v6, v7
	v_div_fmas_f32 v4, v4, v5, v6
	v_add_co_u32 v0, vcc_lo, v0, s0
	v_add_co_ci_u32_e64 v1, null, s1, v1, vcc_lo
	v_div_fixup_f32 v3, v4, v2, v3
	v_cmp_neq_f32_e32 vcc_lo, 0, v2
	v_cndmask_b32_e32 v2, 0x7fc00000, v3, vcc_lo
	global_store_dword v[0:1], v2, off
.LBB388_9:
	s_endpgm
	.section	.rodata,"a",@progbits
	.p2align	6, 0x0
	.amdhsa_kernel _ZN12_GLOBAL__N_120softmax_warp_forwardIfffLi4ELb0ELb0ELi64EEEvPT0_PKT_iiiPKbib
		.amdhsa_group_segment_fixed_size 0
		.amdhsa_private_segment_fixed_size 0
		.amdhsa_kernarg_size 304
		.amdhsa_user_sgpr_count 6
		.amdhsa_user_sgpr_private_segment_buffer 1
		.amdhsa_user_sgpr_dispatch_ptr 0
		.amdhsa_user_sgpr_queue_ptr 0
		.amdhsa_user_sgpr_kernarg_segment_ptr 1
		.amdhsa_user_sgpr_dispatch_id 0
		.amdhsa_user_sgpr_flat_scratch_init 0
		.amdhsa_user_sgpr_private_segment_size 0
		.amdhsa_wavefront_size32 1
		.amdhsa_uses_dynamic_stack 0
		.amdhsa_system_sgpr_private_segment_wavefront_offset 0
		.amdhsa_system_sgpr_workgroup_id_x 1
		.amdhsa_system_sgpr_workgroup_id_y 0
		.amdhsa_system_sgpr_workgroup_id_z 0
		.amdhsa_system_sgpr_workgroup_info 0
		.amdhsa_system_vgpr_workitem_id 1
		.amdhsa_next_free_vgpr 15
		.amdhsa_next_free_sgpr 16
		.amdhsa_reserve_vcc 1
		.amdhsa_reserve_flat_scratch 0
		.amdhsa_float_round_mode_32 0
		.amdhsa_float_round_mode_16_64 0
		.amdhsa_float_denorm_mode_32 3
		.amdhsa_float_denorm_mode_16_64 3
		.amdhsa_dx10_clamp 1
		.amdhsa_ieee_mode 1
		.amdhsa_fp16_overflow 0
		.amdhsa_workgroup_processor_mode 1
		.amdhsa_memory_ordered 1
		.amdhsa_forward_progress 1
		.amdhsa_shared_vgpr_count 0
		.amdhsa_exception_fp_ieee_invalid_op 0
		.amdhsa_exception_fp_denorm_src 0
		.amdhsa_exception_fp_ieee_div_zero 0
		.amdhsa_exception_fp_ieee_overflow 0
		.amdhsa_exception_fp_ieee_underflow 0
		.amdhsa_exception_fp_ieee_inexact 0
		.amdhsa_exception_int_div_zero 0
	.end_amdhsa_kernel
	.section	.text._ZN12_GLOBAL__N_120softmax_warp_forwardIfffLi4ELb0ELb0ELi64EEEvPT0_PKT_iiiPKbib,"axG",@progbits,_ZN12_GLOBAL__N_120softmax_warp_forwardIfffLi4ELb0ELb0ELi64EEEvPT0_PKT_iiiPKbib,comdat
.Lfunc_end388:
	.size	_ZN12_GLOBAL__N_120softmax_warp_forwardIfffLi4ELb0ELb0ELi64EEEvPT0_PKT_iiiPKbib, .Lfunc_end388-_ZN12_GLOBAL__N_120softmax_warp_forwardIfffLi4ELb0ELb0ELi64EEEvPT0_PKT_iiiPKbib
                                        ; -- End function
	.set _ZN12_GLOBAL__N_120softmax_warp_forwardIfffLi4ELb0ELb0ELi64EEEvPT0_PKT_iiiPKbib.num_vgpr, 15
	.set _ZN12_GLOBAL__N_120softmax_warp_forwardIfffLi4ELb0ELb0ELi64EEEvPT0_PKT_iiiPKbib.num_agpr, 0
	.set _ZN12_GLOBAL__N_120softmax_warp_forwardIfffLi4ELb0ELb0ELi64EEEvPT0_PKT_iiiPKbib.numbered_sgpr, 16
	.set _ZN12_GLOBAL__N_120softmax_warp_forwardIfffLi4ELb0ELb0ELi64EEEvPT0_PKT_iiiPKbib.num_named_barrier, 0
	.set _ZN12_GLOBAL__N_120softmax_warp_forwardIfffLi4ELb0ELb0ELi64EEEvPT0_PKT_iiiPKbib.private_seg_size, 0
	.set _ZN12_GLOBAL__N_120softmax_warp_forwardIfffLi4ELb0ELb0ELi64EEEvPT0_PKT_iiiPKbib.uses_vcc, 1
	.set _ZN12_GLOBAL__N_120softmax_warp_forwardIfffLi4ELb0ELb0ELi64EEEvPT0_PKT_iiiPKbib.uses_flat_scratch, 0
	.set _ZN12_GLOBAL__N_120softmax_warp_forwardIfffLi4ELb0ELb0ELi64EEEvPT0_PKT_iiiPKbib.has_dyn_sized_stack, 0
	.set _ZN12_GLOBAL__N_120softmax_warp_forwardIfffLi4ELb0ELb0ELi64EEEvPT0_PKT_iiiPKbib.has_recursion, 0
	.set _ZN12_GLOBAL__N_120softmax_warp_forwardIfffLi4ELb0ELb0ELi64EEEvPT0_PKT_iiiPKbib.has_indirect_call, 0
	.section	.AMDGPU.csdata,"",@progbits
; Kernel info:
; codeLenInByte = 1136
; TotalNumSgprs: 18
; NumVgprs: 15
; ScratchSize: 0
; MemoryBound: 0
; FloatMode: 240
; IeeeMode: 1
; LDSByteSize: 0 bytes/workgroup (compile time only)
; SGPRBlocks: 0
; VGPRBlocks: 1
; NumSGPRsForWavesPerEU: 18
; NumVGPRsForWavesPerEU: 15
; Occupancy: 16
; WaveLimiterHint : 0
; COMPUTE_PGM_RSRC2:SCRATCH_EN: 0
; COMPUTE_PGM_RSRC2:USER_SGPR: 6
; COMPUTE_PGM_RSRC2:TRAP_HANDLER: 0
; COMPUTE_PGM_RSRC2:TGID_X_EN: 1
; COMPUTE_PGM_RSRC2:TGID_Y_EN: 0
; COMPUTE_PGM_RSRC2:TGID_Z_EN: 0
; COMPUTE_PGM_RSRC2:TIDIG_COMP_CNT: 1
	.section	.text._ZN12_GLOBAL__N_120softmax_warp_forwardIfffLi4ELb0ELb0ELi32EEEvPT0_PKT_iiiPKbib,"axG",@progbits,_ZN12_GLOBAL__N_120softmax_warp_forwardIfffLi4ELb0ELb0ELi32EEEvPT0_PKT_iiiPKbib,comdat
	.globl	_ZN12_GLOBAL__N_120softmax_warp_forwardIfffLi4ELb0ELb0ELi32EEEvPT0_PKT_iiiPKbib ; -- Begin function _ZN12_GLOBAL__N_120softmax_warp_forwardIfffLi4ELb0ELb0ELi32EEEvPT0_PKT_iiiPKbib
	.p2align	8
	.type	_ZN12_GLOBAL__N_120softmax_warp_forwardIfffLi4ELb0ELb0ELi32EEEvPT0_PKT_iiiPKbib,@function
_ZN12_GLOBAL__N_120softmax_warp_forwardIfffLi4ELb0ELb0ELi32EEEvPT0_PKT_iiiPKbib: ; @_ZN12_GLOBAL__N_120softmax_warp_forwardIfffLi4ELb0ELb0ELi32EEEvPT0_PKT_iiiPKbib
; %bb.0:
	s_clause 0x1
	s_load_dword s0, s[4:5], 0x3c
	s_load_dwordx8 s[8:15], s[4:5], 0x0
	v_mov_b32_e32 v6, 0xff800000
	s_waitcnt lgkmcnt(0)
	s_lshr_b32 s0, s0, 16
	s_and_b32 s0, s0, 0xffff
	s_mul_i32 s6, s6, s0
	v_cmp_gt_i32_e64 s0, s14, v0
	v_add_lshl_u32 v3, s6, v1, 1
	v_mad_u64_u32 v[1:2], null, v3, s13, v[0:1]
	v_sub_nc_u32_e32 v5, s12, v3
	v_mov_b32_e32 v0, 0xff800000
	v_cmp_lt_i32_e32 vcc_lo, 0, v5
	v_ashrrev_i32_e32 v2, 31, v1
	s_and_b32 s2, s0, vcc_lo
	v_lshlrev_b64 v[1:2], 2, v[1:2]
	v_add_co_u32 v3, s1, s10, v1
	v_add_co_ci_u32_e64 v4, null, s11, v2, s1
	s_and_saveexec_b32 s1, s2
	s_cbranch_execz .LBB389_2
; %bb.1:
	global_load_dword v0, v[3:4], off
.LBB389_2:
	s_or_b32 exec_lo, exec_lo, s1
	v_cmp_lt_i32_e64 s1, 1, v5
	s_and_b32 s1, s0, s1
	s_and_saveexec_b32 s2, s1
	s_cbranch_execz .LBB389_4
; %bb.3:
	s_mov_b32 s15, 0
	s_lshl_b64 s[4:5], s[14:15], 2
	v_add_co_u32 v3, s1, v3, s4
	v_add_co_ci_u32_e64 v4, null, s5, v4, s1
	global_load_dword v6, v[3:4], off
.LBB389_4:
	s_or_b32 exec_lo, exec_lo, s2
	v_mbcnt_lo_u32_b32 v3, -1, 0
	v_and_b32_e32 v4, 16, v3
	v_xor_b32_e32 v7, 8, v3
	v_xor_b32_e32 v10, 4, v3
	;; [unrolled: 1-line block ×4, first 2 shown]
	v_add_nc_u32_e32 v4, 16, v4
	v_cmp_lt_i32_e64 s1, v7, v4
	v_cndmask_b32_e64 v7, v3, v7, s1
	v_cmp_lt_i32_e64 s1, v10, v4
	v_lshlrev_b32_e32 v7, 2, v7
	v_cndmask_b32_e64 v10, v3, v10, s1
	s_waitcnt vmcnt(0)
	ds_bpermute_b32 v8, v7, v0
	ds_bpermute_b32 v9, v7, v6
	v_lshlrev_b32_e32 v10, 2, v10
	s_waitcnt lgkmcnt(1)
	v_cmp_lt_f32_e64 s1, v0, v8
	v_cndmask_b32_e64 v8, v0, v8, s1
	s_waitcnt lgkmcnt(0)
	v_cmp_lt_f32_e64 s1, v6, v9
	ds_bpermute_b32 v11, v10, v8
	v_cndmask_b32_e64 v9, v6, v9, s1
	v_cmp_lt_i32_e64 s1, v13, v4
	ds_bpermute_b32 v12, v10, v9
	v_cndmask_b32_e64 v13, v3, v13, s1
	v_lshlrev_b32_e32 v13, 2, v13
	s_waitcnt lgkmcnt(1)
	v_cmp_lt_f32_e64 s1, v8, v11
	v_cndmask_b32_e64 v8, v8, v11, s1
	s_waitcnt lgkmcnt(0)
	v_cmp_lt_f32_e64 s1, v9, v12
	ds_bpermute_b32 v11, v13, v8
	v_cndmask_b32_e64 v9, v9, v12, s1
	v_cmp_lt_i32_e64 s1, v14, v4
	ds_bpermute_b32 v12, v13, v9
	v_cndmask_b32_e64 v3, v3, v14, s1
	v_lshlrev_b32_e32 v14, 2, v3
	s_waitcnt lgkmcnt(1)
	v_cmp_lt_f32_e64 s1, v8, v11
	v_cndmask_b32_e64 v3, v8, v11, s1
	s_waitcnt lgkmcnt(0)
	v_cmp_lt_f32_e64 s1, v9, v12
	ds_bpermute_b32 v8, v14, v3
	v_cndmask_b32_e64 v4, v9, v12, s1
	ds_bpermute_b32 v9, v14, v4
	s_waitcnt lgkmcnt(1)
	v_cmp_lt_f32_e64 s1, v3, v8
	v_cndmask_b32_e64 v3, v3, v8, s1
	s_waitcnt lgkmcnt(0)
	v_cmp_lt_f32_e64 s1, v4, v9
	v_sub_f32_e32 v0, v0, v3
	v_cndmask_b32_e64 v4, v4, v9, s1
	v_cmp_ngt_f32_e64 s1, 0xc2ce8ed0, v0
	v_sub_f32_e32 v3, v6, v4
	v_mul_f32_e32 v4, 0x3fb8aa3b, v0
	v_mul_f32_e32 v6, 0x3fb8aa3b, v3
	v_fma_f32 v8, 0x3fb8aa3b, v0, -v4
	v_rndne_f32_e32 v9, v4
	v_fma_f32 v11, 0x3fb8aa3b, v3, -v6
	v_rndne_f32_e32 v12, v6
	v_fmac_f32_e32 v8, 0x32a5705f, v0
	v_sub_f32_e32 v4, v4, v9
	v_fmac_f32_e32 v11, 0x32a5705f, v3
	v_sub_f32_e32 v6, v6, v12
	v_add_f32_e32 v4, v4, v8
	v_cvt_i32_f32_e32 v8, v9
	v_cvt_i32_f32_e32 v9, v12
	v_add_f32_e32 v6, v6, v11
	v_exp_f32_e32 v4, v4
	v_exp_f32_e32 v6, v6
	v_ldexp_f32 v4, v4, v8
	v_ldexp_f32 v6, v6, v9
	v_cndmask_b32_e64 v4, 0, v4, s1
	v_cmp_ngt_f32_e64 s1, 0xc2ce8ed0, v3
	v_cndmask_b32_e64 v6, 0, v6, s1
	v_cmp_nlt_f32_e64 s1, 0x42b17218, v0
	v_cndmask_b32_e64 v4, 0x7f800000, v4, s1
	v_cmp_nlt_f32_e64 s1, 0x42b17218, v3
	ds_bpermute_b32 v0, v7, v4
	v_cndmask_b32_e64 v3, 0x7f800000, v6, s1
	ds_bpermute_b32 v6, v7, v3
	s_waitcnt lgkmcnt(1)
	v_add_f32_e32 v0, v4, v0
	ds_bpermute_b32 v7, v10, v0
	s_waitcnt lgkmcnt(1)
	v_add_f32_e32 v6, v3, v6
	;; [unrolled: 3-line block ×5, first 2 shown]
	s_waitcnt lgkmcnt(0)
	v_add_f32_e32 v6, v6, v9
	ds_bpermute_b32 v9, v14, v8
	ds_bpermute_b32 v7, v14, v6
	s_and_saveexec_b32 s1, vcc_lo
	s_cbranch_execz .LBB389_9
; %bb.5:
	v_add_co_u32 v0, vcc_lo, s8, v1
	v_add_co_ci_u32_e64 v1, null, s9, v2, vcc_lo
	s_and_saveexec_b32 s1, s0
	s_cbranch_execz .LBB389_7
; %bb.6:
	s_waitcnt lgkmcnt(1)
	v_add_f32_e32 v2, v8, v9
	v_div_scale_f32 v8, null, v2, v2, v4
	v_rcp_f32_e32 v9, v8
	v_fma_f32 v10, -v8, v9, 1.0
	v_fmac_f32_e32 v9, v10, v9
	v_div_scale_f32 v10, vcc_lo, v4, v2, v4
	v_mul_f32_e32 v11, v10, v9
	v_fma_f32 v12, -v8, v11, v10
	v_fmac_f32_e32 v11, v12, v9
	v_fma_f32 v8, -v8, v11, v10
	v_div_fmas_f32 v8, v8, v9, v11
	v_cmp_neq_f32_e32 vcc_lo, 0, v2
	v_div_fixup_f32 v4, v8, v2, v4
	v_cndmask_b32_e32 v2, 0x7fc00000, v4, vcc_lo
	global_store_dword v[0:1], v2, off
.LBB389_7:
	s_or_b32 exec_lo, exec_lo, s1
	v_cmp_ne_u32_e32 vcc_lo, 1, v5
	s_and_b32 s0, vcc_lo, s0
	s_and_b32 exec_lo, exec_lo, s0
	s_cbranch_execz .LBB389_9
; %bb.8:
	s_waitcnt lgkmcnt(0)
	v_add_f32_e32 v2, v6, v7
	s_mov_b32 s15, 0
	s_lshl_b64 s[0:1], s[14:15], 2
	v_div_scale_f32 v4, null, v2, v2, v3
	v_div_scale_f32 v7, vcc_lo, v3, v2, v3
	v_rcp_f32_e32 v5, v4
	v_fma_f32 v6, -v4, v5, 1.0
	v_fmac_f32_e32 v5, v6, v5
	v_mul_f32_e32 v6, v7, v5
	v_fma_f32 v8, -v4, v6, v7
	v_fmac_f32_e32 v6, v8, v5
	v_fma_f32 v4, -v4, v6, v7
	v_div_fmas_f32 v4, v4, v5, v6
	v_add_co_u32 v0, vcc_lo, v0, s0
	v_add_co_ci_u32_e64 v1, null, s1, v1, vcc_lo
	v_div_fixup_f32 v3, v4, v2, v3
	v_cmp_neq_f32_e32 vcc_lo, 0, v2
	v_cndmask_b32_e32 v2, 0x7fc00000, v3, vcc_lo
	global_store_dword v[0:1], v2, off
.LBB389_9:
	s_endpgm
	.section	.rodata,"a",@progbits
	.p2align	6, 0x0
	.amdhsa_kernel _ZN12_GLOBAL__N_120softmax_warp_forwardIfffLi4ELb0ELb0ELi32EEEvPT0_PKT_iiiPKbib
		.amdhsa_group_segment_fixed_size 0
		.amdhsa_private_segment_fixed_size 0
		.amdhsa_kernarg_size 304
		.amdhsa_user_sgpr_count 6
		.amdhsa_user_sgpr_private_segment_buffer 1
		.amdhsa_user_sgpr_dispatch_ptr 0
		.amdhsa_user_sgpr_queue_ptr 0
		.amdhsa_user_sgpr_kernarg_segment_ptr 1
		.amdhsa_user_sgpr_dispatch_id 0
		.amdhsa_user_sgpr_flat_scratch_init 0
		.amdhsa_user_sgpr_private_segment_size 0
		.amdhsa_wavefront_size32 1
		.amdhsa_uses_dynamic_stack 0
		.amdhsa_system_sgpr_private_segment_wavefront_offset 0
		.amdhsa_system_sgpr_workgroup_id_x 1
		.amdhsa_system_sgpr_workgroup_id_y 0
		.amdhsa_system_sgpr_workgroup_id_z 0
		.amdhsa_system_sgpr_workgroup_info 0
		.amdhsa_system_vgpr_workitem_id 1
		.amdhsa_next_free_vgpr 15
		.amdhsa_next_free_sgpr 16
		.amdhsa_reserve_vcc 1
		.amdhsa_reserve_flat_scratch 0
		.amdhsa_float_round_mode_32 0
		.amdhsa_float_round_mode_16_64 0
		.amdhsa_float_denorm_mode_32 3
		.amdhsa_float_denorm_mode_16_64 3
		.amdhsa_dx10_clamp 1
		.amdhsa_ieee_mode 1
		.amdhsa_fp16_overflow 0
		.amdhsa_workgroup_processor_mode 1
		.amdhsa_memory_ordered 1
		.amdhsa_forward_progress 1
		.amdhsa_shared_vgpr_count 0
		.amdhsa_exception_fp_ieee_invalid_op 0
		.amdhsa_exception_fp_denorm_src 0
		.amdhsa_exception_fp_ieee_div_zero 0
		.amdhsa_exception_fp_ieee_overflow 0
		.amdhsa_exception_fp_ieee_underflow 0
		.amdhsa_exception_fp_ieee_inexact 0
		.amdhsa_exception_int_div_zero 0
	.end_amdhsa_kernel
	.section	.text._ZN12_GLOBAL__N_120softmax_warp_forwardIfffLi4ELb0ELb0ELi32EEEvPT0_PKT_iiiPKbib,"axG",@progbits,_ZN12_GLOBAL__N_120softmax_warp_forwardIfffLi4ELb0ELb0ELi32EEEvPT0_PKT_iiiPKbib,comdat
.Lfunc_end389:
	.size	_ZN12_GLOBAL__N_120softmax_warp_forwardIfffLi4ELb0ELb0ELi32EEEvPT0_PKT_iiiPKbib, .Lfunc_end389-_ZN12_GLOBAL__N_120softmax_warp_forwardIfffLi4ELb0ELb0ELi32EEEvPT0_PKT_iiiPKbib
                                        ; -- End function
	.set _ZN12_GLOBAL__N_120softmax_warp_forwardIfffLi4ELb0ELb0ELi32EEEvPT0_PKT_iiiPKbib.num_vgpr, 15
	.set _ZN12_GLOBAL__N_120softmax_warp_forwardIfffLi4ELb0ELb0ELi32EEEvPT0_PKT_iiiPKbib.num_agpr, 0
	.set _ZN12_GLOBAL__N_120softmax_warp_forwardIfffLi4ELb0ELb0ELi32EEEvPT0_PKT_iiiPKbib.numbered_sgpr, 16
	.set _ZN12_GLOBAL__N_120softmax_warp_forwardIfffLi4ELb0ELb0ELi32EEEvPT0_PKT_iiiPKbib.num_named_barrier, 0
	.set _ZN12_GLOBAL__N_120softmax_warp_forwardIfffLi4ELb0ELb0ELi32EEEvPT0_PKT_iiiPKbib.private_seg_size, 0
	.set _ZN12_GLOBAL__N_120softmax_warp_forwardIfffLi4ELb0ELb0ELi32EEEvPT0_PKT_iiiPKbib.uses_vcc, 1
	.set _ZN12_GLOBAL__N_120softmax_warp_forwardIfffLi4ELb0ELb0ELi32EEEvPT0_PKT_iiiPKbib.uses_flat_scratch, 0
	.set _ZN12_GLOBAL__N_120softmax_warp_forwardIfffLi4ELb0ELb0ELi32EEEvPT0_PKT_iiiPKbib.has_dyn_sized_stack, 0
	.set _ZN12_GLOBAL__N_120softmax_warp_forwardIfffLi4ELb0ELb0ELi32EEEvPT0_PKT_iiiPKbib.has_recursion, 0
	.set _ZN12_GLOBAL__N_120softmax_warp_forwardIfffLi4ELb0ELb0ELi32EEEvPT0_PKT_iiiPKbib.has_indirect_call, 0
	.section	.AMDGPU.csdata,"",@progbits
; Kernel info:
; codeLenInByte = 1136
; TotalNumSgprs: 18
; NumVgprs: 15
; ScratchSize: 0
; MemoryBound: 0
; FloatMode: 240
; IeeeMode: 1
; LDSByteSize: 0 bytes/workgroup (compile time only)
; SGPRBlocks: 0
; VGPRBlocks: 1
; NumSGPRsForWavesPerEU: 18
; NumVGPRsForWavesPerEU: 15
; Occupancy: 16
; WaveLimiterHint : 0
; COMPUTE_PGM_RSRC2:SCRATCH_EN: 0
; COMPUTE_PGM_RSRC2:USER_SGPR: 6
; COMPUTE_PGM_RSRC2:TRAP_HANDLER: 0
; COMPUTE_PGM_RSRC2:TGID_X_EN: 1
; COMPUTE_PGM_RSRC2:TGID_Y_EN: 0
; COMPUTE_PGM_RSRC2:TGID_Z_EN: 0
; COMPUTE_PGM_RSRC2:TIDIG_COMP_CNT: 1
	.section	.text._ZN12_GLOBAL__N_120softmax_warp_forwardIfffLi5ELb0ELb0ELi64EEEvPT0_PKT_iiiPKbib,"axG",@progbits,_ZN12_GLOBAL__N_120softmax_warp_forwardIfffLi5ELb0ELb0ELi64EEEvPT0_PKT_iiiPKbib,comdat
	.globl	_ZN12_GLOBAL__N_120softmax_warp_forwardIfffLi5ELb0ELb0ELi64EEEvPT0_PKT_iiiPKbib ; -- Begin function _ZN12_GLOBAL__N_120softmax_warp_forwardIfffLi5ELb0ELb0ELi64EEEvPT0_PKT_iiiPKbib
	.p2align	8
	.type	_ZN12_GLOBAL__N_120softmax_warp_forwardIfffLi5ELb0ELb0ELi64EEEvPT0_PKT_iiiPKbib,@function
_ZN12_GLOBAL__N_120softmax_warp_forwardIfffLi5ELb0ELb0ELi64EEEvPT0_PKT_iiiPKbib: ; @_ZN12_GLOBAL__N_120softmax_warp_forwardIfffLi5ELb0ELb0ELi64EEEvPT0_PKT_iiiPKbib
; %bb.0:
	s_clause 0x1
	s_load_dword s0, s[4:5], 0x3c
	s_load_dwordx8 s[8:15], s[4:5], 0x0
	v_mov_b32_e32 v6, 0xff800000
	s_waitcnt lgkmcnt(0)
	s_lshr_b32 s0, s0, 16
	s_and_b32 s0, s0, 0xffff
	s_mul_i32 s6, s6, s0
	v_cmp_gt_i32_e64 s0, s14, v0
	v_add_lshl_u32 v3, s6, v1, 1
	v_mad_u64_u32 v[1:2], null, v3, s13, v[0:1]
	v_sub_nc_u32_e32 v5, s12, v3
	v_mov_b32_e32 v0, 0xff800000
	v_cmp_lt_i32_e32 vcc_lo, 0, v5
	v_ashrrev_i32_e32 v2, 31, v1
	s_and_b32 s2, s0, vcc_lo
	v_lshlrev_b64 v[1:2], 2, v[1:2]
	v_add_co_u32 v3, s1, s10, v1
	v_add_co_ci_u32_e64 v4, null, s11, v2, s1
	s_and_saveexec_b32 s1, s2
	s_cbranch_execz .LBB390_2
; %bb.1:
	global_load_dword v0, v[3:4], off
.LBB390_2:
	s_or_b32 exec_lo, exec_lo, s1
	v_cmp_lt_i32_e64 s1, 1, v5
	s_and_b32 s1, s0, s1
	s_and_saveexec_b32 s2, s1
	s_cbranch_execz .LBB390_4
; %bb.3:
	s_mov_b32 s15, 0
	s_lshl_b64 s[4:5], s[14:15], 2
	v_add_co_u32 v3, s1, v3, s4
	v_add_co_ci_u32_e64 v4, null, s5, v4, s1
	global_load_dword v6, v[3:4], off
.LBB390_4:
	s_or_b32 exec_lo, exec_lo, s2
	v_mbcnt_lo_u32_b32 v3, -1, 0
	v_xor_b32_e32 v4, 16, v3
	v_xor_b32_e32 v9, 8, v3
	;; [unrolled: 1-line block ×5, first 2 shown]
	v_cmp_gt_i32_e64 s1, 32, v4
	v_cndmask_b32_e64 v4, v3, v4, s1
	v_cmp_gt_i32_e64 s1, 32, v9
	v_lshlrev_b32_e32 v7, 2, v4
	v_cndmask_b32_e64 v9, v3, v9, s1
	s_waitcnt vmcnt(0)
	ds_bpermute_b32 v4, v7, v0
	ds_bpermute_b32 v8, v7, v6
	v_lshlrev_b32_e32 v9, 2, v9
	s_waitcnt lgkmcnt(1)
	v_cmp_lt_f32_e64 s1, v0, v4
	v_cndmask_b32_e64 v4, v0, v4, s1
	s_waitcnt lgkmcnt(0)
	v_cmp_lt_f32_e64 s1, v6, v8
	ds_bpermute_b32 v10, v9, v4
	v_cndmask_b32_e64 v8, v6, v8, s1
	v_cmp_gt_i32_e64 s1, 32, v12
	ds_bpermute_b32 v11, v9, v8
	v_cndmask_b32_e64 v12, v3, v12, s1
	v_lshlrev_b32_e32 v12, 2, v12
	s_waitcnt lgkmcnt(1)
	v_cmp_lt_f32_e64 s1, v4, v10
	v_cndmask_b32_e64 v4, v4, v10, s1
	s_waitcnt lgkmcnt(0)
	v_cmp_lt_f32_e64 s1, v8, v11
	ds_bpermute_b32 v10, v12, v4
	v_cndmask_b32_e64 v8, v8, v11, s1
	v_cmp_gt_i32_e64 s1, 32, v13
	ds_bpermute_b32 v11, v12, v8
	v_cndmask_b32_e64 v13, v3, v13, s1
	;; [unrolled: 11-line block ×3, first 2 shown]
	v_lshlrev_b32_e32 v14, 2, v3
	s_waitcnt lgkmcnt(1)
	v_cmp_lt_f32_e64 s1, v4, v10
	v_cndmask_b32_e64 v3, v4, v10, s1
	s_waitcnt lgkmcnt(0)
	v_cmp_lt_f32_e64 s1, v8, v11
	v_cndmask_b32_e64 v4, v8, v11, s1
	ds_bpermute_b32 v8, v14, v3
	ds_bpermute_b32 v10, v14, v4
	s_waitcnt lgkmcnt(1)
	v_cmp_lt_f32_e64 s1, v3, v8
	v_cndmask_b32_e64 v3, v3, v8, s1
	s_waitcnt lgkmcnt(0)
	v_cmp_lt_f32_e64 s1, v4, v10
	v_sub_f32_e32 v0, v0, v3
	v_cndmask_b32_e64 v4, v4, v10, s1
	v_cmp_ngt_f32_e64 s1, 0xc2ce8ed0, v0
	v_sub_f32_e32 v3, v6, v4
	v_mul_f32_e32 v4, 0x3fb8aa3b, v0
	v_mul_f32_e32 v6, 0x3fb8aa3b, v3
	v_fma_f32 v8, 0x3fb8aa3b, v0, -v4
	v_rndne_f32_e32 v10, v4
	v_fma_f32 v11, 0x3fb8aa3b, v3, -v6
	v_rndne_f32_e32 v15, v6
	v_fmac_f32_e32 v8, 0x32a5705f, v0
	v_sub_f32_e32 v4, v4, v10
	v_fmac_f32_e32 v11, 0x32a5705f, v3
	v_sub_f32_e32 v6, v6, v15
	v_add_f32_e32 v4, v4, v8
	v_cvt_i32_f32_e32 v8, v10
	v_cvt_i32_f32_e32 v10, v15
	v_add_f32_e32 v6, v6, v11
	v_exp_f32_e32 v4, v4
	v_exp_f32_e32 v6, v6
	v_ldexp_f32 v4, v4, v8
	v_ldexp_f32 v6, v6, v10
	v_cndmask_b32_e64 v4, 0, v4, s1
	v_cmp_ngt_f32_e64 s1, 0xc2ce8ed0, v3
	v_cndmask_b32_e64 v6, 0, v6, s1
	v_cmp_nlt_f32_e64 s1, 0x42b17218, v0
	v_cndmask_b32_e64 v4, 0x7f800000, v4, s1
	v_cmp_nlt_f32_e64 s1, 0x42b17218, v3
	ds_bpermute_b32 v0, v7, v4
	v_cndmask_b32_e64 v3, 0x7f800000, v6, s1
	ds_bpermute_b32 v6, v7, v3
	s_waitcnt lgkmcnt(1)
	v_add_f32_e32 v0, v4, v0
	ds_bpermute_b32 v7, v9, v0
	s_waitcnt lgkmcnt(1)
	v_add_f32_e32 v6, v3, v6
	;; [unrolled: 3-line block ×7, first 2 shown]
	s_waitcnt lgkmcnt(0)
	v_add_f32_e32 v6, v6, v9
	ds_bpermute_b32 v9, v14, v8
	ds_bpermute_b32 v7, v14, v6
	s_and_saveexec_b32 s1, vcc_lo
	s_cbranch_execz .LBB390_9
; %bb.5:
	v_add_co_u32 v0, vcc_lo, s8, v1
	v_add_co_ci_u32_e64 v1, null, s9, v2, vcc_lo
	s_and_saveexec_b32 s1, s0
	s_cbranch_execz .LBB390_7
; %bb.6:
	s_waitcnt lgkmcnt(1)
	v_add_f32_e32 v2, v8, v9
	v_div_scale_f32 v8, null, v2, v2, v4
	v_rcp_f32_e32 v9, v8
	v_fma_f32 v10, -v8, v9, 1.0
	v_fmac_f32_e32 v9, v10, v9
	v_div_scale_f32 v10, vcc_lo, v4, v2, v4
	v_mul_f32_e32 v11, v10, v9
	v_fma_f32 v12, -v8, v11, v10
	v_fmac_f32_e32 v11, v12, v9
	v_fma_f32 v8, -v8, v11, v10
	v_div_fmas_f32 v8, v8, v9, v11
	v_cmp_neq_f32_e32 vcc_lo, 0, v2
	v_div_fixup_f32 v4, v8, v2, v4
	v_cndmask_b32_e32 v2, 0x7fc00000, v4, vcc_lo
	global_store_dword v[0:1], v2, off
.LBB390_7:
	s_or_b32 exec_lo, exec_lo, s1
	v_cmp_ne_u32_e32 vcc_lo, 1, v5
	s_and_b32 s0, vcc_lo, s0
	s_and_b32 exec_lo, exec_lo, s0
	s_cbranch_execz .LBB390_9
; %bb.8:
	s_waitcnt lgkmcnt(0)
	v_add_f32_e32 v2, v6, v7
	s_mov_b32 s15, 0
	s_lshl_b64 s[0:1], s[14:15], 2
	v_div_scale_f32 v4, null, v2, v2, v3
	v_div_scale_f32 v7, vcc_lo, v3, v2, v3
	v_rcp_f32_e32 v5, v4
	v_fma_f32 v6, -v4, v5, 1.0
	v_fmac_f32_e32 v5, v6, v5
	v_mul_f32_e32 v6, v7, v5
	v_fma_f32 v8, -v4, v6, v7
	v_fmac_f32_e32 v6, v8, v5
	v_fma_f32 v4, -v4, v6, v7
	v_div_fmas_f32 v4, v4, v5, v6
	v_add_co_u32 v0, vcc_lo, v0, s0
	v_add_co_ci_u32_e64 v1, null, s1, v1, vcc_lo
	v_div_fixup_f32 v3, v4, v2, v3
	v_cmp_neq_f32_e32 vcc_lo, 0, v2
	v_cndmask_b32_e32 v2, 0x7fc00000, v3, vcc_lo
	global_store_dword v[0:1], v2, off
.LBB390_9:
	s_endpgm
	.section	.rodata,"a",@progbits
	.p2align	6, 0x0
	.amdhsa_kernel _ZN12_GLOBAL__N_120softmax_warp_forwardIfffLi5ELb0ELb0ELi64EEEvPT0_PKT_iiiPKbib
		.amdhsa_group_segment_fixed_size 0
		.amdhsa_private_segment_fixed_size 0
		.amdhsa_kernarg_size 304
		.amdhsa_user_sgpr_count 6
		.amdhsa_user_sgpr_private_segment_buffer 1
		.amdhsa_user_sgpr_dispatch_ptr 0
		.amdhsa_user_sgpr_queue_ptr 0
		.amdhsa_user_sgpr_kernarg_segment_ptr 1
		.amdhsa_user_sgpr_dispatch_id 0
		.amdhsa_user_sgpr_flat_scratch_init 0
		.amdhsa_user_sgpr_private_segment_size 0
		.amdhsa_wavefront_size32 1
		.amdhsa_uses_dynamic_stack 0
		.amdhsa_system_sgpr_private_segment_wavefront_offset 0
		.amdhsa_system_sgpr_workgroup_id_x 1
		.amdhsa_system_sgpr_workgroup_id_y 0
		.amdhsa_system_sgpr_workgroup_id_z 0
		.amdhsa_system_sgpr_workgroup_info 0
		.amdhsa_system_vgpr_workitem_id 1
		.amdhsa_next_free_vgpr 16
		.amdhsa_next_free_sgpr 16
		.amdhsa_reserve_vcc 1
		.amdhsa_reserve_flat_scratch 0
		.amdhsa_float_round_mode_32 0
		.amdhsa_float_round_mode_16_64 0
		.amdhsa_float_denorm_mode_32 3
		.amdhsa_float_denorm_mode_16_64 3
		.amdhsa_dx10_clamp 1
		.amdhsa_ieee_mode 1
		.amdhsa_fp16_overflow 0
		.amdhsa_workgroup_processor_mode 1
		.amdhsa_memory_ordered 1
		.amdhsa_forward_progress 1
		.amdhsa_shared_vgpr_count 0
		.amdhsa_exception_fp_ieee_invalid_op 0
		.amdhsa_exception_fp_denorm_src 0
		.amdhsa_exception_fp_ieee_div_zero 0
		.amdhsa_exception_fp_ieee_overflow 0
		.amdhsa_exception_fp_ieee_underflow 0
		.amdhsa_exception_fp_ieee_inexact 0
		.amdhsa_exception_int_div_zero 0
	.end_amdhsa_kernel
	.section	.text._ZN12_GLOBAL__N_120softmax_warp_forwardIfffLi5ELb0ELb0ELi64EEEvPT0_PKT_iiiPKbib,"axG",@progbits,_ZN12_GLOBAL__N_120softmax_warp_forwardIfffLi5ELb0ELb0ELi64EEEvPT0_PKT_iiiPKbib,comdat
.Lfunc_end390:
	.size	_ZN12_GLOBAL__N_120softmax_warp_forwardIfffLi5ELb0ELb0ELi64EEEvPT0_PKT_iiiPKbib, .Lfunc_end390-_ZN12_GLOBAL__N_120softmax_warp_forwardIfffLi5ELb0ELb0ELi64EEEvPT0_PKT_iiiPKbib
                                        ; -- End function
	.set _ZN12_GLOBAL__N_120softmax_warp_forwardIfffLi5ELb0ELb0ELi64EEEvPT0_PKT_iiiPKbib.num_vgpr, 16
	.set _ZN12_GLOBAL__N_120softmax_warp_forwardIfffLi5ELb0ELb0ELi64EEEvPT0_PKT_iiiPKbib.num_agpr, 0
	.set _ZN12_GLOBAL__N_120softmax_warp_forwardIfffLi5ELb0ELb0ELi64EEEvPT0_PKT_iiiPKbib.numbered_sgpr, 16
	.set _ZN12_GLOBAL__N_120softmax_warp_forwardIfffLi5ELb0ELb0ELi64EEEvPT0_PKT_iiiPKbib.num_named_barrier, 0
	.set _ZN12_GLOBAL__N_120softmax_warp_forwardIfffLi5ELb0ELb0ELi64EEEvPT0_PKT_iiiPKbib.private_seg_size, 0
	.set _ZN12_GLOBAL__N_120softmax_warp_forwardIfffLi5ELb0ELb0ELi64EEEvPT0_PKT_iiiPKbib.uses_vcc, 1
	.set _ZN12_GLOBAL__N_120softmax_warp_forwardIfffLi5ELb0ELb0ELi64EEEvPT0_PKT_iiiPKbib.uses_flat_scratch, 0
	.set _ZN12_GLOBAL__N_120softmax_warp_forwardIfffLi5ELb0ELb0ELi64EEEvPT0_PKT_iiiPKbib.has_dyn_sized_stack, 0
	.set _ZN12_GLOBAL__N_120softmax_warp_forwardIfffLi5ELb0ELb0ELi64EEEvPT0_PKT_iiiPKbib.has_recursion, 0
	.set _ZN12_GLOBAL__N_120softmax_warp_forwardIfffLi5ELb0ELb0ELi64EEEvPT0_PKT_iiiPKbib.has_indirect_call, 0
	.section	.AMDGPU.csdata,"",@progbits
; Kernel info:
; codeLenInByte = 1240
; TotalNumSgprs: 18
; NumVgprs: 16
; ScratchSize: 0
; MemoryBound: 0
; FloatMode: 240
; IeeeMode: 1
; LDSByteSize: 0 bytes/workgroup (compile time only)
; SGPRBlocks: 0
; VGPRBlocks: 1
; NumSGPRsForWavesPerEU: 18
; NumVGPRsForWavesPerEU: 16
; Occupancy: 16
; WaveLimiterHint : 0
; COMPUTE_PGM_RSRC2:SCRATCH_EN: 0
; COMPUTE_PGM_RSRC2:USER_SGPR: 6
; COMPUTE_PGM_RSRC2:TRAP_HANDLER: 0
; COMPUTE_PGM_RSRC2:TGID_X_EN: 1
; COMPUTE_PGM_RSRC2:TGID_Y_EN: 0
; COMPUTE_PGM_RSRC2:TGID_Z_EN: 0
; COMPUTE_PGM_RSRC2:TIDIG_COMP_CNT: 1
	.section	.text._ZN12_GLOBAL__N_120softmax_warp_forwardIfffLi5ELb0ELb0ELi32EEEvPT0_PKT_iiiPKbib,"axG",@progbits,_ZN12_GLOBAL__N_120softmax_warp_forwardIfffLi5ELb0ELb0ELi32EEEvPT0_PKT_iiiPKbib,comdat
	.globl	_ZN12_GLOBAL__N_120softmax_warp_forwardIfffLi5ELb0ELb0ELi32EEEvPT0_PKT_iiiPKbib ; -- Begin function _ZN12_GLOBAL__N_120softmax_warp_forwardIfffLi5ELb0ELb0ELi32EEEvPT0_PKT_iiiPKbib
	.p2align	8
	.type	_ZN12_GLOBAL__N_120softmax_warp_forwardIfffLi5ELb0ELb0ELi32EEEvPT0_PKT_iiiPKbib,@function
_ZN12_GLOBAL__N_120softmax_warp_forwardIfffLi5ELb0ELb0ELi32EEEvPT0_PKT_iiiPKbib: ; @_ZN12_GLOBAL__N_120softmax_warp_forwardIfffLi5ELb0ELb0ELi32EEEvPT0_PKT_iiiPKbib
; %bb.0:
	s_clause 0x1
	s_load_dword s0, s[4:5], 0x3c
	s_load_dwordx8 s[8:15], s[4:5], 0x0
	v_mov_b32_e32 v6, 0xff800000
	s_waitcnt lgkmcnt(0)
	s_lshr_b32 s0, s0, 16
	s_and_b32 s0, s0, 0xffff
	s_mul_i32 s6, s6, s0
	v_cmp_gt_i32_e64 s0, s14, v0
	v_add_lshl_u32 v3, s6, v1, 1
	v_mad_u64_u32 v[1:2], null, v3, s13, v[0:1]
	v_sub_nc_u32_e32 v5, s12, v3
	v_mov_b32_e32 v0, 0xff800000
	v_cmp_lt_i32_e32 vcc_lo, 0, v5
	v_ashrrev_i32_e32 v2, 31, v1
	s_and_b32 s2, s0, vcc_lo
	v_lshlrev_b64 v[1:2], 2, v[1:2]
	v_add_co_u32 v3, s1, s10, v1
	v_add_co_ci_u32_e64 v4, null, s11, v2, s1
	s_and_saveexec_b32 s1, s2
	s_cbranch_execz .LBB391_2
; %bb.1:
	global_load_dword v0, v[3:4], off
.LBB391_2:
	s_or_b32 exec_lo, exec_lo, s1
	v_cmp_lt_i32_e64 s1, 1, v5
	s_and_b32 s1, s0, s1
	s_and_saveexec_b32 s2, s1
	s_cbranch_execz .LBB391_4
; %bb.3:
	s_mov_b32 s15, 0
	s_lshl_b64 s[4:5], s[14:15], 2
	v_add_co_u32 v3, s1, v3, s4
	v_add_co_ci_u32_e64 v4, null, s5, v4, s1
	global_load_dword v6, v[3:4], off
.LBB391_4:
	s_or_b32 exec_lo, exec_lo, s2
	v_mbcnt_lo_u32_b32 v3, -1, 0
	v_xor_b32_e32 v4, 16, v3
	v_xor_b32_e32 v9, 8, v3
	;; [unrolled: 1-line block ×5, first 2 shown]
	v_cmp_gt_i32_e64 s1, 32, v4
	v_cndmask_b32_e64 v4, v3, v4, s1
	v_cmp_gt_i32_e64 s1, 32, v9
	v_lshlrev_b32_e32 v7, 2, v4
	v_cndmask_b32_e64 v9, v3, v9, s1
	s_waitcnt vmcnt(0)
	ds_bpermute_b32 v4, v7, v0
	ds_bpermute_b32 v8, v7, v6
	v_lshlrev_b32_e32 v9, 2, v9
	s_waitcnt lgkmcnt(1)
	v_cmp_lt_f32_e64 s1, v0, v4
	v_cndmask_b32_e64 v4, v0, v4, s1
	s_waitcnt lgkmcnt(0)
	v_cmp_lt_f32_e64 s1, v6, v8
	ds_bpermute_b32 v10, v9, v4
	v_cndmask_b32_e64 v8, v6, v8, s1
	v_cmp_gt_i32_e64 s1, 32, v12
	ds_bpermute_b32 v11, v9, v8
	v_cndmask_b32_e64 v12, v3, v12, s1
	v_lshlrev_b32_e32 v12, 2, v12
	s_waitcnt lgkmcnt(1)
	v_cmp_lt_f32_e64 s1, v4, v10
	v_cndmask_b32_e64 v4, v4, v10, s1
	s_waitcnt lgkmcnt(0)
	v_cmp_lt_f32_e64 s1, v8, v11
	ds_bpermute_b32 v10, v12, v4
	v_cndmask_b32_e64 v8, v8, v11, s1
	v_cmp_gt_i32_e64 s1, 32, v13
	ds_bpermute_b32 v11, v12, v8
	v_cndmask_b32_e64 v13, v3, v13, s1
	;; [unrolled: 11-line block ×3, first 2 shown]
	v_lshlrev_b32_e32 v14, 2, v3
	s_waitcnt lgkmcnt(1)
	v_cmp_lt_f32_e64 s1, v4, v10
	v_cndmask_b32_e64 v3, v4, v10, s1
	s_waitcnt lgkmcnt(0)
	v_cmp_lt_f32_e64 s1, v8, v11
	v_cndmask_b32_e64 v4, v8, v11, s1
	ds_bpermute_b32 v8, v14, v3
	ds_bpermute_b32 v10, v14, v4
	s_waitcnt lgkmcnt(1)
	v_cmp_lt_f32_e64 s1, v3, v8
	v_cndmask_b32_e64 v3, v3, v8, s1
	s_waitcnt lgkmcnt(0)
	v_cmp_lt_f32_e64 s1, v4, v10
	v_sub_f32_e32 v0, v0, v3
	v_cndmask_b32_e64 v4, v4, v10, s1
	v_cmp_ngt_f32_e64 s1, 0xc2ce8ed0, v0
	v_sub_f32_e32 v3, v6, v4
	v_mul_f32_e32 v4, 0x3fb8aa3b, v0
	v_mul_f32_e32 v6, 0x3fb8aa3b, v3
	v_fma_f32 v8, 0x3fb8aa3b, v0, -v4
	v_rndne_f32_e32 v10, v4
	v_fma_f32 v11, 0x3fb8aa3b, v3, -v6
	v_rndne_f32_e32 v15, v6
	v_fmac_f32_e32 v8, 0x32a5705f, v0
	v_sub_f32_e32 v4, v4, v10
	v_fmac_f32_e32 v11, 0x32a5705f, v3
	v_sub_f32_e32 v6, v6, v15
	v_add_f32_e32 v4, v4, v8
	v_cvt_i32_f32_e32 v8, v10
	v_cvt_i32_f32_e32 v10, v15
	v_add_f32_e32 v6, v6, v11
	v_exp_f32_e32 v4, v4
	v_exp_f32_e32 v6, v6
	v_ldexp_f32 v4, v4, v8
	v_ldexp_f32 v6, v6, v10
	v_cndmask_b32_e64 v4, 0, v4, s1
	v_cmp_ngt_f32_e64 s1, 0xc2ce8ed0, v3
	v_cndmask_b32_e64 v6, 0, v6, s1
	v_cmp_nlt_f32_e64 s1, 0x42b17218, v0
	v_cndmask_b32_e64 v4, 0x7f800000, v4, s1
	v_cmp_nlt_f32_e64 s1, 0x42b17218, v3
	ds_bpermute_b32 v0, v7, v4
	v_cndmask_b32_e64 v3, 0x7f800000, v6, s1
	ds_bpermute_b32 v6, v7, v3
	s_waitcnt lgkmcnt(1)
	v_add_f32_e32 v0, v4, v0
	ds_bpermute_b32 v7, v9, v0
	s_waitcnt lgkmcnt(1)
	v_add_f32_e32 v6, v3, v6
	;; [unrolled: 3-line block ×7, first 2 shown]
	s_waitcnt lgkmcnt(0)
	v_add_f32_e32 v6, v6, v9
	ds_bpermute_b32 v9, v14, v8
	ds_bpermute_b32 v7, v14, v6
	s_and_saveexec_b32 s1, vcc_lo
	s_cbranch_execz .LBB391_9
; %bb.5:
	v_add_co_u32 v0, vcc_lo, s8, v1
	v_add_co_ci_u32_e64 v1, null, s9, v2, vcc_lo
	s_and_saveexec_b32 s1, s0
	s_cbranch_execz .LBB391_7
; %bb.6:
	s_waitcnt lgkmcnt(1)
	v_add_f32_e32 v2, v8, v9
	v_div_scale_f32 v8, null, v2, v2, v4
	v_rcp_f32_e32 v9, v8
	v_fma_f32 v10, -v8, v9, 1.0
	v_fmac_f32_e32 v9, v10, v9
	v_div_scale_f32 v10, vcc_lo, v4, v2, v4
	v_mul_f32_e32 v11, v10, v9
	v_fma_f32 v12, -v8, v11, v10
	v_fmac_f32_e32 v11, v12, v9
	v_fma_f32 v8, -v8, v11, v10
	v_div_fmas_f32 v8, v8, v9, v11
	v_cmp_neq_f32_e32 vcc_lo, 0, v2
	v_div_fixup_f32 v4, v8, v2, v4
	v_cndmask_b32_e32 v2, 0x7fc00000, v4, vcc_lo
	global_store_dword v[0:1], v2, off
.LBB391_7:
	s_or_b32 exec_lo, exec_lo, s1
	v_cmp_ne_u32_e32 vcc_lo, 1, v5
	s_and_b32 s0, vcc_lo, s0
	s_and_b32 exec_lo, exec_lo, s0
	s_cbranch_execz .LBB391_9
; %bb.8:
	s_waitcnt lgkmcnt(0)
	v_add_f32_e32 v2, v6, v7
	s_mov_b32 s15, 0
	s_lshl_b64 s[0:1], s[14:15], 2
	v_div_scale_f32 v4, null, v2, v2, v3
	v_div_scale_f32 v7, vcc_lo, v3, v2, v3
	v_rcp_f32_e32 v5, v4
	v_fma_f32 v6, -v4, v5, 1.0
	v_fmac_f32_e32 v5, v6, v5
	v_mul_f32_e32 v6, v7, v5
	v_fma_f32 v8, -v4, v6, v7
	v_fmac_f32_e32 v6, v8, v5
	v_fma_f32 v4, -v4, v6, v7
	v_div_fmas_f32 v4, v4, v5, v6
	v_add_co_u32 v0, vcc_lo, v0, s0
	v_add_co_ci_u32_e64 v1, null, s1, v1, vcc_lo
	v_div_fixup_f32 v3, v4, v2, v3
	v_cmp_neq_f32_e32 vcc_lo, 0, v2
	v_cndmask_b32_e32 v2, 0x7fc00000, v3, vcc_lo
	global_store_dword v[0:1], v2, off
.LBB391_9:
	s_endpgm
	.section	.rodata,"a",@progbits
	.p2align	6, 0x0
	.amdhsa_kernel _ZN12_GLOBAL__N_120softmax_warp_forwardIfffLi5ELb0ELb0ELi32EEEvPT0_PKT_iiiPKbib
		.amdhsa_group_segment_fixed_size 0
		.amdhsa_private_segment_fixed_size 0
		.amdhsa_kernarg_size 304
		.amdhsa_user_sgpr_count 6
		.amdhsa_user_sgpr_private_segment_buffer 1
		.amdhsa_user_sgpr_dispatch_ptr 0
		.amdhsa_user_sgpr_queue_ptr 0
		.amdhsa_user_sgpr_kernarg_segment_ptr 1
		.amdhsa_user_sgpr_dispatch_id 0
		.amdhsa_user_sgpr_flat_scratch_init 0
		.amdhsa_user_sgpr_private_segment_size 0
		.amdhsa_wavefront_size32 1
		.amdhsa_uses_dynamic_stack 0
		.amdhsa_system_sgpr_private_segment_wavefront_offset 0
		.amdhsa_system_sgpr_workgroup_id_x 1
		.amdhsa_system_sgpr_workgroup_id_y 0
		.amdhsa_system_sgpr_workgroup_id_z 0
		.amdhsa_system_sgpr_workgroup_info 0
		.amdhsa_system_vgpr_workitem_id 1
		.amdhsa_next_free_vgpr 16
		.amdhsa_next_free_sgpr 16
		.amdhsa_reserve_vcc 1
		.amdhsa_reserve_flat_scratch 0
		.amdhsa_float_round_mode_32 0
		.amdhsa_float_round_mode_16_64 0
		.amdhsa_float_denorm_mode_32 3
		.amdhsa_float_denorm_mode_16_64 3
		.amdhsa_dx10_clamp 1
		.amdhsa_ieee_mode 1
		.amdhsa_fp16_overflow 0
		.amdhsa_workgroup_processor_mode 1
		.amdhsa_memory_ordered 1
		.amdhsa_forward_progress 1
		.amdhsa_shared_vgpr_count 0
		.amdhsa_exception_fp_ieee_invalid_op 0
		.amdhsa_exception_fp_denorm_src 0
		.amdhsa_exception_fp_ieee_div_zero 0
		.amdhsa_exception_fp_ieee_overflow 0
		.amdhsa_exception_fp_ieee_underflow 0
		.amdhsa_exception_fp_ieee_inexact 0
		.amdhsa_exception_int_div_zero 0
	.end_amdhsa_kernel
	.section	.text._ZN12_GLOBAL__N_120softmax_warp_forwardIfffLi5ELb0ELb0ELi32EEEvPT0_PKT_iiiPKbib,"axG",@progbits,_ZN12_GLOBAL__N_120softmax_warp_forwardIfffLi5ELb0ELb0ELi32EEEvPT0_PKT_iiiPKbib,comdat
.Lfunc_end391:
	.size	_ZN12_GLOBAL__N_120softmax_warp_forwardIfffLi5ELb0ELb0ELi32EEEvPT0_PKT_iiiPKbib, .Lfunc_end391-_ZN12_GLOBAL__N_120softmax_warp_forwardIfffLi5ELb0ELb0ELi32EEEvPT0_PKT_iiiPKbib
                                        ; -- End function
	.set _ZN12_GLOBAL__N_120softmax_warp_forwardIfffLi5ELb0ELb0ELi32EEEvPT0_PKT_iiiPKbib.num_vgpr, 16
	.set _ZN12_GLOBAL__N_120softmax_warp_forwardIfffLi5ELb0ELb0ELi32EEEvPT0_PKT_iiiPKbib.num_agpr, 0
	.set _ZN12_GLOBAL__N_120softmax_warp_forwardIfffLi5ELb0ELb0ELi32EEEvPT0_PKT_iiiPKbib.numbered_sgpr, 16
	.set _ZN12_GLOBAL__N_120softmax_warp_forwardIfffLi5ELb0ELb0ELi32EEEvPT0_PKT_iiiPKbib.num_named_barrier, 0
	.set _ZN12_GLOBAL__N_120softmax_warp_forwardIfffLi5ELb0ELb0ELi32EEEvPT0_PKT_iiiPKbib.private_seg_size, 0
	.set _ZN12_GLOBAL__N_120softmax_warp_forwardIfffLi5ELb0ELb0ELi32EEEvPT0_PKT_iiiPKbib.uses_vcc, 1
	.set _ZN12_GLOBAL__N_120softmax_warp_forwardIfffLi5ELb0ELb0ELi32EEEvPT0_PKT_iiiPKbib.uses_flat_scratch, 0
	.set _ZN12_GLOBAL__N_120softmax_warp_forwardIfffLi5ELb0ELb0ELi32EEEvPT0_PKT_iiiPKbib.has_dyn_sized_stack, 0
	.set _ZN12_GLOBAL__N_120softmax_warp_forwardIfffLi5ELb0ELb0ELi32EEEvPT0_PKT_iiiPKbib.has_recursion, 0
	.set _ZN12_GLOBAL__N_120softmax_warp_forwardIfffLi5ELb0ELb0ELi32EEEvPT0_PKT_iiiPKbib.has_indirect_call, 0
	.section	.AMDGPU.csdata,"",@progbits
; Kernel info:
; codeLenInByte = 1240
; TotalNumSgprs: 18
; NumVgprs: 16
; ScratchSize: 0
; MemoryBound: 0
; FloatMode: 240
; IeeeMode: 1
; LDSByteSize: 0 bytes/workgroup (compile time only)
; SGPRBlocks: 0
; VGPRBlocks: 1
; NumSGPRsForWavesPerEU: 18
; NumVGPRsForWavesPerEU: 16
; Occupancy: 16
; WaveLimiterHint : 0
; COMPUTE_PGM_RSRC2:SCRATCH_EN: 0
; COMPUTE_PGM_RSRC2:USER_SGPR: 6
; COMPUTE_PGM_RSRC2:TRAP_HANDLER: 0
; COMPUTE_PGM_RSRC2:TGID_X_EN: 1
; COMPUTE_PGM_RSRC2:TGID_Y_EN: 0
; COMPUTE_PGM_RSRC2:TGID_Z_EN: 0
; COMPUTE_PGM_RSRC2:TIDIG_COMP_CNT: 1
	.section	.text._ZN12_GLOBAL__N_120softmax_warp_forwardIfffLi6ELb0ELb0ELi64EEEvPT0_PKT_iiiPKbib,"axG",@progbits,_ZN12_GLOBAL__N_120softmax_warp_forwardIfffLi6ELb0ELb0ELi64EEEvPT0_PKT_iiiPKbib,comdat
	.globl	_ZN12_GLOBAL__N_120softmax_warp_forwardIfffLi6ELb0ELb0ELi64EEEvPT0_PKT_iiiPKbib ; -- Begin function _ZN12_GLOBAL__N_120softmax_warp_forwardIfffLi6ELb0ELb0ELi64EEEvPT0_PKT_iiiPKbib
	.p2align	8
	.type	_ZN12_GLOBAL__N_120softmax_warp_forwardIfffLi6ELb0ELb0ELi64EEEvPT0_PKT_iiiPKbib,@function
_ZN12_GLOBAL__N_120softmax_warp_forwardIfffLi6ELb0ELb0ELi64EEEvPT0_PKT_iiiPKbib: ; @_ZN12_GLOBAL__N_120softmax_warp_forwardIfffLi6ELb0ELb0ELi64EEEvPT0_PKT_iiiPKbib
; %bb.0:
	s_clause 0x1
	s_load_dword s0, s[4:5], 0x3c
	s_load_dwordx8 s[8:15], s[4:5], 0x0
	v_mov_b32_e32 v6, 0xff800000
	s_waitcnt lgkmcnt(0)
	s_lshr_b32 s0, s0, 16
	s_and_b32 s0, s0, 0xffff
	s_mul_i32 s6, s6, s0
	v_cmp_gt_i32_e64 s0, s14, v0
	v_add_lshl_u32 v3, s6, v1, 1
	v_mad_u64_u32 v[1:2], null, v3, s13, v[0:1]
	v_sub_nc_u32_e32 v5, s12, v3
	v_mov_b32_e32 v0, 0xff800000
	v_cmp_lt_i32_e32 vcc_lo, 0, v5
	v_ashrrev_i32_e32 v2, 31, v1
	s_and_b32 s2, s0, vcc_lo
	v_lshlrev_b64 v[1:2], 2, v[1:2]
	v_add_co_u32 v3, s1, s10, v1
	v_add_co_ci_u32_e64 v4, null, s11, v2, s1
	s_and_saveexec_b32 s1, s2
	s_cbranch_execz .LBB392_2
; %bb.1:
	global_load_dword v0, v[3:4], off
.LBB392_2:
	s_or_b32 exec_lo, exec_lo, s1
	v_cmp_lt_i32_e64 s1, 1, v5
	s_and_b32 s1, s0, s1
	s_and_saveexec_b32 s2, s1
	s_cbranch_execz .LBB392_4
; %bb.3:
	s_mov_b32 s15, 0
	s_lshl_b64 s[4:5], s[14:15], 2
	v_add_co_u32 v3, s1, v3, s4
	v_add_co_ci_u32_e64 v4, null, s5, v4, s1
	global_load_dword v6, v[3:4], off
.LBB392_4:
	s_or_b32 exec_lo, exec_lo, s2
	v_mbcnt_lo_u32_b32 v3, -1, 0
	v_or_b32_e32 v4, 32, v3
	v_xor_b32_e32 v9, 16, v3
	v_xor_b32_e32 v12, 8, v3
	;; [unrolled: 1-line block ×4, first 2 shown]
	v_cmp_gt_i32_e64 s1, 64, v4
	v_xor_b32_e32 v15, 1, v3
	v_cndmask_b32_e64 v4, v3, v4, s1
	v_cmp_gt_i32_e64 s1, 64, v9
	v_lshlrev_b32_e32 v7, 2, v4
	v_cndmask_b32_e64 v9, v3, v9, s1
	s_waitcnt vmcnt(0)
	ds_bpermute_b32 v4, v7, v0
	ds_bpermute_b32 v8, v7, v6
	v_lshlrev_b32_e32 v9, 2, v9
	s_waitcnt lgkmcnt(1)
	v_cmp_lt_f32_e64 s1, v0, v4
	v_cndmask_b32_e64 v4, v0, v4, s1
	s_waitcnt lgkmcnt(0)
	v_cmp_lt_f32_e64 s1, v6, v8
	ds_bpermute_b32 v10, v9, v4
	v_cndmask_b32_e64 v8, v6, v8, s1
	v_cmp_gt_i32_e64 s1, 64, v12
	ds_bpermute_b32 v11, v9, v8
	v_cndmask_b32_e64 v12, v3, v12, s1
	v_lshlrev_b32_e32 v12, 2, v12
	s_waitcnt lgkmcnt(1)
	v_cmp_lt_f32_e64 s1, v4, v10
	v_cndmask_b32_e64 v4, v4, v10, s1
	s_waitcnt lgkmcnt(0)
	v_cmp_lt_f32_e64 s1, v8, v11
	ds_bpermute_b32 v10, v12, v4
	v_cndmask_b32_e64 v8, v8, v11, s1
	v_cmp_gt_i32_e64 s1, 64, v13
	ds_bpermute_b32 v11, v12, v8
	v_cndmask_b32_e64 v13, v3, v13, s1
	;; [unrolled: 11-line block ×4, first 2 shown]
	v_lshlrev_b32_e32 v15, 2, v3
	s_waitcnt lgkmcnt(1)
	v_cmp_lt_f32_e64 s1, v4, v10
	v_cndmask_b32_e64 v3, v4, v10, s1
	s_waitcnt lgkmcnt(0)
	v_cmp_lt_f32_e64 s1, v8, v11
	v_cndmask_b32_e64 v4, v8, v11, s1
	ds_bpermute_b32 v8, v15, v3
	ds_bpermute_b32 v10, v15, v4
	s_waitcnt lgkmcnt(1)
	v_cmp_lt_f32_e64 s1, v3, v8
	v_cndmask_b32_e64 v3, v3, v8, s1
	s_waitcnt lgkmcnt(0)
	v_cmp_lt_f32_e64 s1, v4, v10
	v_sub_f32_e32 v0, v0, v3
	v_cndmask_b32_e64 v4, v4, v10, s1
	v_cmp_ngt_f32_e64 s1, 0xc2ce8ed0, v0
	v_sub_f32_e32 v3, v6, v4
	v_mul_f32_e32 v4, 0x3fb8aa3b, v0
	v_mul_f32_e32 v6, 0x3fb8aa3b, v3
	v_fma_f32 v8, 0x3fb8aa3b, v0, -v4
	v_rndne_f32_e32 v10, v4
	v_fma_f32 v11, 0x3fb8aa3b, v3, -v6
	v_rndne_f32_e32 v16, v6
	v_fmac_f32_e32 v8, 0x32a5705f, v0
	v_sub_f32_e32 v4, v4, v10
	v_fmac_f32_e32 v11, 0x32a5705f, v3
	v_sub_f32_e32 v6, v6, v16
	v_add_f32_e32 v4, v4, v8
	v_cvt_i32_f32_e32 v8, v10
	v_cvt_i32_f32_e32 v10, v16
	v_add_f32_e32 v6, v6, v11
	v_exp_f32_e32 v4, v4
	v_exp_f32_e32 v6, v6
	v_ldexp_f32 v4, v4, v8
	v_ldexp_f32 v6, v6, v10
	v_cndmask_b32_e64 v4, 0, v4, s1
	v_cmp_ngt_f32_e64 s1, 0xc2ce8ed0, v3
	v_cndmask_b32_e64 v6, 0, v6, s1
	v_cmp_nlt_f32_e64 s1, 0x42b17218, v0
	v_cndmask_b32_e64 v4, 0x7f800000, v4, s1
	v_cmp_nlt_f32_e64 s1, 0x42b17218, v3
	ds_bpermute_b32 v0, v7, v4
	v_cndmask_b32_e64 v3, 0x7f800000, v6, s1
	ds_bpermute_b32 v6, v7, v3
	s_waitcnt lgkmcnt(1)
	v_add_f32_e32 v0, v4, v0
	ds_bpermute_b32 v7, v9, v0
	s_waitcnt lgkmcnt(1)
	v_add_f32_e32 v6, v3, v6
	;; [unrolled: 3-line block ×9, first 2 shown]
	s_waitcnt lgkmcnt(0)
	v_add_f32_e32 v6, v6, v9
	ds_bpermute_b32 v9, v15, v8
	ds_bpermute_b32 v7, v15, v6
	s_and_saveexec_b32 s1, vcc_lo
	s_cbranch_execz .LBB392_9
; %bb.5:
	v_add_co_u32 v0, vcc_lo, s8, v1
	v_add_co_ci_u32_e64 v1, null, s9, v2, vcc_lo
	s_and_saveexec_b32 s1, s0
	s_cbranch_execz .LBB392_7
; %bb.6:
	s_waitcnt lgkmcnt(1)
	v_add_f32_e32 v2, v8, v9
	v_div_scale_f32 v8, null, v2, v2, v4
	v_rcp_f32_e32 v9, v8
	v_fma_f32 v10, -v8, v9, 1.0
	v_fmac_f32_e32 v9, v10, v9
	v_div_scale_f32 v10, vcc_lo, v4, v2, v4
	v_mul_f32_e32 v11, v10, v9
	v_fma_f32 v12, -v8, v11, v10
	v_fmac_f32_e32 v11, v12, v9
	v_fma_f32 v8, -v8, v11, v10
	v_div_fmas_f32 v8, v8, v9, v11
	v_cmp_neq_f32_e32 vcc_lo, 0, v2
	v_div_fixup_f32 v4, v8, v2, v4
	v_cndmask_b32_e32 v2, 0x7fc00000, v4, vcc_lo
	global_store_dword v[0:1], v2, off
.LBB392_7:
	s_or_b32 exec_lo, exec_lo, s1
	v_cmp_ne_u32_e32 vcc_lo, 1, v5
	s_and_b32 s0, vcc_lo, s0
	s_and_b32 exec_lo, exec_lo, s0
	s_cbranch_execz .LBB392_9
; %bb.8:
	s_waitcnt lgkmcnt(0)
	v_add_f32_e32 v2, v6, v7
	s_mov_b32 s15, 0
	s_lshl_b64 s[0:1], s[14:15], 2
	v_div_scale_f32 v4, null, v2, v2, v3
	v_div_scale_f32 v7, vcc_lo, v3, v2, v3
	v_rcp_f32_e32 v5, v4
	v_fma_f32 v6, -v4, v5, 1.0
	v_fmac_f32_e32 v5, v6, v5
	v_mul_f32_e32 v6, v7, v5
	v_fma_f32 v8, -v4, v6, v7
	v_fmac_f32_e32 v6, v8, v5
	v_fma_f32 v4, -v4, v6, v7
	v_div_fmas_f32 v4, v4, v5, v6
	v_add_co_u32 v0, vcc_lo, v0, s0
	v_add_co_ci_u32_e64 v1, null, s1, v1, vcc_lo
	v_div_fixup_f32 v3, v4, v2, v3
	v_cmp_neq_f32_e32 vcc_lo, 0, v2
	v_cndmask_b32_e32 v2, 0x7fc00000, v3, vcc_lo
	global_store_dword v[0:1], v2, off
.LBB392_9:
	s_endpgm
	.section	.rodata,"a",@progbits
	.p2align	6, 0x0
	.amdhsa_kernel _ZN12_GLOBAL__N_120softmax_warp_forwardIfffLi6ELb0ELb0ELi64EEEvPT0_PKT_iiiPKbib
		.amdhsa_group_segment_fixed_size 0
		.amdhsa_private_segment_fixed_size 0
		.amdhsa_kernarg_size 304
		.amdhsa_user_sgpr_count 6
		.amdhsa_user_sgpr_private_segment_buffer 1
		.amdhsa_user_sgpr_dispatch_ptr 0
		.amdhsa_user_sgpr_queue_ptr 0
		.amdhsa_user_sgpr_kernarg_segment_ptr 1
		.amdhsa_user_sgpr_dispatch_id 0
		.amdhsa_user_sgpr_flat_scratch_init 0
		.amdhsa_user_sgpr_private_segment_size 0
		.amdhsa_wavefront_size32 1
		.amdhsa_uses_dynamic_stack 0
		.amdhsa_system_sgpr_private_segment_wavefront_offset 0
		.amdhsa_system_sgpr_workgroup_id_x 1
		.amdhsa_system_sgpr_workgroup_id_y 0
		.amdhsa_system_sgpr_workgroup_id_z 0
		.amdhsa_system_sgpr_workgroup_info 0
		.amdhsa_system_vgpr_workitem_id 1
		.amdhsa_next_free_vgpr 17
		.amdhsa_next_free_sgpr 16
		.amdhsa_reserve_vcc 1
		.amdhsa_reserve_flat_scratch 0
		.amdhsa_float_round_mode_32 0
		.amdhsa_float_round_mode_16_64 0
		.amdhsa_float_denorm_mode_32 3
		.amdhsa_float_denorm_mode_16_64 3
		.amdhsa_dx10_clamp 1
		.amdhsa_ieee_mode 1
		.amdhsa_fp16_overflow 0
		.amdhsa_workgroup_processor_mode 1
		.amdhsa_memory_ordered 1
		.amdhsa_forward_progress 1
		.amdhsa_shared_vgpr_count 0
		.amdhsa_exception_fp_ieee_invalid_op 0
		.amdhsa_exception_fp_denorm_src 0
		.amdhsa_exception_fp_ieee_div_zero 0
		.amdhsa_exception_fp_ieee_overflow 0
		.amdhsa_exception_fp_ieee_underflow 0
		.amdhsa_exception_fp_ieee_inexact 0
		.amdhsa_exception_int_div_zero 0
	.end_amdhsa_kernel
	.section	.text._ZN12_GLOBAL__N_120softmax_warp_forwardIfffLi6ELb0ELb0ELi64EEEvPT0_PKT_iiiPKbib,"axG",@progbits,_ZN12_GLOBAL__N_120softmax_warp_forwardIfffLi6ELb0ELb0ELi64EEEvPT0_PKT_iiiPKbib,comdat
.Lfunc_end392:
	.size	_ZN12_GLOBAL__N_120softmax_warp_forwardIfffLi6ELb0ELb0ELi64EEEvPT0_PKT_iiiPKbib, .Lfunc_end392-_ZN12_GLOBAL__N_120softmax_warp_forwardIfffLi6ELb0ELb0ELi64EEEvPT0_PKT_iiiPKbib
                                        ; -- End function
	.set _ZN12_GLOBAL__N_120softmax_warp_forwardIfffLi6ELb0ELb0ELi64EEEvPT0_PKT_iiiPKbib.num_vgpr, 17
	.set _ZN12_GLOBAL__N_120softmax_warp_forwardIfffLi6ELb0ELb0ELi64EEEvPT0_PKT_iiiPKbib.num_agpr, 0
	.set _ZN12_GLOBAL__N_120softmax_warp_forwardIfffLi6ELb0ELb0ELi64EEEvPT0_PKT_iiiPKbib.numbered_sgpr, 16
	.set _ZN12_GLOBAL__N_120softmax_warp_forwardIfffLi6ELb0ELb0ELi64EEEvPT0_PKT_iiiPKbib.num_named_barrier, 0
	.set _ZN12_GLOBAL__N_120softmax_warp_forwardIfffLi6ELb0ELb0ELi64EEEvPT0_PKT_iiiPKbib.private_seg_size, 0
	.set _ZN12_GLOBAL__N_120softmax_warp_forwardIfffLi6ELb0ELb0ELi64EEEvPT0_PKT_iiiPKbib.uses_vcc, 1
	.set _ZN12_GLOBAL__N_120softmax_warp_forwardIfffLi6ELb0ELb0ELi64EEEvPT0_PKT_iiiPKbib.uses_flat_scratch, 0
	.set _ZN12_GLOBAL__N_120softmax_warp_forwardIfffLi6ELb0ELb0ELi64EEEvPT0_PKT_iiiPKbib.has_dyn_sized_stack, 0
	.set _ZN12_GLOBAL__N_120softmax_warp_forwardIfffLi6ELb0ELb0ELi64EEEvPT0_PKT_iiiPKbib.has_recursion, 0
	.set _ZN12_GLOBAL__N_120softmax_warp_forwardIfffLi6ELb0ELb0ELi64EEEvPT0_PKT_iiiPKbib.has_indirect_call, 0
	.section	.AMDGPU.csdata,"",@progbits
; Kernel info:
; codeLenInByte = 1352
; TotalNumSgprs: 18
; NumVgprs: 17
; ScratchSize: 0
; MemoryBound: 0
; FloatMode: 240
; IeeeMode: 1
; LDSByteSize: 0 bytes/workgroup (compile time only)
; SGPRBlocks: 0
; VGPRBlocks: 2
; NumSGPRsForWavesPerEU: 18
; NumVGPRsForWavesPerEU: 17
; Occupancy: 16
; WaveLimiterHint : 0
; COMPUTE_PGM_RSRC2:SCRATCH_EN: 0
; COMPUTE_PGM_RSRC2:USER_SGPR: 6
; COMPUTE_PGM_RSRC2:TRAP_HANDLER: 0
; COMPUTE_PGM_RSRC2:TGID_X_EN: 1
; COMPUTE_PGM_RSRC2:TGID_Y_EN: 0
; COMPUTE_PGM_RSRC2:TGID_Z_EN: 0
; COMPUTE_PGM_RSRC2:TIDIG_COMP_CNT: 1
	.section	.text._ZN12_GLOBAL__N_120softmax_warp_forwardIfffLi6ELb0ELb0ELi32EEEvPT0_PKT_iiiPKbib,"axG",@progbits,_ZN12_GLOBAL__N_120softmax_warp_forwardIfffLi6ELb0ELb0ELi32EEEvPT0_PKT_iiiPKbib,comdat
	.globl	_ZN12_GLOBAL__N_120softmax_warp_forwardIfffLi6ELb0ELb0ELi32EEEvPT0_PKT_iiiPKbib ; -- Begin function _ZN12_GLOBAL__N_120softmax_warp_forwardIfffLi6ELb0ELb0ELi32EEEvPT0_PKT_iiiPKbib
	.p2align	8
	.type	_ZN12_GLOBAL__N_120softmax_warp_forwardIfffLi6ELb0ELb0ELi32EEEvPT0_PKT_iiiPKbib,@function
_ZN12_GLOBAL__N_120softmax_warp_forwardIfffLi6ELb0ELb0ELi32EEEvPT0_PKT_iiiPKbib: ; @_ZN12_GLOBAL__N_120softmax_warp_forwardIfffLi6ELb0ELb0ELi32EEEvPT0_PKT_iiiPKbib
; %bb.0:
	s_clause 0x1
	s_load_dword s0, s[4:5], 0x3c
	s_load_dwordx8 s[8:15], s[4:5], 0x0
	v_mov_b32_e32 v6, 0xff800000
	v_mov_b32_e32 v7, 0xff800000
	s_waitcnt lgkmcnt(0)
	s_lshr_b32 s0, s0, 16
	v_cmp_gt_i32_e64 s1, s14, v0
	s_and_b32 s0, s0, 0xffff
	s_mul_i32 s6, s6, s0
	v_add_lshl_u32 v3, s6, v1, 1
	v_mad_u64_u32 v[1:2], null, v3, s13, v[0:1]
	v_sub_nc_u32_e32 v5, s12, v3
	v_cmp_lt_i32_e32 vcc_lo, 0, v5
	v_ashrrev_i32_e32 v2, 31, v1
	s_and_b32 s2, vcc_lo, s1
	v_lshlrev_b64 v[1:2], 2, v[1:2]
	v_add_co_u32 v3, s0, s10, v1
	v_add_co_ci_u32_e64 v4, null, s11, v2, s0
	s_and_saveexec_b32 s0, s2
	s_cbranch_execz .LBB393_2
; %bb.1:
	global_load_dword v7, v[3:4], off
.LBB393_2:
	s_or_b32 exec_lo, exec_lo, s0
	v_add_nc_u32_e32 v0, 32, v0
	v_cmp_gt_i32_e64 s0, s14, v0
	s_and_b32 s3, vcc_lo, s0
	s_and_saveexec_b32 s2, s3
	s_cbranch_execz .LBB393_4
; %bb.3:
	global_load_dword v6, v[3:4], off offset:128
.LBB393_4:
	s_or_b32 exec_lo, exec_lo, s2
	v_cmp_lt_i32_e64 s2, 1, v5
	v_mov_b32_e32 v0, 0xff800000
	v_mov_b32_e32 v8, 0xff800000
	s_and_b32 s3, s2, s1
	s_and_saveexec_b32 s4, s3
	s_cbranch_execz .LBB393_6
; %bb.5:
	s_mov_b32 s15, 0
	s_lshl_b64 s[6:7], s[14:15], 2
	v_add_co_u32 v8, s3, v3, s6
	v_add_co_ci_u32_e64 v9, null, s7, v4, s3
	global_load_dword v8, v[8:9], off
.LBB393_6:
	s_or_b32 exec_lo, exec_lo, s4
	s_and_b32 s2, s2, s0
	s_and_saveexec_b32 s3, s2
	s_cbranch_execz .LBB393_8
; %bb.7:
	s_mov_b32 s15, 0
	s_lshl_b64 s[4:5], s[14:15], 2
	v_add_co_u32 v3, s2, v3, s4
	v_add_co_ci_u32_e64 v4, null, s5, v4, s2
	global_load_dword v0, v[3:4], off offset:128
.LBB393_8:
	s_or_b32 exec_lo, exec_lo, s3
	v_mbcnt_lo_u32_b32 v3, -1, 0
	v_xor_b32_e32 v4, 16, v3
	v_xor_b32_e32 v13, 8, v3
	;; [unrolled: 1-line block ×5, first 2 shown]
	v_cmp_gt_i32_e64 s2, 32, v4
	v_cndmask_b32_e64 v4, v3, v4, s2
	s_waitcnt vmcnt(0)
	v_cmp_gt_f32_e64 s2, v7, v6
	v_lshlrev_b32_e32 v10, 2, v4
	v_cndmask_b32_e64 v9, v6, v7, s2
	v_cmp_gt_f32_e64 s2, v8, v0
	ds_bpermute_b32 v11, v10, v9
	v_cndmask_b32_e64 v4, v0, v8, s2
	v_cmp_gt_i32_e64 s2, 32, v13
	ds_bpermute_b32 v12, v10, v4
	v_cndmask_b32_e64 v13, v3, v13, s2
	v_lshlrev_b32_e32 v13, 2, v13
	s_waitcnt lgkmcnt(1)
	v_cmp_lt_f32_e64 s2, v9, v11
	v_cndmask_b32_e64 v9, v9, v11, s2
	s_waitcnt lgkmcnt(0)
	v_cmp_lt_f32_e64 s2, v4, v12
	ds_bpermute_b32 v11, v13, v9
	v_cndmask_b32_e64 v4, v4, v12, s2
	v_cmp_gt_i32_e64 s2, 32, v14
	ds_bpermute_b32 v12, v13, v4
	v_cndmask_b32_e64 v14, v3, v14, s2
	v_lshlrev_b32_e32 v14, 2, v14
	s_waitcnt lgkmcnt(1)
	v_cmp_lt_f32_e64 s2, v9, v11
	v_cndmask_b32_e64 v9, v9, v11, s2
	s_waitcnt lgkmcnt(0)
	v_cmp_lt_f32_e64 s2, v4, v12
	;; [unrolled: 11-line block ×4, first 2 shown]
	ds_bpermute_b32 v9, v16, v3
	v_cndmask_b32_e64 v4, v4, v12, s2
	ds_bpermute_b32 v11, v16, v4
	s_waitcnt lgkmcnt(1)
	v_cmp_lt_f32_e64 s2, v3, v9
	v_cndmask_b32_e64 v3, v3, v9, s2
	s_waitcnt lgkmcnt(0)
	v_cmp_lt_f32_e64 s2, v4, v11
	v_sub_f32_e32 v7, v7, v3
	v_cndmask_b32_e64 v4, v4, v11, s2
	v_sub_f32_e32 v3, v6, v3
	v_cmp_ngt_f32_e64 s2, 0xc2ce8ed0, v7
	v_sub_f32_e32 v8, v8, v4
	v_sub_f32_e32 v0, v0, v4
	v_mul_f32_e32 v4, 0x3fb8aa3b, v7
	v_mul_f32_e32 v6, 0x3fb8aa3b, v3
	v_mul_f32_e32 v9, 0x3fb8aa3b, v8
	v_mul_f32_e32 v11, 0x3fb8aa3b, v0
	v_fma_f32 v12, 0x3fb8aa3b, v7, -v4
	v_rndne_f32_e32 v17, v4
	v_fma_f32 v18, 0x3fb8aa3b, v3, -v6
	v_rndne_f32_e32 v19, v6
	v_fma_f32 v20, 0x3fb8aa3b, v8, -v9
	v_fmac_f32_e32 v12, 0x32a5705f, v7
	v_sub_f32_e32 v4, v4, v17
	v_rndne_f32_e32 v21, v9
	v_fmac_f32_e32 v18, 0x32a5705f, v3
	v_sub_f32_e32 v6, v6, v19
	v_fma_f32 v22, 0x3fb8aa3b, v0, -v11
	v_add_f32_e32 v4, v4, v12
	v_rndne_f32_e32 v23, v11
	v_fmac_f32_e32 v20, 0x32a5705f, v8
	v_sub_f32_e32 v9, v9, v21
	v_add_f32_e32 v6, v6, v18
	v_exp_f32_e32 v4, v4
	v_fmac_f32_e32 v22, 0x32a5705f, v0
	v_sub_f32_e32 v11, v11, v23
	v_add_f32_e32 v9, v9, v20
	v_exp_f32_e32 v6, v6
	v_cvt_i32_f32_e32 v12, v17
	v_cvt_i32_f32_e32 v17, v19
	v_add_f32_e32 v11, v11, v22
	v_exp_f32_e32 v9, v9
	v_cvt_i32_f32_e32 v18, v21
	v_ldexp_f32 v4, v4, v12
	v_cvt_i32_f32_e32 v19, v23
	v_exp_f32_e32 v11, v11
	v_ldexp_f32 v6, v6, v17
	v_cndmask_b32_e64 v4, 0, v4, s2
	v_cmp_ngt_f32_e64 s2, 0xc2ce8ed0, v3
	v_ldexp_f32 v9, v9, v18
	v_cndmask_b32_e64 v6, 0, v6, s2
	v_cmp_ngt_f32_e64 s2, 0xc2ce8ed0, v8
	;; [unrolled: 3-line block ×3, first 2 shown]
	v_cndmask_b32_e64 v11, 0, v11, s2
	v_cmp_nlt_f32_e64 s2, 0x42b17218, v7
	v_cndmask_b32_e64 v9, 0x7f800000, v4, s2
	v_cmp_nlt_f32_e64 s2, 0x42b17218, v3
	;; [unrolled: 2-line block ×4, first 2 shown]
	v_add_f32_e32 v0, v9, v6
	v_cndmask_b32_e64 v3, 0x7f800000, v11, s2
	ds_bpermute_b32 v8, v10, v0
	v_add_f32_e32 v7, v4, v3
	ds_bpermute_b32 v10, v10, v7
	s_waitcnt lgkmcnt(1)
	v_add_f32_e32 v0, v0, v8
	ds_bpermute_b32 v8, v13, v0
	s_waitcnt lgkmcnt(1)
	;; [unrolled: 3-line block ×7, first 2 shown]
	v_add_f32_e32 v10, v0, v8
	s_waitcnt lgkmcnt(0)
	v_add_f32_e32 v7, v7, v11
	ds_bpermute_b32 v11, v16, v10
	ds_bpermute_b32 v8, v16, v7
	s_and_saveexec_b32 s2, vcc_lo
	s_cbranch_execz .LBB393_16
; %bb.9:
	v_add_co_u32 v0, vcc_lo, s8, v1
	v_add_co_ci_u32_e64 v1, null, s9, v2, vcc_lo
	s_and_saveexec_b32 s3, s1
	s_cbranch_execz .LBB393_12
; %bb.10:
	s_waitcnt lgkmcnt(1)
	v_add_f32_e32 v2, v10, v11
	v_div_scale_f32 v10, null, v2, v2, v9
	v_cmp_eq_f32_e64 s2, 0, v2
	v_rcp_f32_e32 v11, v10
	v_fma_f32 v12, -v10, v11, 1.0
	v_fmac_f32_e32 v11, v12, v11
	v_div_scale_f32 v12, vcc_lo, v9, v2, v9
	v_mul_f32_e32 v13, v12, v11
	v_fma_f32 v14, -v10, v13, v12
	v_fmac_f32_e32 v13, v14, v11
	v_fma_f32 v10, -v10, v13, v12
	v_div_fmas_f32 v10, v10, v11, v13
	v_div_fixup_f32 v9, v10, v2, v9
	v_cndmask_b32_e64 v9, v9, 0x7fc00000, s2
	global_store_dword v[0:1], v9, off
	s_and_b32 exec_lo, exec_lo, s0
	s_cbranch_execz .LBB393_12
; %bb.11:
	v_div_scale_f32 v9, null, v2, v2, v6
	v_rcp_f32_e32 v10, v9
	v_fma_f32 v11, -v9, v10, 1.0
	v_fmac_f32_e32 v10, v11, v10
	v_div_scale_f32 v11, vcc_lo, v6, v2, v6
	v_mul_f32_e32 v12, v11, v10
	v_fma_f32 v13, -v9, v12, v11
	v_fmac_f32_e32 v12, v13, v10
	v_fma_f32 v9, -v9, v12, v11
	v_div_fmas_f32 v9, v9, v10, v12
	v_div_fixup_f32 v2, v9, v2, v6
	v_cndmask_b32_e64 v2, v2, 0x7fc00000, s2
	global_store_dword v[0:1], v2, off offset:128
.LBB393_12:
	s_or_b32 exec_lo, exec_lo, s3
	v_cmp_ne_u32_e32 vcc_lo, 1, v5
	s_and_b32 exec_lo, exec_lo, vcc_lo
	s_cbranch_execz .LBB393_16
; %bb.13:
	s_and_b32 exec_lo, exec_lo, s1
	s_cbranch_execz .LBB393_16
; %bb.14:
	s_waitcnt lgkmcnt(0)
	v_add_f32_e32 v2, v7, v8
	s_mov_b32 s15, 0
	s_lshl_b64 s[2:3], s[14:15], 2
	v_div_scale_f32 v5, null, v2, v2, v4
	v_div_scale_f32 v8, vcc_lo, v4, v2, v4
	v_cmp_eq_f32_e64 s1, 0, v2
	v_rcp_f32_e32 v6, v5
	v_fma_f32 v7, -v5, v6, 1.0
	v_fmac_f32_e32 v6, v7, v6
	v_mul_f32_e32 v7, v8, v6
	v_fma_f32 v9, -v5, v7, v8
	v_fmac_f32_e32 v7, v9, v6
	v_fma_f32 v5, -v5, v7, v8
	v_div_fmas_f32 v5, v5, v6, v7
	v_add_co_u32 v0, vcc_lo, v0, s2
	v_add_co_ci_u32_e64 v1, null, s3, v1, vcc_lo
	v_div_fixup_f32 v4, v5, v2, v4
	v_cndmask_b32_e64 v4, v4, 0x7fc00000, s1
	global_store_dword v[0:1], v4, off
	s_and_b32 exec_lo, exec_lo, s0
	s_cbranch_execz .LBB393_16
; %bb.15:
	v_div_scale_f32 v4, null, v2, v2, v3
	v_rcp_f32_e32 v5, v4
	v_fma_f32 v6, -v4, v5, 1.0
	v_fmac_f32_e32 v5, v6, v5
	v_div_scale_f32 v6, vcc_lo, v3, v2, v3
	v_mul_f32_e32 v7, v6, v5
	v_fma_f32 v8, -v4, v7, v6
	v_fmac_f32_e32 v7, v8, v5
	v_fma_f32 v4, -v4, v7, v6
	v_div_fmas_f32 v4, v4, v5, v7
	v_div_fixup_f32 v2, v4, v2, v3
	v_cndmask_b32_e64 v2, v2, 0x7fc00000, s1
	global_store_dword v[0:1], v2, off offset:128
.LBB393_16:
	s_endpgm
	.section	.rodata,"a",@progbits
	.p2align	6, 0x0
	.amdhsa_kernel _ZN12_GLOBAL__N_120softmax_warp_forwardIfffLi6ELb0ELb0ELi32EEEvPT0_PKT_iiiPKbib
		.amdhsa_group_segment_fixed_size 0
		.amdhsa_private_segment_fixed_size 0
		.amdhsa_kernarg_size 304
		.amdhsa_user_sgpr_count 6
		.amdhsa_user_sgpr_private_segment_buffer 1
		.amdhsa_user_sgpr_dispatch_ptr 0
		.amdhsa_user_sgpr_queue_ptr 0
		.amdhsa_user_sgpr_kernarg_segment_ptr 1
		.amdhsa_user_sgpr_dispatch_id 0
		.amdhsa_user_sgpr_flat_scratch_init 0
		.amdhsa_user_sgpr_private_segment_size 0
		.amdhsa_wavefront_size32 1
		.amdhsa_uses_dynamic_stack 0
		.amdhsa_system_sgpr_private_segment_wavefront_offset 0
		.amdhsa_system_sgpr_workgroup_id_x 1
		.amdhsa_system_sgpr_workgroup_id_y 0
		.amdhsa_system_sgpr_workgroup_id_z 0
		.amdhsa_system_sgpr_workgroup_info 0
		.amdhsa_system_vgpr_workitem_id 1
		.amdhsa_next_free_vgpr 24
		.amdhsa_next_free_sgpr 16
		.amdhsa_reserve_vcc 1
		.amdhsa_reserve_flat_scratch 0
		.amdhsa_float_round_mode_32 0
		.amdhsa_float_round_mode_16_64 0
		.amdhsa_float_denorm_mode_32 3
		.amdhsa_float_denorm_mode_16_64 3
		.amdhsa_dx10_clamp 1
		.amdhsa_ieee_mode 1
		.amdhsa_fp16_overflow 0
		.amdhsa_workgroup_processor_mode 1
		.amdhsa_memory_ordered 1
		.amdhsa_forward_progress 1
		.amdhsa_shared_vgpr_count 0
		.amdhsa_exception_fp_ieee_invalid_op 0
		.amdhsa_exception_fp_denorm_src 0
		.amdhsa_exception_fp_ieee_div_zero 0
		.amdhsa_exception_fp_ieee_overflow 0
		.amdhsa_exception_fp_ieee_underflow 0
		.amdhsa_exception_fp_ieee_inexact 0
		.amdhsa_exception_int_div_zero 0
	.end_amdhsa_kernel
	.section	.text._ZN12_GLOBAL__N_120softmax_warp_forwardIfffLi6ELb0ELb0ELi32EEEvPT0_PKT_iiiPKbib,"axG",@progbits,_ZN12_GLOBAL__N_120softmax_warp_forwardIfffLi6ELb0ELb0ELi32EEEvPT0_PKT_iiiPKbib,comdat
.Lfunc_end393:
	.size	_ZN12_GLOBAL__N_120softmax_warp_forwardIfffLi6ELb0ELb0ELi32EEEvPT0_PKT_iiiPKbib, .Lfunc_end393-_ZN12_GLOBAL__N_120softmax_warp_forwardIfffLi6ELb0ELb0ELi32EEEvPT0_PKT_iiiPKbib
                                        ; -- End function
	.set _ZN12_GLOBAL__N_120softmax_warp_forwardIfffLi6ELb0ELb0ELi32EEEvPT0_PKT_iiiPKbib.num_vgpr, 24
	.set _ZN12_GLOBAL__N_120softmax_warp_forwardIfffLi6ELb0ELb0ELi32EEEvPT0_PKT_iiiPKbib.num_agpr, 0
	.set _ZN12_GLOBAL__N_120softmax_warp_forwardIfffLi6ELb0ELb0ELi32EEEvPT0_PKT_iiiPKbib.numbered_sgpr, 16
	.set _ZN12_GLOBAL__N_120softmax_warp_forwardIfffLi6ELb0ELb0ELi32EEEvPT0_PKT_iiiPKbib.num_named_barrier, 0
	.set _ZN12_GLOBAL__N_120softmax_warp_forwardIfffLi6ELb0ELb0ELi32EEEvPT0_PKT_iiiPKbib.private_seg_size, 0
	.set _ZN12_GLOBAL__N_120softmax_warp_forwardIfffLi6ELb0ELb0ELi32EEEvPT0_PKT_iiiPKbib.uses_vcc, 1
	.set _ZN12_GLOBAL__N_120softmax_warp_forwardIfffLi6ELb0ELb0ELi32EEEvPT0_PKT_iiiPKbib.uses_flat_scratch, 0
	.set _ZN12_GLOBAL__N_120softmax_warp_forwardIfffLi6ELb0ELb0ELi32EEEvPT0_PKT_iiiPKbib.has_dyn_sized_stack, 0
	.set _ZN12_GLOBAL__N_120softmax_warp_forwardIfffLi6ELb0ELb0ELi32EEEvPT0_PKT_iiiPKbib.has_recursion, 0
	.set _ZN12_GLOBAL__N_120softmax_warp_forwardIfffLi6ELb0ELb0ELi32EEEvPT0_PKT_iiiPKbib.has_indirect_call, 0
	.section	.AMDGPU.csdata,"",@progbits
; Kernel info:
; codeLenInByte = 1808
; TotalNumSgprs: 18
; NumVgprs: 24
; ScratchSize: 0
; MemoryBound: 0
; FloatMode: 240
; IeeeMode: 1
; LDSByteSize: 0 bytes/workgroup (compile time only)
; SGPRBlocks: 0
; VGPRBlocks: 2
; NumSGPRsForWavesPerEU: 18
; NumVGPRsForWavesPerEU: 24
; Occupancy: 16
; WaveLimiterHint : 0
; COMPUTE_PGM_RSRC2:SCRATCH_EN: 0
; COMPUTE_PGM_RSRC2:USER_SGPR: 6
; COMPUTE_PGM_RSRC2:TRAP_HANDLER: 0
; COMPUTE_PGM_RSRC2:TGID_X_EN: 1
; COMPUTE_PGM_RSRC2:TGID_Y_EN: 0
; COMPUTE_PGM_RSRC2:TGID_Z_EN: 0
; COMPUTE_PGM_RSRC2:TIDIG_COMP_CNT: 1
	.section	.text._ZN12_GLOBAL__N_120softmax_warp_forwardIfffLi7ELb0ELb0ELi64EEEvPT0_PKT_iiiPKbib,"axG",@progbits,_ZN12_GLOBAL__N_120softmax_warp_forwardIfffLi7ELb0ELb0ELi64EEEvPT0_PKT_iiiPKbib,comdat
	.globl	_ZN12_GLOBAL__N_120softmax_warp_forwardIfffLi7ELb0ELb0ELi64EEEvPT0_PKT_iiiPKbib ; -- Begin function _ZN12_GLOBAL__N_120softmax_warp_forwardIfffLi7ELb0ELb0ELi64EEEvPT0_PKT_iiiPKbib
	.p2align	8
	.type	_ZN12_GLOBAL__N_120softmax_warp_forwardIfffLi7ELb0ELb0ELi64EEEvPT0_PKT_iiiPKbib,@function
_ZN12_GLOBAL__N_120softmax_warp_forwardIfffLi7ELb0ELb0ELi64EEEvPT0_PKT_iiiPKbib: ; @_ZN12_GLOBAL__N_120softmax_warp_forwardIfffLi7ELb0ELb0ELi64EEEvPT0_PKT_iiiPKbib
; %bb.0:
	s_clause 0x1
	s_load_dword s0, s[4:5], 0x3c
	s_load_dwordx8 s[8:15], s[4:5], 0x0
	v_mov_b32_e32 v6, 0xff800000
	v_mov_b32_e32 v7, 0xff800000
	s_waitcnt lgkmcnt(0)
	s_lshr_b32 s0, s0, 16
	v_cmp_gt_i32_e64 s1, s14, v0
	s_and_b32 s0, s0, 0xffff
	s_mul_i32 s6, s6, s0
	v_add_lshl_u32 v3, s6, v1, 1
	v_mad_u64_u32 v[1:2], null, v3, s13, v[0:1]
	v_sub_nc_u32_e32 v5, s12, v3
	v_cmp_lt_i32_e32 vcc_lo, 0, v5
	v_ashrrev_i32_e32 v2, 31, v1
	s_and_b32 s2, vcc_lo, s1
	v_lshlrev_b64 v[1:2], 2, v[1:2]
	v_add_co_u32 v3, s0, s10, v1
	v_add_co_ci_u32_e64 v4, null, s11, v2, s0
	s_and_saveexec_b32 s0, s2
	s_cbranch_execz .LBB394_2
; %bb.1:
	global_load_dword v7, v[3:4], off
.LBB394_2:
	s_or_b32 exec_lo, exec_lo, s0
	v_add_nc_u32_e32 v0, 64, v0
	v_cmp_gt_i32_e64 s0, s14, v0
	s_and_b32 s3, vcc_lo, s0
	s_and_saveexec_b32 s2, s3
	s_cbranch_execz .LBB394_4
; %bb.3:
	global_load_dword v6, v[3:4], off offset:256
.LBB394_4:
	s_or_b32 exec_lo, exec_lo, s2
	v_cmp_lt_i32_e64 s2, 1, v5
	v_mov_b32_e32 v0, 0xff800000
	v_mov_b32_e32 v8, 0xff800000
	s_and_b32 s3, s2, s1
	s_and_saveexec_b32 s4, s3
	s_cbranch_execz .LBB394_6
; %bb.5:
	s_mov_b32 s15, 0
	s_lshl_b64 s[6:7], s[14:15], 2
	v_add_co_u32 v8, s3, v3, s6
	v_add_co_ci_u32_e64 v9, null, s7, v4, s3
	global_load_dword v8, v[8:9], off
.LBB394_6:
	s_or_b32 exec_lo, exec_lo, s4
	s_and_b32 s2, s2, s0
	s_and_saveexec_b32 s3, s2
	s_cbranch_execz .LBB394_8
; %bb.7:
	s_mov_b32 s15, 0
	s_lshl_b64 s[4:5], s[14:15], 2
	v_add_co_u32 v3, s2, v3, s4
	v_add_co_ci_u32_e64 v4, null, s5, v4, s2
	global_load_dword v0, v[3:4], off offset:256
.LBB394_8:
	s_or_b32 exec_lo, exec_lo, s3
	v_mbcnt_lo_u32_b32 v3, -1, 0
	v_or_b32_e32 v4, 32, v3
	v_xor_b32_e32 v13, 16, v3
	v_xor_b32_e32 v14, 8, v3
	;; [unrolled: 1-line block ×4, first 2 shown]
	v_cmp_gt_i32_e64 s2, 64, v4
	v_xor_b32_e32 v17, 1, v3
	v_cndmask_b32_e64 v4, v3, v4, s2
	s_waitcnt vmcnt(0)
	v_cmp_gt_f32_e64 s2, v7, v6
	v_lshlrev_b32_e32 v10, 2, v4
	v_cndmask_b32_e64 v9, v6, v7, s2
	v_cmp_gt_f32_e64 s2, v8, v0
	ds_bpermute_b32 v11, v10, v9
	v_cndmask_b32_e64 v4, v0, v8, s2
	v_cmp_gt_i32_e64 s2, 64, v13
	ds_bpermute_b32 v12, v10, v4
	v_cndmask_b32_e64 v13, v3, v13, s2
	v_lshlrev_b32_e32 v13, 2, v13
	s_waitcnt lgkmcnt(1)
	v_cmp_lt_f32_e64 s2, v9, v11
	v_cndmask_b32_e64 v9, v9, v11, s2
	s_waitcnt lgkmcnt(0)
	v_cmp_lt_f32_e64 s2, v4, v12
	ds_bpermute_b32 v11, v13, v9
	v_cndmask_b32_e64 v4, v4, v12, s2
	v_cmp_gt_i32_e64 s2, 64, v14
	ds_bpermute_b32 v12, v13, v4
	v_cndmask_b32_e64 v14, v3, v14, s2
	v_lshlrev_b32_e32 v14, 2, v14
	s_waitcnt lgkmcnt(1)
	v_cmp_lt_f32_e64 s2, v9, v11
	v_cndmask_b32_e64 v9, v9, v11, s2
	s_waitcnt lgkmcnt(0)
	v_cmp_lt_f32_e64 s2, v4, v12
	ds_bpermute_b32 v11, v14, v9
	v_cndmask_b32_e64 v4, v4, v12, s2
	v_cmp_gt_i32_e64 s2, 64, v15
	ds_bpermute_b32 v12, v14, v4
	v_cndmask_b32_e64 v15, v3, v15, s2
	v_lshlrev_b32_e32 v15, 2, v15
	s_waitcnt lgkmcnt(1)
	v_cmp_lt_f32_e64 s2, v9, v11
	v_cndmask_b32_e64 v9, v9, v11, s2
	s_waitcnt lgkmcnt(0)
	v_cmp_lt_f32_e64 s2, v4, v12
	ds_bpermute_b32 v11, v15, v9
	v_cndmask_b32_e64 v4, v4, v12, s2
	v_cmp_gt_i32_e64 s2, 64, v16
	ds_bpermute_b32 v12, v15, v4
	v_cndmask_b32_e64 v16, v3, v16, s2
	v_lshlrev_b32_e32 v16, 2, v16
	s_waitcnt lgkmcnt(1)
	v_cmp_lt_f32_e64 s2, v9, v11
	v_cndmask_b32_e64 v9, v9, v11, s2
	s_waitcnt lgkmcnt(0)
	v_cmp_lt_f32_e64 s2, v4, v12
	ds_bpermute_b32 v11, v16, v9
	v_cndmask_b32_e64 v4, v4, v12, s2
	v_cmp_gt_i32_e64 s2, 64, v17
	ds_bpermute_b32 v12, v16, v4
	v_cndmask_b32_e64 v3, v3, v17, s2
	v_lshlrev_b32_e32 v17, 2, v3
	s_waitcnt lgkmcnt(1)
	v_cmp_lt_f32_e64 s2, v9, v11
	v_cndmask_b32_e64 v3, v9, v11, s2
	s_waitcnt lgkmcnt(0)
	v_cmp_lt_f32_e64 s2, v4, v12
	ds_bpermute_b32 v9, v17, v3
	v_cndmask_b32_e64 v4, v4, v12, s2
	ds_bpermute_b32 v11, v17, v4
	s_waitcnt lgkmcnt(1)
	v_cmp_lt_f32_e64 s2, v3, v9
	v_cndmask_b32_e64 v3, v3, v9, s2
	s_waitcnt lgkmcnt(0)
	v_cmp_lt_f32_e64 s2, v4, v11
	v_sub_f32_e32 v7, v7, v3
	v_cndmask_b32_e64 v4, v4, v11, s2
	v_sub_f32_e32 v3, v6, v3
	v_cmp_ngt_f32_e64 s2, 0xc2ce8ed0, v7
	v_sub_f32_e32 v8, v8, v4
	v_sub_f32_e32 v0, v0, v4
	v_mul_f32_e32 v4, 0x3fb8aa3b, v7
	v_mul_f32_e32 v6, 0x3fb8aa3b, v3
	;; [unrolled: 1-line block ×4, first 2 shown]
	v_fma_f32 v12, 0x3fb8aa3b, v7, -v4
	v_rndne_f32_e32 v18, v4
	v_fma_f32 v19, 0x3fb8aa3b, v3, -v6
	v_rndne_f32_e32 v20, v6
	v_fma_f32 v21, 0x3fb8aa3b, v8, -v9
	v_fmac_f32_e32 v12, 0x32a5705f, v7
	v_sub_f32_e32 v4, v4, v18
	v_rndne_f32_e32 v22, v9
	v_fmac_f32_e32 v19, 0x32a5705f, v3
	v_sub_f32_e32 v6, v6, v20
	v_fma_f32 v23, 0x3fb8aa3b, v0, -v11
	v_add_f32_e32 v4, v4, v12
	v_rndne_f32_e32 v24, v11
	v_fmac_f32_e32 v21, 0x32a5705f, v8
	v_sub_f32_e32 v9, v9, v22
	v_add_f32_e32 v6, v6, v19
	v_exp_f32_e32 v4, v4
	v_fmac_f32_e32 v23, 0x32a5705f, v0
	v_sub_f32_e32 v11, v11, v24
	v_add_f32_e32 v9, v9, v21
	v_exp_f32_e32 v6, v6
	v_cvt_i32_f32_e32 v12, v18
	v_cvt_i32_f32_e32 v18, v20
	v_add_f32_e32 v11, v11, v23
	v_exp_f32_e32 v9, v9
	v_cvt_i32_f32_e32 v19, v22
	v_ldexp_f32 v4, v4, v12
	v_cvt_i32_f32_e32 v20, v24
	v_exp_f32_e32 v11, v11
	v_ldexp_f32 v6, v6, v18
	v_cndmask_b32_e64 v4, 0, v4, s2
	v_cmp_ngt_f32_e64 s2, 0xc2ce8ed0, v3
	v_ldexp_f32 v9, v9, v19
	v_cndmask_b32_e64 v6, 0, v6, s2
	v_cmp_ngt_f32_e64 s2, 0xc2ce8ed0, v8
	;; [unrolled: 3-line block ×3, first 2 shown]
	v_cndmask_b32_e64 v11, 0, v11, s2
	v_cmp_nlt_f32_e64 s2, 0x42b17218, v7
	v_cndmask_b32_e64 v9, 0x7f800000, v4, s2
	v_cmp_nlt_f32_e64 s2, 0x42b17218, v3
	v_cndmask_b32_e64 v6, 0x7f800000, v6, s2
	v_cmp_nlt_f32_e64 s2, 0x42b17218, v8
	v_cndmask_b32_e64 v4, 0x7f800000, v12, s2
	v_cmp_nlt_f32_e64 s2, 0x42b17218, v0
	v_add_f32_e32 v0, v9, v6
	v_cndmask_b32_e64 v3, 0x7f800000, v11, s2
	ds_bpermute_b32 v8, v10, v0
	v_add_f32_e32 v7, v4, v3
	ds_bpermute_b32 v10, v10, v7
	s_waitcnt lgkmcnt(1)
	v_add_f32_e32 v0, v0, v8
	ds_bpermute_b32 v8, v13, v0
	s_waitcnt lgkmcnt(1)
	;; [unrolled: 3-line block ×9, first 2 shown]
	v_add_f32_e32 v10, v0, v8
	s_waitcnt lgkmcnt(0)
	v_add_f32_e32 v7, v7, v11
	ds_bpermute_b32 v11, v17, v10
	ds_bpermute_b32 v8, v17, v7
	s_and_saveexec_b32 s2, vcc_lo
	s_cbranch_execz .LBB394_16
; %bb.9:
	v_add_co_u32 v0, vcc_lo, s8, v1
	v_add_co_ci_u32_e64 v1, null, s9, v2, vcc_lo
	s_and_saveexec_b32 s3, s1
	s_cbranch_execz .LBB394_12
; %bb.10:
	s_waitcnt lgkmcnt(1)
	v_add_f32_e32 v2, v10, v11
	v_div_scale_f32 v10, null, v2, v2, v9
	v_cmp_eq_f32_e64 s2, 0, v2
	v_rcp_f32_e32 v11, v10
	v_fma_f32 v12, -v10, v11, 1.0
	v_fmac_f32_e32 v11, v12, v11
	v_div_scale_f32 v12, vcc_lo, v9, v2, v9
	v_mul_f32_e32 v13, v12, v11
	v_fma_f32 v14, -v10, v13, v12
	v_fmac_f32_e32 v13, v14, v11
	v_fma_f32 v10, -v10, v13, v12
	v_div_fmas_f32 v10, v10, v11, v13
	v_div_fixup_f32 v9, v10, v2, v9
	v_cndmask_b32_e64 v9, v9, 0x7fc00000, s2
	global_store_dword v[0:1], v9, off
	s_and_b32 exec_lo, exec_lo, s0
	s_cbranch_execz .LBB394_12
; %bb.11:
	v_div_scale_f32 v9, null, v2, v2, v6
	v_rcp_f32_e32 v10, v9
	v_fma_f32 v11, -v9, v10, 1.0
	v_fmac_f32_e32 v10, v11, v10
	v_div_scale_f32 v11, vcc_lo, v6, v2, v6
	v_mul_f32_e32 v12, v11, v10
	v_fma_f32 v13, -v9, v12, v11
	v_fmac_f32_e32 v12, v13, v10
	v_fma_f32 v9, -v9, v12, v11
	v_div_fmas_f32 v9, v9, v10, v12
	v_div_fixup_f32 v2, v9, v2, v6
	v_cndmask_b32_e64 v2, v2, 0x7fc00000, s2
	global_store_dword v[0:1], v2, off offset:256
.LBB394_12:
	s_or_b32 exec_lo, exec_lo, s3
	v_cmp_ne_u32_e32 vcc_lo, 1, v5
	s_and_b32 exec_lo, exec_lo, vcc_lo
	s_cbranch_execz .LBB394_16
; %bb.13:
	s_and_b32 exec_lo, exec_lo, s1
	s_cbranch_execz .LBB394_16
; %bb.14:
	s_waitcnt lgkmcnt(0)
	v_add_f32_e32 v2, v7, v8
	s_mov_b32 s15, 0
	s_lshl_b64 s[2:3], s[14:15], 2
	v_div_scale_f32 v5, null, v2, v2, v4
	v_div_scale_f32 v8, vcc_lo, v4, v2, v4
	v_cmp_eq_f32_e64 s1, 0, v2
	v_rcp_f32_e32 v6, v5
	v_fma_f32 v7, -v5, v6, 1.0
	v_fmac_f32_e32 v6, v7, v6
	v_mul_f32_e32 v7, v8, v6
	v_fma_f32 v9, -v5, v7, v8
	v_fmac_f32_e32 v7, v9, v6
	v_fma_f32 v5, -v5, v7, v8
	v_div_fmas_f32 v5, v5, v6, v7
	v_add_co_u32 v0, vcc_lo, v0, s2
	v_add_co_ci_u32_e64 v1, null, s3, v1, vcc_lo
	v_div_fixup_f32 v4, v5, v2, v4
	v_cndmask_b32_e64 v4, v4, 0x7fc00000, s1
	global_store_dword v[0:1], v4, off
	s_and_b32 exec_lo, exec_lo, s0
	s_cbranch_execz .LBB394_16
; %bb.15:
	v_div_scale_f32 v4, null, v2, v2, v3
	v_rcp_f32_e32 v5, v4
	v_fma_f32 v6, -v4, v5, 1.0
	v_fmac_f32_e32 v5, v6, v5
	v_div_scale_f32 v6, vcc_lo, v3, v2, v3
	v_mul_f32_e32 v7, v6, v5
	v_fma_f32 v8, -v4, v7, v6
	v_fmac_f32_e32 v7, v8, v5
	v_fma_f32 v4, -v4, v7, v6
	v_div_fmas_f32 v4, v4, v5, v7
	v_div_fixup_f32 v2, v4, v2, v3
	v_cndmask_b32_e64 v2, v2, 0x7fc00000, s1
	global_store_dword v[0:1], v2, off offset:256
.LBB394_16:
	s_endpgm
	.section	.rodata,"a",@progbits
	.p2align	6, 0x0
	.amdhsa_kernel _ZN12_GLOBAL__N_120softmax_warp_forwardIfffLi7ELb0ELb0ELi64EEEvPT0_PKT_iiiPKbib
		.amdhsa_group_segment_fixed_size 0
		.amdhsa_private_segment_fixed_size 0
		.amdhsa_kernarg_size 304
		.amdhsa_user_sgpr_count 6
		.amdhsa_user_sgpr_private_segment_buffer 1
		.amdhsa_user_sgpr_dispatch_ptr 0
		.amdhsa_user_sgpr_queue_ptr 0
		.amdhsa_user_sgpr_kernarg_segment_ptr 1
		.amdhsa_user_sgpr_dispatch_id 0
		.amdhsa_user_sgpr_flat_scratch_init 0
		.amdhsa_user_sgpr_private_segment_size 0
		.amdhsa_wavefront_size32 1
		.amdhsa_uses_dynamic_stack 0
		.amdhsa_system_sgpr_private_segment_wavefront_offset 0
		.amdhsa_system_sgpr_workgroup_id_x 1
		.amdhsa_system_sgpr_workgroup_id_y 0
		.amdhsa_system_sgpr_workgroup_id_z 0
		.amdhsa_system_sgpr_workgroup_info 0
		.amdhsa_system_vgpr_workitem_id 1
		.amdhsa_next_free_vgpr 25
		.amdhsa_next_free_sgpr 16
		.amdhsa_reserve_vcc 1
		.amdhsa_reserve_flat_scratch 0
		.amdhsa_float_round_mode_32 0
		.amdhsa_float_round_mode_16_64 0
		.amdhsa_float_denorm_mode_32 3
		.amdhsa_float_denorm_mode_16_64 3
		.amdhsa_dx10_clamp 1
		.amdhsa_ieee_mode 1
		.amdhsa_fp16_overflow 0
		.amdhsa_workgroup_processor_mode 1
		.amdhsa_memory_ordered 1
		.amdhsa_forward_progress 1
		.amdhsa_shared_vgpr_count 0
		.amdhsa_exception_fp_ieee_invalid_op 0
		.amdhsa_exception_fp_denorm_src 0
		.amdhsa_exception_fp_ieee_div_zero 0
		.amdhsa_exception_fp_ieee_overflow 0
		.amdhsa_exception_fp_ieee_underflow 0
		.amdhsa_exception_fp_ieee_inexact 0
		.amdhsa_exception_int_div_zero 0
	.end_amdhsa_kernel
	.section	.text._ZN12_GLOBAL__N_120softmax_warp_forwardIfffLi7ELb0ELb0ELi64EEEvPT0_PKT_iiiPKbib,"axG",@progbits,_ZN12_GLOBAL__N_120softmax_warp_forwardIfffLi7ELb0ELb0ELi64EEEvPT0_PKT_iiiPKbib,comdat
.Lfunc_end394:
	.size	_ZN12_GLOBAL__N_120softmax_warp_forwardIfffLi7ELb0ELb0ELi64EEEvPT0_PKT_iiiPKbib, .Lfunc_end394-_ZN12_GLOBAL__N_120softmax_warp_forwardIfffLi7ELb0ELb0ELi64EEEvPT0_PKT_iiiPKbib
                                        ; -- End function
	.set _ZN12_GLOBAL__N_120softmax_warp_forwardIfffLi7ELb0ELb0ELi64EEEvPT0_PKT_iiiPKbib.num_vgpr, 25
	.set _ZN12_GLOBAL__N_120softmax_warp_forwardIfffLi7ELb0ELb0ELi64EEEvPT0_PKT_iiiPKbib.num_agpr, 0
	.set _ZN12_GLOBAL__N_120softmax_warp_forwardIfffLi7ELb0ELb0ELi64EEEvPT0_PKT_iiiPKbib.numbered_sgpr, 16
	.set _ZN12_GLOBAL__N_120softmax_warp_forwardIfffLi7ELb0ELb0ELi64EEEvPT0_PKT_iiiPKbib.num_named_barrier, 0
	.set _ZN12_GLOBAL__N_120softmax_warp_forwardIfffLi7ELb0ELb0ELi64EEEvPT0_PKT_iiiPKbib.private_seg_size, 0
	.set _ZN12_GLOBAL__N_120softmax_warp_forwardIfffLi7ELb0ELb0ELi64EEEvPT0_PKT_iiiPKbib.uses_vcc, 1
	.set _ZN12_GLOBAL__N_120softmax_warp_forwardIfffLi7ELb0ELb0ELi64EEEvPT0_PKT_iiiPKbib.uses_flat_scratch, 0
	.set _ZN12_GLOBAL__N_120softmax_warp_forwardIfffLi7ELb0ELb0ELi64EEEvPT0_PKT_iiiPKbib.has_dyn_sized_stack, 0
	.set _ZN12_GLOBAL__N_120softmax_warp_forwardIfffLi7ELb0ELb0ELi64EEEvPT0_PKT_iiiPKbib.has_recursion, 0
	.set _ZN12_GLOBAL__N_120softmax_warp_forwardIfffLi7ELb0ELb0ELi64EEEvPT0_PKT_iiiPKbib.has_indirect_call, 0
	.section	.AMDGPU.csdata,"",@progbits
; Kernel info:
; codeLenInByte = 1920
; TotalNumSgprs: 18
; NumVgprs: 25
; ScratchSize: 0
; MemoryBound: 0
; FloatMode: 240
; IeeeMode: 1
; LDSByteSize: 0 bytes/workgroup (compile time only)
; SGPRBlocks: 0
; VGPRBlocks: 3
; NumSGPRsForWavesPerEU: 18
; NumVGPRsForWavesPerEU: 25
; Occupancy: 16
; WaveLimiterHint : 0
; COMPUTE_PGM_RSRC2:SCRATCH_EN: 0
; COMPUTE_PGM_RSRC2:USER_SGPR: 6
; COMPUTE_PGM_RSRC2:TRAP_HANDLER: 0
; COMPUTE_PGM_RSRC2:TGID_X_EN: 1
; COMPUTE_PGM_RSRC2:TGID_Y_EN: 0
; COMPUTE_PGM_RSRC2:TGID_Z_EN: 0
; COMPUTE_PGM_RSRC2:TIDIG_COMP_CNT: 1
	.section	.text._ZN12_GLOBAL__N_120softmax_warp_forwardIfffLi7ELb0ELb0ELi32EEEvPT0_PKT_iiiPKbib,"axG",@progbits,_ZN12_GLOBAL__N_120softmax_warp_forwardIfffLi7ELb0ELb0ELi32EEEvPT0_PKT_iiiPKbib,comdat
	.globl	_ZN12_GLOBAL__N_120softmax_warp_forwardIfffLi7ELb0ELb0ELi32EEEvPT0_PKT_iiiPKbib ; -- Begin function _ZN12_GLOBAL__N_120softmax_warp_forwardIfffLi7ELb0ELb0ELi32EEEvPT0_PKT_iiiPKbib
	.p2align	8
	.type	_ZN12_GLOBAL__N_120softmax_warp_forwardIfffLi7ELb0ELb0ELi32EEEvPT0_PKT_iiiPKbib,@function
_ZN12_GLOBAL__N_120softmax_warp_forwardIfffLi7ELb0ELb0ELi32EEEvPT0_PKT_iiiPKbib: ; @_ZN12_GLOBAL__N_120softmax_warp_forwardIfffLi7ELb0ELb0ELi32EEEvPT0_PKT_iiiPKbib
; %bb.0:
	s_clause 0x1
	s_load_dword s0, s[4:5], 0x3c
	s_load_dwordx8 s[8:15], s[4:5], 0x0
	v_mov_b32_e32 v7, 0xff800000
	v_mov_b32_e32 v11, 0xff800000
	s_waitcnt lgkmcnt(0)
	s_lshr_b32 s0, s0, 16
	v_cmp_gt_i32_e64 s3, s14, v0
	s_and_b32 s0, s0, 0xffff
	s_mul_i32 s6, s6, s0
	v_add_lshl_u32 v3, s6, v1, 1
	v_mad_u64_u32 v[1:2], null, v3, s13, v[0:1]
	v_sub_nc_u32_e32 v5, s12, v3
	v_cmp_lt_i32_e32 vcc_lo, 0, v5
	v_ashrrev_i32_e32 v2, 31, v1
	s_and_b32 s1, vcc_lo, s3
	v_lshlrev_b64 v[1:2], 2, v[1:2]
	v_add_co_u32 v3, s0, s10, v1
	v_add_co_ci_u32_e64 v4, null, s11, v2, s0
	s_and_saveexec_b32 s0, s1
	s_cbranch_execz .LBB395_2
; %bb.1:
	global_load_dword v11, v[3:4], off
.LBB395_2:
	s_or_b32 exec_lo, exec_lo, s0
	v_add_nc_u32_e32 v6, 32, v0
	v_cmp_gt_i32_e64 s2, s14, v6
	s_and_b32 s1, vcc_lo, s2
	s_and_saveexec_b32 s0, s1
	s_cbranch_execz .LBB395_4
; %bb.3:
	global_load_dword v7, v[3:4], off offset:128
.LBB395_4:
	s_or_b32 exec_lo, exec_lo, s0
	v_add_nc_u32_e32 v6, 64, v0
	v_mov_b32_e32 v9, 0xff800000
	v_mov_b32_e32 v12, 0xff800000
	v_cmp_gt_i32_e64 s1, s14, v6
	s_and_b32 s4, vcc_lo, s1
	s_and_saveexec_b32 s0, s4
	s_cbranch_execz .LBB395_6
; %bb.5:
	global_load_dword v12, v[3:4], off offset:256
.LBB395_6:
	s_or_b32 exec_lo, exec_lo, s0
	v_add_nc_u32_e32 v0, 0x60, v0
	v_cmp_gt_i32_e64 s0, s14, v0
	s_and_b32 s5, vcc_lo, s0
	s_and_saveexec_b32 s4, s5
	s_cbranch_execz .LBB395_8
; %bb.7:
	global_load_dword v9, v[3:4], off offset:384
.LBB395_8:
	s_or_b32 exec_lo, exec_lo, s4
	v_cmp_lt_i32_e64 s4, 1, v5
	v_mov_b32_e32 v10, 0xff800000
	v_mov_b32_e32 v14, 0xff800000
	s_and_b32 s5, s4, s3
	s_and_saveexec_b32 s6, s5
	s_cbranch_execz .LBB395_10
; %bb.9:
	s_mov_b32 s15, 0
	s_lshl_b64 s[10:11], s[14:15], 2
	v_add_co_u32 v13, s5, v3, s10
	v_add_co_ci_u32_e64 v14, null, s11, v4, s5
	global_load_dword v14, v[13:14], off
.LBB395_10:
	s_or_b32 exec_lo, exec_lo, s6
	s_and_b32 s5, s4, s2
	s_and_saveexec_b32 s6, s5
	s_cbranch_execz .LBB395_12
; %bb.11:
	s_mov_b32 s15, 0
	s_lshl_b64 s[10:11], s[14:15], 2
	v_add_co_u32 v15, s5, v3, s10
	v_add_co_ci_u32_e64 v16, null, s11, v4, s5
	global_load_dword v10, v[15:16], off offset:128
.LBB395_12:
	s_or_b32 exec_lo, exec_lo, s6
	v_mov_b32_e32 v13, 0xff800000
	v_mov_b32_e32 v15, 0xff800000
	s_and_b32 s5, s4, s1
	s_and_saveexec_b32 s6, s5
	s_cbranch_execz .LBB395_14
; %bb.13:
	s_mov_b32 s15, 0
	s_lshl_b64 s[10:11], s[14:15], 2
	v_add_co_u32 v15, s5, v3, s10
	v_add_co_ci_u32_e64 v16, null, s11, v4, s5
	global_load_dword v15, v[15:16], off offset:256
.LBB395_14:
	s_or_b32 exec_lo, exec_lo, s6
	s_and_b32 s4, s4, s0
	s_and_saveexec_b32 s5, s4
	s_cbranch_execz .LBB395_16
; %bb.15:
	s_mov_b32 s15, 0
	s_lshl_b64 s[6:7], s[14:15], 2
	v_add_co_u32 v3, s4, v3, s6
	v_add_co_ci_u32_e64 v4, null, s7, v4, s4
	global_load_dword v13, v[3:4], off offset:384
.LBB395_16:
	s_or_b32 exec_lo, exec_lo, s5
	s_waitcnt vmcnt(0)
	v_cmp_gt_f32_e64 s4, v11, v7
	v_mbcnt_lo_u32_b32 v8, -1, 0
	v_cndmask_b32_e64 v0, v7, v11, s4
	v_cmp_gt_f32_e64 s4, v14, v10
	v_xor_b32_e32 v3, 16, v8
	v_xor_b32_e32 v20, 1, v8
	v_cndmask_b32_e64 v4, v10, v14, s4
	v_cmp_gt_f32_e64 s4, v0, v12
	v_cndmask_b32_e64 v0, v12, v0, s4
	v_cmp_gt_i32_e64 s4, 32, v3
	v_cndmask_b32_e64 v3, v8, v3, s4
	v_cmp_gt_f32_e64 s4, v4, v15
	v_cndmask_b32_e64 v4, v15, v4, s4
	v_cmp_gt_f32_e64 s4, v0, v9
	v_cndmask_b32_e64 v6, v9, v0, s4
	v_lshlrev_b32_e32 v0, 2, v3
	v_cmp_gt_f32_e64 s4, v4, v13
	v_xor_b32_e32 v3, 8, v8
	ds_bpermute_b32 v16, v0, v6
	v_cndmask_b32_e64 v4, v13, v4, s4
	v_cmp_gt_i32_e64 s4, 32, v3
	ds_bpermute_b32 v17, v0, v4
	v_cndmask_b32_e64 v3, v8, v3, s4
	v_lshlrev_b32_e32 v3, 2, v3
	s_waitcnt lgkmcnt(1)
	v_cmp_lt_f32_e64 s4, v6, v16
	v_cndmask_b32_e64 v6, v6, v16, s4
	s_waitcnt lgkmcnt(0)
	v_cmp_lt_f32_e64 s4, v4, v17
	v_cndmask_b32_e64 v16, v4, v17, s4
	ds_bpermute_b32 v17, v3, v6
	v_xor_b32_e32 v4, 4, v8
	ds_bpermute_b32 v18, v3, v16
	v_cmp_gt_i32_e64 s4, 32, v4
	v_cndmask_b32_e64 v4, v8, v4, s4
	v_lshlrev_b32_e32 v4, 2, v4
	s_waitcnt lgkmcnt(1)
	v_cmp_lt_f32_e64 s4, v6, v17
	v_cndmask_b32_e64 v17, v6, v17, s4
	s_waitcnt lgkmcnt(0)
	v_cmp_lt_f32_e64 s4, v16, v18
	v_xor_b32_e32 v6, 2, v8
	v_cndmask_b32_e64 v16, v16, v18, s4
	ds_bpermute_b32 v18, v4, v17
	v_cmp_gt_i32_e64 s4, 32, v6
	ds_bpermute_b32 v19, v4, v16
	v_cndmask_b32_e64 v6, v8, v6, s4
	v_lshlrev_b32_e32 v6, 2, v6
	s_waitcnt lgkmcnt(1)
	v_cmp_lt_f32_e64 s4, v17, v18
	v_cndmask_b32_e64 v17, v17, v18, s4
	s_waitcnt lgkmcnt(0)
	v_cmp_lt_f32_e64 s4, v16, v19
	ds_bpermute_b32 v18, v6, v17
	v_cndmask_b32_e64 v16, v16, v19, s4
	v_cmp_gt_i32_e64 s4, 32, v20
	ds_bpermute_b32 v19, v6, v16
	v_cndmask_b32_e64 v8, v8, v20, s4
	v_lshlrev_b32_e32 v8, 2, v8
	s_waitcnt lgkmcnt(1)
	v_cmp_lt_f32_e64 s4, v17, v18
	v_cndmask_b32_e64 v17, v17, v18, s4
	s_waitcnt lgkmcnt(0)
	v_cmp_lt_f32_e64 s4, v16, v19
	ds_bpermute_b32 v18, v8, v17
	v_cndmask_b32_e64 v16, v16, v19, s4
	ds_bpermute_b32 v19, v8, v16
	s_waitcnt lgkmcnt(1)
	v_cmp_lt_f32_e64 s4, v17, v18
	v_cndmask_b32_e64 v17, v17, v18, s4
	s_waitcnt lgkmcnt(0)
	v_cmp_lt_f32_e64 s4, v16, v19
	v_sub_f32_e32 v11, v11, v17
	v_cndmask_b32_e64 v16, v16, v19, s4
	v_sub_f32_e32 v7, v7, v17
	v_sub_f32_e32 v12, v12, v17
	;; [unrolled: 1-line block ×3, first 2 shown]
	v_cmp_ngt_f32_e64 s4, 0xc2ce8ed0, v11
	v_sub_f32_e32 v9, v14, v16
	v_sub_f32_e32 v10, v10, v16
	;; [unrolled: 1-line block ×4, first 2 shown]
	v_mul_f32_e32 v13, 0x3fb8aa3b, v11
	v_mul_f32_e32 v14, 0x3fb8aa3b, v7
	;; [unrolled: 1-line block ×5, first 2 shown]
	v_fma_f32 v24, 0x3fb8aa3b, v11, -v13
	v_rndne_f32_e32 v25, v13
	v_fma_f32 v26, 0x3fb8aa3b, v7, -v14
	v_rndne_f32_e32 v27, v14
	v_fma_f32 v28, 0x3fb8aa3b, v12, -v15
	v_fmac_f32_e32 v24, 0x32a5705f, v11
	v_sub_f32_e32 v13, v13, v25
	v_rndne_f32_e32 v29, v15
	v_fmac_f32_e32 v26, 0x32a5705f, v7
	v_sub_f32_e32 v14, v14, v27
	v_mul_f32_e32 v20, 0x3fb8aa3b, v9
	v_add_f32_e32 v13, v13, v24
	v_fma_f32 v30, 0x3fb8aa3b, v17, -v19
	v_rndne_f32_e32 v31, v19
	v_fma_f32 v36, 0x3fb8aa3b, v18, -v22
	v_rndne_f32_e32 v37, v22
	v_fmac_f32_e32 v28, 0x32a5705f, v12
	v_sub_f32_e32 v15, v15, v29
	v_add_f32_e32 v14, v14, v26
	v_exp_f32_e32 v13, v13
	v_mul_f32_e32 v21, 0x3fb8aa3b, v10
	v_fma_f32 v32, 0x3fb8aa3b, v9, -v20
	v_rndne_f32_e32 v33, v20
	v_cvt_i32_f32_e32 v25, v25
	v_fmac_f32_e32 v30, 0x32a5705f, v17
	v_sub_f32_e32 v19, v19, v31
	v_fmac_f32_e32 v36, 0x32a5705f, v18
	v_sub_f32_e32 v22, v22, v37
	v_add_f32_e32 v15, v15, v28
	v_exp_f32_e32 v14, v14
	v_fma_f32 v34, 0x3fb8aa3b, v10, -v21
	v_rndne_f32_e32 v35, v21
	v_cvt_i32_f32_e32 v27, v27
	v_fmac_f32_e32 v32, 0x32a5705f, v9
	v_sub_f32_e32 v20, v20, v33
	v_add_f32_e32 v19, v19, v30
	v_add_f32_e32 v22, v22, v36
	v_exp_f32_e32 v15, v15
	v_ldexp_f32 v13, v13, v25
	v_mul_f32_e32 v23, 0x3fb8aa3b, v16
	v_cvt_i32_f32_e32 v29, v29
	v_fmac_f32_e32 v34, 0x32a5705f, v10
	v_sub_f32_e32 v21, v21, v35
	v_add_f32_e32 v20, v20, v32
	v_exp_f32_e32 v19, v19
	v_exp_f32_e32 v22, v22
	v_ldexp_f32 v14, v14, v27
	v_cndmask_b32_e64 v13, 0, v13, s4
	v_cmp_ngt_f32_e64 s4, 0xc2ce8ed0, v7
	v_fma_f32 v38, 0x3fb8aa3b, v16, -v23
	v_rndne_f32_e32 v39, v23
	v_cvt_i32_f32_e32 v31, v31
	v_add_f32_e32 v21, v21, v34
	v_exp_f32_e32 v20, v20
	v_cvt_i32_f32_e32 v24, v37
	v_ldexp_f32 v15, v15, v29
	v_cndmask_b32_e64 v14, 0, v14, s4
	v_cmp_ngt_f32_e64 s4, 0xc2ce8ed0, v12
	v_cvt_i32_f32_e32 v33, v33
	v_fmac_f32_e32 v38, 0x32a5705f, v16
	v_sub_f32_e32 v23, v23, v39
	v_exp_f32_e32 v21, v21
	v_ldexp_f32 v19, v19, v31
	v_ldexp_f32 v22, v22, v24
	v_cndmask_b32_e64 v24, 0, v15, s4
	v_cmp_ngt_f32_e64 s4, 0xc2ce8ed0, v17
	v_cvt_i32_f32_e32 v35, v35
	v_add_f32_e32 v23, v23, v38
	v_ldexp_f32 v20, v20, v33
	v_cvt_i32_f32_e32 v26, v39
	v_cndmask_b32_e64 v19, 0, v19, s4
	v_cmp_ngt_f32_e64 s4, 0xc2ce8ed0, v9
	v_exp_f32_e32 v23, v23
	v_ldexp_f32 v21, v21, v35
	v_cndmask_b32_e64 v20, 0, v20, s4
	v_cmp_ngt_f32_e64 s4, 0xc2ce8ed0, v10
	v_cndmask_b32_e64 v21, 0, v21, s4
	v_cmp_ngt_f32_e64 s4, 0xc2ce8ed0, v18
	v_ldexp_f32 v23, v23, v26
	v_cndmask_b32_e64 v22, 0, v22, s4
	v_cmp_ngt_f32_e64 s4, 0xc2ce8ed0, v16
	v_cndmask_b32_e64 v23, 0, v23, s4
	v_cmp_nlt_f32_e64 s4, 0x42b17218, v11
	v_cndmask_b32_e64 v15, 0x7f800000, v13, s4
	v_cmp_nlt_f32_e64 s4, 0x42b17218, v7
	;; [unrolled: 2-line block ×5, first 2 shown]
	v_add_f32_e32 v20, v11, v10
	v_cndmask_b32_e64 v13, 0x7f800000, v24, s4
	v_cmp_nlt_f32_e64 s4, 0x42b17218, v18
	v_add_f32_e32 v18, v15, v14
	v_cndmask_b32_e64 v9, 0x7f800000, v22, s4
	v_cmp_nlt_f32_e64 s4, 0x42b17218, v17
	;; [unrolled: 3-line block ×3, first 2 shown]
	v_add_f32_e32 v16, v18, v13
	v_cndmask_b32_e64 v7, 0x7f800000, v23, s4
	v_add_f32_e32 v16, v16, v12
	v_add_f32_e32 v17, v17, v7
	ds_bpermute_b32 v18, v0, v16
	ds_bpermute_b32 v0, v0, v17
	s_waitcnt lgkmcnt(1)
	v_add_f32_e32 v16, v16, v18
	s_waitcnt lgkmcnt(0)
	v_add_f32_e32 v0, v17, v0
	ds_bpermute_b32 v17, v3, v16
	ds_bpermute_b32 v3, v3, v0
	s_waitcnt lgkmcnt(1)
	v_add_f32_e32 v16, v16, v17
	s_waitcnt lgkmcnt(0)
	;; [unrolled: 6-line block ×4, first 2 shown]
	v_add_f32_e32 v3, v0, v16
	ds_bpermute_b32 v16, v8, v6
	ds_bpermute_b32 v4, v8, v3
	s_and_saveexec_b32 s4, vcc_lo
	s_cbranch_execz .LBB395_28
; %bb.17:
	v_add_co_u32 v0, vcc_lo, s8, v1
	v_add_co_ci_u32_e64 v1, null, s9, v2, vcc_lo
	s_and_saveexec_b32 s5, s3
	s_cbranch_execz .LBB395_22
; %bb.18:
	s_waitcnt lgkmcnt(1)
	v_add_f32_e32 v2, v6, v16
	v_div_scale_f32 v6, null, v2, v2, v15
	v_cmp_eq_f32_e64 s4, 0, v2
	v_rcp_f32_e32 v8, v6
	v_fma_f32 v16, -v6, v8, 1.0
	v_fmac_f32_e32 v8, v16, v8
	v_div_scale_f32 v16, vcc_lo, v15, v2, v15
	v_mul_f32_e32 v17, v16, v8
	v_fma_f32 v18, -v6, v17, v16
	v_fmac_f32_e32 v17, v18, v8
	v_fma_f32 v6, -v6, v17, v16
	v_div_fmas_f32 v6, v6, v8, v17
	v_div_fixup_f32 v6, v6, v2, v15
	v_cndmask_b32_e64 v6, v6, 0x7fc00000, s4
	global_store_dword v[0:1], v6, off
	s_and_b32 exec_lo, exec_lo, s2
	s_cbranch_execz .LBB395_22
; %bb.19:
	v_div_scale_f32 v6, null, v2, v2, v14
	v_rcp_f32_e32 v8, v6
	v_fma_f32 v15, -v6, v8, 1.0
	v_fmac_f32_e32 v8, v15, v8
	v_div_scale_f32 v15, vcc_lo, v14, v2, v14
	v_mul_f32_e32 v16, v15, v8
	v_fma_f32 v17, -v6, v16, v15
	v_fmac_f32_e32 v16, v17, v8
	v_fma_f32 v6, -v6, v16, v15
	v_div_fmas_f32 v6, v6, v8, v16
	v_div_fixup_f32 v6, v6, v2, v14
	v_cndmask_b32_e64 v6, v6, 0x7fc00000, s4
	global_store_dword v[0:1], v6, off offset:128
	s_and_b32 exec_lo, exec_lo, s1
	s_cbranch_execz .LBB395_22
; %bb.20:
	v_div_scale_f32 v6, null, v2, v2, v13
	v_rcp_f32_e32 v8, v6
	v_fma_f32 v14, -v6, v8, 1.0
	v_fmac_f32_e32 v8, v14, v8
	v_div_scale_f32 v14, vcc_lo, v13, v2, v13
	v_mul_f32_e32 v15, v14, v8
	v_fma_f32 v16, -v6, v15, v14
	v_fmac_f32_e32 v15, v16, v8
	v_fma_f32 v6, -v6, v15, v14
	v_div_fmas_f32 v6, v6, v8, v15
	v_div_fixup_f32 v6, v6, v2, v13
	v_cndmask_b32_e64 v6, v6, 0x7fc00000, s4
	global_store_dword v[0:1], v6, off offset:256
	;; [unrolled: 16-line block ×3, first 2 shown]
.LBB395_22:
	s_or_b32 exec_lo, exec_lo, s5
	v_cmp_ne_u32_e32 vcc_lo, 1, v5
	s_and_b32 exec_lo, exec_lo, vcc_lo
	s_cbranch_execz .LBB395_28
; %bb.23:
	s_and_b32 exec_lo, exec_lo, s3
	s_cbranch_execz .LBB395_28
; %bb.24:
	s_waitcnt lgkmcnt(0)
	v_add_f32_e32 v2, v3, v4
	s_mov_b32 s15, 0
	s_lshl_b64 s[4:5], s[14:15], 2
	v_div_scale_f32 v3, null, v2, v2, v11
	v_div_scale_f32 v6, vcc_lo, v11, v2, v11
	v_cmp_eq_f32_e64 s3, 0, v2
	v_rcp_f32_e32 v4, v3
	v_fma_f32 v5, -v3, v4, 1.0
	v_fmac_f32_e32 v4, v5, v4
	v_mul_f32_e32 v5, v6, v4
	v_fma_f32 v8, -v3, v5, v6
	v_fmac_f32_e32 v5, v8, v4
	v_fma_f32 v3, -v3, v5, v6
	v_div_fmas_f32 v3, v3, v4, v5
	v_add_co_u32 v0, vcc_lo, v0, s4
	v_add_co_ci_u32_e64 v1, null, s5, v1, vcc_lo
	v_div_fixup_f32 v3, v3, v2, v11
	v_cndmask_b32_e64 v3, v3, 0x7fc00000, s3
	global_store_dword v[0:1], v3, off
	s_and_b32 exec_lo, exec_lo, s2
	s_cbranch_execz .LBB395_28
; %bb.25:
	v_div_scale_f32 v3, null, v2, v2, v10
	v_rcp_f32_e32 v4, v3
	v_fma_f32 v5, -v3, v4, 1.0
	v_fmac_f32_e32 v4, v5, v4
	v_div_scale_f32 v5, vcc_lo, v10, v2, v10
	v_mul_f32_e32 v6, v5, v4
	v_fma_f32 v8, -v3, v6, v5
	v_fmac_f32_e32 v6, v8, v4
	v_fma_f32 v3, -v3, v6, v5
	v_div_fmas_f32 v3, v3, v4, v6
	v_div_fixup_f32 v3, v3, v2, v10
	v_cndmask_b32_e64 v3, v3, 0x7fc00000, s3
	global_store_dword v[0:1], v3, off offset:128
	s_and_b32 exec_lo, exec_lo, s1
	s_cbranch_execz .LBB395_28
; %bb.26:
	v_div_scale_f32 v3, null, v2, v2, v9
	v_rcp_f32_e32 v4, v3
	v_fma_f32 v5, -v3, v4, 1.0
	v_fmac_f32_e32 v4, v5, v4
	v_div_scale_f32 v5, vcc_lo, v9, v2, v9
	v_mul_f32_e32 v6, v5, v4
	v_fma_f32 v8, -v3, v6, v5
	v_fmac_f32_e32 v6, v8, v4
	v_fma_f32 v3, -v3, v6, v5
	v_div_fmas_f32 v3, v3, v4, v6
	v_div_fixup_f32 v3, v3, v2, v9
	v_cndmask_b32_e64 v3, v3, 0x7fc00000, s3
	global_store_dword v[0:1], v3, off offset:256
	;; [unrolled: 16-line block ×3, first 2 shown]
.LBB395_28:
	s_endpgm
	.section	.rodata,"a",@progbits
	.p2align	6, 0x0
	.amdhsa_kernel _ZN12_GLOBAL__N_120softmax_warp_forwardIfffLi7ELb0ELb0ELi32EEEvPT0_PKT_iiiPKbib
		.amdhsa_group_segment_fixed_size 0
		.amdhsa_private_segment_fixed_size 0
		.amdhsa_kernarg_size 304
		.amdhsa_user_sgpr_count 6
		.amdhsa_user_sgpr_private_segment_buffer 1
		.amdhsa_user_sgpr_dispatch_ptr 0
		.amdhsa_user_sgpr_queue_ptr 0
		.amdhsa_user_sgpr_kernarg_segment_ptr 1
		.amdhsa_user_sgpr_dispatch_id 0
		.amdhsa_user_sgpr_flat_scratch_init 0
		.amdhsa_user_sgpr_private_segment_size 0
		.amdhsa_wavefront_size32 1
		.amdhsa_uses_dynamic_stack 0
		.amdhsa_system_sgpr_private_segment_wavefront_offset 0
		.amdhsa_system_sgpr_workgroup_id_x 1
		.amdhsa_system_sgpr_workgroup_id_y 0
		.amdhsa_system_sgpr_workgroup_id_z 0
		.amdhsa_system_sgpr_workgroup_info 0
		.amdhsa_system_vgpr_workitem_id 1
		.amdhsa_next_free_vgpr 40
		.amdhsa_next_free_sgpr 16
		.amdhsa_reserve_vcc 1
		.amdhsa_reserve_flat_scratch 0
		.amdhsa_float_round_mode_32 0
		.amdhsa_float_round_mode_16_64 0
		.amdhsa_float_denorm_mode_32 3
		.amdhsa_float_denorm_mode_16_64 3
		.amdhsa_dx10_clamp 1
		.amdhsa_ieee_mode 1
		.amdhsa_fp16_overflow 0
		.amdhsa_workgroup_processor_mode 1
		.amdhsa_memory_ordered 1
		.amdhsa_forward_progress 1
		.amdhsa_shared_vgpr_count 0
		.amdhsa_exception_fp_ieee_invalid_op 0
		.amdhsa_exception_fp_denorm_src 0
		.amdhsa_exception_fp_ieee_div_zero 0
		.amdhsa_exception_fp_ieee_overflow 0
		.amdhsa_exception_fp_ieee_underflow 0
		.amdhsa_exception_fp_ieee_inexact 0
		.amdhsa_exception_int_div_zero 0
	.end_amdhsa_kernel
	.section	.text._ZN12_GLOBAL__N_120softmax_warp_forwardIfffLi7ELb0ELb0ELi32EEEvPT0_PKT_iiiPKbib,"axG",@progbits,_ZN12_GLOBAL__N_120softmax_warp_forwardIfffLi7ELb0ELb0ELi32EEEvPT0_PKT_iiiPKbib,comdat
.Lfunc_end395:
	.size	_ZN12_GLOBAL__N_120softmax_warp_forwardIfffLi7ELb0ELb0ELi32EEEvPT0_PKT_iiiPKbib, .Lfunc_end395-_ZN12_GLOBAL__N_120softmax_warp_forwardIfffLi7ELb0ELb0ELi32EEEvPT0_PKT_iiiPKbib
                                        ; -- End function
	.set _ZN12_GLOBAL__N_120softmax_warp_forwardIfffLi7ELb0ELb0ELi32EEEvPT0_PKT_iiiPKbib.num_vgpr, 40
	.set _ZN12_GLOBAL__N_120softmax_warp_forwardIfffLi7ELb0ELb0ELi32EEEvPT0_PKT_iiiPKbib.num_agpr, 0
	.set _ZN12_GLOBAL__N_120softmax_warp_forwardIfffLi7ELb0ELb0ELi32EEEvPT0_PKT_iiiPKbib.numbered_sgpr, 16
	.set _ZN12_GLOBAL__N_120softmax_warp_forwardIfffLi7ELb0ELb0ELi32EEEvPT0_PKT_iiiPKbib.num_named_barrier, 0
	.set _ZN12_GLOBAL__N_120softmax_warp_forwardIfffLi7ELb0ELb0ELi32EEEvPT0_PKT_iiiPKbib.private_seg_size, 0
	.set _ZN12_GLOBAL__N_120softmax_warp_forwardIfffLi7ELb0ELb0ELi32EEEvPT0_PKT_iiiPKbib.uses_vcc, 1
	.set _ZN12_GLOBAL__N_120softmax_warp_forwardIfffLi7ELb0ELb0ELi32EEEvPT0_PKT_iiiPKbib.uses_flat_scratch, 0
	.set _ZN12_GLOBAL__N_120softmax_warp_forwardIfffLi7ELb0ELb0ELi32EEEvPT0_PKT_iiiPKbib.has_dyn_sized_stack, 0
	.set _ZN12_GLOBAL__N_120softmax_warp_forwardIfffLi7ELb0ELb0ELi32EEEvPT0_PKT_iiiPKbib.has_recursion, 0
	.set _ZN12_GLOBAL__N_120softmax_warp_forwardIfffLi7ELb0ELb0ELi32EEEvPT0_PKT_iiiPKbib.has_indirect_call, 0
	.section	.AMDGPU.csdata,"",@progbits
; Kernel info:
; codeLenInByte = 2908
; TotalNumSgprs: 18
; NumVgprs: 40
; ScratchSize: 0
; MemoryBound: 0
; FloatMode: 240
; IeeeMode: 1
; LDSByteSize: 0 bytes/workgroup (compile time only)
; SGPRBlocks: 0
; VGPRBlocks: 4
; NumSGPRsForWavesPerEU: 18
; NumVGPRsForWavesPerEU: 40
; Occupancy: 16
; WaveLimiterHint : 0
; COMPUTE_PGM_RSRC2:SCRATCH_EN: 0
; COMPUTE_PGM_RSRC2:USER_SGPR: 6
; COMPUTE_PGM_RSRC2:TRAP_HANDLER: 0
; COMPUTE_PGM_RSRC2:TGID_X_EN: 1
; COMPUTE_PGM_RSRC2:TGID_Y_EN: 0
; COMPUTE_PGM_RSRC2:TGID_Z_EN: 0
; COMPUTE_PGM_RSRC2:TIDIG_COMP_CNT: 1
	.section	.text._ZN12_GLOBAL__N_120softmax_warp_forwardIfffLi8ELb0ELb0ELi64EEEvPT0_PKT_iiiPKbib,"axG",@progbits,_ZN12_GLOBAL__N_120softmax_warp_forwardIfffLi8ELb0ELb0ELi64EEEvPT0_PKT_iiiPKbib,comdat
	.globl	_ZN12_GLOBAL__N_120softmax_warp_forwardIfffLi8ELb0ELb0ELi64EEEvPT0_PKT_iiiPKbib ; -- Begin function _ZN12_GLOBAL__N_120softmax_warp_forwardIfffLi8ELb0ELb0ELi64EEEvPT0_PKT_iiiPKbib
	.p2align	8
	.type	_ZN12_GLOBAL__N_120softmax_warp_forwardIfffLi8ELb0ELb0ELi64EEEvPT0_PKT_iiiPKbib,@function
_ZN12_GLOBAL__N_120softmax_warp_forwardIfffLi8ELb0ELb0ELi64EEEvPT0_PKT_iiiPKbib: ; @_ZN12_GLOBAL__N_120softmax_warp_forwardIfffLi8ELb0ELb0ELi64EEEvPT0_PKT_iiiPKbib
; %bb.0:
	s_clause 0x1
	s_load_dword s0, s[4:5], 0x3c
	s_load_dwordx8 s[8:15], s[4:5], 0x0
	v_mov_b32_e32 v6, 0xff800000
	v_mov_b32_e32 v8, 0xff800000
	s_waitcnt lgkmcnt(0)
	s_lshr_b32 s0, s0, 16
	v_cmp_gt_i32_e32 vcc_lo, s14, v0
	v_mad_u64_u32 v[1:2], null, s6, s0, v[1:2]
	v_mad_u64_u32 v[2:3], null, v1, s13, v[0:1]
	v_sub_nc_u32_e32 v5, s12, v1
	v_cmp_lt_i32_e64 s3, 0, v5
	v_ashrrev_i32_e32 v3, 31, v2
	s_and_b32 s1, s3, vcc_lo
	v_lshlrev_b64 v[1:2], 2, v[2:3]
	v_add_co_u32 v3, s0, s10, v1
	v_add_co_ci_u32_e64 v4, null, s11, v2, s0
	s_and_saveexec_b32 s0, s1
	s_cbranch_execz .LBB396_2
; %bb.1:
	global_load_dword v8, v[3:4], off
.LBB396_2:
	s_or_b32 exec_lo, exec_lo, s0
	v_add_nc_u32_e32 v7, 64, v0
	v_cmp_gt_i32_e64 s2, s14, v7
	s_and_b32 s1, s3, s2
	s_and_saveexec_b32 s0, s1
	s_cbranch_execz .LBB396_4
; %bb.3:
	global_load_dword v6, v[3:4], off offset:256
.LBB396_4:
	s_or_b32 exec_lo, exec_lo, s0
	v_add_nc_u32_e32 v7, 0x80, v0
	v_mov_b32_e32 v9, 0xff800000
	v_cmp_gt_i32_e64 s1, s14, v7
	v_mov_b32_e32 v7, 0xff800000
	s_and_b32 s4, s3, s1
	s_and_saveexec_b32 s0, s4
	s_cbranch_execz .LBB396_6
; %bb.5:
	global_load_dword v9, v[3:4], off offset:512
.LBB396_6:
	s_or_b32 exec_lo, exec_lo, s0
	v_add_nc_u32_e32 v0, 0xc0, v0
	v_cmp_gt_i32_e64 s0, s14, v0
	s_and_b32 s4, s3, s0
	s_and_saveexec_b32 s3, s4
	s_cbranch_execz .LBB396_8
; %bb.7:
	global_load_dword v7, v[3:4], off offset:768
.LBB396_8:
	s_or_b32 exec_lo, exec_lo, s3
	s_waitcnt vmcnt(0)
	v_cmp_gt_f32_e64 s3, v8, v6
	v_mbcnt_lo_u32_b32 v0, -1, 0
	s_mov_b32 s4, exec_lo
	v_cndmask_b32_e64 v3, v6, v8, s3
	v_or_b32_e32 v4, 32, v0
	v_xor_b32_e32 v11, 16, v0
	v_xor_b32_e32 v12, 8, v0
	;; [unrolled: 1-line block ×3, first 2 shown]
	v_cmp_gt_f32_e64 s3, v3, v9
	v_xor_b32_e32 v14, 2, v0
	v_xor_b32_e32 v15, 1, v0
	v_cndmask_b32_e64 v3, v9, v3, s3
	v_cmp_gt_i32_e64 s3, 64, v4
	v_cndmask_b32_e64 v4, v0, v4, s3
	v_cmp_gt_f32_e64 s3, v3, v7
	v_lshlrev_b32_e32 v10, 2, v4
	v_cndmask_b32_e64 v3, v7, v3, s3
	v_cmp_gt_i32_e64 s3, 64, v11
	ds_bpermute_b32 v4, v10, v3
	v_cndmask_b32_e64 v11, v0, v11, s3
	v_lshlrev_b32_e32 v11, 2, v11
	s_waitcnt lgkmcnt(0)
	v_cmp_lt_f32_e64 s3, v3, v4
	v_cndmask_b32_e64 v3, v3, v4, s3
	v_cmp_gt_i32_e64 s3, 64, v12
	ds_bpermute_b32 v4, v11, v3
	v_cndmask_b32_e64 v12, v0, v12, s3
	v_lshlrev_b32_e32 v12, 2, v12
	s_waitcnt lgkmcnt(0)
	v_cmp_lt_f32_e64 s3, v3, v4
	;; [unrolled: 7-line block ×5, first 2 shown]
	v_cndmask_b32_e64 v0, v3, v4, s3
	ds_bpermute_b32 v3, v15, v0
	s_waitcnt lgkmcnt(0)
	v_cmp_lt_f32_e64 s3, v0, v3
	v_cndmask_b32_e64 v0, v0, v3, s3
	v_sub_f32_e32 v3, v8, v0
	v_sub_f32_e32 v4, v6, v0
	;; [unrolled: 1-line block ×4, first 2 shown]
	v_mul_f32_e32 v0, 0x3fb8aa3b, v3
	v_mul_f32_e32 v6, 0x3fb8aa3b, v4
	v_mul_f32_e32 v9, 0x3fb8aa3b, v8
	v_mul_f32_e32 v16, 0x3fb8aa3b, v7
	v_cmp_ngt_f32_e64 s3, 0xc2ce8ed0, v3
	v_fma_f32 v17, 0x3fb8aa3b, v3, -v0
	v_rndne_f32_e32 v18, v0
	v_fma_f32 v19, 0x3fb8aa3b, v4, -v6
	v_rndne_f32_e32 v20, v6
	v_fma_f32 v21, 0x3fb8aa3b, v8, -v9
	v_fmac_f32_e32 v17, 0x32a5705f, v3
	v_sub_f32_e32 v0, v0, v18
	v_rndne_f32_e32 v22, v9
	v_fmac_f32_e32 v19, 0x32a5705f, v4
	v_sub_f32_e32 v6, v6, v20
	v_fmac_f32_e32 v21, 0x32a5705f, v8
	v_add_f32_e32 v0, v0, v17
	v_sub_f32_e32 v9, v9, v22
	v_cvt_i32_f32_e32 v18, v18
	v_add_f32_e32 v6, v6, v19
	v_cvt_i32_f32_e32 v19, v20
	v_exp_f32_e32 v0, v0
	v_add_f32_e32 v9, v9, v21
	v_fma_f32 v23, 0x3fb8aa3b, v7, -v16
	v_exp_f32_e32 v6, v6
	v_rndne_f32_e32 v17, v16
	v_cvt_i32_f32_e32 v20, v22
	v_exp_f32_e32 v9, v9
	v_fmac_f32_e32 v23, 0x32a5705f, v7
	v_sub_f32_e32 v16, v16, v17
	v_ldexp_f32 v0, v0, v18
	v_cvt_i32_f32_e32 v17, v17
	v_ldexp_f32 v6, v6, v19
	v_add_f32_e32 v16, v16, v23
	v_cndmask_b32_e64 v0, 0, v0, s3
	v_cmp_ngt_f32_e64 s3, 0xc2ce8ed0, v4
	v_ldexp_f32 v9, v9, v20
	v_exp_f32_e32 v16, v16
	v_cndmask_b32_e64 v6, 0, v6, s3
	v_cmp_ngt_f32_e64 s3, 0xc2ce8ed0, v8
	v_cndmask_b32_e64 v9, 0, v9, s3
	v_cmp_nlt_f32_e64 s3, 0x42b17218, v3
	v_ldexp_f32 v3, v16, v17
	v_cndmask_b32_e64 v0, 0x7f800000, v0, s3
	v_cmp_nlt_f32_e64 s3, 0x42b17218, v4
	v_cndmask_b32_e64 v6, 0x7f800000, v6, s3
	v_cmp_nlt_f32_e64 s3, 0x42b17218, v8
	v_add_f32_e32 v8, v0, v6
	v_cndmask_b32_e64 v4, 0x7f800000, v9, s3
	v_cmp_ngt_f32_e64 s3, 0xc2ce8ed0, v7
	v_add_f32_e32 v8, v8, v4
	v_cndmask_b32_e64 v3, 0, v3, s3
	v_cmp_nlt_f32_e64 s3, 0x42b17218, v7
	v_cndmask_b32_e64 v3, 0x7f800000, v3, s3
	v_add_f32_e32 v7, v8, v3
	ds_bpermute_b32 v8, v10, v7
	s_waitcnt lgkmcnt(0)
	v_add_f32_e32 v7, v7, v8
	ds_bpermute_b32 v8, v11, v7
	s_waitcnt lgkmcnt(0)
	;; [unrolled: 3-line block ×5, first 2 shown]
	v_add_f32_e32 v7, v7, v8
	ds_bpermute_b32 v8, v15, v7
	v_cmpx_lt_i32_e32 0, v5
	s_cbranch_execz .LBB396_14
; %bb.9:
	s_and_b32 exec_lo, exec_lo, vcc_lo
	s_cbranch_execz .LBB396_14
; %bb.10:
	s_waitcnt lgkmcnt(0)
	v_add_f32_e32 v5, v7, v8
	v_div_scale_f32 v7, null, v5, v5, v0
	v_div_scale_f32 v10, vcc_lo, v0, v5, v0
	v_cmp_eq_f32_e64 s3, 0, v5
	v_rcp_f32_e32 v8, v7
	v_fma_f32 v9, -v7, v8, 1.0
	v_fmac_f32_e32 v8, v9, v8
	v_mul_f32_e32 v9, v10, v8
	v_fma_f32 v11, -v7, v9, v10
	v_fmac_f32_e32 v9, v11, v8
	v_fma_f32 v7, -v7, v9, v10
	v_div_fmas_f32 v7, v7, v8, v9
	v_div_fixup_f32 v7, v7, v5, v0
	v_add_co_u32 v0, vcc_lo, s8, v1
	v_add_co_ci_u32_e64 v1, null, s9, v2, vcc_lo
	v_cndmask_b32_e64 v2, v7, 0x7fc00000, s3
	global_store_dword v[0:1], v2, off
	s_and_b32 exec_lo, exec_lo, s2
	s_cbranch_execz .LBB396_14
; %bb.11:
	v_div_scale_f32 v2, null, v5, v5, v6
	v_rcp_f32_e32 v7, v2
	v_fma_f32 v8, -v2, v7, 1.0
	v_fmac_f32_e32 v7, v8, v7
	v_div_scale_f32 v8, vcc_lo, v6, v5, v6
	v_mul_f32_e32 v9, v8, v7
	v_fma_f32 v10, -v2, v9, v8
	v_fmac_f32_e32 v9, v10, v7
	v_fma_f32 v2, -v2, v9, v8
	v_div_fmas_f32 v2, v2, v7, v9
	v_div_fixup_f32 v2, v2, v5, v6
	v_cndmask_b32_e64 v2, v2, 0x7fc00000, s3
	global_store_dword v[0:1], v2, off offset:256
	s_and_b32 exec_lo, exec_lo, s1
	s_cbranch_execz .LBB396_14
; %bb.12:
	v_div_scale_f32 v2, null, v5, v5, v4
	v_rcp_f32_e32 v6, v2
	v_fma_f32 v7, -v2, v6, 1.0
	v_fmac_f32_e32 v6, v7, v6
	v_div_scale_f32 v7, vcc_lo, v4, v5, v4
	v_mul_f32_e32 v8, v7, v6
	v_fma_f32 v9, -v2, v8, v7
	v_fmac_f32_e32 v8, v9, v6
	v_fma_f32 v2, -v2, v8, v7
	v_div_fmas_f32 v2, v2, v6, v8
	v_div_fixup_f32 v2, v2, v5, v4
	v_cndmask_b32_e64 v2, v2, 0x7fc00000, s3
	global_store_dword v[0:1], v2, off offset:512
	;; [unrolled: 16-line block ×3, first 2 shown]
.LBB396_14:
	s_endpgm
	.section	.rodata,"a",@progbits
	.p2align	6, 0x0
	.amdhsa_kernel _ZN12_GLOBAL__N_120softmax_warp_forwardIfffLi8ELb0ELb0ELi64EEEvPT0_PKT_iiiPKbib
		.amdhsa_group_segment_fixed_size 0
		.amdhsa_private_segment_fixed_size 0
		.amdhsa_kernarg_size 304
		.amdhsa_user_sgpr_count 6
		.amdhsa_user_sgpr_private_segment_buffer 1
		.amdhsa_user_sgpr_dispatch_ptr 0
		.amdhsa_user_sgpr_queue_ptr 0
		.amdhsa_user_sgpr_kernarg_segment_ptr 1
		.amdhsa_user_sgpr_dispatch_id 0
		.amdhsa_user_sgpr_flat_scratch_init 0
		.amdhsa_user_sgpr_private_segment_size 0
		.amdhsa_wavefront_size32 1
		.amdhsa_uses_dynamic_stack 0
		.amdhsa_system_sgpr_private_segment_wavefront_offset 0
		.amdhsa_system_sgpr_workgroup_id_x 1
		.amdhsa_system_sgpr_workgroup_id_y 0
		.amdhsa_system_sgpr_workgroup_id_z 0
		.amdhsa_system_sgpr_workgroup_info 0
		.amdhsa_system_vgpr_workitem_id 1
		.amdhsa_next_free_vgpr 24
		.amdhsa_next_free_sgpr 16
		.amdhsa_reserve_vcc 1
		.amdhsa_reserve_flat_scratch 0
		.amdhsa_float_round_mode_32 0
		.amdhsa_float_round_mode_16_64 0
		.amdhsa_float_denorm_mode_32 3
		.amdhsa_float_denorm_mode_16_64 3
		.amdhsa_dx10_clamp 1
		.amdhsa_ieee_mode 1
		.amdhsa_fp16_overflow 0
		.amdhsa_workgroup_processor_mode 1
		.amdhsa_memory_ordered 1
		.amdhsa_forward_progress 1
		.amdhsa_shared_vgpr_count 0
		.amdhsa_exception_fp_ieee_invalid_op 0
		.amdhsa_exception_fp_denorm_src 0
		.amdhsa_exception_fp_ieee_div_zero 0
		.amdhsa_exception_fp_ieee_overflow 0
		.amdhsa_exception_fp_ieee_underflow 0
		.amdhsa_exception_fp_ieee_inexact 0
		.amdhsa_exception_int_div_zero 0
	.end_amdhsa_kernel
	.section	.text._ZN12_GLOBAL__N_120softmax_warp_forwardIfffLi8ELb0ELb0ELi64EEEvPT0_PKT_iiiPKbib,"axG",@progbits,_ZN12_GLOBAL__N_120softmax_warp_forwardIfffLi8ELb0ELb0ELi64EEEvPT0_PKT_iiiPKbib,comdat
.Lfunc_end396:
	.size	_ZN12_GLOBAL__N_120softmax_warp_forwardIfffLi8ELb0ELb0ELi64EEEvPT0_PKT_iiiPKbib, .Lfunc_end396-_ZN12_GLOBAL__N_120softmax_warp_forwardIfffLi8ELb0ELb0ELi64EEEvPT0_PKT_iiiPKbib
                                        ; -- End function
	.set _ZN12_GLOBAL__N_120softmax_warp_forwardIfffLi8ELb0ELb0ELi64EEEvPT0_PKT_iiiPKbib.num_vgpr, 24
	.set _ZN12_GLOBAL__N_120softmax_warp_forwardIfffLi8ELb0ELb0ELi64EEEvPT0_PKT_iiiPKbib.num_agpr, 0
	.set _ZN12_GLOBAL__N_120softmax_warp_forwardIfffLi8ELb0ELb0ELi64EEEvPT0_PKT_iiiPKbib.numbered_sgpr, 16
	.set _ZN12_GLOBAL__N_120softmax_warp_forwardIfffLi8ELb0ELb0ELi64EEEvPT0_PKT_iiiPKbib.num_named_barrier, 0
	.set _ZN12_GLOBAL__N_120softmax_warp_forwardIfffLi8ELb0ELb0ELi64EEEvPT0_PKT_iiiPKbib.private_seg_size, 0
	.set _ZN12_GLOBAL__N_120softmax_warp_forwardIfffLi8ELb0ELb0ELi64EEEvPT0_PKT_iiiPKbib.uses_vcc, 1
	.set _ZN12_GLOBAL__N_120softmax_warp_forwardIfffLi8ELb0ELb0ELi64EEEvPT0_PKT_iiiPKbib.uses_flat_scratch, 0
	.set _ZN12_GLOBAL__N_120softmax_warp_forwardIfffLi8ELb0ELb0ELi64EEEvPT0_PKT_iiiPKbib.has_dyn_sized_stack, 0
	.set _ZN12_GLOBAL__N_120softmax_warp_forwardIfffLi8ELb0ELb0ELi64EEEvPT0_PKT_iiiPKbib.has_recursion, 0
	.set _ZN12_GLOBAL__N_120softmax_warp_forwardIfffLi8ELb0ELb0ELi64EEEvPT0_PKT_iiiPKbib.has_indirect_call, 0
	.section	.AMDGPU.csdata,"",@progbits
; Kernel info:
; codeLenInByte = 1596
; TotalNumSgprs: 18
; NumVgprs: 24
; ScratchSize: 0
; MemoryBound: 0
; FloatMode: 240
; IeeeMode: 1
; LDSByteSize: 0 bytes/workgroup (compile time only)
; SGPRBlocks: 0
; VGPRBlocks: 2
; NumSGPRsForWavesPerEU: 18
; NumVGPRsForWavesPerEU: 24
; Occupancy: 16
; WaveLimiterHint : 0
; COMPUTE_PGM_RSRC2:SCRATCH_EN: 0
; COMPUTE_PGM_RSRC2:USER_SGPR: 6
; COMPUTE_PGM_RSRC2:TRAP_HANDLER: 0
; COMPUTE_PGM_RSRC2:TGID_X_EN: 1
; COMPUTE_PGM_RSRC2:TGID_Y_EN: 0
; COMPUTE_PGM_RSRC2:TGID_Z_EN: 0
; COMPUTE_PGM_RSRC2:TIDIG_COMP_CNT: 1
	.section	.text._ZN12_GLOBAL__N_120softmax_warp_forwardIfffLi8ELb0ELb0ELi32EEEvPT0_PKT_iiiPKbib,"axG",@progbits,_ZN12_GLOBAL__N_120softmax_warp_forwardIfffLi8ELb0ELb0ELi32EEEvPT0_PKT_iiiPKbib,comdat
	.globl	_ZN12_GLOBAL__N_120softmax_warp_forwardIfffLi8ELb0ELb0ELi32EEEvPT0_PKT_iiiPKbib ; -- Begin function _ZN12_GLOBAL__N_120softmax_warp_forwardIfffLi8ELb0ELb0ELi32EEEvPT0_PKT_iiiPKbib
	.p2align	8
	.type	_ZN12_GLOBAL__N_120softmax_warp_forwardIfffLi8ELb0ELb0ELi32EEEvPT0_PKT_iiiPKbib,@function
_ZN12_GLOBAL__N_120softmax_warp_forwardIfffLi8ELb0ELb0ELi32EEEvPT0_PKT_iiiPKbib: ; @_ZN12_GLOBAL__N_120softmax_warp_forwardIfffLi8ELb0ELb0ELi32EEEvPT0_PKT_iiiPKbib
; %bb.0:
	s_clause 0x1
	s_load_dword s0, s[4:5], 0x3c
	s_load_dwordx8 s[8:15], s[4:5], 0x0
	v_mov_b32_e32 v6, 0xff800000
	v_mov_b32_e32 v10, 0xff800000
	s_waitcnt lgkmcnt(0)
	s_lshr_b32 s0, s0, 16
	v_cmp_gt_i32_e32 vcc_lo, s14, v0
	v_mad_u64_u32 v[1:2], null, s6, s0, v[1:2]
	v_mad_u64_u32 v[2:3], null, v1, s13, v[0:1]
	v_sub_nc_u32_e32 v5, s12, v1
	v_cmp_lt_i32_e64 s7, 0, v5
	v_ashrrev_i32_e32 v3, 31, v2
	s_and_b32 s1, s7, vcc_lo
	v_lshlrev_b64 v[1:2], 2, v[2:3]
	v_add_co_u32 v3, s0, s10, v1
	v_add_co_ci_u32_e64 v4, null, s11, v2, s0
	s_and_saveexec_b32 s0, s1
	s_cbranch_execz .LBB397_2
; %bb.1:
	global_load_dword v10, v[3:4], off
.LBB397_2:
	s_or_b32 exec_lo, exec_lo, s0
	v_add_nc_u32_e32 v7, 32, v0
	v_cmp_gt_i32_e64 s6, s14, v7
	s_and_b32 s1, s7, s6
	s_and_saveexec_b32 s0, s1
	s_cbranch_execz .LBB397_4
; %bb.3:
	global_load_dword v6, v[3:4], off offset:128
.LBB397_4:
	s_or_b32 exec_lo, exec_lo, s0
	v_add_nc_u32_e32 v7, 64, v0
	v_mov_b32_e32 v11, 0xff800000
	v_cmp_gt_i32_e64 s5, s14, v7
	v_mov_b32_e32 v7, 0xff800000
	s_and_b32 s1, s7, s5
	s_and_saveexec_b32 s0, s1
	s_cbranch_execz .LBB397_6
; %bb.5:
	global_load_dword v11, v[3:4], off offset:256
.LBB397_6:
	s_or_b32 exec_lo, exec_lo, s0
	v_add_nc_u32_e32 v8, 0x60, v0
	v_cmp_gt_i32_e64 s4, s14, v8
	s_and_b32 s1, s7, s4
	s_and_saveexec_b32 s0, s1
	s_cbranch_execz .LBB397_8
; %bb.7:
	global_load_dword v7, v[3:4], off offset:384
.LBB397_8:
	s_or_b32 exec_lo, exec_lo, s0
	v_add_nc_u32_e32 v8, 0x80, v0
	v_mov_b32_e32 v12, 0xff800000
	v_cmp_gt_i32_e64 s3, s14, v8
	v_mov_b32_e32 v8, 0xff800000
	s_and_b32 s1, s7, s3
	s_and_saveexec_b32 s0, s1
	s_cbranch_execz .LBB397_10
; %bb.9:
	global_load_dword v12, v[3:4], off offset:512
.LBB397_10:
	s_or_b32 exec_lo, exec_lo, s0
	v_add_nc_u32_e32 v9, 0xa0, v0
	v_cmp_gt_i32_e64 s2, s14, v9
	s_and_b32 s1, s7, s2
	s_and_saveexec_b32 s0, s1
	s_cbranch_execz .LBB397_12
; %bb.11:
	global_load_dword v8, v[3:4], off offset:640
.LBB397_12:
	s_or_b32 exec_lo, exec_lo, s0
	v_add_nc_u32_e32 v9, 0xc0, v0
	v_mov_b32_e32 v13, 0xff800000
	v_cmp_gt_i32_e64 s1, s14, v9
	v_mov_b32_e32 v9, 0xff800000
	s_and_b32 s10, s7, s1
	s_and_saveexec_b32 s0, s10
	s_cbranch_execz .LBB397_14
; %bb.13:
	global_load_dword v13, v[3:4], off offset:768
.LBB397_14:
	s_or_b32 exec_lo, exec_lo, s0
	v_add_nc_u32_e32 v0, 0xe0, v0
	v_cmp_gt_i32_e64 s0, s14, v0
	s_and_b32 s10, s7, s0
	s_and_saveexec_b32 s7, s10
	s_cbranch_execz .LBB397_16
; %bb.15:
	global_load_dword v9, v[3:4], off offset:896
.LBB397_16:
	s_or_b32 exec_lo, exec_lo, s7
	s_waitcnt vmcnt(0)
	v_cmp_gt_f32_e64 s7, v10, v6
	v_mbcnt_lo_u32_b32 v4, -1, 0
	s_mov_b32 s10, exec_lo
	v_cndmask_b32_e64 v0, v6, v10, s7
	v_xor_b32_e32 v3, 16, v4
	v_xor_b32_e32 v16, 4, v4
	;; [unrolled: 1-line block ×4, first 2 shown]
	v_cmp_gt_f32_e64 s7, v0, v11
	v_cndmask_b32_e64 v0, v11, v0, s7
	v_cmp_gt_f32_e64 s7, v0, v7
	v_cndmask_b32_e64 v0, v7, v0, s7
	;; [unrolled: 2-line block ×4, first 2 shown]
	v_cmp_gt_i32_e64 s7, 32, v3
	v_cndmask_b32_e64 v3, v4, v3, s7
	v_cmp_gt_f32_e64 s7, v0, v13
	v_cndmask_b32_e64 v14, v13, v0, s7
	v_lshlrev_b32_e32 v0, 2, v3
	v_xor_b32_e32 v3, 8, v4
	v_cmp_gt_f32_e64 s7, v14, v9
	v_cndmask_b32_e64 v14, v9, v14, s7
	v_cmp_gt_i32_e64 s7, 32, v3
	ds_bpermute_b32 v15, v0, v14
	v_cndmask_b32_e64 v3, v4, v3, s7
	v_lshlrev_b32_e32 v3, 2, v3
	s_waitcnt lgkmcnt(0)
	v_cmp_lt_f32_e64 s7, v14, v15
	v_cndmask_b32_e64 v14, v14, v15, s7
	v_cmp_gt_i32_e64 s7, 32, v16
	ds_bpermute_b32 v15, v3, v14
	v_cndmask_b32_e64 v16, v4, v16, s7
	v_lshlrev_b32_e32 v16, 2, v16
	s_waitcnt lgkmcnt(0)
	v_cmp_lt_f32_e64 s7, v14, v15
	;; [unrolled: 7-line block ×4, first 2 shown]
	v_cndmask_b32_e64 v4, v14, v15, s7
	ds_bpermute_b32 v14, v18, v4
	s_waitcnt lgkmcnt(0)
	v_cmp_lt_f32_e64 s7, v4, v14
	v_cndmask_b32_e64 v4, v4, v14, s7
	v_sub_f32_e32 v10, v10, v4
	v_sub_f32_e32 v6, v6, v4
	;; [unrolled: 1-line block ×5, first 2 shown]
	v_mul_f32_e32 v8, 0x3fb8aa3b, v10
	v_sub_f32_e32 v15, v12, v4
	v_sub_f32_e32 v13, v13, v4
	;; [unrolled: 1-line block ×3, first 2 shown]
	v_mul_f32_e32 v9, 0x3fb8aa3b, v6
	v_fma_f32 v24, 0x3fb8aa3b, v10, -v8
	v_rndne_f32_e32 v25, v8
	v_mul_f32_e32 v11, 0x3fb8aa3b, v14
	v_mul_f32_e32 v22, 0x3fb8aa3b, v13
	v_fma_f32 v26, 0x3fb8aa3b, v6, -v9
	v_rndne_f32_e32 v27, v9
	v_fmac_f32_e32 v24, 0x32a5705f, v10
	v_sub_f32_e32 v8, v8, v25
	v_fma_f32 v28, 0x3fb8aa3b, v14, -v11
	v_rndne_f32_e32 v29, v11
	v_fmac_f32_e32 v26, 0x32a5705f, v6
	v_sub_f32_e32 v9, v9, v27
	v_add_f32_e32 v8, v8, v24
	v_mul_f32_e32 v12, 0x3fb8aa3b, v7
	v_fma_f32 v36, 0x3fb8aa3b, v13, -v22
	v_rndne_f32_e32 v37, v22
	v_fmac_f32_e32 v28, 0x32a5705f, v14
	v_sub_f32_e32 v11, v11, v29
	v_add_f32_e32 v9, v9, v26
	v_exp_f32_e32 v8, v8
	v_fma_f32 v30, 0x3fb8aa3b, v7, -v12
	v_rndne_f32_e32 v31, v12
	v_cvt_i32_f32_e32 v25, v25
	v_fmac_f32_e32 v36, 0x32a5705f, v13
	v_sub_f32_e32 v22, v22, v37
	v_add_f32_e32 v11, v11, v28
	v_exp_f32_e32 v9, v9
	v_cvt_i32_f32_e32 v27, v27
	v_fmac_f32_e32 v30, 0x32a5705f, v7
	v_sub_f32_e32 v12, v12, v31
	v_add_f32_e32 v22, v22, v36
	v_exp_f32_e32 v11, v11
	v_ldexp_f32 v8, v8, v25
	v_cmp_ngt_f32_e64 s7, 0xc2ce8ed0, v10
	v_mul_f32_e32 v20, 0x3fb8aa3b, v15
	v_cvt_i32_f32_e32 v29, v29
	v_add_f32_e32 v12, v12, v30
	v_exp_f32_e32 v22, v22
	v_ldexp_f32 v9, v9, v27
	v_cndmask_b32_e64 v8, 0, v8, s7
	v_cmp_ngt_f32_e64 s7, 0xc2ce8ed0, v6
	v_fma_f32 v32, 0x3fb8aa3b, v15, -v20
	v_rndne_f32_e32 v33, v20
	v_exp_f32_e32 v12, v12
	v_cvt_i32_f32_e32 v24, v37
	v_ldexp_f32 v11, v11, v29
	v_cndmask_b32_e64 v9, 0, v9, s7
	v_cmp_ngt_f32_e64 s7, 0xc2ce8ed0, v14
	v_mul_f32_e32 v21, 0x3fb8aa3b, v19
	v_cvt_i32_f32_e32 v31, v31
	v_fmac_f32_e32 v32, 0x32a5705f, v15
	v_sub_f32_e32 v20, v20, v33
	v_ldexp_f32 v22, v22, v24
	v_cndmask_b32_e64 v24, 0, v11, s7
	v_cmp_nlt_f32_e64 s7, 0x42b17218, v10
	v_fma_f32 v34, 0x3fb8aa3b, v19, -v21
	v_rndne_f32_e32 v35, v21
	v_add_f32_e32 v20, v20, v32
	v_ldexp_f32 v25, v12, v31
	v_cndmask_b32_e64 v12, 0x7f800000, v8, s7
	v_cmp_nlt_f32_e64 s7, 0x42b17218, v6
	v_fmac_f32_e32 v34, 0x32a5705f, v19
	v_sub_f32_e32 v21, v21, v35
	v_exp_f32_e32 v20, v20
	v_cvt_i32_f32_e32 v33, v33
	v_cndmask_b32_e64 v11, 0x7f800000, v9, s7
	v_cmp_ngt_f32_e64 s7, 0xc2ce8ed0, v7
	v_add_f32_e32 v21, v21, v34
	v_mul_f32_e32 v23, 0x3fb8aa3b, v4
	v_cvt_i32_f32_e32 v35, v35
	v_add_f32_e32 v8, v12, v11
	v_cndmask_b32_e64 v6, 0, v25, s7
	v_cmp_nlt_f32_e64 s7, 0x42b17218, v14
	v_exp_f32_e32 v21, v21
	v_ldexp_f32 v20, v20, v33
	v_fma_f32 v38, 0x3fb8aa3b, v4, -v23
	v_rndne_f32_e32 v39, v23
	v_cndmask_b32_e64 v10, 0x7f800000, v24, s7
	v_cmp_ngt_f32_e64 s7, 0xc2ce8ed0, v15
	v_fmac_f32_e32 v38, 0x32a5705f, v4
	v_sub_f32_e32 v23, v23, v39
	v_cvt_i32_f32_e32 v26, v39
	v_cndmask_b32_e64 v14, 0, v20, s7
	v_cmp_nlt_f32_e64 s7, 0x42b17218, v7
	v_ldexp_f32 v21, v21, v35
	v_add_f32_e32 v23, v23, v38
	v_cndmask_b32_e64 v9, 0x7f800000, v6, s7
	v_cmp_ngt_f32_e64 s7, 0xc2ce8ed0, v19
	v_add_f32_e32 v6, v8, v10
	v_exp_f32_e32 v23, v23
	v_cndmask_b32_e64 v7, 0, v21, s7
	v_cmp_nlt_f32_e64 s7, 0x42b17218, v15
	v_add_f32_e32 v6, v6, v9
	v_cndmask_b32_e64 v8, 0x7f800000, v14, s7
	v_cmp_ngt_f32_e64 s7, 0xc2ce8ed0, v13
	v_add_f32_e32 v15, v6, v8
	v_cndmask_b32_e64 v14, 0, v22, s7
	v_cmp_nlt_f32_e64 s7, 0x42b17218, v19
	v_ldexp_f32 v19, v23, v26
	v_cndmask_b32_e64 v7, 0x7f800000, v7, s7
	v_cmp_nlt_f32_e64 s7, 0x42b17218, v13
	v_add_f32_e32 v13, v15, v7
	v_cndmask_b32_e64 v6, 0x7f800000, v14, s7
	v_cmp_ngt_f32_e64 s7, 0xc2ce8ed0, v4
	v_add_f32_e32 v13, v13, v6
	v_cndmask_b32_e64 v14, 0, v19, s7
	v_cmp_nlt_f32_e64 s7, 0x42b17218, v4
	v_cndmask_b32_e64 v4, 0x7f800000, v14, s7
	v_add_f32_e32 v13, v13, v4
	ds_bpermute_b32 v0, v0, v13
	s_waitcnt lgkmcnt(0)
	v_add_f32_e32 v0, v13, v0
	ds_bpermute_b32 v3, v3, v0
	s_waitcnt lgkmcnt(0)
	;; [unrolled: 3-line block ×4, first 2 shown]
	v_add_f32_e32 v0, v0, v3
	ds_bpermute_b32 v3, v18, v0
	v_cmpx_lt_i32_e32 0, v5
	s_cbranch_execz .LBB397_26
; %bb.17:
	s_and_b32 exec_lo, exec_lo, vcc_lo
	s_cbranch_execz .LBB397_26
; %bb.18:
	s_waitcnt lgkmcnt(0)
	v_add_f32_e32 v3, v0, v3
	v_div_scale_f32 v0, null, v3, v3, v12
	v_div_scale_f32 v14, vcc_lo, v12, v3, v12
	v_cmp_eq_f32_e64 s7, 0, v3
	v_rcp_f32_e32 v5, v0
	v_fma_f32 v13, -v0, v5, 1.0
	v_fmac_f32_e32 v5, v13, v5
	v_mul_f32_e32 v13, v14, v5
	v_fma_f32 v15, -v0, v13, v14
	v_fmac_f32_e32 v13, v15, v5
	v_fma_f32 v0, -v0, v13, v14
	v_div_fmas_f32 v0, v0, v5, v13
	v_div_fixup_f32 v5, v0, v3, v12
	v_add_co_u32 v0, vcc_lo, s8, v1
	v_add_co_ci_u32_e64 v1, null, s9, v2, vcc_lo
	v_cndmask_b32_e64 v2, v5, 0x7fc00000, s7
	global_store_dword v[0:1], v2, off
	s_and_b32 exec_lo, exec_lo, s6
	s_cbranch_execz .LBB397_26
; %bb.19:
	v_div_scale_f32 v2, null, v3, v3, v11
	v_rcp_f32_e32 v5, v2
	v_fma_f32 v12, -v2, v5, 1.0
	v_fmac_f32_e32 v5, v12, v5
	v_div_scale_f32 v12, vcc_lo, v11, v3, v11
	v_mul_f32_e32 v13, v12, v5
	v_fma_f32 v14, -v2, v13, v12
	v_fmac_f32_e32 v13, v14, v5
	v_fma_f32 v2, -v2, v13, v12
	v_div_fmas_f32 v2, v2, v5, v13
	v_div_fixup_f32 v2, v2, v3, v11
	v_cndmask_b32_e64 v2, v2, 0x7fc00000, s7
	global_store_dword v[0:1], v2, off offset:128
	s_and_b32 exec_lo, exec_lo, s5
	s_cbranch_execz .LBB397_26
; %bb.20:
	v_div_scale_f32 v2, null, v3, v3, v10
	v_rcp_f32_e32 v5, v2
	v_fma_f32 v11, -v2, v5, 1.0
	v_fmac_f32_e32 v5, v11, v5
	v_div_scale_f32 v11, vcc_lo, v10, v3, v10
	v_mul_f32_e32 v12, v11, v5
	v_fma_f32 v13, -v2, v12, v11
	v_fmac_f32_e32 v12, v13, v5
	v_fma_f32 v2, -v2, v12, v11
	v_div_fmas_f32 v2, v2, v5, v12
	v_div_fixup_f32 v2, v2, v3, v10
	v_cndmask_b32_e64 v2, v2, 0x7fc00000, s7
	global_store_dword v[0:1], v2, off offset:256
	;; [unrolled: 16-line block ×7, first 2 shown]
.LBB397_26:
	s_endpgm
	.section	.rodata,"a",@progbits
	.p2align	6, 0x0
	.amdhsa_kernel _ZN12_GLOBAL__N_120softmax_warp_forwardIfffLi8ELb0ELb0ELi32EEEvPT0_PKT_iiiPKbib
		.amdhsa_group_segment_fixed_size 0
		.amdhsa_private_segment_fixed_size 0
		.amdhsa_kernarg_size 304
		.amdhsa_user_sgpr_count 6
		.amdhsa_user_sgpr_private_segment_buffer 1
		.amdhsa_user_sgpr_dispatch_ptr 0
		.amdhsa_user_sgpr_queue_ptr 0
		.amdhsa_user_sgpr_kernarg_segment_ptr 1
		.amdhsa_user_sgpr_dispatch_id 0
		.amdhsa_user_sgpr_flat_scratch_init 0
		.amdhsa_user_sgpr_private_segment_size 0
		.amdhsa_wavefront_size32 1
		.amdhsa_uses_dynamic_stack 0
		.amdhsa_system_sgpr_private_segment_wavefront_offset 0
		.amdhsa_system_sgpr_workgroup_id_x 1
		.amdhsa_system_sgpr_workgroup_id_y 0
		.amdhsa_system_sgpr_workgroup_id_z 0
		.amdhsa_system_sgpr_workgroup_info 0
		.amdhsa_system_vgpr_workitem_id 1
		.amdhsa_next_free_vgpr 40
		.amdhsa_next_free_sgpr 16
		.amdhsa_reserve_vcc 1
		.amdhsa_reserve_flat_scratch 0
		.amdhsa_float_round_mode_32 0
		.amdhsa_float_round_mode_16_64 0
		.amdhsa_float_denorm_mode_32 3
		.amdhsa_float_denorm_mode_16_64 3
		.amdhsa_dx10_clamp 1
		.amdhsa_ieee_mode 1
		.amdhsa_fp16_overflow 0
		.amdhsa_workgroup_processor_mode 1
		.amdhsa_memory_ordered 1
		.amdhsa_forward_progress 1
		.amdhsa_shared_vgpr_count 0
		.amdhsa_exception_fp_ieee_invalid_op 0
		.amdhsa_exception_fp_denorm_src 0
		.amdhsa_exception_fp_ieee_div_zero 0
		.amdhsa_exception_fp_ieee_overflow 0
		.amdhsa_exception_fp_ieee_underflow 0
		.amdhsa_exception_fp_ieee_inexact 0
		.amdhsa_exception_int_div_zero 0
	.end_amdhsa_kernel
	.section	.text._ZN12_GLOBAL__N_120softmax_warp_forwardIfffLi8ELb0ELb0ELi32EEEvPT0_PKT_iiiPKbib,"axG",@progbits,_ZN12_GLOBAL__N_120softmax_warp_forwardIfffLi8ELb0ELb0ELi32EEEvPT0_PKT_iiiPKbib,comdat
.Lfunc_end397:
	.size	_ZN12_GLOBAL__N_120softmax_warp_forwardIfffLi8ELb0ELb0ELi32EEEvPT0_PKT_iiiPKbib, .Lfunc_end397-_ZN12_GLOBAL__N_120softmax_warp_forwardIfffLi8ELb0ELb0ELi32EEEvPT0_PKT_iiiPKbib
                                        ; -- End function
	.set _ZN12_GLOBAL__N_120softmax_warp_forwardIfffLi8ELb0ELb0ELi32EEEvPT0_PKT_iiiPKbib.num_vgpr, 40
	.set _ZN12_GLOBAL__N_120softmax_warp_forwardIfffLi8ELb0ELb0ELi32EEEvPT0_PKT_iiiPKbib.num_agpr, 0
	.set _ZN12_GLOBAL__N_120softmax_warp_forwardIfffLi8ELb0ELb0ELi32EEEvPT0_PKT_iiiPKbib.numbered_sgpr, 16
	.set _ZN12_GLOBAL__N_120softmax_warp_forwardIfffLi8ELb0ELb0ELi32EEEvPT0_PKT_iiiPKbib.num_named_barrier, 0
	.set _ZN12_GLOBAL__N_120softmax_warp_forwardIfffLi8ELb0ELb0ELi32EEEvPT0_PKT_iiiPKbib.private_seg_size, 0
	.set _ZN12_GLOBAL__N_120softmax_warp_forwardIfffLi8ELb0ELb0ELi32EEEvPT0_PKT_iiiPKbib.uses_vcc, 1
	.set _ZN12_GLOBAL__N_120softmax_warp_forwardIfffLi8ELb0ELb0ELi32EEEvPT0_PKT_iiiPKbib.uses_flat_scratch, 0
	.set _ZN12_GLOBAL__N_120softmax_warp_forwardIfffLi8ELb0ELb0ELi32EEEvPT0_PKT_iiiPKbib.has_dyn_sized_stack, 0
	.set _ZN12_GLOBAL__N_120softmax_warp_forwardIfffLi8ELb0ELb0ELi32EEEvPT0_PKT_iiiPKbib.has_recursion, 0
	.set _ZN12_GLOBAL__N_120softmax_warp_forwardIfffLi8ELb0ELb0ELi32EEEvPT0_PKT_iiiPKbib.has_indirect_call, 0
	.section	.AMDGPU.csdata,"",@progbits
; Kernel info:
; codeLenInByte = 2612
; TotalNumSgprs: 18
; NumVgprs: 40
; ScratchSize: 0
; MemoryBound: 0
; FloatMode: 240
; IeeeMode: 1
; LDSByteSize: 0 bytes/workgroup (compile time only)
; SGPRBlocks: 0
; VGPRBlocks: 4
; NumSGPRsForWavesPerEU: 18
; NumVGPRsForWavesPerEU: 40
; Occupancy: 16
; WaveLimiterHint : 0
; COMPUTE_PGM_RSRC2:SCRATCH_EN: 0
; COMPUTE_PGM_RSRC2:USER_SGPR: 6
; COMPUTE_PGM_RSRC2:TRAP_HANDLER: 0
; COMPUTE_PGM_RSRC2:TGID_X_EN: 1
; COMPUTE_PGM_RSRC2:TGID_Y_EN: 0
; COMPUTE_PGM_RSRC2:TGID_Z_EN: 0
; COMPUTE_PGM_RSRC2:TIDIG_COMP_CNT: 1
	.section	.text._ZN12_GLOBAL__N_120softmax_warp_forwardIfffLi9ELb0ELb0ELi64EEEvPT0_PKT_iiiPKbib,"axG",@progbits,_ZN12_GLOBAL__N_120softmax_warp_forwardIfffLi9ELb0ELb0ELi64EEEvPT0_PKT_iiiPKbib,comdat
	.globl	_ZN12_GLOBAL__N_120softmax_warp_forwardIfffLi9ELb0ELb0ELi64EEEvPT0_PKT_iiiPKbib ; -- Begin function _ZN12_GLOBAL__N_120softmax_warp_forwardIfffLi9ELb0ELb0ELi64EEEvPT0_PKT_iiiPKbib
	.p2align	8
	.type	_ZN12_GLOBAL__N_120softmax_warp_forwardIfffLi9ELb0ELb0ELi64EEEvPT0_PKT_iiiPKbib,@function
_ZN12_GLOBAL__N_120softmax_warp_forwardIfffLi9ELb0ELb0ELi64EEEvPT0_PKT_iiiPKbib: ; @_ZN12_GLOBAL__N_120softmax_warp_forwardIfffLi9ELb0ELb0ELi64EEEvPT0_PKT_iiiPKbib
; %bb.0:
	s_clause 0x1
	s_load_dword s0, s[4:5], 0x3c
	s_load_dwordx8 s[8:15], s[4:5], 0x0
	v_mov_b32_e32 v6, 0xff800000
	v_mov_b32_e32 v10, 0xff800000
	s_waitcnt lgkmcnt(0)
	s_lshr_b32 s0, s0, 16
	v_cmp_gt_i32_e32 vcc_lo, s14, v0
	v_mad_u64_u32 v[1:2], null, s6, s0, v[1:2]
	v_mad_u64_u32 v[2:3], null, v1, s13, v[0:1]
	v_sub_nc_u32_e32 v5, s12, v1
	v_cmp_lt_i32_e64 s7, 0, v5
	v_ashrrev_i32_e32 v3, 31, v2
	s_and_b32 s1, s7, vcc_lo
	v_lshlrev_b64 v[1:2], 2, v[2:3]
	v_add_co_u32 v3, s0, s10, v1
	v_add_co_ci_u32_e64 v4, null, s11, v2, s0
	s_and_saveexec_b32 s0, s1
	s_cbranch_execz .LBB398_2
; %bb.1:
	global_load_dword v10, v[3:4], off
.LBB398_2:
	s_or_b32 exec_lo, exec_lo, s0
	v_add_nc_u32_e32 v7, 64, v0
	v_cmp_gt_i32_e64 s6, s14, v7
	s_and_b32 s1, s7, s6
	s_and_saveexec_b32 s0, s1
	s_cbranch_execz .LBB398_4
; %bb.3:
	global_load_dword v6, v[3:4], off offset:256
.LBB398_4:
	s_or_b32 exec_lo, exec_lo, s0
	v_add_nc_u32_e32 v7, 0x80, v0
	v_mov_b32_e32 v11, 0xff800000
	v_cmp_gt_i32_e64 s5, s14, v7
	v_mov_b32_e32 v7, 0xff800000
	s_and_b32 s1, s7, s5
	s_and_saveexec_b32 s0, s1
	s_cbranch_execz .LBB398_6
; %bb.5:
	global_load_dword v11, v[3:4], off offset:512
.LBB398_6:
	s_or_b32 exec_lo, exec_lo, s0
	v_add_nc_u32_e32 v8, 0xc0, v0
	v_cmp_gt_i32_e64 s4, s14, v8
	s_and_b32 s1, s7, s4
	s_and_saveexec_b32 s0, s1
	s_cbranch_execz .LBB398_8
; %bb.7:
	global_load_dword v7, v[3:4], off offset:768
.LBB398_8:
	s_or_b32 exec_lo, exec_lo, s0
	v_add_nc_u32_e32 v8, 0x100, v0
	v_mov_b32_e32 v12, 0xff800000
	v_cmp_gt_i32_e64 s3, s14, v8
	v_mov_b32_e32 v8, 0xff800000
	s_and_b32 s1, s7, s3
	s_and_saveexec_b32 s0, s1
	s_cbranch_execz .LBB398_10
; %bb.9:
	global_load_dword v12, v[3:4], off offset:1024
.LBB398_10:
	;; [unrolled: 20-line block ×3, first 2 shown]
	s_or_b32 exec_lo, exec_lo, s0
	v_add_nc_u32_e32 v0, 0x1c0, v0
	v_cmp_gt_i32_e64 s0, s14, v0
	s_and_b32 s10, s7, s0
	s_and_saveexec_b32 s7, s10
	s_cbranch_execz .LBB398_16
; %bb.15:
	global_load_dword v9, v[3:4], off offset:1792
.LBB398_16:
	s_or_b32 exec_lo, exec_lo, s7
	s_waitcnt vmcnt(0)
	v_cmp_gt_f32_e64 s7, v10, v6
	v_mbcnt_lo_u32_b32 v14, -1, 0
	s_mov_b32 s10, exec_lo
	v_cndmask_b32_e64 v0, v6, v10, s7
	v_or_b32_e32 v3, 32, v14
	v_xor_b32_e32 v17, 4, v14
	v_xor_b32_e32 v18, 2, v14
	v_xor_b32_e32 v19, 1, v14
	v_cmp_gt_f32_e64 s7, v0, v11
	v_cndmask_b32_e64 v0, v11, v0, s7
	v_cmp_gt_f32_e64 s7, v0, v7
	v_cndmask_b32_e64 v0, v7, v0, s7
	;; [unrolled: 2-line block ×4, first 2 shown]
	v_cmp_gt_i32_e64 s7, 64, v3
	v_cndmask_b32_e64 v3, v14, v3, s7
	v_cmp_gt_f32_e64 s7, v0, v13
	v_cndmask_b32_e64 v4, v13, v0, s7
	v_lshlrev_b32_e32 v0, 2, v3
	v_xor_b32_e32 v3, 16, v14
	v_cmp_gt_f32_e64 s7, v4, v9
	v_cndmask_b32_e64 v4, v9, v4, s7
	v_cmp_gt_i32_e64 s7, 64, v3
	ds_bpermute_b32 v15, v0, v4
	v_cndmask_b32_e64 v3, v14, v3, s7
	v_lshlrev_b32_e32 v3, 2, v3
	s_waitcnt lgkmcnt(0)
	v_cmp_lt_f32_e64 s7, v4, v15
	v_cndmask_b32_e64 v15, v4, v15, s7
	v_xor_b32_e32 v4, 8, v14
	ds_bpermute_b32 v16, v3, v15
	v_cmp_gt_i32_e64 s7, 64, v4
	v_cndmask_b32_e64 v4, v14, v4, s7
	v_lshlrev_b32_e32 v4, 2, v4
	s_waitcnt lgkmcnt(0)
	v_cmp_lt_f32_e64 s7, v15, v16
	v_cndmask_b32_e64 v15, v15, v16, s7
	v_cmp_gt_i32_e64 s7, 64, v17
	ds_bpermute_b32 v16, v4, v15
	v_cndmask_b32_e64 v17, v14, v17, s7
	v_lshlrev_b32_e32 v17, 2, v17
	s_waitcnt lgkmcnt(0)
	v_cmp_lt_f32_e64 s7, v15, v16
	v_cndmask_b32_e64 v15, v15, v16, s7
	v_cmp_gt_i32_e64 s7, 64, v18
	ds_bpermute_b32 v16, v17, v15
	;; [unrolled: 7-line block ×3, first 2 shown]
	v_cndmask_b32_e64 v14, v14, v19, s7
	v_lshlrev_b32_e32 v14, 2, v14
	s_waitcnt lgkmcnt(0)
	v_cmp_lt_f32_e64 s7, v15, v16
	v_cndmask_b32_e64 v15, v15, v16, s7
	ds_bpermute_b32 v16, v14, v15
	s_waitcnt lgkmcnt(0)
	v_cmp_lt_f32_e64 s7, v15, v16
	v_cndmask_b32_e64 v15, v15, v16, s7
	v_sub_f32_e32 v10, v10, v15
	v_sub_f32_e32 v6, v6, v15
	;; [unrolled: 1-line block ×8, first 2 shown]
	v_mul_f32_e32 v9, 0x3fb8aa3b, v10
	v_mul_f32_e32 v12, 0x3fb8aa3b, v6
	v_mul_f32_e32 v13, 0x3fb8aa3b, v11
	v_mul_f32_e32 v23, 0x3fb8aa3b, v19
	v_mul_f32_e32 v20, 0x3fb8aa3b, v7
	v_fma_f32 v25, 0x3fb8aa3b, v10, -v9
	v_rndne_f32_e32 v26, v9
	v_fma_f32 v27, 0x3fb8aa3b, v6, -v12
	v_rndne_f32_e32 v28, v12
	v_fma_f32 v29, 0x3fb8aa3b, v11, -v13
	v_fmac_f32_e32 v25, 0x32a5705f, v10
	v_sub_f32_e32 v9, v9, v26
	v_rndne_f32_e32 v30, v13
	v_fmac_f32_e32 v27, 0x32a5705f, v6
	v_sub_f32_e32 v12, v12, v28
	v_fma_f32 v37, 0x3fb8aa3b, v19, -v23
	v_add_f32_e32 v9, v9, v25
	v_rndne_f32_e32 v38, v23
	v_fmac_f32_e32 v29, 0x32a5705f, v11
	v_sub_f32_e32 v13, v13, v30
	v_add_f32_e32 v12, v12, v27
	v_exp_f32_e32 v9, v9
	v_cvt_i32_f32_e32 v26, v26
	v_fmac_f32_e32 v37, 0x32a5705f, v19
	v_sub_f32_e32 v23, v23, v38
	v_add_f32_e32 v13, v13, v29
	v_exp_f32_e32 v12, v12
	v_fma_f32 v31, 0x3fb8aa3b, v7, -v20
	v_rndne_f32_e32 v32, v20
	v_cvt_i32_f32_e32 v28, v28
	v_add_f32_e32 v23, v23, v37
	v_exp_f32_e32 v13, v13
	v_ldexp_f32 v9, v9, v26
	v_cmp_ngt_f32_e64 s7, 0xc2ce8ed0, v10
	v_mul_f32_e32 v21, 0x3fb8aa3b, v16
	v_cvt_i32_f32_e32 v30, v30
	v_fmac_f32_e32 v31, 0x32a5705f, v7
	v_sub_f32_e32 v20, v20, v32
	v_exp_f32_e32 v23, v23
	v_ldexp_f32 v12, v12, v28
	v_cndmask_b32_e64 v9, 0, v9, s7
	v_cmp_ngt_f32_e64 s7, 0xc2ce8ed0, v6
	v_fma_f32 v33, 0x3fb8aa3b, v16, -v21
	v_rndne_f32_e32 v34, v21
	v_add_f32_e32 v20, v20, v31
	v_cvt_i32_f32_e32 v25, v38
	v_ldexp_f32 v13, v13, v30
	v_cndmask_b32_e64 v12, 0, v12, s7
	v_cmp_ngt_f32_e64 s7, 0xc2ce8ed0, v11
	v_mul_f32_e32 v22, 0x3fb8aa3b, v8
	v_fmac_f32_e32 v33, 0x32a5705f, v16
	v_sub_f32_e32 v21, v21, v34
	v_exp_f32_e32 v20, v20
	v_ldexp_f32 v23, v23, v25
	v_cndmask_b32_e64 v25, 0, v13, s7
	v_cmp_nlt_f32_e64 s7, 0x42b17218, v10
	v_fma_f32 v35, 0x3fb8aa3b, v8, -v22
	v_rndne_f32_e32 v36, v22
	v_cvt_i32_f32_e32 v32, v32
	v_add_f32_e32 v21, v21, v33
	v_cndmask_b32_e64 v13, 0x7f800000, v9, s7
	v_cmp_nlt_f32_e64 s7, 0x42b17218, v6
	v_fmac_f32_e32 v35, 0x32a5705f, v8
	v_sub_f32_e32 v22, v22, v36
	v_exp_f32_e32 v21, v21
	v_ldexp_f32 v20, v20, v32
	v_cndmask_b32_e64 v12, 0x7f800000, v12, s7
	v_cmp_ngt_f32_e64 s7, 0xc2ce8ed0, v7
	v_cvt_i32_f32_e32 v34, v34
	v_add_f32_e32 v22, v22, v35
	v_mul_f32_e32 v24, 0x3fb8aa3b, v15
	v_cvt_i32_f32_e32 v36, v36
	v_cndmask_b32_e64 v6, 0, v20, s7
	v_cmp_nlt_f32_e64 s7, 0x42b17218, v11
	v_exp_f32_e32 v22, v22
	v_ldexp_f32 v21, v21, v34
	v_fma_f32 v39, 0x3fb8aa3b, v15, -v24
	v_rndne_f32_e32 v40, v24
	v_cndmask_b32_e64 v11, 0x7f800000, v25, s7
	v_cmp_ngt_f32_e64 s7, 0xc2ce8ed0, v16
	v_add_f32_e32 v9, v13, v12
	v_fmac_f32_e32 v39, 0x32a5705f, v15
	v_sub_f32_e32 v24, v24, v40
	v_cvt_i32_f32_e32 v27, v40
	v_cndmask_b32_e64 v20, 0, v21, s7
	v_cmp_nlt_f32_e64 s7, 0x42b17218, v7
	v_ldexp_f32 v22, v22, v36
	v_add_f32_e32 v24, v24, v39
	v_cndmask_b32_e64 v10, 0x7f800000, v6, s7
	v_cmp_ngt_f32_e64 s7, 0xc2ce8ed0, v8
	v_add_f32_e32 v6, v9, v11
	v_exp_f32_e32 v24, v24
	v_cndmask_b32_e64 v7, 0, v22, s7
	v_cmp_nlt_f32_e64 s7, 0x42b17218, v16
	v_add_f32_e32 v6, v6, v10
	v_cndmask_b32_e64 v9, 0x7f800000, v20, s7
	v_cmp_ngt_f32_e64 s7, 0xc2ce8ed0, v19
	v_ldexp_f32 v20, v24, v27
	v_add_f32_e32 v6, v6, v9
	v_cndmask_b32_e64 v16, 0, v23, s7
	v_cmp_nlt_f32_e64 s7, 0x42b17218, v8
	v_cndmask_b32_e64 v8, 0x7f800000, v7, s7
	v_cmp_nlt_f32_e64 s7, 0x42b17218, v19
	v_add_f32_e32 v6, v6, v8
	v_cndmask_b32_e64 v7, 0x7f800000, v16, s7
	v_cmp_ngt_f32_e64 s7, 0xc2ce8ed0, v15
	v_add_f32_e32 v19, v6, v7
	v_cndmask_b32_e64 v16, 0, v20, s7
	v_cmp_nlt_f32_e64 s7, 0x42b17218, v15
	v_cndmask_b32_e64 v6, 0x7f800000, v16, s7
	v_add_f32_e32 v15, v19, v6
	ds_bpermute_b32 v0, v0, v15
	s_waitcnt lgkmcnt(0)
	v_add_f32_e32 v0, v15, v0
	ds_bpermute_b32 v3, v3, v0
	s_waitcnt lgkmcnt(0)
	;; [unrolled: 3-line block ×5, first 2 shown]
	v_add_f32_e32 v0, v0, v3
	ds_bpermute_b32 v3, v14, v0
	v_cmpx_lt_i32_e32 0, v5
	s_cbranch_execz .LBB398_26
; %bb.17:
	s_and_b32 exec_lo, exec_lo, vcc_lo
	s_cbranch_execz .LBB398_26
; %bb.18:
	s_waitcnt lgkmcnt(0)
	v_add_f32_e32 v3, v0, v3
	v_div_scale_f32 v0, null, v3, v3, v13
	v_div_scale_f32 v14, vcc_lo, v13, v3, v13
	v_cmp_eq_f32_e64 s7, 0, v3
	v_rcp_f32_e32 v4, v0
	v_fma_f32 v5, -v0, v4, 1.0
	v_fmac_f32_e32 v4, v5, v4
	v_mul_f32_e32 v5, v14, v4
	v_fma_f32 v15, -v0, v5, v14
	v_fmac_f32_e32 v5, v15, v4
	v_fma_f32 v0, -v0, v5, v14
	v_div_fmas_f32 v0, v0, v4, v5
	v_div_fixup_f32 v4, v0, v3, v13
	v_add_co_u32 v0, vcc_lo, s8, v1
	v_add_co_ci_u32_e64 v1, null, s9, v2, vcc_lo
	v_cndmask_b32_e64 v2, v4, 0x7fc00000, s7
	global_store_dword v[0:1], v2, off
	s_and_b32 exec_lo, exec_lo, s6
	s_cbranch_execz .LBB398_26
; %bb.19:
	v_div_scale_f32 v2, null, v3, v3, v12
	v_rcp_f32_e32 v4, v2
	v_fma_f32 v5, -v2, v4, 1.0
	v_fmac_f32_e32 v4, v5, v4
	v_div_scale_f32 v5, vcc_lo, v12, v3, v12
	v_mul_f32_e32 v13, v5, v4
	v_fma_f32 v14, -v2, v13, v5
	v_fmac_f32_e32 v13, v14, v4
	v_fma_f32 v2, -v2, v13, v5
	v_div_fmas_f32 v2, v2, v4, v13
	v_div_fixup_f32 v2, v2, v3, v12
	v_cndmask_b32_e64 v2, v2, 0x7fc00000, s7
	global_store_dword v[0:1], v2, off offset:256
	s_and_b32 exec_lo, exec_lo, s5
	s_cbranch_execz .LBB398_26
; %bb.20:
	v_div_scale_f32 v2, null, v3, v3, v11
	v_rcp_f32_e32 v4, v2
	v_fma_f32 v5, -v2, v4, 1.0
	v_fmac_f32_e32 v4, v5, v4
	v_div_scale_f32 v5, vcc_lo, v11, v3, v11
	v_mul_f32_e32 v12, v5, v4
	v_fma_f32 v13, -v2, v12, v5
	v_fmac_f32_e32 v12, v13, v4
	v_fma_f32 v2, -v2, v12, v5
	v_div_fmas_f32 v2, v2, v4, v12
	v_div_fixup_f32 v2, v2, v3, v11
	v_cndmask_b32_e64 v2, v2, 0x7fc00000, s7
	global_store_dword v[0:1], v2, off offset:512
	;; [unrolled: 16-line block ×7, first 2 shown]
.LBB398_26:
	s_endpgm
	.section	.rodata,"a",@progbits
	.p2align	6, 0x0
	.amdhsa_kernel _ZN12_GLOBAL__N_120softmax_warp_forwardIfffLi9ELb0ELb0ELi64EEEvPT0_PKT_iiiPKbib
		.amdhsa_group_segment_fixed_size 0
		.amdhsa_private_segment_fixed_size 0
		.amdhsa_kernarg_size 304
		.amdhsa_user_sgpr_count 6
		.amdhsa_user_sgpr_private_segment_buffer 1
		.amdhsa_user_sgpr_dispatch_ptr 0
		.amdhsa_user_sgpr_queue_ptr 0
		.amdhsa_user_sgpr_kernarg_segment_ptr 1
		.amdhsa_user_sgpr_dispatch_id 0
		.amdhsa_user_sgpr_flat_scratch_init 0
		.amdhsa_user_sgpr_private_segment_size 0
		.amdhsa_wavefront_size32 1
		.amdhsa_uses_dynamic_stack 0
		.amdhsa_system_sgpr_private_segment_wavefront_offset 0
		.amdhsa_system_sgpr_workgroup_id_x 1
		.amdhsa_system_sgpr_workgroup_id_y 0
		.amdhsa_system_sgpr_workgroup_id_z 0
		.amdhsa_system_sgpr_workgroup_info 0
		.amdhsa_system_vgpr_workitem_id 1
		.amdhsa_next_free_vgpr 41
		.amdhsa_next_free_sgpr 16
		.amdhsa_reserve_vcc 1
		.amdhsa_reserve_flat_scratch 0
		.amdhsa_float_round_mode_32 0
		.amdhsa_float_round_mode_16_64 0
		.amdhsa_float_denorm_mode_32 3
		.amdhsa_float_denorm_mode_16_64 3
		.amdhsa_dx10_clamp 1
		.amdhsa_ieee_mode 1
		.amdhsa_fp16_overflow 0
		.amdhsa_workgroup_processor_mode 1
		.amdhsa_memory_ordered 1
		.amdhsa_forward_progress 1
		.amdhsa_shared_vgpr_count 0
		.amdhsa_exception_fp_ieee_invalid_op 0
		.amdhsa_exception_fp_denorm_src 0
		.amdhsa_exception_fp_ieee_div_zero 0
		.amdhsa_exception_fp_ieee_overflow 0
		.amdhsa_exception_fp_ieee_underflow 0
		.amdhsa_exception_fp_ieee_inexact 0
		.amdhsa_exception_int_div_zero 0
	.end_amdhsa_kernel
	.section	.text._ZN12_GLOBAL__N_120softmax_warp_forwardIfffLi9ELb0ELb0ELi64EEEvPT0_PKT_iiiPKbib,"axG",@progbits,_ZN12_GLOBAL__N_120softmax_warp_forwardIfffLi9ELb0ELb0ELi64EEEvPT0_PKT_iiiPKbib,comdat
.Lfunc_end398:
	.size	_ZN12_GLOBAL__N_120softmax_warp_forwardIfffLi9ELb0ELb0ELi64EEEvPT0_PKT_iiiPKbib, .Lfunc_end398-_ZN12_GLOBAL__N_120softmax_warp_forwardIfffLi9ELb0ELb0ELi64EEEvPT0_PKT_iiiPKbib
                                        ; -- End function
	.set _ZN12_GLOBAL__N_120softmax_warp_forwardIfffLi9ELb0ELb0ELi64EEEvPT0_PKT_iiiPKbib.num_vgpr, 41
	.set _ZN12_GLOBAL__N_120softmax_warp_forwardIfffLi9ELb0ELb0ELi64EEEvPT0_PKT_iiiPKbib.num_agpr, 0
	.set _ZN12_GLOBAL__N_120softmax_warp_forwardIfffLi9ELb0ELb0ELi64EEEvPT0_PKT_iiiPKbib.numbered_sgpr, 16
	.set _ZN12_GLOBAL__N_120softmax_warp_forwardIfffLi9ELb0ELb0ELi64EEEvPT0_PKT_iiiPKbib.num_named_barrier, 0
	.set _ZN12_GLOBAL__N_120softmax_warp_forwardIfffLi9ELb0ELb0ELi64EEEvPT0_PKT_iiiPKbib.private_seg_size, 0
	.set _ZN12_GLOBAL__N_120softmax_warp_forwardIfffLi9ELb0ELb0ELi64EEEvPT0_PKT_iiiPKbib.uses_vcc, 1
	.set _ZN12_GLOBAL__N_120softmax_warp_forwardIfffLi9ELb0ELb0ELi64EEEvPT0_PKT_iiiPKbib.uses_flat_scratch, 0
	.set _ZN12_GLOBAL__N_120softmax_warp_forwardIfffLi9ELb0ELb0ELi64EEEvPT0_PKT_iiiPKbib.has_dyn_sized_stack, 0
	.set _ZN12_GLOBAL__N_120softmax_warp_forwardIfffLi9ELb0ELb0ELi64EEEvPT0_PKT_iiiPKbib.has_recursion, 0
	.set _ZN12_GLOBAL__N_120softmax_warp_forwardIfffLi9ELb0ELb0ELi64EEEvPT0_PKT_iiiPKbib.has_indirect_call, 0
	.section	.AMDGPU.csdata,"",@progbits
; Kernel info:
; codeLenInByte = 2684
; TotalNumSgprs: 18
; NumVgprs: 41
; ScratchSize: 0
; MemoryBound: 0
; FloatMode: 240
; IeeeMode: 1
; LDSByteSize: 0 bytes/workgroup (compile time only)
; SGPRBlocks: 0
; VGPRBlocks: 5
; NumSGPRsForWavesPerEU: 18
; NumVGPRsForWavesPerEU: 41
; Occupancy: 16
; WaveLimiterHint : 0
; COMPUTE_PGM_RSRC2:SCRATCH_EN: 0
; COMPUTE_PGM_RSRC2:USER_SGPR: 6
; COMPUTE_PGM_RSRC2:TRAP_HANDLER: 0
; COMPUTE_PGM_RSRC2:TGID_X_EN: 1
; COMPUTE_PGM_RSRC2:TGID_Y_EN: 0
; COMPUTE_PGM_RSRC2:TGID_Z_EN: 0
; COMPUTE_PGM_RSRC2:TIDIG_COMP_CNT: 1
	.section	.text._ZN12_GLOBAL__N_120softmax_warp_forwardIfffLi9ELb0ELb0ELi32EEEvPT0_PKT_iiiPKbib,"axG",@progbits,_ZN12_GLOBAL__N_120softmax_warp_forwardIfffLi9ELb0ELb0ELi32EEEvPT0_PKT_iiiPKbib,comdat
	.globl	_ZN12_GLOBAL__N_120softmax_warp_forwardIfffLi9ELb0ELb0ELi32EEEvPT0_PKT_iiiPKbib ; -- Begin function _ZN12_GLOBAL__N_120softmax_warp_forwardIfffLi9ELb0ELb0ELi32EEEvPT0_PKT_iiiPKbib
	.p2align	8
	.type	_ZN12_GLOBAL__N_120softmax_warp_forwardIfffLi9ELb0ELb0ELi32EEEvPT0_PKT_iiiPKbib,@function
_ZN12_GLOBAL__N_120softmax_warp_forwardIfffLi9ELb0ELb0ELi32EEEvPT0_PKT_iiiPKbib: ; @_ZN12_GLOBAL__N_120softmax_warp_forwardIfffLi9ELb0ELb0ELi32EEEvPT0_PKT_iiiPKbib
; %bb.0:
	s_clause 0x1
	s_load_dword s0, s[4:5], 0x3c
	s_load_dwordx8 s[16:23], s[4:5], 0x0
	v_mov_b32_e32 v9, 0xff800000
	v_mov_b32_e32 v8, 0xff800000
	s_waitcnt lgkmcnt(0)
	s_lshr_b32 s0, s0, 16
	v_cmp_gt_i32_e32 vcc_lo, s22, v0
	v_mad_u64_u32 v[1:2], null, s6, s0, v[1:2]
	v_mad_u64_u32 v[2:3], null, v1, s21, v[0:1]
	v_sub_nc_u32_e32 v5, s20, v1
	v_cmp_lt_i32_e64 s15, 0, v5
	v_ashrrev_i32_e32 v3, 31, v2
	s_and_b32 s1, s15, vcc_lo
	v_lshlrev_b64 v[1:2], 2, v[2:3]
	v_add_co_u32 v3, s0, s18, v1
	v_add_co_ci_u32_e64 v4, null, s19, v2, s0
	s_and_saveexec_b32 s0, s1
	s_cbranch_execz .LBB399_2
; %bb.1:
	global_load_dword v8, v[3:4], off
.LBB399_2:
	s_or_b32 exec_lo, exec_lo, s0
	v_add_nc_u32_e32 v6, 32, v0
	v_cmp_gt_i32_e64 s14, s22, v6
	s_and_b32 s1, s15, s14
	s_and_saveexec_b32 s0, s1
	s_cbranch_execz .LBB399_4
; %bb.3:
	global_load_dword v9, v[3:4], off offset:128
.LBB399_4:
	s_or_b32 exec_lo, exec_lo, s0
	v_add_nc_u32_e32 v6, 64, v0
	v_mov_b32_e32 v11, 0xff800000
	v_mov_b32_e32 v10, 0xff800000
	v_cmp_gt_i32_e64 s13, s22, v6
	s_and_b32 s1, s15, s13
	s_and_saveexec_b32 s0, s1
	s_cbranch_execz .LBB399_6
; %bb.5:
	global_load_dword v10, v[3:4], off offset:256
.LBB399_6:
	s_or_b32 exec_lo, exec_lo, s0
	v_add_nc_u32_e32 v6, 0x60, v0
	v_cmp_gt_i32_e64 s12, s22, v6
	s_and_b32 s1, s15, s12
	s_and_saveexec_b32 s0, s1
	s_cbranch_execz .LBB399_8
; %bb.7:
	global_load_dword v11, v[3:4], off offset:384
.LBB399_8:
	s_or_b32 exec_lo, exec_lo, s0
	v_add_nc_u32_e32 v6, 0x80, v0
	v_mov_b32_e32 v12, 0xff800000
	v_mov_b32_e32 v18, 0xff800000
	v_cmp_gt_i32_e64 s11, s22, v6
	s_and_b32 s1, s15, s11
	s_and_saveexec_b32 s0, s1
	s_cbranch_execz .LBB399_10
; %bb.9:
	global_load_dword v18, v[3:4], off offset:512
.LBB399_10:
	s_or_b32 exec_lo, exec_lo, s0
	v_add_nc_u32_e32 v6, 0xa0, v0
	v_cmp_gt_i32_e64 s10, s22, v6
	s_and_b32 s1, s15, s10
	s_and_saveexec_b32 s0, s1
	s_cbranch_execz .LBB399_12
; %bb.11:
	global_load_dword v12, v[3:4], off offset:640
.LBB399_12:
	s_or_b32 exec_lo, exec_lo, s0
	v_add_nc_u32_e32 v6, 0xc0, v0
	v_mov_b32_e32 v13, 0xff800000
	v_mov_b32_e32 v19, 0xff800000
	v_cmp_gt_i32_e64 s9, s22, v6
	s_and_b32 s1, s15, s9
	s_and_saveexec_b32 s0, s1
	s_cbranch_execz .LBB399_14
; %bb.13:
	global_load_dword v19, v[3:4], off offset:768
.LBB399_14:
	s_or_b32 exec_lo, exec_lo, s0
	v_add_nc_u32_e32 v6, 0xe0, v0
	v_cmp_gt_i32_e64 s8, s22, v6
	s_and_b32 s1, s15, s8
	s_and_saveexec_b32 s0, s1
	s_cbranch_execz .LBB399_16
; %bb.15:
	global_load_dword v13, v[3:4], off offset:896
.LBB399_16:
	s_or_b32 exec_lo, exec_lo, s0
	v_add_nc_u32_e32 v6, 0x100, v0
	v_mov_b32_e32 v14, 0xff800000
	v_mov_b32_e32 v20, 0xff800000
	v_cmp_gt_i32_e64 s7, s22, v6
	s_and_b32 s1, s15, s7
	s_and_saveexec_b32 s0, s1
	s_cbranch_execz .LBB399_18
; %bb.17:
	global_load_dword v20, v[3:4], off offset:1024
.LBB399_18:
	s_or_b32 exec_lo, exec_lo, s0
	v_add_nc_u32_e32 v6, 0x120, v0
	v_cmp_gt_i32_e64 s6, s22, v6
	s_and_b32 s1, s15, s6
	s_and_saveexec_b32 s0, s1
	s_cbranch_execz .LBB399_20
; %bb.19:
	global_load_dword v14, v[3:4], off offset:1152
.LBB399_20:
	s_or_b32 exec_lo, exec_lo, s0
	v_add_nc_u32_e32 v6, 0x140, v0
	v_mov_b32_e32 v15, 0xff800000
	v_mov_b32_e32 v21, 0xff800000
	v_cmp_gt_i32_e64 s5, s22, v6
	s_and_b32 s1, s15, s5
	s_and_saveexec_b32 s0, s1
	s_cbranch_execz .LBB399_22
; %bb.21:
	global_load_dword v21, v[3:4], off offset:1280
.LBB399_22:
	s_or_b32 exec_lo, exec_lo, s0
	v_add_nc_u32_e32 v6, 0x160, v0
	v_cmp_gt_i32_e64 s4, s22, v6
	s_and_b32 s1, s15, s4
	s_and_saveexec_b32 s0, s1
	s_cbranch_execz .LBB399_24
; %bb.23:
	global_load_dword v15, v[3:4], off offset:1408
.LBB399_24:
	s_or_b32 exec_lo, exec_lo, s0
	v_add_nc_u32_e32 v6, 0x180, v0
	v_mov_b32_e32 v16, 0xff800000
	v_mov_b32_e32 v22, 0xff800000
	v_cmp_gt_i32_e64 s3, s22, v6
	s_and_b32 s1, s15, s3
	s_and_saveexec_b32 s0, s1
	s_cbranch_execz .LBB399_26
; %bb.25:
	global_load_dword v22, v[3:4], off offset:1536
.LBB399_26:
	s_or_b32 exec_lo, exec_lo, s0
	v_add_nc_u32_e32 v6, 0x1a0, v0
	v_cmp_gt_i32_e64 s2, s22, v6
	s_and_b32 s1, s15, s2
	s_and_saveexec_b32 s0, s1
	s_cbranch_execz .LBB399_28
; %bb.27:
	global_load_dword v16, v[3:4], off offset:1664
.LBB399_28:
	s_or_b32 exec_lo, exec_lo, s0
	v_add_nc_u32_e32 v6, 0x1c0, v0
	v_mov_b32_e32 v17, 0xff800000
	v_mov_b32_e32 v23, 0xff800000
	v_cmp_gt_i32_e64 s1, s22, v6
	s_and_b32 s18, s15, s1
	s_and_saveexec_b32 s0, s18
	s_cbranch_execz .LBB399_30
; %bb.29:
	global_load_dword v23, v[3:4], off offset:1792
.LBB399_30:
	s_or_b32 exec_lo, exec_lo, s0
	v_add_nc_u32_e32 v0, 0x1e0, v0
	v_cmp_gt_i32_e64 s0, s22, v0
	s_and_b32 s18, s15, s0
	s_and_saveexec_b32 s15, s18
	s_cbranch_execz .LBB399_32
; %bb.31:
	global_load_dword v17, v[3:4], off offset:1920
.LBB399_32:
	s_or_b32 exec_lo, exec_lo, s15
	s_waitcnt vmcnt(0)
	v_cmp_gt_f32_e64 s15, v8, v9
	v_mbcnt_lo_u32_b32 v7, -1, 0
	s_mov_b32 s18, exec_lo
	v_cndmask_b32_e64 v0, v9, v8, s15
	v_xor_b32_e32 v3, 16, v7
	v_xor_b32_e32 v26, 1, v7
	v_cmp_gt_f32_e64 s15, v0, v10
	v_cndmask_b32_e64 v0, v10, v0, s15
	v_cmp_gt_f32_e64 s15, v0, v11
	v_cndmask_b32_e64 v0, v11, v0, s15
	;; [unrolled: 2-line block ×12, first 2 shown]
	v_cmp_gt_i32_e64 s15, 32, v3
	v_cndmask_b32_e64 v3, v7, v3, s15
	v_cmp_gt_f32_e64 s15, v0, v23
	v_cndmask_b32_e64 v4, v23, v0, s15
	v_lshlrev_b32_e32 v0, 2, v3
	v_xor_b32_e32 v3, 8, v7
	v_cmp_gt_f32_e64 s15, v4, v17
	v_cndmask_b32_e64 v4, v17, v4, s15
	v_cmp_gt_i32_e64 s15, 32, v3
	ds_bpermute_b32 v6, v0, v4
	v_cndmask_b32_e64 v3, v7, v3, s15
	v_lshlrev_b32_e32 v3, 2, v3
	s_waitcnt lgkmcnt(0)
	v_cmp_lt_f32_e64 s15, v4, v6
	v_cndmask_b32_e64 v6, v4, v6, s15
	v_xor_b32_e32 v4, 4, v7
	ds_bpermute_b32 v24, v3, v6
	v_cmp_gt_i32_e64 s15, 32, v4
	v_cndmask_b32_e64 v4, v7, v4, s15
	v_lshlrev_b32_e32 v4, 2, v4
	s_waitcnt lgkmcnt(0)
	v_cmp_lt_f32_e64 s15, v6, v24
	v_cndmask_b32_e64 v24, v6, v24, s15
	v_xor_b32_e32 v6, 2, v7
	ds_bpermute_b32 v25, v4, v24
	v_cmp_gt_i32_e64 s15, 32, v6
	v_cndmask_b32_e64 v6, v7, v6, s15
	v_lshlrev_b32_e32 v6, 2, v6
	s_waitcnt lgkmcnt(0)
	v_cmp_lt_f32_e64 s15, v24, v25
	v_cndmask_b32_e64 v24, v24, v25, s15
	v_cmp_gt_i32_e64 s15, 32, v26
	ds_bpermute_b32 v25, v6, v24
	v_cndmask_b32_e64 v7, v7, v26, s15
	v_lshlrev_b32_e32 v7, 2, v7
	s_waitcnt lgkmcnt(0)
	v_cmp_lt_f32_e64 s15, v24, v25
	v_cndmask_b32_e64 v24, v24, v25, s15
	ds_bpermute_b32 v25, v7, v24
	s_waitcnt lgkmcnt(0)
	v_cmp_lt_f32_e64 s15, v24, v25
	v_cndmask_b32_e64 v24, v24, v25, s15
	v_sub_f32_e32 v8, v8, v24
	v_sub_f32_e32 v9, v9, v24
	;; [unrolled: 1-line block ×5, first 2 shown]
	v_mul_f32_e32 v16, 0x3fb8aa3b, v8
	v_mul_f32_e32 v17, 0x3fb8aa3b, v9
	v_sub_f32_e32 v30, v23, v24
	v_mul_f32_e32 v23, 0x3fb8aa3b, v10
	v_sub_f32_e32 v13, v13, v24
	v_fma_f32 v40, 0x3fb8aa3b, v8, -v16
	v_rndne_f32_e32 v41, v16
	v_fma_f32 v42, 0x3fb8aa3b, v9, -v17
	v_rndne_f32_e32 v43, v17
	v_fma_f32 v44, 0x3fb8aa3b, v10, -v23
	v_fmac_f32_e32 v40, 0x32a5705f, v8
	v_sub_f32_e32 v16, v16, v41
	v_rndne_f32_e32 v45, v23
	v_fmac_f32_e32 v42, 0x32a5705f, v9
	v_sub_f32_e32 v17, v17, v43
	v_sub_f32_e32 v11, v11, v24
	v_add_f32_e32 v16, v16, v40
	v_sub_f32_e32 v19, v19, v24
	v_mul_f32_e32 v28, 0x3fb8aa3b, v13
	v_fmac_f32_e32 v44, 0x32a5705f, v10
	v_sub_f32_e32 v23, v23, v45
	v_add_f32_e32 v17, v17, v42
	v_exp_f32_e32 v16, v16
	v_sub_f32_e32 v18, v18, v24
	v_sub_f32_e32 v12, v12, v24
	;; [unrolled: 1-line block ×7, first 2 shown]
	v_mul_f32_e32 v24, 0x3fb8aa3b, v11
	v_mul_f32_e32 v27, 0x3fb8aa3b, v19
	v_fma_f32 v54, 0x3fb8aa3b, v13, -v28
	v_rndne_f32_e32 v55, v28
	v_add_f32_e32 v23, v23, v44
	v_cvt_i32_f32_e32 v41, v41
	v_exp_f32_e32 v17, v17
	v_fma_f32 v46, 0x3fb8aa3b, v11, -v24
	v_rndne_f32_e32 v47, v24
	v_fma_f32 v52, 0x3fb8aa3b, v19, -v27
	v_rndne_f32_e32 v53, v27
	v_fmac_f32_e32 v54, 0x32a5705f, v13
	v_sub_f32_e32 v28, v28, v55
	v_cvt_i32_f32_e32 v43, v43
	v_exp_f32_e32 v23, v23
	v_ldexp_f32 v16, v16, v41
	v_cmp_ngt_f32_e64 s15, 0xc2ce8ed0, v8
	v_mul_f32_e32 v25, 0x3fb8aa3b, v18
	v_mul_f32_e32 v26, 0x3fb8aa3b, v12
	v_fmac_f32_e32 v46, 0x32a5705f, v11
	v_sub_f32_e32 v24, v24, v47
	v_fmac_f32_e32 v52, 0x32a5705f, v19
	v_sub_f32_e32 v27, v27, v53
	v_add_f32_e32 v28, v28, v54
	v_cvt_i32_f32_e32 v45, v45
	v_ldexp_f32 v17, v17, v43
	v_cndmask_b32_e64 v16, 0, v16, s15
	v_cmp_ngt_f32_e64 s15, 0xc2ce8ed0, v9
	v_fma_f32 v48, 0x3fb8aa3b, v18, -v25
	v_rndne_f32_e32 v49, v25
	v_fma_f32 v50, 0x3fb8aa3b, v12, -v26
	v_rndne_f32_e32 v51, v26
	v_add_f32_e32 v24, v24, v46
	v_add_f32_e32 v27, v27, v52
	v_exp_f32_e32 v28, v28
	v_ldexp_f32 v23, v23, v45
	v_cndmask_b32_e64 v17, 0, v17, s15
	v_cmp_ngt_f32_e64 s15, 0xc2ce8ed0, v10
	v_fmac_f32_e32 v48, 0x32a5705f, v18
	v_sub_f32_e32 v25, v25, v49
	v_fmac_f32_e32 v50, 0x32a5705f, v12
	v_sub_f32_e32 v26, v26, v51
	v_cvt_i32_f32_e32 v55, v55
	v_exp_f32_e32 v24, v24
	v_exp_f32_e32 v27, v27
	v_cndmask_b32_e64 v23, 0, v23, s15
	v_cmp_nlt_f32_e64 s15, 0x42b17218, v8
	v_mul_f32_e32 v35, 0x3fb8aa3b, v15
	v_add_f32_e32 v25, v25, v48
	v_add_f32_e32 v26, v26, v50
	v_cvt_i32_f32_e32 v47, v47
	v_cvt_i32_f32_e32 v53, v53
	v_ldexp_f32 v43, v28, v55
	v_cndmask_b32_e64 v28, 0x7f800000, v16, s15
	v_cmp_nlt_f32_e64 s15, 0x42b17218, v9
	v_fma_f32 v40, 0x3fb8aa3b, v15, -v35
	v_rndne_f32_e32 v42, v35
	v_exp_f32_e32 v25, v25
	v_exp_f32_e32 v26, v26
	v_ldexp_f32 v24, v24, v47
	v_ldexp_f32 v41, v27, v53
	v_cndmask_b32_e64 v27, 0x7f800000, v17, s15
	v_cmp_ngt_f32_e64 s15, 0xc2ce8ed0, v11
	v_cvt_i32_f32_e32 v49, v49
	v_cvt_i32_f32_e32 v51, v51
	v_fmac_f32_e32 v40, 0x32a5705f, v15
	v_sub_f32_e32 v35, v35, v42
	v_cndmask_b32_e64 v8, 0, v24, s15
	v_cmp_nlt_f32_e64 s15, 0x42b17218, v10
	v_ldexp_f32 v25, v25, v49
	v_mul_f32_e32 v32, 0x3fb8aa3b, v20
	v_add_f32_e32 v35, v35, v40
	v_ldexp_f32 v40, v26, v51
	v_cndmask_b32_e64 v26, 0x7f800000, v23, s15
	v_cmp_ngt_f32_e64 s15, 0xc2ce8ed0, v18
	v_add_f32_e32 v9, v28, v27
	v_fma_f32 v56, 0x3fb8aa3b, v20, -v32
	v_rndne_f32_e32 v57, v32
	v_mul_f32_e32 v33, 0x3fb8aa3b, v14
	v_cndmask_b32_e64 v10, 0, v25, s15
	v_cmp_nlt_f32_e64 s15, 0x42b17218, v11
	v_fmac_f32_e32 v56, 0x32a5705f, v20
	v_sub_f32_e32 v32, v32, v57
	v_fma_f32 v58, 0x3fb8aa3b, v14, -v33
	v_rndne_f32_e32 v59, v33
	v_cndmask_b32_e64 v25, 0x7f800000, v8, s15
	v_cmp_ngt_f32_e64 s15, 0xc2ce8ed0, v12
	v_add_f32_e32 v8, v9, v26
	v_add_f32_e32 v32, v32, v56
	v_mul_f32_e32 v34, 0x3fb8aa3b, v21
	v_fmac_f32_e32 v58, 0x32a5705f, v14
	v_cndmask_b32_e64 v9, 0, v40, s15
	v_cmp_nlt_f32_e64 s15, 0x42b17218, v18
	v_sub_f32_e32 v33, v33, v59
	v_exp_f32_e32 v32, v32
	v_fma_f32 v60, 0x3fb8aa3b, v21, -v34
	v_rndne_f32_e32 v61, v34
	v_cndmask_b32_e64 v24, 0x7f800000, v10, s15
	v_cmp_ngt_f32_e64 s15, 0xc2ce8ed0, v19
	v_add_f32_e32 v33, v33, v58
	v_cvt_i32_f32_e32 v57, v57
	v_fmac_f32_e32 v60, 0x32a5705f, v21
	v_sub_f32_e32 v34, v34, v61
	v_cndmask_b32_e64 v10, 0, v41, s15
	v_cmp_nlt_f32_e64 s15, 0x42b17218, v12
	v_exp_f32_e32 v33, v33
	v_ldexp_f32 v32, v32, v57
	v_cvt_i32_f32_e32 v59, v59
	v_add_f32_e32 v34, v34, v60
	v_cndmask_b32_e64 v23, 0x7f800000, v9, s15
	v_cmp_ngt_f32_e64 s15, 0xc2ce8ed0, v13
	v_mul_f32_e32 v36, 0x3fb8aa3b, v22
	v_cvt_i32_f32_e32 v61, v61
	v_exp_f32_e32 v34, v34
	v_mul_f32_e32 v37, 0x3fb8aa3b, v29
	v_cndmask_b32_e64 v9, 0, v43, s15
	v_cmp_nlt_f32_e64 s15, 0x42b17218, v19
	v_ldexp_f32 v33, v33, v59
	v_fma_f32 v44, 0x3fb8aa3b, v22, -v36
	v_rndne_f32_e32 v46, v36
	v_exp_f32_e32 v35, v35
	v_cndmask_b32_e64 v18, 0x7f800000, v10, s15
	v_cmp_ngt_f32_e64 s15, 0xc2ce8ed0, v20
	v_fmac_f32_e32 v44, 0x32a5705f, v22
	v_sub_f32_e32 v36, v36, v46
	v_ldexp_f32 v34, v34, v61
	v_fma_f32 v48, 0x3fb8aa3b, v29, -v37
	v_cndmask_b32_e64 v10, 0, v32, s15
	v_cmp_nlt_f32_e64 s15, 0x42b17218, v13
	v_rndne_f32_e32 v50, v37
	v_cvt_i32_f32_e32 v42, v42
	v_add_f32_e32 v36, v36, v44
	v_mul_f32_e32 v38, 0x3fb8aa3b, v30
	v_cndmask_b32_e64 v17, 0x7f800000, v9, s15
	v_cmp_ngt_f32_e64 s15, 0xc2ce8ed0, v14
	v_fmac_f32_e32 v48, 0x32a5705f, v29
	v_sub_f32_e32 v37, v37, v50
	v_exp_f32_e32 v36, v36
	v_ldexp_f32 v35, v35, v42
	v_cndmask_b32_e64 v9, 0, v33, s15
	v_cmp_nlt_f32_e64 s15, 0x42b17218, v20
	v_add_f32_e32 v8, v8, v25
	v_fma_f32 v52, 0x3fb8aa3b, v30, -v38
	v_rndne_f32_e32 v54, v38
	v_cvt_i32_f32_e32 v46, v46
	v_cndmask_b32_e64 v16, 0x7f800000, v10, s15
	v_cmp_ngt_f32_e64 s15, 0xc2ce8ed0, v21
	v_add_f32_e32 v37, v37, v48
	v_add_f32_e32 v8, v8, v24
	v_fmac_f32_e32 v52, 0x32a5705f, v30
	v_sub_f32_e32 v38, v38, v54
	v_cndmask_b32_e64 v10, 0, v34, s15
	v_cmp_nlt_f32_e64 s15, 0x42b17218, v14
	v_exp_f32_e32 v37, v37
	v_ldexp_f32 v36, v36, v46
	v_add_f32_e32 v8, v8, v23
	v_mul_f32_e32 v39, 0x3fb8aa3b, v31
	v_cndmask_b32_e64 v14, 0x7f800000, v9, s15
	v_cmp_ngt_f32_e64 s15, 0xc2ce8ed0, v15
	v_cvt_i32_f32_e32 v50, v50
	v_add_f32_e32 v38, v38, v52
	v_add_f32_e32 v8, v8, v18
	v_fma_f32 v56, 0x3fb8aa3b, v31, -v39
	v_cndmask_b32_e64 v9, 0, v35, s15
	v_cmp_nlt_f32_e64 s15, 0x42b17218, v21
	v_rndne_f32_e32 v58, v39
	v_exp_f32_e32 v38, v38
	v_ldexp_f32 v37, v37, v50
	v_add_f32_e32 v8, v8, v17
	v_cndmask_b32_e64 v13, 0x7f800000, v10, s15
	v_cmp_ngt_f32_e64 s15, 0xc2ce8ed0, v22
	v_cvt_i32_f32_e32 v54, v54
	v_fmac_f32_e32 v56, 0x32a5705f, v31
	v_sub_f32_e32 v39, v39, v58
	v_add_f32_e32 v8, v8, v16
	v_cndmask_b32_e64 v10, 0, v36, s15
	v_cmp_nlt_f32_e64 s15, 0x42b17218, v15
	v_ldexp_f32 v38, v38, v54
	v_add_f32_e32 v39, v39, v56
	v_add_f32_e32 v8, v8, v14
	v_cvt_i32_f32_e32 v58, v58
	v_cndmask_b32_e64 v12, 0x7f800000, v9, s15
	v_cmp_ngt_f32_e64 s15, 0xc2ce8ed0, v29
	v_exp_f32_e32 v39, v39
	v_add_f32_e32 v8, v8, v13
	v_cndmask_b32_e64 v9, 0, v37, s15
	v_cmp_nlt_f32_e64 s15, 0x42b17218, v22
	v_add_f32_e32 v8, v8, v12
	v_cndmask_b32_e64 v11, 0x7f800000, v10, s15
	v_cmp_ngt_f32_e64 s15, 0xc2ce8ed0, v30
	v_ldexp_f32 v19, v39, v58
	v_add_f32_e32 v8, v8, v11
	v_cndmask_b32_e64 v15, 0, v38, s15
	v_cmp_nlt_f32_e64 s15, 0x42b17218, v29
	v_cndmask_b32_e64 v10, 0x7f800000, v9, s15
	v_cmp_nlt_f32_e64 s15, 0x42b17218, v30
	v_add_f32_e32 v8, v8, v10
	v_cndmask_b32_e64 v9, 0x7f800000, v15, s15
	v_cmp_ngt_f32_e64 s15, 0xc2ce8ed0, v31
	v_cndmask_b32_e64 v15, 0, v19, s15
	v_cmp_nlt_f32_e64 s15, 0x42b17218, v31
	v_add_f32_e32 v19, v8, v9
	v_cndmask_b32_e64 v8, 0x7f800000, v15, s15
	v_add_f32_e32 v15, v19, v8
	ds_bpermute_b32 v0, v0, v15
	s_waitcnt lgkmcnt(0)
	v_add_f32_e32 v0, v15, v0
	ds_bpermute_b32 v3, v3, v0
	s_waitcnt lgkmcnt(0)
	;; [unrolled: 3-line block ×4, first 2 shown]
	v_add_f32_e32 v0, v0, v3
	ds_bpermute_b32 v3, v7, v0
	v_cmpx_lt_i32_e32 0, v5
	s_cbranch_execz .LBB399_50
; %bb.33:
	s_and_b32 exec_lo, exec_lo, vcc_lo
	s_cbranch_execz .LBB399_50
; %bb.34:
	s_waitcnt lgkmcnt(0)
	v_add_f32_e32 v3, v0, v3
	v_div_scale_f32 v0, null, v3, v3, v28
	v_div_scale_f32 v6, vcc_lo, v28, v3, v28
	v_cmp_eq_f32_e64 s15, 0, v3
	v_rcp_f32_e32 v4, v0
	v_fma_f32 v5, -v0, v4, 1.0
	v_fmac_f32_e32 v4, v5, v4
	v_mul_f32_e32 v5, v6, v4
	v_fma_f32 v7, -v0, v5, v6
	v_fmac_f32_e32 v5, v7, v4
	v_fma_f32 v0, -v0, v5, v6
	v_div_fmas_f32 v0, v0, v4, v5
	v_div_fixup_f32 v4, v0, v3, v28
	v_add_co_u32 v0, vcc_lo, s16, v1
	v_add_co_ci_u32_e64 v1, null, s17, v2, vcc_lo
	v_cndmask_b32_e64 v2, v4, 0x7fc00000, s15
	global_store_dword v[0:1], v2, off
	s_and_b32 exec_lo, exec_lo, s14
	s_cbranch_execz .LBB399_50
; %bb.35:
	v_div_scale_f32 v2, null, v3, v3, v27
	v_rcp_f32_e32 v4, v2
	v_fma_f32 v5, -v2, v4, 1.0
	v_fmac_f32_e32 v4, v5, v4
	v_div_scale_f32 v5, vcc_lo, v27, v3, v27
	v_mul_f32_e32 v6, v5, v4
	v_fma_f32 v7, -v2, v6, v5
	v_fmac_f32_e32 v6, v7, v4
	v_fma_f32 v2, -v2, v6, v5
	v_div_fmas_f32 v2, v2, v4, v6
	v_div_fixup_f32 v2, v2, v3, v27
	v_cndmask_b32_e64 v2, v2, 0x7fc00000, s15
	global_store_dword v[0:1], v2, off offset:128
	s_and_b32 exec_lo, exec_lo, s13
	s_cbranch_execz .LBB399_50
; %bb.36:
	v_div_scale_f32 v2, null, v3, v3, v26
	v_rcp_f32_e32 v4, v2
	v_fma_f32 v5, -v2, v4, 1.0
	v_fmac_f32_e32 v4, v5, v4
	v_div_scale_f32 v5, vcc_lo, v26, v3, v26
	v_mul_f32_e32 v6, v5, v4
	v_fma_f32 v7, -v2, v6, v5
	v_fmac_f32_e32 v6, v7, v4
	v_fma_f32 v2, -v2, v6, v5
	v_div_fmas_f32 v2, v2, v4, v6
	v_div_fixup_f32 v2, v2, v3, v26
	v_cndmask_b32_e64 v2, v2, 0x7fc00000, s15
	global_store_dword v[0:1], v2, off offset:256
	;; [unrolled: 16-line block ×15, first 2 shown]
.LBB399_50:
	s_endpgm
	.section	.rodata,"a",@progbits
	.p2align	6, 0x0
	.amdhsa_kernel _ZN12_GLOBAL__N_120softmax_warp_forwardIfffLi9ELb0ELb0ELi32EEEvPT0_PKT_iiiPKbib
		.amdhsa_group_segment_fixed_size 0
		.amdhsa_private_segment_fixed_size 0
		.amdhsa_kernarg_size 304
		.amdhsa_user_sgpr_count 6
		.amdhsa_user_sgpr_private_segment_buffer 1
		.amdhsa_user_sgpr_dispatch_ptr 0
		.amdhsa_user_sgpr_queue_ptr 0
		.amdhsa_user_sgpr_kernarg_segment_ptr 1
		.amdhsa_user_sgpr_dispatch_id 0
		.amdhsa_user_sgpr_flat_scratch_init 0
		.amdhsa_user_sgpr_private_segment_size 0
		.amdhsa_wavefront_size32 1
		.amdhsa_uses_dynamic_stack 0
		.amdhsa_system_sgpr_private_segment_wavefront_offset 0
		.amdhsa_system_sgpr_workgroup_id_x 1
		.amdhsa_system_sgpr_workgroup_id_y 0
		.amdhsa_system_sgpr_workgroup_id_z 0
		.amdhsa_system_sgpr_workgroup_info 0
		.amdhsa_system_vgpr_workitem_id 1
		.amdhsa_next_free_vgpr 62
		.amdhsa_next_free_sgpr 24
		.amdhsa_reserve_vcc 1
		.amdhsa_reserve_flat_scratch 0
		.amdhsa_float_round_mode_32 0
		.amdhsa_float_round_mode_16_64 0
		.amdhsa_float_denorm_mode_32 3
		.amdhsa_float_denorm_mode_16_64 3
		.amdhsa_dx10_clamp 1
		.amdhsa_ieee_mode 1
		.amdhsa_fp16_overflow 0
		.amdhsa_workgroup_processor_mode 1
		.amdhsa_memory_ordered 1
		.amdhsa_forward_progress 1
		.amdhsa_shared_vgpr_count 0
		.amdhsa_exception_fp_ieee_invalid_op 0
		.amdhsa_exception_fp_denorm_src 0
		.amdhsa_exception_fp_ieee_div_zero 0
		.amdhsa_exception_fp_ieee_overflow 0
		.amdhsa_exception_fp_ieee_underflow 0
		.amdhsa_exception_fp_ieee_inexact 0
		.amdhsa_exception_int_div_zero 0
	.end_amdhsa_kernel
	.section	.text._ZN12_GLOBAL__N_120softmax_warp_forwardIfffLi9ELb0ELb0ELi32EEEvPT0_PKT_iiiPKbib,"axG",@progbits,_ZN12_GLOBAL__N_120softmax_warp_forwardIfffLi9ELb0ELb0ELi32EEEvPT0_PKT_iiiPKbib,comdat
.Lfunc_end399:
	.size	_ZN12_GLOBAL__N_120softmax_warp_forwardIfffLi9ELb0ELb0ELi32EEEvPT0_PKT_iiiPKbib, .Lfunc_end399-_ZN12_GLOBAL__N_120softmax_warp_forwardIfffLi9ELb0ELb0ELi32EEEvPT0_PKT_iiiPKbib
                                        ; -- End function
	.set _ZN12_GLOBAL__N_120softmax_warp_forwardIfffLi9ELb0ELb0ELi32EEEvPT0_PKT_iiiPKbib.num_vgpr, 62
	.set _ZN12_GLOBAL__N_120softmax_warp_forwardIfffLi9ELb0ELb0ELi32EEEvPT0_PKT_iiiPKbib.num_agpr, 0
	.set _ZN12_GLOBAL__N_120softmax_warp_forwardIfffLi9ELb0ELb0ELi32EEEvPT0_PKT_iiiPKbib.numbered_sgpr, 24
	.set _ZN12_GLOBAL__N_120softmax_warp_forwardIfffLi9ELb0ELb0ELi32EEEvPT0_PKT_iiiPKbib.num_named_barrier, 0
	.set _ZN12_GLOBAL__N_120softmax_warp_forwardIfffLi9ELb0ELb0ELi32EEEvPT0_PKT_iiiPKbib.private_seg_size, 0
	.set _ZN12_GLOBAL__N_120softmax_warp_forwardIfffLi9ELb0ELb0ELi32EEEvPT0_PKT_iiiPKbib.uses_vcc, 1
	.set _ZN12_GLOBAL__N_120softmax_warp_forwardIfffLi9ELb0ELb0ELi32EEEvPT0_PKT_iiiPKbib.uses_flat_scratch, 0
	.set _ZN12_GLOBAL__N_120softmax_warp_forwardIfffLi9ELb0ELb0ELi32EEEvPT0_PKT_iiiPKbib.has_dyn_sized_stack, 0
	.set _ZN12_GLOBAL__N_120softmax_warp_forwardIfffLi9ELb0ELb0ELi32EEEvPT0_PKT_iiiPKbib.has_recursion, 0
	.set _ZN12_GLOBAL__N_120softmax_warp_forwardIfffLi9ELb0ELb0ELi32EEEvPT0_PKT_iiiPKbib.has_indirect_call, 0
	.section	.AMDGPU.csdata,"",@progbits
; Kernel info:
; codeLenInByte = 4788
; TotalNumSgprs: 26
; NumVgprs: 62
; ScratchSize: 0
; MemoryBound: 0
; FloatMode: 240
; IeeeMode: 1
; LDSByteSize: 0 bytes/workgroup (compile time only)
; SGPRBlocks: 0
; VGPRBlocks: 7
; NumSGPRsForWavesPerEU: 26
; NumVGPRsForWavesPerEU: 62
; Occupancy: 16
; WaveLimiterHint : 0
; COMPUTE_PGM_RSRC2:SCRATCH_EN: 0
; COMPUTE_PGM_RSRC2:USER_SGPR: 6
; COMPUTE_PGM_RSRC2:TRAP_HANDLER: 0
; COMPUTE_PGM_RSRC2:TGID_X_EN: 1
; COMPUTE_PGM_RSRC2:TGID_Y_EN: 0
; COMPUTE_PGM_RSRC2:TGID_Z_EN: 0
; COMPUTE_PGM_RSRC2:TIDIG_COMP_CNT: 1
	.section	.text._ZN12_GLOBAL__N_120softmax_warp_forwardIfffLi10ELb0ELb0ELi64EEEvPT0_PKT_iiiPKbib,"axG",@progbits,_ZN12_GLOBAL__N_120softmax_warp_forwardIfffLi10ELb0ELb0ELi64EEEvPT0_PKT_iiiPKbib,comdat
	.globl	_ZN12_GLOBAL__N_120softmax_warp_forwardIfffLi10ELb0ELb0ELi64EEEvPT0_PKT_iiiPKbib ; -- Begin function _ZN12_GLOBAL__N_120softmax_warp_forwardIfffLi10ELb0ELb0ELi64EEEvPT0_PKT_iiiPKbib
	.p2align	8
	.type	_ZN12_GLOBAL__N_120softmax_warp_forwardIfffLi10ELb0ELb0ELi64EEEvPT0_PKT_iiiPKbib,@function
_ZN12_GLOBAL__N_120softmax_warp_forwardIfffLi10ELb0ELb0ELi64EEEvPT0_PKT_iiiPKbib: ; @_ZN12_GLOBAL__N_120softmax_warp_forwardIfffLi10ELb0ELb0ELi64EEEvPT0_PKT_iiiPKbib
; %bb.0:
	s_clause 0x1
	s_load_dword s0, s[4:5], 0x3c
	s_load_dwordx8 s[16:23], s[4:5], 0x0
	v_mov_b32_e32 v9, 0xff800000
	v_mov_b32_e32 v10, 0xff800000
	s_waitcnt lgkmcnt(0)
	s_lshr_b32 s0, s0, 16
	v_cmp_gt_i32_e32 vcc_lo, s22, v0
	v_mad_u64_u32 v[1:2], null, s6, s0, v[1:2]
	v_mad_u64_u32 v[2:3], null, v1, s21, v[0:1]
	v_sub_nc_u32_e32 v5, s20, v1
	v_cmp_lt_i32_e64 s15, 0, v5
	v_ashrrev_i32_e32 v3, 31, v2
	s_and_b32 s1, s15, vcc_lo
	v_lshlrev_b64 v[1:2], 2, v[2:3]
	v_add_co_u32 v3, s0, s18, v1
	v_add_co_ci_u32_e64 v4, null, s19, v2, s0
	s_and_saveexec_b32 s0, s1
	s_cbranch_execz .LBB400_2
; %bb.1:
	global_load_dword v10, v[3:4], off
.LBB400_2:
	s_or_b32 exec_lo, exec_lo, s0
	v_add_nc_u32_e32 v6, 64, v0
	v_cmp_gt_i32_e64 s14, s22, v6
	s_and_b32 s1, s15, s14
	s_and_saveexec_b32 s0, s1
	s_cbranch_execz .LBB400_4
; %bb.3:
	global_load_dword v9, v[3:4], off offset:256
.LBB400_4:
	s_or_b32 exec_lo, exec_lo, s0
	v_add_nc_u32_e32 v6, 0x80, v0
	v_mov_b32_e32 v11, 0xff800000
	v_mov_b32_e32 v16, 0xff800000
	v_cmp_gt_i32_e64 s13, s22, v6
	s_and_b32 s1, s15, s13
	s_and_saveexec_b32 s0, s1
	s_cbranch_execz .LBB400_6
; %bb.5:
	global_load_dword v16, v[3:4], off offset:512
.LBB400_6:
	s_or_b32 exec_lo, exec_lo, s0
	v_add_nc_u32_e32 v6, 0xc0, v0
	v_cmp_gt_i32_e64 s12, s22, v6
	s_and_b32 s1, s15, s12
	s_and_saveexec_b32 s0, s1
	s_cbranch_execz .LBB400_8
; %bb.7:
	global_load_dword v11, v[3:4], off offset:768
.LBB400_8:
	s_or_b32 exec_lo, exec_lo, s0
	v_add_nc_u32_e32 v6, 0x100, v0
	v_mov_b32_e32 v12, 0xff800000
	v_mov_b32_e32 v17, 0xff800000
	v_cmp_gt_i32_e64 s11, s22, v6
	s_and_b32 s1, s15, s11
	s_and_saveexec_b32 s0, s1
	s_cbranch_execz .LBB400_10
; %bb.9:
	global_load_dword v17, v[3:4], off offset:1024
.LBB400_10:
	s_or_b32 exec_lo, exec_lo, s0
	v_add_nc_u32_e32 v6, 0x140, v0
	v_cmp_gt_i32_e64 s10, s22, v6
	s_and_b32 s1, s15, s10
	s_and_saveexec_b32 s0, s1
	s_cbranch_execz .LBB400_12
; %bb.11:
	global_load_dword v12, v[3:4], off offset:1280
.LBB400_12:
	s_or_b32 exec_lo, exec_lo, s0
	v_add_nc_u32_e32 v6, 0x180, v0
	v_mov_b32_e32 v13, 0xff800000
	v_mov_b32_e32 v18, 0xff800000
	v_cmp_gt_i32_e64 s9, s22, v6
	s_and_b32 s1, s15, s9
	s_and_saveexec_b32 s0, s1
	s_cbranch_execz .LBB400_14
; %bb.13:
	global_load_dword v18, v[3:4], off offset:1536
.LBB400_14:
	s_or_b32 exec_lo, exec_lo, s0
	v_add_nc_u32_e32 v6, 0x1c0, v0
	v_cmp_gt_i32_e64 s8, s22, v6
	s_and_b32 s1, s15, s8
	s_and_saveexec_b32 s0, s1
	s_cbranch_execz .LBB400_16
; %bb.15:
	global_load_dword v13, v[3:4], off offset:1792
.LBB400_16:
	s_or_b32 exec_lo, exec_lo, s0
	v_add_nc_u32_e32 v6, 0x200, v0
	v_mov_b32_e32 v14, 0xff800000
	v_mov_b32_e32 v20, 0xff800000
	v_cmp_gt_i32_e64 s7, s22, v6
	s_and_b32 s0, s15, s7
	s_and_saveexec_b32 s1, s0
	s_cbranch_execz .LBB400_18
; %bb.17:
	v_add_co_u32 v6, s0, 0x800, v3
	v_add_co_ci_u32_e64 v7, null, 0, v4, s0
	global_load_dword v20, v[6:7], off
.LBB400_18:
	s_or_b32 exec_lo, exec_lo, s1
	v_add_nc_u32_e32 v6, 0x240, v0
	v_cmp_gt_i32_e64 s6, s22, v6
	s_and_b32 s0, s15, s6
	s_and_saveexec_b32 s1, s0
	s_cbranch_execz .LBB400_20
; %bb.19:
	v_add_co_u32 v6, s0, 0x800, v3
	v_add_co_ci_u32_e64 v7, null, 0, v4, s0
	global_load_dword v14, v[6:7], off offset:256
.LBB400_20:
	s_or_b32 exec_lo, exec_lo, s1
	v_add_nc_u32_e32 v6, 0x280, v0
	v_mov_b32_e32 v15, 0xff800000
	v_mov_b32_e32 v22, 0xff800000
	v_cmp_gt_i32_e64 s5, s22, v6
	s_and_b32 s0, s15, s5
	s_and_saveexec_b32 s1, s0
	s_cbranch_execz .LBB400_22
; %bb.21:
	v_add_co_u32 v6, s0, 0x800, v3
	v_add_co_ci_u32_e64 v7, null, 0, v4, s0
	global_load_dword v22, v[6:7], off offset:512
.LBB400_22:
	s_or_b32 exec_lo, exec_lo, s1
	v_add_nc_u32_e32 v6, 0x2c0, v0
	v_cmp_gt_i32_e64 s4, s22, v6
	s_and_b32 s0, s15, s4
	s_and_saveexec_b32 s1, s0
	s_cbranch_execz .LBB400_24
; %bb.23:
	v_add_co_u32 v6, s0, 0x800, v3
	v_add_co_ci_u32_e64 v7, null, 0, v4, s0
	global_load_dword v15, v[6:7], off offset:768
.LBB400_24:
	s_or_b32 exec_lo, exec_lo, s1
	v_add_nc_u32_e32 v6, 0x300, v0
	v_mov_b32_e32 v19, 0xff800000
	v_mov_b32_e32 v23, 0xff800000
	v_cmp_gt_i32_e64 s3, s22, v6
	s_and_b32 s0, s15, s3
	s_and_saveexec_b32 s1, s0
	s_cbranch_execz .LBB400_26
; %bb.25:
	v_add_co_u32 v6, s0, 0x800, v3
	v_add_co_ci_u32_e64 v7, null, 0, v4, s0
	global_load_dword v23, v[6:7], off offset:1024
.LBB400_26:
	;; [unrolled: 24-line block ×3, first 2 shown]
	s_or_b32 exec_lo, exec_lo, s18
	v_add_nc_u32_e32 v0, 0x3c0, v0
	v_cmp_gt_i32_e64 s0, s22, v0
	s_and_b32 s15, s15, s0
	s_and_saveexec_b32 s18, s15
	s_cbranch_execz .LBB400_32
; %bb.31:
	v_add_co_u32 v3, s15, 0x800, v3
	v_add_co_ci_u32_e64 v4, null, 0, v4, s15
	global_load_dword v21, v[3:4], off offset:1792
.LBB400_32:
	s_or_b32 exec_lo, exec_lo, s18
	s_waitcnt vmcnt(0)
	v_cmp_gt_f32_e64 s15, v10, v9
	v_mbcnt_lo_u32_b32 v8, -1, 0
	s_mov_b32 s18, exec_lo
	v_cndmask_b32_e64 v0, v9, v10, s15
	v_or_b32_e32 v3, 32, v8
	v_xor_b32_e32 v27, 1, v8
	v_cmp_gt_f32_e64 s15, v0, v16
	v_cndmask_b32_e64 v0, v16, v0, s15
	v_cmp_gt_f32_e64 s15, v0, v11
	v_cndmask_b32_e64 v0, v11, v0, s15
	;; [unrolled: 2-line block ×12, first 2 shown]
	v_cmp_gt_i32_e64 s15, 64, v3
	v_cndmask_b32_e64 v3, v8, v3, s15
	v_cmp_gt_f32_e64 s15, v0, v24
	v_cndmask_b32_e64 v4, v24, v0, s15
	v_lshlrev_b32_e32 v0, 2, v3
	v_xor_b32_e32 v3, 16, v8
	v_cmp_gt_f32_e64 s15, v4, v21
	v_cndmask_b32_e64 v4, v21, v4, s15
	v_cmp_gt_i32_e64 s15, 64, v3
	ds_bpermute_b32 v6, v0, v4
	v_cndmask_b32_e64 v3, v8, v3, s15
	v_lshlrev_b32_e32 v3, 2, v3
	s_waitcnt lgkmcnt(0)
	v_cmp_lt_f32_e64 s15, v4, v6
	v_cndmask_b32_e64 v6, v4, v6, s15
	v_xor_b32_e32 v4, 8, v8
	ds_bpermute_b32 v7, v3, v6
	v_cmp_gt_i32_e64 s15, 64, v4
	v_cndmask_b32_e64 v4, v8, v4, s15
	v_lshlrev_b32_e32 v4, 2, v4
	s_waitcnt lgkmcnt(0)
	v_cmp_lt_f32_e64 s15, v6, v7
	v_cndmask_b32_e64 v7, v6, v7, s15
	v_xor_b32_e32 v6, 4, v8
	ds_bpermute_b32 v25, v4, v7
	v_cmp_gt_i32_e64 s15, 64, v6
	;; [unrolled: 8-line block ×3, first 2 shown]
	v_cndmask_b32_e64 v7, v8, v7, s15
	v_lshlrev_b32_e32 v7, 2, v7
	s_waitcnt lgkmcnt(0)
	v_cmp_lt_f32_e64 s15, v25, v26
	v_cndmask_b32_e64 v25, v25, v26, s15
	v_cmp_gt_i32_e64 s15, 64, v27
	ds_bpermute_b32 v26, v7, v25
	v_cndmask_b32_e64 v8, v8, v27, s15
	v_lshlrev_b32_e32 v8, 2, v8
	s_waitcnt lgkmcnt(0)
	v_cmp_lt_f32_e64 s15, v25, v26
	v_cndmask_b32_e64 v25, v25, v26, s15
	ds_bpermute_b32 v26, v8, v25
	s_waitcnt lgkmcnt(0)
	v_cmp_lt_f32_e64 s15, v25, v26
	v_cndmask_b32_e64 v26, v25, v26, s15
	v_sub_f32_e32 v10, v10, v26
	v_sub_f32_e32 v9, v9, v26
	;; [unrolled: 1-line block ×5, first 2 shown]
	v_mul_f32_e32 v15, 0x3fb8aa3b, v10
	v_mul_f32_e32 v19, 0x3fb8aa3b, v9
	v_sub_f32_e32 v31, v21, v26
	v_mul_f32_e32 v21, 0x3fb8aa3b, v16
	v_sub_f32_e32 v18, v18, v26
	v_fma_f32 v41, 0x3fb8aa3b, v10, -v15
	v_rndne_f32_e32 v42, v15
	v_fma_f32 v43, 0x3fb8aa3b, v9, -v19
	v_rndne_f32_e32 v44, v19
	v_fma_f32 v45, 0x3fb8aa3b, v16, -v21
	v_fmac_f32_e32 v41, 0x32a5705f, v10
	v_sub_f32_e32 v15, v15, v42
	v_rndne_f32_e32 v46, v21
	v_fmac_f32_e32 v43, 0x32a5705f, v9
	v_sub_f32_e32 v19, v19, v44
	v_sub_f32_e32 v11, v11, v26
	v_add_f32_e32 v15, v15, v41
	v_sub_f32_e32 v12, v12, v26
	v_mul_f32_e32 v28, 0x3fb8aa3b, v18
	v_add_f32_e32 v19, v19, v43
	v_fmac_f32_e32 v45, 0x32a5705f, v16
	v_sub_f32_e32 v21, v21, v46
	v_exp_f32_e32 v15, v15
	v_sub_f32_e32 v30, v24, v26
	v_mul_f32_e32 v24, 0x3fb8aa3b, v11
	v_mul_f32_e32 v27, 0x3fb8aa3b, v12
	v_fma_f32 v53, 0x3fb8aa3b, v18, -v28
	v_rndne_f32_e32 v54, v28
	v_add_f32_e32 v21, v21, v45
	v_cvt_i32_f32_e32 v42, v42
	v_exp_f32_e32 v19, v19
	v_sub_f32_e32 v17, v17, v26
	v_fma_f32 v47, 0x3fb8aa3b, v11, -v24
	v_rndne_f32_e32 v48, v24
	v_fma_f32 v51, 0x3fb8aa3b, v12, -v27
	v_rndne_f32_e32 v52, v27
	v_fmac_f32_e32 v53, 0x32a5705f, v18
	v_sub_f32_e32 v28, v28, v54
	v_cvt_i32_f32_e32 v44, v44
	v_exp_f32_e32 v21, v21
	v_ldexp_f32 v15, v15, v42
	v_cmp_ngt_f32_e64 s15, 0xc2ce8ed0, v10
	v_sub_f32_e32 v13, v13, v26
	v_sub_f32_e32 v20, v20, v26
	v_sub_f32_e32 v14, v14, v26
	v_sub_f32_e32 v22, v22, v26
	v_sub_f32_e32 v23, v23, v26
	v_mul_f32_e32 v26, 0x3fb8aa3b, v17
	v_fmac_f32_e32 v47, 0x32a5705f, v11
	v_sub_f32_e32 v24, v24, v48
	v_fmac_f32_e32 v51, 0x32a5705f, v12
	v_sub_f32_e32 v27, v27, v52
	v_add_f32_e32 v28, v28, v53
	v_cvt_i32_f32_e32 v46, v46
	v_ldexp_f32 v19, v19, v44
	v_cndmask_b32_e64 v15, 0, v15, s15
	v_cmp_ngt_f32_e64 s15, 0xc2ce8ed0, v9
	v_mul_f32_e32 v36, 0x3fb8aa3b, v25
	v_fma_f32 v49, 0x3fb8aa3b, v17, -v26
	v_rndne_f32_e32 v50, v26
	v_add_f32_e32 v24, v24, v47
	v_add_f32_e32 v27, v27, v51
	v_exp_f32_e32 v28, v28
	v_ldexp_f32 v21, v21, v46
	v_cndmask_b32_e64 v19, 0, v19, s15
	v_cmp_ngt_f32_e64 s15, 0xc2ce8ed0, v16
	v_fma_f32 v43, 0x3fb8aa3b, v25, -v36
	v_fmac_f32_e32 v49, 0x32a5705f, v17
	v_sub_f32_e32 v26, v26, v50
	v_rndne_f32_e32 v45, v36
	v_cvt_i32_f32_e32 v54, v54
	v_exp_f32_e32 v24, v24
	v_exp_f32_e32 v27, v27
	v_cndmask_b32_e64 v21, 0, v21, s15
	v_cmp_nlt_f32_e64 s15, 0x42b17218, v10
	v_add_f32_e32 v26, v26, v49
	v_cvt_i32_f32_e32 v48, v48
	v_cvt_i32_f32_e32 v52, v52
	v_fmac_f32_e32 v43, 0x32a5705f, v25
	v_sub_f32_e32 v36, v36, v45
	v_ldexp_f32 v44, v28, v54
	v_cndmask_b32_e64 v28, 0x7f800000, v15, s15
	v_cmp_nlt_f32_e64 s15, 0x42b17218, v9
	v_exp_f32_e32 v26, v26
	v_add_f32_e32 v36, v36, v43
	v_ldexp_f32 v24, v24, v48
	v_ldexp_f32 v43, v27, v52
	v_cndmask_b32_e64 v27, 0x7f800000, v19, s15
	v_cmp_ngt_f32_e64 s15, 0xc2ce8ed0, v11
	v_cvt_i32_f32_e32 v50, v50
	v_mul_f32_e32 v32, 0x3fb8aa3b, v13
	v_mul_f32_e32 v33, 0x3fb8aa3b, v20
	v_add_f32_e32 v10, v28, v27
	v_cndmask_b32_e64 v9, 0, v24, s15
	v_cmp_nlt_f32_e64 s15, 0x42b17218, v16
	v_ldexp_f32 v42, v26, v50
	v_fma_f32 v55, 0x3fb8aa3b, v13, -v32
	v_rndne_f32_e32 v56, v32
	v_fma_f32 v57, 0x3fb8aa3b, v20, -v33
	v_cndmask_b32_e64 v26, 0x7f800000, v21, s15
	v_cmp_ngt_f32_e64 s15, 0xc2ce8ed0, v17
	v_fmac_f32_e32 v55, 0x32a5705f, v13
	v_sub_f32_e32 v32, v32, v56
	v_rndne_f32_e32 v58, v33
	v_mul_f32_e32 v34, 0x3fb8aa3b, v14
	v_cndmask_b32_e64 v15, 0, v42, s15
	v_cmp_nlt_f32_e64 s15, 0x42b17218, v11
	v_add_f32_e32 v32, v32, v55
	v_fmac_f32_e32 v57, 0x32a5705f, v20
	v_sub_f32_e32 v33, v33, v58
	v_fma_f32 v59, 0x3fb8aa3b, v14, -v34
	v_cndmask_b32_e64 v24, 0x7f800000, v9, s15
	v_cmp_ngt_f32_e64 s15, 0xc2ce8ed0, v12
	v_add_f32_e32 v9, v10, v26
	v_exp_f32_e32 v32, v32
	v_rndne_f32_e32 v60, v34
	v_add_f32_e32 v33, v33, v57
	v_cndmask_b32_e64 v10, 0, v43, s15
	v_cmp_nlt_f32_e64 s15, 0x42b17218, v17
	v_cvt_i32_f32_e32 v56, v56
	v_mul_f32_e32 v35, 0x3fb8aa3b, v22
	v_fmac_f32_e32 v59, 0x32a5705f, v14
	v_sub_f32_e32 v34, v34, v60
	v_cndmask_b32_e64 v21, 0x7f800000, v15, s15
	v_cmp_ngt_f32_e64 s15, 0xc2ce8ed0, v18
	v_exp_f32_e32 v33, v33
	v_ldexp_f32 v32, v32, v56
	v_fma_f32 v61, 0x3fb8aa3b, v22, -v35
	v_rndne_f32_e32 v41, v35
	v_cndmask_b32_e64 v11, 0, v44, s15
	v_cmp_nlt_f32_e64 s15, 0x42b17218, v12
	v_add_f32_e32 v34, v34, v59
	v_cvt_i32_f32_e32 v58, v58
	v_fmac_f32_e32 v61, 0x32a5705f, v22
	v_sub_f32_e32 v35, v35, v41
	v_cndmask_b32_e64 v19, 0x7f800000, v10, s15
	v_cmp_ngt_f32_e64 s15, 0xc2ce8ed0, v13
	v_exp_f32_e32 v34, v34
	v_ldexp_f32 v33, v33, v58
	v_add_f32_e32 v35, v35, v61
	v_cvt_i32_f32_e32 v60, v60
	v_cndmask_b32_e64 v10, 0, v32, s15
	v_cmp_nlt_f32_e64 s15, 0x42b17218, v18
	v_mul_f32_e32 v37, 0x3fb8aa3b, v23
	v_exp_f32_e32 v35, v35
	v_cvt_i32_f32_e32 v41, v41
	v_mul_f32_e32 v38, 0x3fb8aa3b, v29
	v_cndmask_b32_e64 v18, 0x7f800000, v11, s15
	v_cmp_ngt_f32_e64 s15, 0xc2ce8ed0, v20
	v_ldexp_f32 v34, v34, v60
	v_fma_f32 v47, 0x3fb8aa3b, v23, -v37
	v_rndne_f32_e32 v49, v37
	v_exp_f32_e32 v36, v36
	v_cndmask_b32_e64 v11, 0, v33, s15
	v_cmp_nlt_f32_e64 s15, 0x42b17218, v13
	v_fmac_f32_e32 v47, 0x32a5705f, v23
	v_sub_f32_e32 v37, v37, v49
	v_ldexp_f32 v35, v35, v41
	v_fma_f32 v51, 0x3fb8aa3b, v29, -v38
	v_cndmask_b32_e64 v17, 0x7f800000, v10, s15
	v_cmp_ngt_f32_e64 s15, 0xc2ce8ed0, v14
	v_rndne_f32_e32 v53, v38
	v_cvt_i32_f32_e32 v45, v45
	v_add_f32_e32 v37, v37, v47
	v_mul_f32_e32 v39, 0x3fb8aa3b, v30
	v_cndmask_b32_e64 v10, 0, v34, s15
	v_cmp_nlt_f32_e64 s15, 0x42b17218, v20
	v_fmac_f32_e32 v51, 0x32a5705f, v29
	v_sub_f32_e32 v38, v38, v53
	v_exp_f32_e32 v37, v37
	v_ldexp_f32 v36, v36, v45
	v_cndmask_b32_e64 v16, 0x7f800000, v11, s15
	v_cmp_ngt_f32_e64 s15, 0xc2ce8ed0, v22
	v_add_f32_e32 v9, v9, v24
	v_fma_f32 v55, 0x3fb8aa3b, v30, -v39
	v_rndne_f32_e32 v57, v39
	v_cvt_i32_f32_e32 v49, v49
	v_cndmask_b32_e64 v11, 0, v35, s15
	v_cmp_nlt_f32_e64 s15, 0x42b17218, v14
	v_add_f32_e32 v38, v38, v51
	v_add_f32_e32 v9, v9, v21
	v_fmac_f32_e32 v55, 0x32a5705f, v30
	v_sub_f32_e32 v39, v39, v57
	v_cndmask_b32_e64 v15, 0x7f800000, v10, s15
	v_cmp_ngt_f32_e64 s15, 0xc2ce8ed0, v25
	v_exp_f32_e32 v38, v38
	v_ldexp_f32 v37, v37, v49
	v_add_f32_e32 v9, v9, v19
	v_mul_f32_e32 v40, 0x3fb8aa3b, v31
	v_cndmask_b32_e64 v10, 0, v36, s15
	v_cmp_nlt_f32_e64 s15, 0x42b17218, v22
	v_cvt_i32_f32_e32 v53, v53
	v_add_f32_e32 v39, v39, v55
	v_add_f32_e32 v9, v9, v18
	v_fma_f32 v59, 0x3fb8aa3b, v31, -v40
	v_cndmask_b32_e64 v14, 0x7f800000, v11, s15
	v_cmp_ngt_f32_e64 s15, 0xc2ce8ed0, v23
	v_rndne_f32_e32 v61, v40
	v_exp_f32_e32 v39, v39
	v_ldexp_f32 v38, v38, v53
	v_add_f32_e32 v9, v9, v17
	v_cndmask_b32_e64 v11, 0, v37, s15
	v_cmp_nlt_f32_e64 s15, 0x42b17218, v25
	v_cvt_i32_f32_e32 v57, v57
	v_fmac_f32_e32 v59, 0x32a5705f, v31
	v_sub_f32_e32 v40, v40, v61
	v_add_f32_e32 v9, v9, v16
	v_cndmask_b32_e64 v13, 0x7f800000, v10, s15
	v_cmp_ngt_f32_e64 s15, 0xc2ce8ed0, v29
	v_ldexp_f32 v39, v39, v57
	v_add_f32_e32 v40, v40, v59
	v_add_f32_e32 v9, v9, v15
	v_cvt_i32_f32_e32 v61, v61
	v_cndmask_b32_e64 v10, 0, v38, s15
	v_cmp_nlt_f32_e64 s15, 0x42b17218, v23
	v_exp_f32_e32 v40, v40
	v_add_f32_e32 v9, v9, v14
	v_cndmask_b32_e64 v12, 0x7f800000, v11, s15
	v_cmp_ngt_f32_e64 s15, 0xc2ce8ed0, v30
	v_add_f32_e32 v9, v9, v13
	v_cndmask_b32_e64 v20, 0, v39, s15
	v_cmp_nlt_f32_e64 s15, 0x42b17218, v29
	v_add_f32_e32 v9, v9, v12
	v_ldexp_f32 v22, v40, v61
	v_cndmask_b32_e64 v11, 0x7f800000, v10, s15
	v_cmp_nlt_f32_e64 s15, 0x42b17218, v30
	v_add_f32_e32 v9, v9, v11
	v_cndmask_b32_e64 v10, 0x7f800000, v20, s15
	v_cmp_ngt_f32_e64 s15, 0xc2ce8ed0, v31
	v_cndmask_b32_e64 v20, 0, v22, s15
	v_cmp_nlt_f32_e64 s15, 0x42b17218, v31
	v_add_f32_e32 v22, v9, v10
	v_cndmask_b32_e64 v9, 0x7f800000, v20, s15
	v_add_f32_e32 v20, v22, v9
	ds_bpermute_b32 v0, v0, v20
	s_waitcnt lgkmcnt(0)
	v_add_f32_e32 v0, v20, v0
	ds_bpermute_b32 v3, v3, v0
	s_waitcnt lgkmcnt(0)
	;; [unrolled: 3-line block ×5, first 2 shown]
	v_add_f32_e32 v0, v0, v3
	ds_bpermute_b32 v3, v8, v0
	v_cmpx_lt_i32_e32 0, v5
	s_cbranch_execz .LBB400_50
; %bb.33:
	s_and_b32 exec_lo, exec_lo, vcc_lo
	s_cbranch_execz .LBB400_50
; %bb.34:
	s_waitcnt lgkmcnt(0)
	v_add_f32_e32 v3, v0, v3
	v_div_scale_f32 v0, null, v3, v3, v28
	v_div_scale_f32 v6, vcc_lo, v28, v3, v28
	v_cmp_eq_f32_e64 s15, 0, v3
	v_rcp_f32_e32 v4, v0
	v_fma_f32 v5, -v0, v4, 1.0
	v_fmac_f32_e32 v4, v5, v4
	v_mul_f32_e32 v5, v6, v4
	v_fma_f32 v7, -v0, v5, v6
	v_fmac_f32_e32 v5, v7, v4
	v_fma_f32 v0, -v0, v5, v6
	v_div_fmas_f32 v0, v0, v4, v5
	v_div_fixup_f32 v4, v0, v3, v28
	v_add_co_u32 v0, vcc_lo, s16, v1
	v_add_co_ci_u32_e64 v1, null, s17, v2, vcc_lo
	v_cndmask_b32_e64 v2, v4, 0x7fc00000, s15
	global_store_dword v[0:1], v2, off
	s_and_b32 exec_lo, exec_lo, s14
	s_cbranch_execz .LBB400_50
; %bb.35:
	v_div_scale_f32 v2, null, v3, v3, v27
	v_rcp_f32_e32 v4, v2
	v_fma_f32 v5, -v2, v4, 1.0
	v_fmac_f32_e32 v4, v5, v4
	v_div_scale_f32 v5, vcc_lo, v27, v3, v27
	v_mul_f32_e32 v6, v5, v4
	v_fma_f32 v7, -v2, v6, v5
	v_fmac_f32_e32 v6, v7, v4
	v_fma_f32 v2, -v2, v6, v5
	v_div_fmas_f32 v2, v2, v4, v6
	v_div_fixup_f32 v2, v2, v3, v27
	v_cndmask_b32_e64 v2, v2, 0x7fc00000, s15
	global_store_dword v[0:1], v2, off offset:256
	s_and_b32 exec_lo, exec_lo, s13
	s_cbranch_execz .LBB400_50
; %bb.36:
	v_div_scale_f32 v2, null, v3, v3, v26
	v_rcp_f32_e32 v4, v2
	v_fma_f32 v5, -v2, v4, 1.0
	v_fmac_f32_e32 v4, v5, v4
	v_div_scale_f32 v5, vcc_lo, v26, v3, v26
	v_mul_f32_e32 v6, v5, v4
	v_fma_f32 v7, -v2, v6, v5
	v_fmac_f32_e32 v6, v7, v4
	v_fma_f32 v2, -v2, v6, v5
	v_div_fmas_f32 v2, v2, v4, v6
	v_div_fixup_f32 v2, v2, v3, v26
	v_cndmask_b32_e64 v2, v2, 0x7fc00000, s15
	global_store_dword v[0:1], v2, off offset:512
	;; [unrolled: 16-line block ×7, first 2 shown]
	s_and_b32 exec_lo, exec_lo, s7
	s_cbranch_execz .LBB400_50
; %bb.42:
	v_div_scale_f32 v2, null, v3, v3, v16
	v_div_scale_f32 v6, vcc_lo, v16, v3, v16
	v_rcp_f32_e32 v4, v2
	v_fma_f32 v5, -v2, v4, 1.0
	v_fmac_f32_e32 v4, v5, v4
	v_mul_f32_e32 v5, v6, v4
	v_fma_f32 v7, -v2, v5, v6
	v_fmac_f32_e32 v5, v7, v4
	v_fma_f32 v2, -v2, v5, v6
	v_div_fmas_f32 v2, v2, v4, v5
	v_add_co_u32 v0, vcc_lo, 0x800, v0
	v_add_co_ci_u32_e64 v1, null, 0, v1, vcc_lo
	v_div_fixup_f32 v2, v2, v3, v16
	v_cndmask_b32_e64 v2, v2, 0x7fc00000, s15
	global_store_dword v[0:1], v2, off
	s_and_b32 exec_lo, exec_lo, s6
	s_cbranch_execz .LBB400_50
; %bb.43:
	v_div_scale_f32 v2, null, v3, v3, v15
	v_rcp_f32_e32 v4, v2
	v_fma_f32 v5, -v2, v4, 1.0
	v_fmac_f32_e32 v4, v5, v4
	v_div_scale_f32 v5, vcc_lo, v15, v3, v15
	v_mul_f32_e32 v6, v5, v4
	v_fma_f32 v7, -v2, v6, v5
	v_fmac_f32_e32 v6, v7, v4
	v_fma_f32 v2, -v2, v6, v5
	v_div_fmas_f32 v2, v2, v4, v6
	v_div_fixup_f32 v2, v2, v3, v15
	v_cndmask_b32_e64 v2, v2, 0x7fc00000, s15
	global_store_dword v[0:1], v2, off offset:256
	s_and_b32 exec_lo, exec_lo, s5
	s_cbranch_execz .LBB400_50
; %bb.44:
	v_div_scale_f32 v2, null, v3, v3, v14
	v_rcp_f32_e32 v4, v2
	v_fma_f32 v5, -v2, v4, 1.0
	v_fmac_f32_e32 v4, v5, v4
	v_div_scale_f32 v5, vcc_lo, v14, v3, v14
	v_mul_f32_e32 v6, v5, v4
	v_fma_f32 v7, -v2, v6, v5
	v_fmac_f32_e32 v6, v7, v4
	v_fma_f32 v2, -v2, v6, v5
	v_div_fmas_f32 v2, v2, v4, v6
	v_div_fixup_f32 v2, v2, v3, v14
	v_cndmask_b32_e64 v2, v2, 0x7fc00000, s15
	global_store_dword v[0:1], v2, off offset:512
	;; [unrolled: 16-line block ×7, first 2 shown]
.LBB400_50:
	s_endpgm
	.section	.rodata,"a",@progbits
	.p2align	6, 0x0
	.amdhsa_kernel _ZN12_GLOBAL__N_120softmax_warp_forwardIfffLi10ELb0ELb0ELi64EEEvPT0_PKT_iiiPKbib
		.amdhsa_group_segment_fixed_size 0
		.amdhsa_private_segment_fixed_size 0
		.amdhsa_kernarg_size 304
		.amdhsa_user_sgpr_count 6
		.amdhsa_user_sgpr_private_segment_buffer 1
		.amdhsa_user_sgpr_dispatch_ptr 0
		.amdhsa_user_sgpr_queue_ptr 0
		.amdhsa_user_sgpr_kernarg_segment_ptr 1
		.amdhsa_user_sgpr_dispatch_id 0
		.amdhsa_user_sgpr_flat_scratch_init 0
		.amdhsa_user_sgpr_private_segment_size 0
		.amdhsa_wavefront_size32 1
		.amdhsa_uses_dynamic_stack 0
		.amdhsa_system_sgpr_private_segment_wavefront_offset 0
		.amdhsa_system_sgpr_workgroup_id_x 1
		.amdhsa_system_sgpr_workgroup_id_y 0
		.amdhsa_system_sgpr_workgroup_id_z 0
		.amdhsa_system_sgpr_workgroup_info 0
		.amdhsa_system_vgpr_workitem_id 1
		.amdhsa_next_free_vgpr 62
		.amdhsa_next_free_sgpr 24
		.amdhsa_reserve_vcc 1
		.amdhsa_reserve_flat_scratch 0
		.amdhsa_float_round_mode_32 0
		.amdhsa_float_round_mode_16_64 0
		.amdhsa_float_denorm_mode_32 3
		.amdhsa_float_denorm_mode_16_64 3
		.amdhsa_dx10_clamp 1
		.amdhsa_ieee_mode 1
		.amdhsa_fp16_overflow 0
		.amdhsa_workgroup_processor_mode 1
		.amdhsa_memory_ordered 1
		.amdhsa_forward_progress 1
		.amdhsa_shared_vgpr_count 0
		.amdhsa_exception_fp_ieee_invalid_op 0
		.amdhsa_exception_fp_denorm_src 0
		.amdhsa_exception_fp_ieee_div_zero 0
		.amdhsa_exception_fp_ieee_overflow 0
		.amdhsa_exception_fp_ieee_underflow 0
		.amdhsa_exception_fp_ieee_inexact 0
		.amdhsa_exception_int_div_zero 0
	.end_amdhsa_kernel
	.section	.text._ZN12_GLOBAL__N_120softmax_warp_forwardIfffLi10ELb0ELb0ELi64EEEvPT0_PKT_iiiPKbib,"axG",@progbits,_ZN12_GLOBAL__N_120softmax_warp_forwardIfffLi10ELb0ELb0ELi64EEEvPT0_PKT_iiiPKbib,comdat
.Lfunc_end400:
	.size	_ZN12_GLOBAL__N_120softmax_warp_forwardIfffLi10ELb0ELb0ELi64EEEvPT0_PKT_iiiPKbib, .Lfunc_end400-_ZN12_GLOBAL__N_120softmax_warp_forwardIfffLi10ELb0ELb0ELi64EEEvPT0_PKT_iiiPKbib
                                        ; -- End function
	.set _ZN12_GLOBAL__N_120softmax_warp_forwardIfffLi10ELb0ELb0ELi64EEEvPT0_PKT_iiiPKbib.num_vgpr, 62
	.set _ZN12_GLOBAL__N_120softmax_warp_forwardIfffLi10ELb0ELb0ELi64EEEvPT0_PKT_iiiPKbib.num_agpr, 0
	.set _ZN12_GLOBAL__N_120softmax_warp_forwardIfffLi10ELb0ELb0ELi64EEEvPT0_PKT_iiiPKbib.numbered_sgpr, 24
	.set _ZN12_GLOBAL__N_120softmax_warp_forwardIfffLi10ELb0ELb0ELi64EEEvPT0_PKT_iiiPKbib.num_named_barrier, 0
	.set _ZN12_GLOBAL__N_120softmax_warp_forwardIfffLi10ELb0ELb0ELi64EEEvPT0_PKT_iiiPKbib.private_seg_size, 0
	.set _ZN12_GLOBAL__N_120softmax_warp_forwardIfffLi10ELb0ELb0ELi64EEEvPT0_PKT_iiiPKbib.uses_vcc, 1
	.set _ZN12_GLOBAL__N_120softmax_warp_forwardIfffLi10ELb0ELb0ELi64EEEvPT0_PKT_iiiPKbib.uses_flat_scratch, 0
	.set _ZN12_GLOBAL__N_120softmax_warp_forwardIfffLi10ELb0ELb0ELi64EEEvPT0_PKT_iiiPKbib.has_dyn_sized_stack, 0
	.set _ZN12_GLOBAL__N_120softmax_warp_forwardIfffLi10ELb0ELb0ELi64EEEvPT0_PKT_iiiPKbib.has_recursion, 0
	.set _ZN12_GLOBAL__N_120softmax_warp_forwardIfffLi10ELb0ELb0ELi64EEEvPT0_PKT_iiiPKbib.has_indirect_call, 0
	.section	.AMDGPU.csdata,"",@progbits
; Kernel info:
; codeLenInByte = 5040
; TotalNumSgprs: 26
; NumVgprs: 62
; ScratchSize: 0
; MemoryBound: 0
; FloatMode: 240
; IeeeMode: 1
; LDSByteSize: 0 bytes/workgroup (compile time only)
; SGPRBlocks: 0
; VGPRBlocks: 7
; NumSGPRsForWavesPerEU: 26
; NumVGPRsForWavesPerEU: 62
; Occupancy: 16
; WaveLimiterHint : 0
; COMPUTE_PGM_RSRC2:SCRATCH_EN: 0
; COMPUTE_PGM_RSRC2:USER_SGPR: 6
; COMPUTE_PGM_RSRC2:TRAP_HANDLER: 0
; COMPUTE_PGM_RSRC2:TGID_X_EN: 1
; COMPUTE_PGM_RSRC2:TGID_Y_EN: 0
; COMPUTE_PGM_RSRC2:TGID_Z_EN: 0
; COMPUTE_PGM_RSRC2:TIDIG_COMP_CNT: 1
	.section	.text._ZN12_GLOBAL__N_120softmax_warp_forwardIfffLi10ELb0ELb0ELi32EEEvPT0_PKT_iiiPKbib,"axG",@progbits,_ZN12_GLOBAL__N_120softmax_warp_forwardIfffLi10ELb0ELb0ELi32EEEvPT0_PKT_iiiPKbib,comdat
	.globl	_ZN12_GLOBAL__N_120softmax_warp_forwardIfffLi10ELb0ELb0ELi32EEEvPT0_PKT_iiiPKbib ; -- Begin function _ZN12_GLOBAL__N_120softmax_warp_forwardIfffLi10ELb0ELb0ELi32EEEvPT0_PKT_iiiPKbib
	.p2align	8
	.type	_ZN12_GLOBAL__N_120softmax_warp_forwardIfffLi10ELb0ELb0ELi32EEEvPT0_PKT_iiiPKbib,@function
_ZN12_GLOBAL__N_120softmax_warp_forwardIfffLi10ELb0ELb0ELi32EEEvPT0_PKT_iiiPKbib: ; @_ZN12_GLOBAL__N_120softmax_warp_forwardIfffLi10ELb0ELb0ELi32EEEvPT0_PKT_iiiPKbib
; %bb.0:
	s_clause 0x1
	s_load_dword s0, s[4:5], 0x3c
	s_load_dwordx8 s[36:43], s[4:5], 0x0
	v_mov_b32_e32 v12, 0xff800000
	v_mov_b32_e32 v11, 0xff800000
	s_waitcnt lgkmcnt(0)
	s_lshr_b32 s0, s0, 16
	v_cmp_gt_i32_e32 vcc_lo, s42, v0
	v_mad_u64_u32 v[1:2], null, s6, s0, v[1:2]
	v_mad_u64_u32 v[2:3], null, v1, s41, v[0:1]
	v_sub_nc_u32_e32 v5, s40, v1
	v_cmp_lt_i32_e64 s31, 0, v5
	v_ashrrev_i32_e32 v3, 31, v2
	s_and_b32 s1, s31, vcc_lo
	v_lshlrev_b64 v[1:2], 2, v[2:3]
	v_add_co_u32 v3, s0, s38, v1
	v_add_co_ci_u32_e64 v4, null, s39, v2, s0
	s_and_saveexec_b32 s0, s1
	s_cbranch_execz .LBB401_2
; %bb.1:
	global_load_dword v11, v[3:4], off
.LBB401_2:
	s_or_b32 exec_lo, exec_lo, s0
	v_add_nc_u32_e32 v6, 32, v0
	v_cmp_gt_i32_e64 s30, s42, v6
	s_and_b32 s1, s31, s30
	s_and_saveexec_b32 s0, s1
	s_cbranch_execz .LBB401_4
; %bb.3:
	global_load_dword v12, v[3:4], off offset:128
.LBB401_4:
	s_or_b32 exec_lo, exec_lo, s0
	v_add_nc_u32_e32 v6, 64, v0
	v_mov_b32_e32 v17, 0xff800000
	v_mov_b32_e32 v14, 0xff800000
	v_cmp_gt_i32_e64 s29, s42, v6
	s_and_b32 s1, s31, s29
	s_and_saveexec_b32 s0, s1
	s_cbranch_execz .LBB401_6
; %bb.5:
	global_load_dword v14, v[3:4], off offset:256
.LBB401_6:
	s_or_b32 exec_lo, exec_lo, s0
	v_add_nc_u32_e32 v6, 0x60, v0
	v_cmp_gt_i32_e64 s28, s42, v6
	s_and_b32 s1, s31, s28
	s_and_saveexec_b32 s0, s1
	s_cbranch_execz .LBB401_8
; %bb.7:
	global_load_dword v17, v[3:4], off offset:384
.LBB401_8:
	s_or_b32 exec_lo, exec_lo, s0
	v_add_nc_u32_e32 v6, 0x80, v0
	v_mov_b32_e32 v20, 0xff800000
	v_mov_b32_e32 v19, 0xff800000
	v_cmp_gt_i32_e64 s27, s42, v6
	s_and_b32 s1, s31, s27
	s_and_saveexec_b32 s0, s1
	s_cbranch_execz .LBB401_10
; %bb.9:
	global_load_dword v19, v[3:4], off offset:512
.LBB401_10:
	;; [unrolled: 20-line block ×7, first 2 shown]
	s_or_b32 exec_lo, exec_lo, s0
	v_add_nc_u32_e32 v6, 0x1e0, v0
	v_cmp_gt_i32_e64 s16, s42, v6
	s_and_b32 s1, s31, s16
	s_and_saveexec_b32 s0, s1
	s_cbranch_execz .LBB401_32
; %bb.31:
	global_load_dword v34, v[3:4], off offset:1920
.LBB401_32:
	s_or_b32 exec_lo, exec_lo, s0
	v_add_nc_u32_e32 v6, 0x200, v0
	v_mov_b32_e32 v33, 0xff800000
	v_mov_b32_e32 v35, 0xff800000
	v_cmp_gt_i32_e64 s15, s42, v6
	s_and_b32 s0, s31, s15
	s_and_saveexec_b32 s1, s0
	s_cbranch_execz .LBB401_34
; %bb.33:
	v_add_co_u32 v6, s0, 0x800, v3
	v_add_co_ci_u32_e64 v7, null, 0, v4, s0
	global_load_dword v35, v[6:7], off
.LBB401_34:
	s_or_b32 exec_lo, exec_lo, s1
	v_add_nc_u32_e32 v6, 0x220, v0
	v_cmp_gt_i32_e64 s14, s42, v6
	s_and_b32 s0, s31, s14
	s_and_saveexec_b32 s1, s0
	s_cbranch_execz .LBB401_36
; %bb.35:
	v_add_co_u32 v6, s0, 0x800, v3
	v_add_co_ci_u32_e64 v7, null, 0, v4, s0
	global_load_dword v33, v[6:7], off offset:128
.LBB401_36:
	s_or_b32 exec_lo, exec_lo, s1
	v_add_nc_u32_e32 v6, 0x240, v0
	v_mov_b32_e32 v37, 0xff800000
	v_mov_b32_e32 v36, 0xff800000
	v_cmp_gt_i32_e64 s13, s42, v6
	s_and_b32 s0, s31, s13
	s_and_saveexec_b32 s1, s0
	s_cbranch_execz .LBB401_38
; %bb.37:
	v_add_co_u32 v6, s0, 0x800, v3
	v_add_co_ci_u32_e64 v7, null, 0, v4, s0
	global_load_dword v36, v[6:7], off offset:256
.LBB401_38:
	s_or_b32 exec_lo, exec_lo, s1
	v_add_nc_u32_e32 v6, 0x260, v0
	v_cmp_gt_i32_e64 s12, s42, v6
	s_and_b32 s0, s31, s12
	s_and_saveexec_b32 s1, s0
	s_cbranch_execz .LBB401_40
; %bb.39:
	v_add_co_u32 v6, s0, 0x800, v3
	v_add_co_ci_u32_e64 v7, null, 0, v4, s0
	global_load_dword v37, v[6:7], off offset:384
.LBB401_40:
	s_or_b32 exec_lo, exec_lo, s1
	v_add_nc_u32_e32 v6, 0x280, v0
	v_mov_b32_e32 v39, 0xff800000
	v_mov_b32_e32 v38, 0xff800000
	v_cmp_gt_i32_e64 s11, s42, v6
	s_and_b32 s0, s31, s11
	s_and_saveexec_b32 s1, s0
	s_cbranch_execz .LBB401_42
; %bb.41:
	v_add_co_u32 v6, s0, 0x800, v3
	v_add_co_ci_u32_e64 v7, null, 0, v4, s0
	global_load_dword v38, v[6:7], off offset:512
.LBB401_42:
	s_or_b32 exec_lo, exec_lo, s1
	v_add_nc_u32_e32 v6, 0x2a0, v0
	v_cmp_gt_i32_e64 s10, s42, v6
	s_and_b32 s0, s31, s10
	s_and_saveexec_b32 s1, s0
	s_cbranch_execz .LBB401_44
; %bb.43:
	v_add_co_u32 v6, s0, 0x800, v3
	v_add_co_ci_u32_e64 v7, null, 0, v4, s0
	global_load_dword v39, v[6:7], off offset:640
.LBB401_44:
	s_or_b32 exec_lo, exec_lo, s1
	v_add_nc_u32_e32 v6, 0x2c0, v0
	v_mov_b32_e32 v22, 0xff800000
	v_mov_b32_e32 v40, 0xff800000
	v_cmp_gt_i32_e64 s9, s42, v6
	s_and_b32 s0, s31, s9
	s_and_saveexec_b32 s1, s0
	s_cbranch_execz .LBB401_46
; %bb.45:
	v_add_co_u32 v6, s0, 0x800, v3
	v_add_co_ci_u32_e64 v7, null, 0, v4, s0
	global_load_dword v40, v[6:7], off offset:768
.LBB401_46:
	s_or_b32 exec_lo, exec_lo, s1
	v_add_nc_u32_e32 v6, 0x2e0, v0
	v_cmp_gt_i32_e64 s8, s42, v6
	s_and_b32 s0, s31, s8
	s_and_saveexec_b32 s1, s0
	s_cbranch_execz .LBB401_48
; %bb.47:
	v_add_co_u32 v6, s0, 0x800, v3
	v_add_co_ci_u32_e64 v7, null, 0, v4, s0
	global_load_dword v22, v[6:7], off offset:896
.LBB401_48:
	s_or_b32 exec_lo, exec_lo, s1
	v_add_nc_u32_e32 v6, 0x300, v0
	v_mov_b32_e32 v16, 0xff800000
	v_mov_b32_e32 v24, 0xff800000
	v_cmp_gt_i32_e64 s7, s42, v6
	s_and_b32 s0, s31, s7
	s_and_saveexec_b32 s1, s0
	s_cbranch_execz .LBB401_50
; %bb.49:
	v_add_co_u32 v6, s0, 0x800, v3
	v_add_co_ci_u32_e64 v7, null, 0, v4, s0
	global_load_dword v24, v[6:7], off offset:1024
.LBB401_50:
	s_or_b32 exec_lo, exec_lo, s1
	v_add_nc_u32_e32 v6, 0x320, v0
	v_cmp_gt_i32_e64 s6, s42, v6
	s_and_b32 s0, s31, s6
	s_and_saveexec_b32 s1, s0
	s_cbranch_execz .LBB401_52
; %bb.51:
	v_add_co_u32 v6, s0, 0x800, v3
	v_add_co_ci_u32_e64 v7, null, 0, v4, s0
	global_load_dword v16, v[6:7], off offset:1152
.LBB401_52:
	s_or_b32 exec_lo, exec_lo, s1
	v_add_nc_u32_e32 v6, 0x340, v0
	v_mov_b32_e32 v10, 0xff800000
	v_mov_b32_e32 v18, 0xff800000
	v_cmp_gt_i32_e64 s5, s42, v6
	s_and_b32 s0, s31, s5
	s_and_saveexec_b32 s1, s0
	s_cbranch_execz .LBB401_54
; %bb.53:
	v_add_co_u32 v6, s0, 0x800, v3
	v_add_co_ci_u32_e64 v7, null, 0, v4, s0
	global_load_dword v18, v[6:7], off offset:1280
.LBB401_54:
	s_or_b32 exec_lo, exec_lo, s1
	v_add_nc_u32_e32 v6, 0x360, v0
	v_cmp_gt_i32_e64 s4, s42, v6
	s_and_b32 s0, s31, s4
	s_and_saveexec_b32 s1, s0
	s_cbranch_execz .LBB401_56
; %bb.55:
	v_add_co_u32 v6, s0, 0x800, v3
	v_add_co_ci_u32_e64 v7, null, 0, v4, s0
	global_load_dword v10, v[6:7], off offset:1408
.LBB401_56:
	s_or_b32 exec_lo, exec_lo, s1
	v_add_nc_u32_e32 v6, 0x380, v0
	v_mov_b32_e32 v7, 0xff800000
	v_mov_b32_e32 v9, 0xff800000
	v_cmp_gt_i32_e64 s3, s42, v6
	s_and_b32 s0, s31, s3
	s_and_saveexec_b32 s1, s0
	s_cbranch_execz .LBB401_58
; %bb.57:
	v_add_co_u32 v8, s0, 0x800, v3
	v_add_co_ci_u32_e64 v9, null, 0, v4, s0
	global_load_dword v9, v[8:9], off offset:1536
.LBB401_58:
	s_or_b32 exec_lo, exec_lo, s1
	v_add_nc_u32_e32 v6, 0x3a0, v0
	v_cmp_gt_i32_e64 s2, s42, v6
	s_and_b32 s0, s31, s2
	s_and_saveexec_b32 s1, s0
	s_cbranch_execz .LBB401_60
; %bb.59:
	v_add_co_u32 v6, s0, 0x800, v3
	v_add_co_ci_u32_e64 v7, null, 0, v4, s0
	global_load_dword v7, v[6:7], off offset:1664
.LBB401_60:
	s_or_b32 exec_lo, exec_lo, s1
	v_add_nc_u32_e32 v6, 0x3c0, v0
	v_mov_b32_e32 v8, 0xff800000
	v_cmp_gt_i32_e64 s1, s42, v6
	v_mov_b32_e32 v6, 0xff800000
	s_and_b32 s0, s31, s1
	s_and_saveexec_b32 s33, s0
	s_cbranch_execz .LBB401_62
; %bb.61:
	v_add_co_u32 v41, s0, 0x800, v3
	v_add_co_ci_u32_e64 v42, null, 0, v4, s0
	global_load_dword v8, v[41:42], off offset:1792
.LBB401_62:
	s_or_b32 exec_lo, exec_lo, s33
	v_add_nc_u32_e32 v0, 0x3e0, v0
	v_cmp_gt_i32_e64 s0, s42, v0
	s_and_b32 s31, s31, s0
	s_and_saveexec_b32 s33, s31
	s_cbranch_execz .LBB401_64
; %bb.63:
	v_add_co_u32 v3, s31, 0x800, v3
	v_add_co_ci_u32_e64 v4, null, 0, v4, s31
	global_load_dword v6, v[3:4], off offset:1920
.LBB401_64:
	s_or_b32 exec_lo, exec_lo, s33
	s_waitcnt vmcnt(0)
	v_cmp_gt_f32_e64 s31, v11, v12
	v_mbcnt_lo_u32_b32 v15, -1, 0
	s_mov_b32 s33, exec_lo
	v_cndmask_b32_e64 v0, v12, v11, s31
	v_cmp_gt_f32_e64 s31, v0, v14
	v_cndmask_b32_e64 v0, v14, v0, s31
	v_cmp_gt_f32_e64 s31, v0, v17
	;; [unrolled: 2-line block ×30, first 2 shown]
	v_cndmask_b32_e64 v3, v6, v0, s31
	v_xor_b32_e32 v0, 16, v15
	v_cmp_gt_i32_e64 s31, 32, v0
	v_cndmask_b32_e64 v0, v15, v0, s31
	v_lshlrev_b32_e32 v0, 2, v0
	ds_bpermute_b32 v4, v0, v3
	s_waitcnt lgkmcnt(0)
	v_cmp_lt_f32_e64 s31, v3, v4
	v_cndmask_b32_e64 v4, v3, v4, s31
	v_xor_b32_e32 v3, 8, v15
	v_cmp_gt_i32_e64 s31, 32, v3
	v_cndmask_b32_e64 v3, v15, v3, s31
	v_lshlrev_b32_e32 v3, 2, v3
	ds_bpermute_b32 v13, v3, v4
	s_waitcnt lgkmcnt(0)
	v_cmp_lt_f32_e64 s31, v4, v13
	v_cndmask_b32_e64 v13, v4, v13, s31
	v_xor_b32_e32 v4, 4, v15
	v_cmp_gt_i32_e64 s31, 32, v4
	v_cndmask_b32_e64 v4, v15, v4, s31
	v_lshlrev_b32_e32 v4, 2, v4
	ds_bpermute_b32 v26, v4, v13
	s_waitcnt lgkmcnt(0)
	v_cmp_lt_f32_e64 s31, v13, v26
	v_cndmask_b32_e64 v26, v13, v26, s31
	v_xor_b32_e32 v13, 2, v15
	v_cmp_gt_i32_e64 s31, 32, v13
	v_cndmask_b32_e64 v13, v15, v13, s31
	v_lshlrev_b32_e32 v13, 2, v13
	ds_bpermute_b32 v41, v13, v26
	s_waitcnt lgkmcnt(0)
	v_cmp_lt_f32_e64 s31, v26, v41
	v_cndmask_b32_e64 v26, v26, v41, s31
	v_xor_b32_e32 v41, 1, v15
	v_cmp_gt_i32_e64 s31, 32, v41
	v_cndmask_b32_e64 v15, v15, v41, s31
	v_lshlrev_b32_e32 v15, 2, v15
	ds_bpermute_b32 v41, v15, v26
	s_waitcnt lgkmcnt(0)
	v_cmp_lt_f32_e64 s31, v26, v41
	v_cndmask_b32_e64 v26, v26, v41, s31
	v_sub_f32_e32 v11, v11, v26
	v_sub_f32_e32 v12, v12, v26
	;; [unrolled: 1-line block ×5, first 2 shown]
	v_mul_f32_e32 v41, 0x3fb8aa3b, v11
	v_cmp_ngt_f32_e64 s31, 0xc2ce8ed0, v11
	v_sub_f32_e32 v20, v20, v26
	v_sub_f32_e32 v21, v21, v26
	;; [unrolled: 1-line block ×3, first 2 shown]
	v_fma_f32 v42, 0x3fb8aa3b, v11, -v41
	v_rndne_f32_e32 v43, v41
	v_sub_f32_e32 v25, v25, v26
	v_sub_f32_e32 v27, v27, v26
	;; [unrolled: 1-line block ×3, first 2 shown]
	v_fmac_f32_e32 v42, 0x32a5705f, v11
	v_sub_f32_e32 v41, v41, v43
	v_sub_f32_e32 v29, v29, v26
	;; [unrolled: 1-line block ×5, first 2 shown]
	v_add_f32_e32 v41, v41, v42
	v_cvt_i32_f32_e32 v42, v43
	v_sub_f32_e32 v34, v34, v26
	v_sub_f32_e32 v35, v35, v26
	;; [unrolled: 1-line block ×3, first 2 shown]
	v_exp_f32_e32 v41, v41
	v_sub_f32_e32 v36, v36, v26
	v_sub_f32_e32 v37, v37, v26
	v_sub_f32_e32 v38, v38, v26
	v_sub_f32_e32 v39, v39, v26
	v_sub_f32_e32 v40, v40, v26
	v_sub_f32_e32 v22, v22, v26
	v_sub_f32_e32 v24, v24, v26
	v_sub_f32_e32 v16, v16, v26
	v_sub_f32_e32 v18, v18, v26
	v_ldexp_f32 v41, v41, v42
	v_sub_f32_e32 v10, v10, v26
	v_sub_f32_e32 v9, v9, v26
	v_sub_f32_e32 v7, v7, v26
	v_sub_f32_e32 v8, v8, v26
	v_cndmask_b32_e64 v41, 0, v41, s31
	v_cmp_nlt_f32_e64 s31, 0x42b17218, v11
	v_sub_f32_e32 v6, v6, v26
	v_cndmask_b32_e64 v11, 0x7f800000, v41, s31
	v_mul_f32_e32 v41, 0x3fb8aa3b, v12
	v_cmp_ngt_f32_e64 s31, 0xc2ce8ed0, v12
	v_mul_f32_e32 v26, 0x3fb8aa3b, v6
	v_fma_f32 v42, 0x3fb8aa3b, v12, -v41
	v_rndne_f32_e32 v43, v41
	v_fmac_f32_e32 v42, 0x32a5705f, v12
	v_sub_f32_e32 v41, v41, v43
	v_add_f32_e32 v41, v41, v42
	v_cvt_i32_f32_e32 v42, v43
	v_exp_f32_e32 v41, v41
	v_ldexp_f32 v41, v41, v42
	v_mul_f32_e32 v42, 0x3fb8aa3b, v14
	v_cndmask_b32_e64 v41, 0, v41, s31
	v_fma_f32 v43, 0x3fb8aa3b, v14, -v42
	v_rndne_f32_e32 v44, v42
	v_cmp_nlt_f32_e64 s31, 0x42b17218, v12
	v_fmac_f32_e32 v43, 0x32a5705f, v14
	v_sub_f32_e32 v42, v42, v44
	v_cndmask_b32_e64 v12, 0x7f800000, v41, s31
	v_cmp_ngt_f32_e64 s31, 0xc2ce8ed0, v14
	v_add_f32_e32 v42, v42, v43
	v_cvt_i32_f32_e32 v43, v44
	v_add_f32_e32 v41, v11, v12
	v_exp_f32_e32 v42, v42
	v_ldexp_f32 v42, v42, v43
	v_cndmask_b32_e64 v42, 0, v42, s31
	v_cmp_nlt_f32_e64 s31, 0x42b17218, v14
	v_cndmask_b32_e64 v14, 0x7f800000, v42, s31
	v_mul_f32_e32 v42, 0x3fb8aa3b, v17
	v_cmp_ngt_f32_e64 s31, 0xc2ce8ed0, v17
	v_add_f32_e32 v41, v41, v14
	v_fma_f32 v43, 0x3fb8aa3b, v17, -v42
	v_rndne_f32_e32 v44, v42
	v_fmac_f32_e32 v43, 0x32a5705f, v17
	v_sub_f32_e32 v42, v42, v44
	v_add_f32_e32 v42, v42, v43
	v_cvt_i32_f32_e32 v43, v44
	v_exp_f32_e32 v42, v42
	v_ldexp_f32 v42, v42, v43
	v_cndmask_b32_e64 v42, 0, v42, s31
	v_cmp_nlt_f32_e64 s31, 0x42b17218, v17
	v_cndmask_b32_e64 v17, 0x7f800000, v42, s31
	v_mul_f32_e32 v42, 0x3fb8aa3b, v19
	v_cmp_ngt_f32_e64 s31, 0xc2ce8ed0, v19
	v_add_f32_e32 v41, v41, v17
	v_fma_f32 v43, 0x3fb8aa3b, v19, -v42
	v_rndne_f32_e32 v44, v42
	v_fmac_f32_e32 v43, 0x32a5705f, v19
	v_sub_f32_e32 v42, v42, v44
	v_add_f32_e32 v42, v42, v43
	v_cvt_i32_f32_e32 v43, v44
	;; [unrolled: 14-line block ×28, first 2 shown]
	v_exp_f32_e32 v42, v42
	v_ldexp_f32 v42, v42, v43
	v_rndne_f32_e32 v43, v26
	v_cndmask_b32_e64 v42, 0, v42, s31
	v_cmp_nlt_f32_e64 s31, 0x42b17218, v8
	v_cndmask_b32_e64 v8, 0x7f800000, v42, s31
	v_fma_f32 v42, 0x3fb8aa3b, v6, -v26
	v_sub_f32_e32 v26, v26, v43
	v_cmp_ngt_f32_e64 s31, 0xc2ce8ed0, v6
	v_add_f32_e32 v41, v41, v8
	v_fmac_f32_e32 v42, 0x32a5705f, v6
	v_add_f32_e32 v26, v26, v42
	v_cvt_i32_f32_e32 v42, v43
	v_exp_f32_e32 v26, v26
	v_ldexp_f32 v26, v26, v42
	v_cndmask_b32_e64 v26, 0, v26, s31
	v_cmp_nlt_f32_e64 s31, 0x42b17218, v6
	v_cndmask_b32_e64 v6, 0x7f800000, v26, s31
	v_add_f32_e32 v26, v41, v6
	ds_bpermute_b32 v0, v0, v26
	s_waitcnt lgkmcnt(0)
	v_add_f32_e32 v0, v26, v0
	ds_bpermute_b32 v3, v3, v0
	s_waitcnt lgkmcnt(0)
	;; [unrolled: 3-line block ×4, first 2 shown]
	v_add_f32_e32 v0, v0, v3
	ds_bpermute_b32 v3, v15, v0
	v_cmpx_lt_i32_e32 0, v5
	s_cbranch_execz .LBB401_98
; %bb.65:
	s_and_b32 exec_lo, exec_lo, vcc_lo
	s_cbranch_execz .LBB401_98
; %bb.66:
	s_waitcnt lgkmcnt(0)
	v_add_f32_e32 v3, v0, v3
	v_div_scale_f32 v0, null, v3, v3, v11
	v_div_scale_f32 v13, vcc_lo, v11, v3, v11
	v_cmp_eq_f32_e64 s31, 0, v3
	v_rcp_f32_e32 v4, v0
	v_fma_f32 v5, -v0, v4, 1.0
	v_fmac_f32_e32 v4, v5, v4
	v_mul_f32_e32 v5, v13, v4
	v_fma_f32 v15, -v0, v5, v13
	v_fmac_f32_e32 v5, v15, v4
	v_fma_f32 v0, -v0, v5, v13
	v_div_fmas_f32 v0, v0, v4, v5
	v_div_fixup_f32 v4, v0, v3, v11
	v_add_co_u32 v0, vcc_lo, s36, v1
	v_add_co_ci_u32_e64 v1, null, s37, v2, vcc_lo
	v_cndmask_b32_e64 v2, v4, 0x7fc00000, s31
	global_store_dword v[0:1], v2, off
	s_and_b32 exec_lo, exec_lo, s30
	s_cbranch_execz .LBB401_98
; %bb.67:
	v_div_scale_f32 v2, null, v3, v3, v12
	v_rcp_f32_e32 v4, v2
	v_fma_f32 v5, -v2, v4, 1.0
	v_fmac_f32_e32 v4, v5, v4
	v_div_scale_f32 v5, vcc_lo, v12, v3, v12
	v_mul_f32_e32 v11, v5, v4
	v_fma_f32 v13, -v2, v11, v5
	v_fmac_f32_e32 v11, v13, v4
	v_fma_f32 v2, -v2, v11, v5
	v_div_fmas_f32 v2, v2, v4, v11
	v_div_fixup_f32 v2, v2, v3, v12
	v_cndmask_b32_e64 v2, v2, 0x7fc00000, s31
	global_store_dword v[0:1], v2, off offset:128
	s_and_b32 exec_lo, exec_lo, s29
	s_cbranch_execz .LBB401_98
; %bb.68:
	v_div_scale_f32 v2, null, v3, v3, v14
	v_rcp_f32_e32 v4, v2
	v_fma_f32 v5, -v2, v4, 1.0
	v_fmac_f32_e32 v4, v5, v4
	v_div_scale_f32 v5, vcc_lo, v14, v3, v14
	v_mul_f32_e32 v11, v5, v4
	v_fma_f32 v12, -v2, v11, v5
	v_fmac_f32_e32 v11, v12, v4
	v_fma_f32 v2, -v2, v11, v5
	v_div_fmas_f32 v2, v2, v4, v11
	v_div_fixup_f32 v2, v2, v3, v14
	v_cndmask_b32_e64 v2, v2, 0x7fc00000, s31
	global_store_dword v[0:1], v2, off offset:256
	;; [unrolled: 16-line block ×15, first 2 shown]
	s_and_b32 exec_lo, exec_lo, s15
	s_cbranch_execz .LBB401_98
; %bb.82:
	v_div_scale_f32 v2, null, v3, v3, v35
	v_div_scale_f32 v11, vcc_lo, v35, v3, v35
	v_rcp_f32_e32 v4, v2
	v_fma_f32 v5, -v2, v4, 1.0
	v_fmac_f32_e32 v4, v5, v4
	v_mul_f32_e32 v5, v11, v4
	v_fma_f32 v12, -v2, v5, v11
	v_fmac_f32_e32 v5, v12, v4
	v_fma_f32 v2, -v2, v5, v11
	v_div_fmas_f32 v2, v2, v4, v5
	v_add_co_u32 v0, vcc_lo, 0x800, v0
	v_add_co_ci_u32_e64 v1, null, 0, v1, vcc_lo
	v_div_fixup_f32 v2, v2, v3, v35
	v_cndmask_b32_e64 v2, v2, 0x7fc00000, s31
	global_store_dword v[0:1], v2, off
	s_and_b32 exec_lo, exec_lo, s14
	s_cbranch_execz .LBB401_98
; %bb.83:
	v_div_scale_f32 v2, null, v3, v3, v33
	v_rcp_f32_e32 v4, v2
	v_fma_f32 v5, -v2, v4, 1.0
	v_fmac_f32_e32 v4, v5, v4
	v_div_scale_f32 v5, vcc_lo, v33, v3, v33
	v_mul_f32_e32 v11, v5, v4
	v_fma_f32 v12, -v2, v11, v5
	v_fmac_f32_e32 v11, v12, v4
	v_fma_f32 v2, -v2, v11, v5
	v_div_fmas_f32 v2, v2, v4, v11
	v_div_fixup_f32 v2, v2, v3, v33
	v_cndmask_b32_e64 v2, v2, 0x7fc00000, s31
	global_store_dword v[0:1], v2, off offset:128
	s_and_b32 exec_lo, exec_lo, s13
	s_cbranch_execz .LBB401_98
; %bb.84:
	v_div_scale_f32 v2, null, v3, v3, v36
	v_rcp_f32_e32 v4, v2
	v_fma_f32 v5, -v2, v4, 1.0
	v_fmac_f32_e32 v4, v5, v4
	v_div_scale_f32 v5, vcc_lo, v36, v3, v36
	v_mul_f32_e32 v11, v5, v4
	v_fma_f32 v12, -v2, v11, v5
	v_fmac_f32_e32 v11, v12, v4
	v_fma_f32 v2, -v2, v11, v5
	v_div_fmas_f32 v2, v2, v4, v11
	v_div_fixup_f32 v2, v2, v3, v36
	v_cndmask_b32_e64 v2, v2, 0x7fc00000, s31
	global_store_dword v[0:1], v2, off offset:256
	;; [unrolled: 16-line block ×15, first 2 shown]
.LBB401_98:
	s_endpgm
	.section	.rodata,"a",@progbits
	.p2align	6, 0x0
	.amdhsa_kernel _ZN12_GLOBAL__N_120softmax_warp_forwardIfffLi10ELb0ELb0ELi32EEEvPT0_PKT_iiiPKbib
		.amdhsa_group_segment_fixed_size 0
		.amdhsa_private_segment_fixed_size 0
		.amdhsa_kernarg_size 304
		.amdhsa_user_sgpr_count 6
		.amdhsa_user_sgpr_private_segment_buffer 1
		.amdhsa_user_sgpr_dispatch_ptr 0
		.amdhsa_user_sgpr_queue_ptr 0
		.amdhsa_user_sgpr_kernarg_segment_ptr 1
		.amdhsa_user_sgpr_dispatch_id 0
		.amdhsa_user_sgpr_flat_scratch_init 0
		.amdhsa_user_sgpr_private_segment_size 0
		.amdhsa_wavefront_size32 1
		.amdhsa_uses_dynamic_stack 0
		.amdhsa_system_sgpr_private_segment_wavefront_offset 0
		.amdhsa_system_sgpr_workgroup_id_x 1
		.amdhsa_system_sgpr_workgroup_id_y 0
		.amdhsa_system_sgpr_workgroup_id_z 0
		.amdhsa_system_sgpr_workgroup_info 0
		.amdhsa_system_vgpr_workitem_id 1
		.amdhsa_next_free_vgpr 45
		.amdhsa_next_free_sgpr 44
		.amdhsa_reserve_vcc 1
		.amdhsa_reserve_flat_scratch 0
		.amdhsa_float_round_mode_32 0
		.amdhsa_float_round_mode_16_64 0
		.amdhsa_float_denorm_mode_32 3
		.amdhsa_float_denorm_mode_16_64 3
		.amdhsa_dx10_clamp 1
		.amdhsa_ieee_mode 1
		.amdhsa_fp16_overflow 0
		.amdhsa_workgroup_processor_mode 1
		.amdhsa_memory_ordered 1
		.amdhsa_forward_progress 1
		.amdhsa_shared_vgpr_count 0
		.amdhsa_exception_fp_ieee_invalid_op 0
		.amdhsa_exception_fp_denorm_src 0
		.amdhsa_exception_fp_ieee_div_zero 0
		.amdhsa_exception_fp_ieee_overflow 0
		.amdhsa_exception_fp_ieee_underflow 0
		.amdhsa_exception_fp_ieee_inexact 0
		.amdhsa_exception_int_div_zero 0
	.end_amdhsa_kernel
	.section	.text._ZN12_GLOBAL__N_120softmax_warp_forwardIfffLi10ELb0ELb0ELi32EEEvPT0_PKT_iiiPKbib,"axG",@progbits,_ZN12_GLOBAL__N_120softmax_warp_forwardIfffLi10ELb0ELb0ELi32EEEvPT0_PKT_iiiPKbib,comdat
.Lfunc_end401:
	.size	_ZN12_GLOBAL__N_120softmax_warp_forwardIfffLi10ELb0ELb0ELi32EEEvPT0_PKT_iiiPKbib, .Lfunc_end401-_ZN12_GLOBAL__N_120softmax_warp_forwardIfffLi10ELb0ELb0ELi32EEEvPT0_PKT_iiiPKbib
                                        ; -- End function
	.set _ZN12_GLOBAL__N_120softmax_warp_forwardIfffLi10ELb0ELb0ELi32EEEvPT0_PKT_iiiPKbib.num_vgpr, 45
	.set _ZN12_GLOBAL__N_120softmax_warp_forwardIfffLi10ELb0ELb0ELi32EEEvPT0_PKT_iiiPKbib.num_agpr, 0
	.set _ZN12_GLOBAL__N_120softmax_warp_forwardIfffLi10ELb0ELb0ELi32EEEvPT0_PKT_iiiPKbib.numbered_sgpr, 44
	.set _ZN12_GLOBAL__N_120softmax_warp_forwardIfffLi10ELb0ELb0ELi32EEEvPT0_PKT_iiiPKbib.num_named_barrier, 0
	.set _ZN12_GLOBAL__N_120softmax_warp_forwardIfffLi10ELb0ELb0ELi32EEEvPT0_PKT_iiiPKbib.private_seg_size, 0
	.set _ZN12_GLOBAL__N_120softmax_warp_forwardIfffLi10ELb0ELb0ELi32EEEvPT0_PKT_iiiPKbib.uses_vcc, 1
	.set _ZN12_GLOBAL__N_120softmax_warp_forwardIfffLi10ELb0ELb0ELi32EEEvPT0_PKT_iiiPKbib.uses_flat_scratch, 0
	.set _ZN12_GLOBAL__N_120softmax_warp_forwardIfffLi10ELb0ELb0ELi32EEEvPT0_PKT_iiiPKbib.has_dyn_sized_stack, 0
	.set _ZN12_GLOBAL__N_120softmax_warp_forwardIfffLi10ELb0ELb0ELi32EEEvPT0_PKT_iiiPKbib.has_recursion, 0
	.set _ZN12_GLOBAL__N_120softmax_warp_forwardIfffLi10ELb0ELb0ELi32EEEvPT0_PKT_iiiPKbib.has_indirect_call, 0
	.section	.AMDGPU.csdata,"",@progbits
; Kernel info:
; codeLenInByte = 9480
; TotalNumSgprs: 46
; NumVgprs: 45
; ScratchSize: 0
; MemoryBound: 0
; FloatMode: 240
; IeeeMode: 1
; LDSByteSize: 0 bytes/workgroup (compile time only)
; SGPRBlocks: 0
; VGPRBlocks: 5
; NumSGPRsForWavesPerEU: 46
; NumVGPRsForWavesPerEU: 45
; Occupancy: 16
; WaveLimiterHint : 0
; COMPUTE_PGM_RSRC2:SCRATCH_EN: 0
; COMPUTE_PGM_RSRC2:USER_SGPR: 6
; COMPUTE_PGM_RSRC2:TRAP_HANDLER: 0
; COMPUTE_PGM_RSRC2:TGID_X_EN: 1
; COMPUTE_PGM_RSRC2:TGID_Y_EN: 0
; COMPUTE_PGM_RSRC2:TGID_Z_EN: 0
; COMPUTE_PGM_RSRC2:TIDIG_COMP_CNT: 1
	.section	.text._ZN12_GLOBAL__N_120softmax_warp_forwardIfffLi11ELb0ELb0ELi64EEEvPT0_PKT_iiiPKbib,"axG",@progbits,_ZN12_GLOBAL__N_120softmax_warp_forwardIfffLi11ELb0ELb0ELi64EEEvPT0_PKT_iiiPKbib,comdat
	.globl	_ZN12_GLOBAL__N_120softmax_warp_forwardIfffLi11ELb0ELb0ELi64EEEvPT0_PKT_iiiPKbib ; -- Begin function _ZN12_GLOBAL__N_120softmax_warp_forwardIfffLi11ELb0ELb0ELi64EEEvPT0_PKT_iiiPKbib
	.p2align	8
	.type	_ZN12_GLOBAL__N_120softmax_warp_forwardIfffLi11ELb0ELb0ELi64EEEvPT0_PKT_iiiPKbib,@function
_ZN12_GLOBAL__N_120softmax_warp_forwardIfffLi11ELb0ELb0ELi64EEEvPT0_PKT_iiiPKbib: ; @_ZN12_GLOBAL__N_120softmax_warp_forwardIfffLi11ELb0ELb0ELi64EEEvPT0_PKT_iiiPKbib
; %bb.0:
	s_clause 0x1
	s_load_dword s0, s[4:5], 0x3c
	s_load_dwordx8 s[36:43], s[4:5], 0x0
	v_mov_b32_e32 v13, 0xff800000
	v_mov_b32_e32 v12, 0xff800000
	s_waitcnt lgkmcnt(0)
	s_lshr_b32 s0, s0, 16
	v_cmp_gt_i32_e32 vcc_lo, s42, v0
	v_mad_u64_u32 v[1:2], null, s6, s0, v[1:2]
	v_mad_u64_u32 v[2:3], null, v1, s41, v[0:1]
	v_sub_nc_u32_e32 v5, s40, v1
	v_cmp_lt_i32_e64 s31, 0, v5
	v_ashrrev_i32_e32 v3, 31, v2
	s_and_b32 s1, s31, vcc_lo
	v_lshlrev_b64 v[1:2], 2, v[2:3]
	v_add_co_u32 v3, s0, s38, v1
	v_add_co_ci_u32_e64 v4, null, s39, v2, s0
	s_and_saveexec_b32 s0, s1
	s_cbranch_execz .LBB402_2
; %bb.1:
	global_load_dword v12, v[3:4], off
.LBB402_2:
	s_or_b32 exec_lo, exec_lo, s0
	v_add_nc_u32_e32 v6, 64, v0
	v_cmp_gt_i32_e64 s30, s42, v6
	s_and_b32 s1, s31, s30
	s_and_saveexec_b32 s0, s1
	s_cbranch_execz .LBB402_4
; %bb.3:
	global_load_dword v13, v[3:4], off offset:256
.LBB402_4:
	s_or_b32 exec_lo, exec_lo, s0
	v_add_nc_u32_e32 v6, 0x80, v0
	v_mov_b32_e32 v19, 0xff800000
	v_mov_b32_e32 v16, 0xff800000
	v_cmp_gt_i32_e64 s29, s42, v6
	s_and_b32 s1, s31, s29
	s_and_saveexec_b32 s0, s1
	s_cbranch_execz .LBB402_6
; %bb.5:
	global_load_dword v16, v[3:4], off offset:512
.LBB402_6:
	s_or_b32 exec_lo, exec_lo, s0
	v_add_nc_u32_e32 v6, 0xc0, v0
	v_cmp_gt_i32_e64 s28, s42, v6
	s_and_b32 s1, s31, s28
	s_and_saveexec_b32 s0, s1
	s_cbranch_execz .LBB402_8
; %bb.7:
	global_load_dword v19, v[3:4], off offset:768
.LBB402_8:
	s_or_b32 exec_lo, exec_lo, s0
	v_add_nc_u32_e32 v6, 0x100, v0
	v_mov_b32_e32 v21, 0xff800000
	v_mov_b32_e32 v20, 0xff800000
	v_cmp_gt_i32_e64 s27, s42, v6
	s_and_b32 s1, s31, s27
	s_and_saveexec_b32 s0, s1
	s_cbranch_execz .LBB402_10
; %bb.9:
	global_load_dword v20, v[3:4], off offset:1024
.LBB402_10:
	;; [unrolled: 20-line block ×3, first 2 shown]
	s_or_b32 exec_lo, exec_lo, s0
	v_add_nc_u32_e32 v6, 0x1c0, v0
	v_cmp_gt_i32_e64 s24, s42, v6
	s_and_b32 s1, s31, s24
	s_and_saveexec_b32 s0, s1
	s_cbranch_execz .LBB402_16
; %bb.15:
	global_load_dword v23, v[3:4], off offset:1792
.LBB402_16:
	s_or_b32 exec_lo, exec_lo, s0
	v_add_nc_u32_e32 v6, 0x200, v0
	v_mov_b32_e32 v26, 0xff800000
	v_mov_b32_e32 v25, 0xff800000
	v_cmp_gt_i32_e64 s23, s42, v6
	s_and_b32 s0, s31, s23
	s_and_saveexec_b32 s1, s0
	s_cbranch_execz .LBB402_18
; %bb.17:
	v_add_co_u32 v6, s0, 0x800, v3
	v_add_co_ci_u32_e64 v7, null, 0, v4, s0
	global_load_dword v25, v[6:7], off
.LBB402_18:
	s_or_b32 exec_lo, exec_lo, s1
	v_add_nc_u32_e32 v6, 0x240, v0
	v_cmp_gt_i32_e64 s22, s42, v6
	s_and_b32 s0, s31, s22
	s_and_saveexec_b32 s1, s0
	s_cbranch_execz .LBB402_20
; %bb.19:
	v_add_co_u32 v6, s0, 0x800, v3
	v_add_co_ci_u32_e64 v7, null, 0, v4, s0
	global_load_dword v26, v[6:7], off offset:256
.LBB402_20:
	s_or_b32 exec_lo, exec_lo, s1
	v_add_nc_u32_e32 v6, 0x280, v0
	v_mov_b32_e32 v28, 0xff800000
	v_mov_b32_e32 v27, 0xff800000
	v_cmp_gt_i32_e64 s21, s42, v6
	s_and_b32 s0, s31, s21
	s_and_saveexec_b32 s1, s0
	s_cbranch_execz .LBB402_22
; %bb.21:
	v_add_co_u32 v6, s0, 0x800, v3
	v_add_co_ci_u32_e64 v7, null, 0, v4, s0
	global_load_dword v27, v[6:7], off offset:512
.LBB402_22:
	s_or_b32 exec_lo, exec_lo, s1
	v_add_nc_u32_e32 v6, 0x2c0, v0
	v_cmp_gt_i32_e64 s20, s42, v6
	s_and_b32 s0, s31, s20
	s_and_saveexec_b32 s1, s0
	s_cbranch_execz .LBB402_24
; %bb.23:
	v_add_co_u32 v6, s0, 0x800, v3
	v_add_co_ci_u32_e64 v7, null, 0, v4, s0
	global_load_dword v28, v[6:7], off offset:768
.LBB402_24:
	s_or_b32 exec_lo, exec_lo, s1
	v_add_nc_u32_e32 v6, 0x300, v0
	v_mov_b32_e32 v30, 0xff800000
	v_mov_b32_e32 v29, 0xff800000
	v_cmp_gt_i32_e64 s19, s42, v6
	s_and_b32 s0, s31, s19
	s_and_saveexec_b32 s1, s0
	s_cbranch_execz .LBB402_26
; %bb.25:
	v_add_co_u32 v6, s0, 0x800, v3
	v_add_co_ci_u32_e64 v7, null, 0, v4, s0
	global_load_dword v29, v[6:7], off offset:1024
.LBB402_26:
	;; [unrolled: 24-line block ×3, first 2 shown]
	s_or_b32 exec_lo, exec_lo, s1
	v_add_nc_u32_e32 v6, 0x3c0, v0
	v_cmp_gt_i32_e64 s16, s42, v6
	s_and_b32 s0, s31, s16
	s_and_saveexec_b32 s1, s0
	s_cbranch_execz .LBB402_32
; %bb.31:
	v_add_co_u32 v6, s0, 0x800, v3
	v_add_co_ci_u32_e64 v7, null, 0, v4, s0
	global_load_dword v33, v[6:7], off offset:1792
.LBB402_32:
	s_or_b32 exec_lo, exec_lo, s1
	v_or_b32_e32 v6, 0x400, v0
	v_mov_b32_e32 v31, 0xff800000
	v_mov_b32_e32 v34, 0xff800000
	v_cmp_gt_i32_e64 s15, s42, v6
	s_and_b32 s0, s31, s15
	s_and_saveexec_b32 s1, s0
	s_cbranch_execz .LBB402_34
; %bb.33:
	v_add_co_u32 v6, s0, 0x1000, v3
	v_add_co_ci_u32_e64 v7, null, 0, v4, s0
	global_load_dword v34, v[6:7], off
.LBB402_34:
	s_or_b32 exec_lo, exec_lo, s1
	v_add_nc_u32_e32 v6, 0x440, v0
	v_cmp_gt_i32_e64 s14, s42, v6
	s_and_b32 s0, s31, s14
	s_and_saveexec_b32 s1, s0
	s_cbranch_execz .LBB402_36
; %bb.35:
	v_add_co_u32 v6, s0, 0x1000, v3
	v_add_co_ci_u32_e64 v7, null, 0, v4, s0
	global_load_dword v31, v[6:7], off offset:256
.LBB402_36:
	s_or_b32 exec_lo, exec_lo, s1
	v_add_nc_u32_e32 v6, 0x480, v0
	v_mov_b32_e32 v36, 0xff800000
	v_mov_b32_e32 v35, 0xff800000
	v_cmp_gt_i32_e64 s13, s42, v6
	s_and_b32 s0, s31, s13
	s_and_saveexec_b32 s1, s0
	s_cbranch_execz .LBB402_38
; %bb.37:
	v_add_co_u32 v6, s0, 0x1000, v3
	v_add_co_ci_u32_e64 v7, null, 0, v4, s0
	global_load_dword v35, v[6:7], off offset:512
.LBB402_38:
	s_or_b32 exec_lo, exec_lo, s1
	v_add_nc_u32_e32 v6, 0x4c0, v0
	v_cmp_gt_i32_e64 s12, s42, v6
	s_and_b32 s0, s31, s12
	s_and_saveexec_b32 s1, s0
	s_cbranch_execz .LBB402_40
; %bb.39:
	v_add_co_u32 v6, s0, 0x1000, v3
	v_add_co_ci_u32_e64 v7, null, 0, v4, s0
	global_load_dword v36, v[6:7], off offset:768
.LBB402_40:
	s_or_b32 exec_lo, exec_lo, s1
	v_add_nc_u32_e32 v6, 0x500, v0
	v_mov_b32_e32 v38, 0xff800000
	v_mov_b32_e32 v37, 0xff800000
	v_cmp_gt_i32_e64 s11, s42, v6
	s_and_b32 s0, s31, s11
	s_and_saveexec_b32 s1, s0
	s_cbranch_execz .LBB402_42
; %bb.41:
	v_add_co_u32 v6, s0, 0x1000, v3
	v_add_co_ci_u32_e64 v7, null, 0, v4, s0
	global_load_dword v37, v[6:7], off offset:1024
.LBB402_42:
	;; [unrolled: 24-line block ×3, first 2 shown]
	s_or_b32 exec_lo, exec_lo, s1
	v_add_nc_u32_e32 v6, 0x5c0, v0
	v_cmp_gt_i32_e64 s8, s42, v6
	s_and_b32 s0, s31, s8
	s_and_saveexec_b32 s1, s0
	s_cbranch_execz .LBB402_48
; %bb.47:
	v_add_co_u32 v6, s0, 0x1000, v3
	v_add_co_ci_u32_e64 v7, null, 0, v4, s0
	global_load_dword v40, v[6:7], off offset:1792
.LBB402_48:
	s_or_b32 exec_lo, exec_lo, s1
	v_add_nc_u32_e32 v6, 0x600, v0
	v_mov_b32_e32 v15, 0xff800000
	v_mov_b32_e32 v41, 0xff800000
	v_cmp_gt_i32_e64 s7, s42, v6
	s_and_b32 s0, s31, s7
	s_and_saveexec_b32 s1, s0
	s_cbranch_execz .LBB402_50
; %bb.49:
	v_add_co_u32 v6, s0, 0x1800, v3
	v_add_co_ci_u32_e64 v7, null, 0, v4, s0
	global_load_dword v41, v[6:7], off
.LBB402_50:
	s_or_b32 exec_lo, exec_lo, s1
	v_add_nc_u32_e32 v6, 0x640, v0
	v_cmp_gt_i32_e64 s6, s42, v6
	s_and_b32 s0, s31, s6
	s_and_saveexec_b32 s1, s0
	s_cbranch_execz .LBB402_52
; %bb.51:
	v_add_co_u32 v6, s0, 0x1800, v3
	v_add_co_ci_u32_e64 v7, null, 0, v4, s0
	global_load_dword v15, v[6:7], off offset:256
.LBB402_52:
	s_or_b32 exec_lo, exec_lo, s1
	v_add_nc_u32_e32 v6, 0x680, v0
	v_mov_b32_e32 v10, 0xff800000
	v_mov_b32_e32 v17, 0xff800000
	v_cmp_gt_i32_e64 s5, s42, v6
	s_and_b32 s0, s31, s5
	s_and_saveexec_b32 s1, s0
	s_cbranch_execz .LBB402_54
; %bb.53:
	v_add_co_u32 v6, s0, 0x1800, v3
	v_add_co_ci_u32_e64 v7, null, 0, v4, s0
	global_load_dword v17, v[6:7], off offset:512
.LBB402_54:
	s_or_b32 exec_lo, exec_lo, s1
	v_add_nc_u32_e32 v6, 0x6c0, v0
	v_cmp_gt_i32_e64 s4, s42, v6
	s_and_b32 s0, s31, s4
	s_and_saveexec_b32 s1, s0
	s_cbranch_execz .LBB402_56
; %bb.55:
	v_add_co_u32 v6, s0, 0x1800, v3
	v_add_co_ci_u32_e64 v7, null, 0, v4, s0
	global_load_dword v10, v[6:7], off offset:768
.LBB402_56:
	s_or_b32 exec_lo, exec_lo, s1
	v_add_nc_u32_e32 v6, 0x700, v0
	v_mov_b32_e32 v7, 0xff800000
	v_mov_b32_e32 v9, 0xff800000
	v_cmp_gt_i32_e64 s3, s42, v6
	s_and_b32 s0, s31, s3
	s_and_saveexec_b32 s1, s0
	s_cbranch_execz .LBB402_58
; %bb.57:
	v_add_co_u32 v8, s0, 0x1800, v3
	v_add_co_ci_u32_e64 v9, null, 0, v4, s0
	global_load_dword v9, v[8:9], off offset:1024
.LBB402_58:
	s_or_b32 exec_lo, exec_lo, s1
	v_add_nc_u32_e32 v6, 0x740, v0
	v_cmp_gt_i32_e64 s2, s42, v6
	s_and_b32 s0, s31, s2
	s_and_saveexec_b32 s1, s0
	s_cbranch_execz .LBB402_60
; %bb.59:
	v_add_co_u32 v6, s0, 0x1800, v3
	v_add_co_ci_u32_e64 v7, null, 0, v4, s0
	global_load_dword v7, v[6:7], off offset:1280
.LBB402_60:
	s_or_b32 exec_lo, exec_lo, s1
	v_add_nc_u32_e32 v6, 0x780, v0
	v_mov_b32_e32 v8, 0xff800000
	v_cmp_gt_i32_e64 s1, s42, v6
	v_mov_b32_e32 v6, 0xff800000
	s_and_b32 s0, s31, s1
	s_and_saveexec_b32 s33, s0
	s_cbranch_execz .LBB402_62
; %bb.61:
	v_add_co_u32 v42, s0, 0x1800, v3
	v_add_co_ci_u32_e64 v43, null, 0, v4, s0
	global_load_dword v8, v[42:43], off offset:1536
.LBB402_62:
	s_or_b32 exec_lo, exec_lo, s33
	v_add_nc_u32_e32 v0, 0x7c0, v0
	v_cmp_gt_i32_e64 s0, s42, v0
	s_and_b32 s31, s31, s0
	s_and_saveexec_b32 s33, s31
	s_cbranch_execz .LBB402_64
; %bb.63:
	v_add_co_u32 v3, s31, 0x1800, v3
	v_add_co_ci_u32_e64 v4, null, 0, v4, s31
	global_load_dword v6, v[3:4], off offset:1792
.LBB402_64:
	s_or_b32 exec_lo, exec_lo, s33
	s_waitcnt vmcnt(0)
	v_cmp_gt_f32_e64 s31, v12, v13
	v_mbcnt_lo_u32_b32 v18, -1, 0
	s_mov_b32 s33, exec_lo
	v_cndmask_b32_e64 v0, v13, v12, s31
	v_cmp_gt_f32_e64 s31, v0, v16
	v_cndmask_b32_e64 v0, v16, v0, s31
	v_cmp_gt_f32_e64 s31, v0, v19
	;; [unrolled: 2-line block ×30, first 2 shown]
	v_cndmask_b32_e64 v3, v6, v0, s31
	v_or_b32_e32 v0, 32, v18
	v_cmp_gt_i32_e64 s31, 64, v0
	v_cndmask_b32_e64 v0, v18, v0, s31
	v_lshlrev_b32_e32 v0, 2, v0
	ds_bpermute_b32 v4, v0, v3
	s_waitcnt lgkmcnt(0)
	v_cmp_lt_f32_e64 s31, v3, v4
	v_cndmask_b32_e64 v4, v3, v4, s31
	v_xor_b32_e32 v3, 16, v18
	v_cmp_gt_i32_e64 s31, 64, v3
	v_cndmask_b32_e64 v3, v18, v3, s31
	v_lshlrev_b32_e32 v3, 2, v3
	ds_bpermute_b32 v11, v3, v4
	s_waitcnt lgkmcnt(0)
	v_cmp_lt_f32_e64 s31, v4, v11
	v_cndmask_b32_e64 v11, v4, v11, s31
	v_xor_b32_e32 v4, 8, v18
	;; [unrolled: 8-line block ×5, first 2 shown]
	v_cmp_gt_i32_e64 s31, 64, v42
	v_cndmask_b32_e64 v18, v18, v42, s31
	v_lshlrev_b32_e32 v18, 2, v18
	ds_bpermute_b32 v42, v18, v24
	s_waitcnt lgkmcnt(0)
	v_cmp_lt_f32_e64 s31, v24, v42
	v_cndmask_b32_e64 v24, v24, v42, s31
	v_sub_f32_e32 v12, v12, v24
	v_sub_f32_e32 v13, v13, v24
	;; [unrolled: 1-line block ×5, first 2 shown]
	v_mul_f32_e32 v42, 0x3fb8aa3b, v12
	v_cmp_ngt_f32_e64 s31, 0xc2ce8ed0, v12
	v_sub_f32_e32 v21, v21, v24
	v_sub_f32_e32 v22, v22, v24
	;; [unrolled: 1-line block ×3, first 2 shown]
	v_fma_f32 v43, 0x3fb8aa3b, v12, -v42
	v_rndne_f32_e32 v44, v42
	v_sub_f32_e32 v25, v25, v24
	v_sub_f32_e32 v26, v26, v24
	;; [unrolled: 1-line block ×3, first 2 shown]
	v_fmac_f32_e32 v43, 0x32a5705f, v12
	v_sub_f32_e32 v42, v42, v44
	v_sub_f32_e32 v28, v28, v24
	;; [unrolled: 1-line block ×5, first 2 shown]
	v_add_f32_e32 v42, v42, v43
	v_cvt_i32_f32_e32 v43, v44
	v_sub_f32_e32 v33, v33, v24
	v_sub_f32_e32 v34, v34, v24
	;; [unrolled: 1-line block ×3, first 2 shown]
	v_exp_f32_e32 v42, v42
	v_sub_f32_e32 v35, v35, v24
	v_sub_f32_e32 v36, v36, v24
	;; [unrolled: 1-line block ×9, first 2 shown]
	v_ldexp_f32 v42, v42, v43
	v_sub_f32_e32 v10, v10, v24
	v_sub_f32_e32 v9, v9, v24
	;; [unrolled: 1-line block ×4, first 2 shown]
	v_cndmask_b32_e64 v42, 0, v42, s31
	v_cmp_nlt_f32_e64 s31, 0x42b17218, v12
	v_sub_f32_e32 v6, v6, v24
	v_cndmask_b32_e64 v12, 0x7f800000, v42, s31
	v_mul_f32_e32 v42, 0x3fb8aa3b, v13
	v_cmp_ngt_f32_e64 s31, 0xc2ce8ed0, v13
	v_mul_f32_e32 v24, 0x3fb8aa3b, v6
	v_fma_f32 v43, 0x3fb8aa3b, v13, -v42
	v_rndne_f32_e32 v44, v42
	v_fmac_f32_e32 v43, 0x32a5705f, v13
	v_sub_f32_e32 v42, v42, v44
	v_add_f32_e32 v42, v42, v43
	v_cvt_i32_f32_e32 v43, v44
	v_exp_f32_e32 v42, v42
	v_ldexp_f32 v42, v42, v43
	v_mul_f32_e32 v43, 0x3fb8aa3b, v16
	v_cndmask_b32_e64 v42, 0, v42, s31
	v_fma_f32 v44, 0x3fb8aa3b, v16, -v43
	v_rndne_f32_e32 v45, v43
	v_cmp_nlt_f32_e64 s31, 0x42b17218, v13
	v_fmac_f32_e32 v44, 0x32a5705f, v16
	v_sub_f32_e32 v43, v43, v45
	v_cndmask_b32_e64 v13, 0x7f800000, v42, s31
	v_cmp_ngt_f32_e64 s31, 0xc2ce8ed0, v16
	v_add_f32_e32 v43, v43, v44
	v_cvt_i32_f32_e32 v44, v45
	v_add_f32_e32 v42, v12, v13
	v_exp_f32_e32 v43, v43
	v_ldexp_f32 v43, v43, v44
	v_cndmask_b32_e64 v43, 0, v43, s31
	v_cmp_nlt_f32_e64 s31, 0x42b17218, v16
	v_cndmask_b32_e64 v16, 0x7f800000, v43, s31
	v_mul_f32_e32 v43, 0x3fb8aa3b, v19
	v_cmp_ngt_f32_e64 s31, 0xc2ce8ed0, v19
	v_add_f32_e32 v42, v42, v16
	v_fma_f32 v44, 0x3fb8aa3b, v19, -v43
	v_rndne_f32_e32 v45, v43
	v_fmac_f32_e32 v44, 0x32a5705f, v19
	v_sub_f32_e32 v43, v43, v45
	v_add_f32_e32 v43, v43, v44
	v_cvt_i32_f32_e32 v44, v45
	v_exp_f32_e32 v43, v43
	v_ldexp_f32 v43, v43, v44
	v_cndmask_b32_e64 v43, 0, v43, s31
	v_cmp_nlt_f32_e64 s31, 0x42b17218, v19
	v_cndmask_b32_e64 v19, 0x7f800000, v43, s31
	v_mul_f32_e32 v43, 0x3fb8aa3b, v20
	v_cmp_ngt_f32_e64 s31, 0xc2ce8ed0, v20
	v_add_f32_e32 v42, v42, v19
	v_fma_f32 v44, 0x3fb8aa3b, v20, -v43
	v_rndne_f32_e32 v45, v43
	v_fmac_f32_e32 v44, 0x32a5705f, v20
	v_sub_f32_e32 v43, v43, v45
	v_add_f32_e32 v43, v43, v44
	v_cvt_i32_f32_e32 v44, v45
	;; [unrolled: 14-line block ×28, first 2 shown]
	v_exp_f32_e32 v43, v43
	v_ldexp_f32 v43, v43, v44
	v_rndne_f32_e32 v44, v24
	v_cndmask_b32_e64 v43, 0, v43, s31
	v_cmp_nlt_f32_e64 s31, 0x42b17218, v8
	v_cndmask_b32_e64 v8, 0x7f800000, v43, s31
	v_fma_f32 v43, 0x3fb8aa3b, v6, -v24
	v_sub_f32_e32 v24, v24, v44
	v_cmp_ngt_f32_e64 s31, 0xc2ce8ed0, v6
	v_add_f32_e32 v42, v42, v8
	v_fmac_f32_e32 v43, 0x32a5705f, v6
	v_add_f32_e32 v24, v24, v43
	v_cvt_i32_f32_e32 v43, v44
	v_exp_f32_e32 v24, v24
	v_ldexp_f32 v24, v24, v43
	v_cndmask_b32_e64 v24, 0, v24, s31
	v_cmp_nlt_f32_e64 s31, 0x42b17218, v6
	v_cndmask_b32_e64 v6, 0x7f800000, v24, s31
	v_add_f32_e32 v24, v42, v6
	ds_bpermute_b32 v0, v0, v24
	s_waitcnt lgkmcnt(0)
	v_add_f32_e32 v0, v24, v0
	ds_bpermute_b32 v3, v3, v0
	s_waitcnt lgkmcnt(0)
	;; [unrolled: 3-line block ×5, first 2 shown]
	v_add_f32_e32 v0, v0, v3
	ds_bpermute_b32 v3, v18, v0
	v_cmpx_lt_i32_e32 0, v5
	s_cbranch_execz .LBB402_98
; %bb.65:
	s_and_b32 exec_lo, exec_lo, vcc_lo
	s_cbranch_execz .LBB402_98
; %bb.66:
	s_waitcnt lgkmcnt(0)
	v_add_f32_e32 v4, v0, v3
	v_div_scale_f32 v0, null, v4, v4, v12
	v_div_scale_f32 v11, vcc_lo, v12, v4, v12
	v_cmp_eq_f32_e64 s31, 0, v4
	v_rcp_f32_e32 v3, v0
	v_fma_f32 v5, -v0, v3, 1.0
	v_fmac_f32_e32 v3, v5, v3
	v_mul_f32_e32 v5, v11, v3
	v_fma_f32 v14, -v0, v5, v11
	v_fmac_f32_e32 v5, v14, v3
	v_fma_f32 v0, -v0, v5, v11
	v_div_fmas_f32 v0, v0, v3, v5
	v_div_fixup_f32 v3, v0, v4, v12
	v_add_co_u32 v0, vcc_lo, s36, v1
	v_add_co_ci_u32_e64 v1, null, s37, v2, vcc_lo
	v_cndmask_b32_e64 v2, v3, 0x7fc00000, s31
	global_store_dword v[0:1], v2, off
	s_and_b32 exec_lo, exec_lo, s30
	s_cbranch_execz .LBB402_98
; %bb.67:
	v_div_scale_f32 v2, null, v4, v4, v13
	v_rcp_f32_e32 v3, v2
	v_fma_f32 v5, -v2, v3, 1.0
	v_fmac_f32_e32 v3, v5, v3
	v_div_scale_f32 v5, vcc_lo, v13, v4, v13
	v_mul_f32_e32 v11, v5, v3
	v_fma_f32 v12, -v2, v11, v5
	v_fmac_f32_e32 v11, v12, v3
	v_fma_f32 v2, -v2, v11, v5
	v_div_fmas_f32 v2, v2, v3, v11
	v_div_fixup_f32 v2, v2, v4, v13
	v_cndmask_b32_e64 v2, v2, 0x7fc00000, s31
	global_store_dword v[0:1], v2, off offset:256
	s_and_b32 exec_lo, exec_lo, s29
	s_cbranch_execz .LBB402_98
; %bb.68:
	v_div_scale_f32 v2, null, v4, v4, v16
	v_rcp_f32_e32 v3, v2
	v_fma_f32 v5, -v2, v3, 1.0
	v_fmac_f32_e32 v3, v5, v3
	v_div_scale_f32 v5, vcc_lo, v16, v4, v16
	v_mul_f32_e32 v11, v5, v3
	v_fma_f32 v12, -v2, v11, v5
	v_fmac_f32_e32 v11, v12, v3
	v_fma_f32 v2, -v2, v11, v5
	v_div_fmas_f32 v2, v2, v3, v11
	v_div_fixup_f32 v2, v2, v4, v16
	v_cndmask_b32_e64 v2, v2, 0x7fc00000, s31
	global_store_dword v[0:1], v2, off offset:512
	;; [unrolled: 16-line block ×7, first 2 shown]
	s_and_b32 exec_lo, exec_lo, s23
	s_cbranch_execz .LBB402_98
; %bb.74:
	v_div_scale_f32 v2, null, v4, v4, v25
	v_div_scale_f32 v11, vcc_lo, v25, v4, v25
	v_rcp_f32_e32 v3, v2
	v_fma_f32 v5, -v2, v3, 1.0
	v_fmac_f32_e32 v3, v5, v3
	v_mul_f32_e32 v5, v11, v3
	v_fma_f32 v12, -v2, v5, v11
	v_fmac_f32_e32 v5, v12, v3
	v_fma_f32 v2, -v2, v5, v11
	v_div_fmas_f32 v2, v2, v3, v5
	v_div_fixup_f32 v2, v2, v4, v25
	v_cndmask_b32_e64 v5, v2, 0x7fc00000, s31
	v_add_co_u32 v2, vcc_lo, 0x800, v0
	v_add_co_ci_u32_e64 v3, null, 0, v1, vcc_lo
	global_store_dword v[2:3], v5, off
	s_and_b32 exec_lo, exec_lo, s22
	s_cbranch_execz .LBB402_98
; %bb.75:
	v_div_scale_f32 v5, null, v4, v4, v26
	v_rcp_f32_e32 v11, v5
	v_fma_f32 v12, -v5, v11, 1.0
	v_fmac_f32_e32 v11, v12, v11
	v_div_scale_f32 v12, vcc_lo, v26, v4, v26
	v_mul_f32_e32 v13, v12, v11
	v_fma_f32 v14, -v5, v13, v12
	v_fmac_f32_e32 v13, v14, v11
	v_fma_f32 v5, -v5, v13, v12
	v_div_fmas_f32 v5, v5, v11, v13
	v_div_fixup_f32 v5, v5, v4, v26
	v_cndmask_b32_e64 v5, v5, 0x7fc00000, s31
	global_store_dword v[2:3], v5, off offset:256
	s_and_b32 exec_lo, exec_lo, s21
	s_cbranch_execz .LBB402_98
; %bb.76:
	v_div_scale_f32 v5, null, v4, v4, v27
	v_rcp_f32_e32 v11, v5
	v_fma_f32 v12, -v5, v11, 1.0
	v_fmac_f32_e32 v11, v12, v11
	v_div_scale_f32 v12, vcc_lo, v27, v4, v27
	v_mul_f32_e32 v13, v12, v11
	v_fma_f32 v14, -v5, v13, v12
	v_fmac_f32_e32 v13, v14, v11
	v_fma_f32 v5, -v5, v13, v12
	v_div_fmas_f32 v5, v5, v11, v13
	v_div_fixup_f32 v5, v5, v4, v27
	v_cndmask_b32_e64 v5, v5, 0x7fc00000, s31
	global_store_dword v[2:3], v5, off offset:512
	;; [unrolled: 16-line block ×7, first 2 shown]
	s_and_b32 exec_lo, exec_lo, s15
	s_cbranch_execz .LBB402_98
; %bb.82:
	v_div_scale_f32 v2, null, v4, v4, v34
	v_div_scale_f32 v11, vcc_lo, v34, v4, v34
	v_rcp_f32_e32 v3, v2
	v_fma_f32 v5, -v2, v3, 1.0
	v_fmac_f32_e32 v3, v5, v3
	v_mul_f32_e32 v5, v11, v3
	v_fma_f32 v12, -v2, v5, v11
	v_fmac_f32_e32 v5, v12, v3
	v_fma_f32 v2, -v2, v5, v11
	v_div_fmas_f32 v2, v2, v3, v5
	v_div_fixup_f32 v2, v2, v4, v34
	v_cndmask_b32_e64 v5, v2, 0x7fc00000, s31
	v_add_co_u32 v2, vcc_lo, 0x1000, v0
	v_add_co_ci_u32_e64 v3, null, 0, v1, vcc_lo
	global_store_dword v[2:3], v5, off
	s_and_b32 exec_lo, exec_lo, s14
	s_cbranch_execz .LBB402_98
; %bb.83:
	v_div_scale_f32 v5, null, v4, v4, v31
	v_rcp_f32_e32 v11, v5
	v_fma_f32 v12, -v5, v11, 1.0
	v_fmac_f32_e32 v11, v12, v11
	v_div_scale_f32 v12, vcc_lo, v31, v4, v31
	v_mul_f32_e32 v13, v12, v11
	v_fma_f32 v14, -v5, v13, v12
	v_fmac_f32_e32 v13, v14, v11
	v_fma_f32 v5, -v5, v13, v12
	v_div_fmas_f32 v5, v5, v11, v13
	v_div_fixup_f32 v5, v5, v4, v31
	v_cndmask_b32_e64 v5, v5, 0x7fc00000, s31
	global_store_dword v[2:3], v5, off offset:256
	s_and_b32 exec_lo, exec_lo, s13
	s_cbranch_execz .LBB402_98
; %bb.84:
	v_div_scale_f32 v5, null, v4, v4, v35
	v_rcp_f32_e32 v11, v5
	v_fma_f32 v12, -v5, v11, 1.0
	v_fmac_f32_e32 v11, v12, v11
	v_div_scale_f32 v12, vcc_lo, v35, v4, v35
	v_mul_f32_e32 v13, v12, v11
	v_fma_f32 v14, -v5, v13, v12
	v_fmac_f32_e32 v13, v14, v11
	v_fma_f32 v5, -v5, v13, v12
	v_div_fmas_f32 v5, v5, v11, v13
	v_div_fixup_f32 v5, v5, v4, v35
	v_cndmask_b32_e64 v5, v5, 0x7fc00000, s31
	global_store_dword v[2:3], v5, off offset:512
	s_and_b32 exec_lo, exec_lo, s12
	s_cbranch_execz .LBB402_98
; %bb.85:
	v_div_scale_f32 v5, null, v4, v4, v36
	v_rcp_f32_e32 v11, v5
	v_fma_f32 v12, -v5, v11, 1.0
	v_fmac_f32_e32 v11, v12, v11
	v_div_scale_f32 v12, vcc_lo, v36, v4, v36
	v_mul_f32_e32 v13, v12, v11
	v_fma_f32 v14, -v5, v13, v12
	v_fmac_f32_e32 v13, v14, v11
	v_fma_f32 v5, -v5, v13, v12
	v_div_fmas_f32 v5, v5, v11, v13
	v_div_fixup_f32 v5, v5, v4, v36
	v_cndmask_b32_e64 v5, v5, 0x7fc00000, s31
	global_store_dword v[2:3], v5, off offset:768
	s_and_b32 exec_lo, exec_lo, s11
	s_cbranch_execz .LBB402_98
; %bb.86:
	v_div_scale_f32 v5, null, v4, v4, v37
	v_rcp_f32_e32 v11, v5
	v_fma_f32 v12, -v5, v11, 1.0
	v_fmac_f32_e32 v11, v12, v11
	v_div_scale_f32 v12, vcc_lo, v37, v4, v37
	v_mul_f32_e32 v13, v12, v11
	v_fma_f32 v14, -v5, v13, v12
	v_fmac_f32_e32 v13, v14, v11
	v_fma_f32 v5, -v5, v13, v12
	v_div_fmas_f32 v5, v5, v11, v13
	v_div_fixup_f32 v5, v5, v4, v37
	v_cndmask_b32_e64 v5, v5, 0x7fc00000, s31
	global_store_dword v[2:3], v5, off offset:1024
	s_and_b32 exec_lo, exec_lo, s10
	s_cbranch_execz .LBB402_98
; %bb.87:
	v_div_scale_f32 v5, null, v4, v4, v38
	v_rcp_f32_e32 v11, v5
	v_fma_f32 v12, -v5, v11, 1.0
	v_fmac_f32_e32 v11, v12, v11
	v_div_scale_f32 v12, vcc_lo, v38, v4, v38
	v_mul_f32_e32 v13, v12, v11
	v_fma_f32 v14, -v5, v13, v12
	v_fmac_f32_e32 v13, v14, v11
	v_fma_f32 v5, -v5, v13, v12
	v_div_fmas_f32 v5, v5, v11, v13
	v_div_fixup_f32 v5, v5, v4, v38
	v_cndmask_b32_e64 v5, v5, 0x7fc00000, s31
	global_store_dword v[2:3], v5, off offset:1280
	s_and_b32 exec_lo, exec_lo, s9
	s_cbranch_execz .LBB402_98
; %bb.88:
	v_div_scale_f32 v5, null, v4, v4, v39
	v_rcp_f32_e32 v11, v5
	v_fma_f32 v12, -v5, v11, 1.0
	v_fmac_f32_e32 v11, v12, v11
	v_div_scale_f32 v12, vcc_lo, v39, v4, v39
	v_mul_f32_e32 v13, v12, v11
	v_fma_f32 v14, -v5, v13, v12
	v_fmac_f32_e32 v13, v14, v11
	v_fma_f32 v5, -v5, v13, v12
	v_div_fmas_f32 v5, v5, v11, v13
	v_div_fixup_f32 v5, v5, v4, v39
	v_cndmask_b32_e64 v5, v5, 0x7fc00000, s31
	global_store_dword v[2:3], v5, off offset:1536
	s_and_b32 exec_lo, exec_lo, s8
	s_cbranch_execz .LBB402_98
; %bb.89:
	v_div_scale_f32 v5, null, v4, v4, v40
	v_rcp_f32_e32 v11, v5
	v_fma_f32 v12, -v5, v11, 1.0
	v_fmac_f32_e32 v11, v12, v11
	v_div_scale_f32 v12, vcc_lo, v40, v4, v40
	v_mul_f32_e32 v13, v12, v11
	v_fma_f32 v14, -v5, v13, v12
	v_fmac_f32_e32 v13, v14, v11
	v_fma_f32 v5, -v5, v13, v12
	v_div_fmas_f32 v5, v5, v11, v13
	v_div_fixup_f32 v5, v5, v4, v40
	v_cndmask_b32_e64 v5, v5, 0x7fc00000, s31
	global_store_dword v[2:3], v5, off offset:1792
	s_and_b32 exec_lo, exec_lo, s7
	s_cbranch_execz .LBB402_98
; %bb.90:
	v_div_scale_f32 v2, null, v4, v4, v41
	v_div_scale_f32 v11, vcc_lo, v41, v4, v41
	v_rcp_f32_e32 v3, v2
	v_fma_f32 v5, -v2, v3, 1.0
	v_fmac_f32_e32 v3, v5, v3
	v_mul_f32_e32 v5, v11, v3
	v_fma_f32 v12, -v2, v5, v11
	v_fmac_f32_e32 v5, v12, v3
	v_fma_f32 v2, -v2, v5, v11
	v_div_fmas_f32 v2, v2, v3, v5
	v_add_co_u32 v0, vcc_lo, 0x1800, v0
	v_add_co_ci_u32_e64 v1, null, 0, v1, vcc_lo
	v_div_fixup_f32 v2, v2, v4, v41
	v_cndmask_b32_e64 v2, v2, 0x7fc00000, s31
	global_store_dword v[0:1], v2, off
	s_and_b32 exec_lo, exec_lo, s6
	s_cbranch_execz .LBB402_98
; %bb.91:
	v_div_scale_f32 v2, null, v4, v4, v15
	v_rcp_f32_e32 v3, v2
	v_fma_f32 v5, -v2, v3, 1.0
	v_fmac_f32_e32 v3, v5, v3
	v_div_scale_f32 v5, vcc_lo, v15, v4, v15
	v_mul_f32_e32 v11, v5, v3
	v_fma_f32 v12, -v2, v11, v5
	v_fmac_f32_e32 v11, v12, v3
	v_fma_f32 v2, -v2, v11, v5
	v_div_fmas_f32 v2, v2, v3, v11
	v_div_fixup_f32 v2, v2, v4, v15
	v_cndmask_b32_e64 v2, v2, 0x7fc00000, s31
	global_store_dword v[0:1], v2, off offset:256
	s_and_b32 exec_lo, exec_lo, s5
	s_cbranch_execz .LBB402_98
; %bb.92:
	v_div_scale_f32 v2, null, v4, v4, v17
	v_rcp_f32_e32 v3, v2
	v_fma_f32 v5, -v2, v3, 1.0
	v_fmac_f32_e32 v3, v5, v3
	v_div_scale_f32 v5, vcc_lo, v17, v4, v17
	v_mul_f32_e32 v11, v5, v3
	v_fma_f32 v12, -v2, v11, v5
	v_fmac_f32_e32 v11, v12, v3
	v_fma_f32 v2, -v2, v11, v5
	v_div_fmas_f32 v2, v2, v3, v11
	v_div_fixup_f32 v2, v2, v4, v17
	v_cndmask_b32_e64 v2, v2, 0x7fc00000, s31
	global_store_dword v[0:1], v2, off offset:512
	;; [unrolled: 16-line block ×7, first 2 shown]
.LBB402_98:
	s_endpgm
	.section	.rodata,"a",@progbits
	.p2align	6, 0x0
	.amdhsa_kernel _ZN12_GLOBAL__N_120softmax_warp_forwardIfffLi11ELb0ELb0ELi64EEEvPT0_PKT_iiiPKbib
		.amdhsa_group_segment_fixed_size 0
		.amdhsa_private_segment_fixed_size 0
		.amdhsa_kernarg_size 304
		.amdhsa_user_sgpr_count 6
		.amdhsa_user_sgpr_private_segment_buffer 1
		.amdhsa_user_sgpr_dispatch_ptr 0
		.amdhsa_user_sgpr_queue_ptr 0
		.amdhsa_user_sgpr_kernarg_segment_ptr 1
		.amdhsa_user_sgpr_dispatch_id 0
		.amdhsa_user_sgpr_flat_scratch_init 0
		.amdhsa_user_sgpr_private_segment_size 0
		.amdhsa_wavefront_size32 1
		.amdhsa_uses_dynamic_stack 0
		.amdhsa_system_sgpr_private_segment_wavefront_offset 0
		.amdhsa_system_sgpr_workgroup_id_x 1
		.amdhsa_system_sgpr_workgroup_id_y 0
		.amdhsa_system_sgpr_workgroup_id_z 0
		.amdhsa_system_sgpr_workgroup_info 0
		.amdhsa_system_vgpr_workitem_id 1
		.amdhsa_next_free_vgpr 46
		.amdhsa_next_free_sgpr 44
		.amdhsa_reserve_vcc 1
		.amdhsa_reserve_flat_scratch 0
		.amdhsa_float_round_mode_32 0
		.amdhsa_float_round_mode_16_64 0
		.amdhsa_float_denorm_mode_32 3
		.amdhsa_float_denorm_mode_16_64 3
		.amdhsa_dx10_clamp 1
		.amdhsa_ieee_mode 1
		.amdhsa_fp16_overflow 0
		.amdhsa_workgroup_processor_mode 1
		.amdhsa_memory_ordered 1
		.amdhsa_forward_progress 1
		.amdhsa_shared_vgpr_count 0
		.amdhsa_exception_fp_ieee_invalid_op 0
		.amdhsa_exception_fp_denorm_src 0
		.amdhsa_exception_fp_ieee_div_zero 0
		.amdhsa_exception_fp_ieee_overflow 0
		.amdhsa_exception_fp_ieee_underflow 0
		.amdhsa_exception_fp_ieee_inexact 0
		.amdhsa_exception_int_div_zero 0
	.end_amdhsa_kernel
	.section	.text._ZN12_GLOBAL__N_120softmax_warp_forwardIfffLi11ELb0ELb0ELi64EEEvPT0_PKT_iiiPKbib,"axG",@progbits,_ZN12_GLOBAL__N_120softmax_warp_forwardIfffLi11ELb0ELb0ELi64EEEvPT0_PKT_iiiPKbib,comdat
.Lfunc_end402:
	.size	_ZN12_GLOBAL__N_120softmax_warp_forwardIfffLi11ELb0ELb0ELi64EEEvPT0_PKT_iiiPKbib, .Lfunc_end402-_ZN12_GLOBAL__N_120softmax_warp_forwardIfffLi11ELb0ELb0ELi64EEEvPT0_PKT_iiiPKbib
                                        ; -- End function
	.set _ZN12_GLOBAL__N_120softmax_warp_forwardIfffLi11ELb0ELb0ELi64EEEvPT0_PKT_iiiPKbib.num_vgpr, 46
	.set _ZN12_GLOBAL__N_120softmax_warp_forwardIfffLi11ELb0ELb0ELi64EEEvPT0_PKT_iiiPKbib.num_agpr, 0
	.set _ZN12_GLOBAL__N_120softmax_warp_forwardIfffLi11ELb0ELb0ELi64EEEvPT0_PKT_iiiPKbib.numbered_sgpr, 44
	.set _ZN12_GLOBAL__N_120softmax_warp_forwardIfffLi11ELb0ELb0ELi64EEEvPT0_PKT_iiiPKbib.num_named_barrier, 0
	.set _ZN12_GLOBAL__N_120softmax_warp_forwardIfffLi11ELb0ELb0ELi64EEEvPT0_PKT_iiiPKbib.private_seg_size, 0
	.set _ZN12_GLOBAL__N_120softmax_warp_forwardIfffLi11ELb0ELb0ELi64EEEvPT0_PKT_iiiPKbib.uses_vcc, 1
	.set _ZN12_GLOBAL__N_120softmax_warp_forwardIfffLi11ELb0ELb0ELi64EEEvPT0_PKT_iiiPKbib.uses_flat_scratch, 0
	.set _ZN12_GLOBAL__N_120softmax_warp_forwardIfffLi11ELb0ELb0ELi64EEEvPT0_PKT_iiiPKbib.has_dyn_sized_stack, 0
	.set _ZN12_GLOBAL__N_120softmax_warp_forwardIfffLi11ELb0ELb0ELi64EEEvPT0_PKT_iiiPKbib.has_recursion, 0
	.set _ZN12_GLOBAL__N_120softmax_warp_forwardIfffLi11ELb0ELb0ELi64EEEvPT0_PKT_iiiPKbib.has_indirect_call, 0
	.section	.AMDGPU.csdata,"",@progbits
; Kernel info:
; codeLenInByte = 9752
; TotalNumSgprs: 46
; NumVgprs: 46
; ScratchSize: 0
; MemoryBound: 0
; FloatMode: 240
; IeeeMode: 1
; LDSByteSize: 0 bytes/workgroup (compile time only)
; SGPRBlocks: 0
; VGPRBlocks: 5
; NumSGPRsForWavesPerEU: 46
; NumVGPRsForWavesPerEU: 46
; Occupancy: 16
; WaveLimiterHint : 0
; COMPUTE_PGM_RSRC2:SCRATCH_EN: 0
; COMPUTE_PGM_RSRC2:USER_SGPR: 6
; COMPUTE_PGM_RSRC2:TRAP_HANDLER: 0
; COMPUTE_PGM_RSRC2:TGID_X_EN: 1
; COMPUTE_PGM_RSRC2:TGID_Y_EN: 0
; COMPUTE_PGM_RSRC2:TGID_Z_EN: 0
; COMPUTE_PGM_RSRC2:TIDIG_COMP_CNT: 1
	.section	.text._ZN12_GLOBAL__N_120softmax_warp_forwardIfffLi11ELb0ELb0ELi32EEEvPT0_PKT_iiiPKbib,"axG",@progbits,_ZN12_GLOBAL__N_120softmax_warp_forwardIfffLi11ELb0ELb0ELi32EEEvPT0_PKT_iiiPKbib,comdat
	.globl	_ZN12_GLOBAL__N_120softmax_warp_forwardIfffLi11ELb0ELb0ELi32EEEvPT0_PKT_iiiPKbib ; -- Begin function _ZN12_GLOBAL__N_120softmax_warp_forwardIfffLi11ELb0ELb0ELi32EEEvPT0_PKT_iiiPKbib
	.p2align	8
	.type	_ZN12_GLOBAL__N_120softmax_warp_forwardIfffLi11ELb0ELb0ELi32EEEvPT0_PKT_iiiPKbib,@function
_ZN12_GLOBAL__N_120softmax_warp_forwardIfffLi11ELb0ELb0ELi32EEEvPT0_PKT_iiiPKbib: ; @_ZN12_GLOBAL__N_120softmax_warp_forwardIfffLi11ELb0ELb0ELi32EEEvPT0_PKT_iiiPKbib
; %bb.0:
	s_clause 0x1
	s_load_dword s0, s[4:5], 0x3c
	s_load_dwordx8 s[68:75], s[4:5], 0x0
	v_mov_b32_e32 v17, 0xff800000
	v_mov_b32_e32 v14, 0xff800000
	s_waitcnt lgkmcnt(0)
	s_lshr_b32 s0, s0, 16
	v_cmp_gt_i32_e32 vcc_lo, s74, v0
	v_mad_u64_u32 v[1:2], null, s6, s0, v[1:2]
	v_mad_u64_u32 v[2:3], null, v1, s73, v[0:1]
	v_sub_nc_u32_e32 v5, s72, v1
	v_cmp_lt_i32_e64 s64, 0, v5
	v_ashrrev_i32_e32 v3, 31, v2
	s_and_b32 s1, s64, vcc_lo
	v_lshlrev_b64 v[1:2], 2, v[2:3]
	v_add_co_u32 v3, s0, s70, v1
	v_add_co_ci_u32_e64 v4, null, s71, v2, s0
	s_and_saveexec_b32 s0, s1
	s_cbranch_execz .LBB403_2
; %bb.1:
	global_load_dword v14, v[3:4], off
.LBB403_2:
	s_or_b32 exec_lo, exec_lo, s0
	v_add_nc_u32_e32 v6, 32, v0
	v_cmp_gt_i32_e64 s63, s74, v6
	s_and_b32 s1, s64, s63
	s_and_saveexec_b32 s0, s1
	s_cbranch_execz .LBB403_4
; %bb.3:
	global_load_dword v17, v[3:4], off offset:128
.LBB403_4:
	s_or_b32 exec_lo, exec_lo, s0
	v_add_nc_u32_e32 v6, 64, v0
	v_mov_b32_e32 v19, 0xff800000
	v_mov_b32_e32 v18, 0xff800000
	v_cmp_gt_i32_e64 s62, s74, v6
	s_and_b32 s1, s64, s62
	s_and_saveexec_b32 s0, s1
	s_cbranch_execz .LBB403_6
; %bb.5:
	global_load_dword v18, v[3:4], off offset:256
.LBB403_6:
	s_or_b32 exec_lo, exec_lo, s0
	v_add_nc_u32_e32 v6, 0x60, v0
	v_cmp_gt_i32_e64 s61, s74, v6
	s_and_b32 s1, s64, s61
	s_and_saveexec_b32 s0, s1
	s_cbranch_execz .LBB403_8
; %bb.7:
	global_load_dword v19, v[3:4], off offset:384
.LBB403_8:
	s_or_b32 exec_lo, exec_lo, s0
	v_add_nc_u32_e32 v6, 0x80, v0
	v_mov_b32_e32 v21, 0xff800000
	v_mov_b32_e32 v20, 0xff800000
	v_cmp_gt_i32_e64 s60, s74, v6
	s_and_b32 s1, s64, s60
	s_and_saveexec_b32 s0, s1
	s_cbranch_execz .LBB403_10
; %bb.9:
	global_load_dword v20, v[3:4], off offset:512
.LBB403_10:
	;; [unrolled: 20-line block ×7, first 2 shown]
	s_or_b32 exec_lo, exec_lo, s0
	v_add_nc_u32_e32 v6, 0x1e0, v0
	v_cmp_gt_i32_e64 s49, s74, v6
	s_and_b32 s1, s64, s49
	s_and_saveexec_b32 s0, s1
	s_cbranch_execz .LBB403_32
; %bb.31:
	global_load_dword v38, v[3:4], off offset:1920
.LBB403_32:
	s_or_b32 exec_lo, exec_lo, s0
	v_add_nc_u32_e32 v6, 0x200, v0
	v_mov_b32_e32 v42, 0xff800000
	v_mov_b32_e32 v40, 0xff800000
	v_cmp_gt_i32_e64 s48, s74, v6
	s_and_b32 s0, s64, s48
	s_and_saveexec_b32 s1, s0
	s_cbranch_execz .LBB403_34
; %bb.33:
	v_add_co_u32 v6, s0, 0x800, v3
	v_add_co_ci_u32_e64 v7, null, 0, v4, s0
	global_load_dword v40, v[6:7], off
.LBB403_34:
	s_or_b32 exec_lo, exec_lo, s1
	v_add_nc_u32_e32 v6, 0x220, v0
	v_cmp_gt_i32_e64 s47, s74, v6
	s_and_b32 s0, s64, s47
	s_and_saveexec_b32 s1, s0
	s_cbranch_execz .LBB403_36
; %bb.35:
	v_add_co_u32 v6, s0, 0x800, v3
	v_add_co_ci_u32_e64 v7, null, 0, v4, s0
	global_load_dword v42, v[6:7], off offset:128
.LBB403_36:
	s_or_b32 exec_lo, exec_lo, s1
	v_add_nc_u32_e32 v6, 0x240, v0
	v_mov_b32_e32 v46, 0xff800000
	v_mov_b32_e32 v43, 0xff800000
	v_cmp_gt_i32_e64 s46, s74, v6
	s_and_b32 s0, s64, s46
	s_and_saveexec_b32 s1, s0
	s_cbranch_execz .LBB403_38
; %bb.37:
	v_add_co_u32 v6, s0, 0x800, v3
	v_add_co_ci_u32_e64 v7, null, 0, v4, s0
	global_load_dword v43, v[6:7], off offset:256
.LBB403_38:
	s_or_b32 exec_lo, exec_lo, s1
	v_add_nc_u32_e32 v6, 0x260, v0
	v_cmp_gt_i32_e64 s45, s74, v6
	s_and_b32 s0, s64, s45
	s_and_saveexec_b32 s1, s0
	s_cbranch_execz .LBB403_40
; %bb.39:
	v_add_co_u32 v6, s0, 0x800, v3
	v_add_co_ci_u32_e64 v7, null, 0, v4, s0
	global_load_dword v46, v[6:7], off offset:384
.LBB403_40:
	s_or_b32 exec_lo, exec_lo, s1
	v_add_nc_u32_e32 v6, 0x280, v0
	v_mov_b32_e32 v49, 0xff800000
	v_mov_b32_e32 v47, 0xff800000
	v_cmp_gt_i32_e64 s44, s74, v6
	s_and_b32 s0, s64, s44
	s_and_saveexec_b32 s1, s0
	s_cbranch_execz .LBB403_42
; %bb.41:
	v_add_co_u32 v6, s0, 0x800, v3
	v_add_co_ci_u32_e64 v7, null, 0, v4, s0
	global_load_dword v47, v[6:7], off offset:512
.LBB403_42:
	;; [unrolled: 24-line block ×7, first 2 shown]
	s_or_b32 exec_lo, exec_lo, s1
	v_add_nc_u32_e32 v6, 0x3e0, v0
	v_cmp_gt_i32_e64 s33, s74, v6
	s_and_b32 s0, s64, s33
	s_and_saveexec_b32 s1, s0
	s_cbranch_execz .LBB403_64
; %bb.63:
	v_add_co_u32 v6, s0, 0x800, v3
	v_add_co_ci_u32_e64 v7, null, 0, v4, s0
	global_load_dword v72, v[6:7], off offset:1920
.LBB403_64:
	s_or_b32 exec_lo, exec_lo, s1
	v_or_b32_e32 v6, 0x400, v0
	v_mov_b32_e32 v68, 0xff800000
	v_mov_b32_e32 v71, 0xff800000
	v_cmp_gt_i32_e64 s31, s74, v6
	s_and_b32 s0, s64, s31
	s_and_saveexec_b32 s1, s0
	s_cbranch_execz .LBB403_66
; %bb.65:
	v_add_co_u32 v6, s0, 0x1000, v3
	v_add_co_ci_u32_e64 v7, null, 0, v4, s0
	global_load_dword v71, v[6:7], off
.LBB403_66:
	s_or_b32 exec_lo, exec_lo, s1
	v_add_nc_u32_e32 v6, 0x420, v0
	v_cmp_gt_i32_e64 s30, s74, v6
	s_and_b32 s0, s64, s30
	s_and_saveexec_b32 s1, s0
	s_cbranch_execz .LBB403_68
; %bb.67:
	v_add_co_u32 v6, s0, 0x1000, v3
	v_add_co_ci_u32_e64 v7, null, 0, v4, s0
	global_load_dword v68, v[6:7], off offset:128
.LBB403_68:
	s_or_b32 exec_lo, exec_lo, s1
	v_add_nc_u32_e32 v6, 0x440, v0
	v_mov_b32_e32 v64, 0xff800000
	v_mov_b32_e32 v67, 0xff800000
	v_cmp_gt_i32_e64 s29, s74, v6
	s_and_b32 s0, s64, s29
	s_and_saveexec_b32 s1, s0
	s_cbranch_execz .LBB403_70
; %bb.69:
	v_add_co_u32 v6, s0, 0x1000, v3
	v_add_co_ci_u32_e64 v7, null, 0, v4, s0
	global_load_dword v67, v[6:7], off offset:256
.LBB403_70:
	s_or_b32 exec_lo, exec_lo, s1
	v_add_nc_u32_e32 v6, 0x460, v0
	v_cmp_gt_i32_e64 s28, s74, v6
	s_and_b32 s0, s64, s28
	s_and_saveexec_b32 s1, s0
	s_cbranch_execz .LBB403_72
; %bb.71:
	v_add_co_u32 v6, s0, 0x1000, v3
	v_add_co_ci_u32_e64 v7, null, 0, v4, s0
	global_load_dword v64, v[6:7], off offset:384
.LBB403_72:
	s_or_b32 exec_lo, exec_lo, s1
	v_add_nc_u32_e32 v6, 0x480, v0
	v_mov_b32_e32 v60, 0xff800000
	v_mov_b32_e32 v63, 0xff800000
	v_cmp_gt_i32_e64 s27, s74, v6
	s_and_b32 s0, s64, s27
	s_and_saveexec_b32 s1, s0
	s_cbranch_execz .LBB403_74
; %bb.73:
	v_add_co_u32 v6, s0, 0x1000, v3
	v_add_co_ci_u32_e64 v7, null, 0, v4, s0
	global_load_dword v63, v[6:7], off offset:512
.LBB403_74:
	;; [unrolled: 24-line block ×7, first 2 shown]
	s_or_b32 exec_lo, exec_lo, s1
	v_add_nc_u32_e32 v6, 0x5e0, v0
	v_cmp_gt_i32_e64 s16, s74, v6
	s_and_b32 s0, s64, s16
	s_and_saveexec_b32 s1, s0
	s_cbranch_execz .LBB403_96
; %bb.95:
	v_add_co_u32 v6, s0, 0x1000, v3
	v_add_co_ci_u32_e64 v7, null, 0, v4, s0
	global_load_dword v41, v[6:7], off offset:1920
.LBB403_96:
	s_or_b32 exec_lo, exec_lo, s1
	v_add_nc_u32_e32 v6, 0x600, v0
	v_mov_b32_e32 v36, 0xff800000
	v_mov_b32_e32 v39, 0xff800000
	v_cmp_gt_i32_e64 s15, s74, v6
	s_and_b32 s0, s64, s15
	s_and_saveexec_b32 s1, s0
	s_cbranch_execz .LBB403_98
; %bb.97:
	v_add_co_u32 v6, s0, 0x1800, v3
	v_add_co_ci_u32_e64 v7, null, 0, v4, s0
	global_load_dword v39, v[6:7], off
.LBB403_98:
	s_or_b32 exec_lo, exec_lo, s1
	v_add_nc_u32_e32 v6, 0x620, v0
	v_cmp_gt_i32_e64 s14, s74, v6
	s_and_b32 s0, s64, s14
	s_and_saveexec_b32 s1, s0
	s_cbranch_execz .LBB403_100
; %bb.99:
	v_add_co_u32 v6, s0, 0x1800, v3
	v_add_co_ci_u32_e64 v7, null, 0, v4, s0
	global_load_dword v36, v[6:7], off offset:128
.LBB403_100:
	s_or_b32 exec_lo, exec_lo, s1
	v_add_nc_u32_e32 v6, 0x640, v0
	v_mov_b32_e32 v32, 0xff800000
	v_mov_b32_e32 v35, 0xff800000
	v_cmp_gt_i32_e64 s13, s74, v6
	s_and_b32 s0, s64, s13
	s_and_saveexec_b32 s1, s0
	s_cbranch_execz .LBB403_102
; %bb.101:
	v_add_co_u32 v6, s0, 0x1800, v3
	v_add_co_ci_u32_e64 v7, null, 0, v4, s0
	global_load_dword v35, v[6:7], off offset:256
.LBB403_102:
	s_or_b32 exec_lo, exec_lo, s1
	v_add_nc_u32_e32 v6, 0x660, v0
	v_cmp_gt_i32_e64 s12, s74, v6
	s_and_b32 s0, s64, s12
	s_and_saveexec_b32 s1, s0
	s_cbranch_execz .LBB403_104
; %bb.103:
	v_add_co_u32 v6, s0, 0x1800, v3
	v_add_co_ci_u32_e64 v7, null, 0, v4, s0
	global_load_dword v32, v[6:7], off offset:384
.LBB403_104:
	s_or_b32 exec_lo, exec_lo, s1
	v_add_nc_u32_e32 v6, 0x680, v0
	v_mov_b32_e32 v28, 0xff800000
	v_mov_b32_e32 v31, 0xff800000
	v_cmp_gt_i32_e64 s11, s74, v6
	s_and_b32 s0, s64, s11
	s_and_saveexec_b32 s1, s0
	s_cbranch_execz .LBB403_106
; %bb.105:
	v_add_co_u32 v6, s0, 0x1800, v3
	v_add_co_ci_u32_e64 v7, null, 0, v4, s0
	global_load_dword v31, v[6:7], off offset:512
.LBB403_106:
	;; [unrolled: 24-line block ×7, first 2 shown]
	s_or_b32 exec_lo, exec_lo, s65
	v_add_nc_u32_e32 v0, 0x7e0, v0
	v_cmp_gt_i32_e64 s0, s74, v0
	s_and_b32 s64, s64, s0
	s_and_saveexec_b32 s65, s64
	s_cbranch_execz .LBB403_128
; %bb.127:
	v_add_co_u32 v3, s64, 0x1800, v3
	v_add_co_ci_u32_e64 v4, null, 0, v4, s64
	global_load_dword v7, v[3:4], off offset:1920
.LBB403_128:
	s_or_b32 exec_lo, exec_lo, s65
	s_waitcnt vmcnt(0)
	v_cmp_gt_f32_e64 s64, v14, v17
	v_mbcnt_lo_u32_b32 v16, -1, 0
	s_mov_b32 s65, exec_lo
	v_cndmask_b32_e64 v0, v17, v14, s64
	v_cmp_gt_f32_e64 s64, v0, v18
	v_cndmask_b32_e64 v0, v18, v0, s64
	v_cmp_gt_f32_e64 s64, v0, v19
	;; [unrolled: 2-line block ×62, first 2 shown]
	v_cndmask_b32_e64 v3, v7, v0, s64
	v_xor_b32_e32 v0, 16, v16
	v_cmp_gt_i32_e64 s64, 32, v0
	v_cndmask_b32_e64 v0, v16, v0, s64
	v_lshlrev_b32_e32 v0, 2, v0
	ds_bpermute_b32 v4, v0, v3
	s_waitcnt lgkmcnt(0)
	v_cmp_lt_f32_e64 s64, v3, v4
	v_cndmask_b32_e64 v4, v3, v4, s64
	v_xor_b32_e32 v3, 8, v16
	v_cmp_gt_i32_e64 s64, 32, v3
	v_cndmask_b32_e64 v3, v16, v3, s64
	v_lshlrev_b32_e32 v3, 2, v3
	ds_bpermute_b32 v6, v3, v4
	s_waitcnt lgkmcnt(0)
	v_cmp_lt_f32_e64 s64, v4, v6
	;; [unrolled: 8-line block ×5, first 2 shown]
	v_cndmask_b32_e64 v51, v51, v73, s64
	v_sub_f32_e32 v14, v14, v51
	v_sub_f32_e32 v17, v17, v51
	;; [unrolled: 1-line block ×5, first 2 shown]
	v_mul_f32_e32 v73, 0x3fb8aa3b, v14
	v_cmp_ngt_f32_e64 s64, 0xc2ce8ed0, v14
	v_sub_f32_e32 v21, v21, v51
	v_sub_f32_e32 v22, v22, v51
	;; [unrolled: 1-line block ×3, first 2 shown]
	v_fma_f32 v74, 0x3fb8aa3b, v14, -v73
	v_rndne_f32_e32 v75, v73
	v_sub_f32_e32 v25, v25, v51
	v_sub_f32_e32 v27, v27, v51
	;; [unrolled: 1-line block ×3, first 2 shown]
	v_fmac_f32_e32 v74, 0x32a5705f, v14
	v_sub_f32_e32 v73, v73, v75
	v_sub_f32_e32 v30, v30, v51
	;; [unrolled: 1-line block ×5, first 2 shown]
	v_add_f32_e32 v73, v73, v74
	v_cvt_i32_f32_e32 v74, v75
	v_sub_f32_e32 v38, v38, v51
	v_sub_f32_e32 v40, v40, v51
	;; [unrolled: 1-line block ×3, first 2 shown]
	v_exp_f32_e32 v73, v73
	v_sub_f32_e32 v43, v43, v51
	v_sub_f32_e32 v46, v46, v51
	;; [unrolled: 1-line block ×9, first 2 shown]
	v_ldexp_f32 v73, v73, v74
	v_sub_f32_e32 v65, v65, v51
	v_sub_f32_e32 v66, v66, v51
	;; [unrolled: 1-line block ×4, first 2 shown]
	v_cndmask_b32_e64 v73, 0, v73, s64
	v_cmp_nlt_f32_e64 s64, 0x42b17218, v14
	v_sub_f32_e32 v72, v72, v51
	v_sub_f32_e32 v71, v71, v51
	;; [unrolled: 1-line block ×4, first 2 shown]
	v_cndmask_b32_e64 v14, 0x7f800000, v73, s64
	v_mul_f32_e32 v73, 0x3fb8aa3b, v17
	v_cmp_ngt_f32_e64 s64, 0xc2ce8ed0, v17
	v_sub_f32_e32 v64, v64, v51
	v_sub_f32_e32 v63, v63, v51
	;; [unrolled: 1-line block ×3, first 2 shown]
	v_fma_f32 v74, 0x3fb8aa3b, v17, -v73
	v_rndne_f32_e32 v75, v73
	v_sub_f32_e32 v59, v59, v51
	v_sub_f32_e32 v58, v58, v51
	;; [unrolled: 1-line block ×3, first 2 shown]
	v_fmac_f32_e32 v74, 0x32a5705f, v17
	v_sub_f32_e32 v73, v73, v75
	v_sub_f32_e32 v56, v56, v51
	v_sub_f32_e32 v55, v55, v51
	v_sub_f32_e32 v54, v54, v51
	v_sub_f32_e32 v48, v48, v51
	v_add_f32_e32 v73, v73, v74
	v_cvt_i32_f32_e32 v74, v75
	v_sub_f32_e32 v45, v45, v51
	v_sub_f32_e32 v44, v44, v51
	;; [unrolled: 1-line block ×3, first 2 shown]
	v_exp_f32_e32 v73, v73
	v_sub_f32_e32 v39, v39, v51
	v_sub_f32_e32 v36, v36, v51
	;; [unrolled: 1-line block ×9, first 2 shown]
	v_ldexp_f32 v73, v73, v74
	v_mul_f32_e32 v74, 0x3fb8aa3b, v18
	v_sub_f32_e32 v13, v13, v51
	v_sub_f32_e32 v12, v12, v51
	;; [unrolled: 1-line block ×3, first 2 shown]
	v_cndmask_b32_e64 v73, 0, v73, s64
	v_fma_f32 v75, 0x3fb8aa3b, v18, -v74
	v_rndne_f32_e32 v76, v74
	v_cmp_nlt_f32_e64 s64, 0x42b17218, v17
	v_sub_f32_e32 v10, v10, v51
	v_sub_f32_e32 v9, v9, v51
	v_fmac_f32_e32 v75, 0x32a5705f, v18
	v_sub_f32_e32 v74, v74, v76
	v_cndmask_b32_e64 v17, 0x7f800000, v73, s64
	v_cmp_ngt_f32_e64 s64, 0xc2ce8ed0, v18
	v_sub_f32_e32 v8, v8, v51
	v_sub_f32_e32 v7, v7, v51
	v_add_f32_e32 v74, v74, v75
	v_cvt_i32_f32_e32 v75, v76
	v_add_f32_e32 v73, v14, v17
	v_mul_f32_e32 v51, 0x3fb8aa3b, v7
	v_exp_f32_e32 v74, v74
	v_ldexp_f32 v74, v74, v75
	v_cndmask_b32_e64 v74, 0, v74, s64
	v_cmp_nlt_f32_e64 s64, 0x42b17218, v18
	v_cndmask_b32_e64 v18, 0x7f800000, v74, s64
	v_mul_f32_e32 v74, 0x3fb8aa3b, v19
	v_cmp_ngt_f32_e64 s64, 0xc2ce8ed0, v19
	v_add_f32_e32 v73, v73, v18
	v_fma_f32 v75, 0x3fb8aa3b, v19, -v74
	v_rndne_f32_e32 v76, v74
	v_fmac_f32_e32 v75, 0x32a5705f, v19
	v_sub_f32_e32 v74, v74, v76
	v_add_f32_e32 v74, v74, v75
	v_cvt_i32_f32_e32 v75, v76
	v_exp_f32_e32 v74, v74
	v_ldexp_f32 v74, v74, v75
	v_cndmask_b32_e64 v74, 0, v74, s64
	v_cmp_nlt_f32_e64 s64, 0x42b17218, v19
	v_cndmask_b32_e64 v19, 0x7f800000, v74, s64
	v_mul_f32_e32 v74, 0x3fb8aa3b, v20
	v_cmp_ngt_f32_e64 s64, 0xc2ce8ed0, v20
	v_add_f32_e32 v73, v73, v19
	v_fma_f32 v75, 0x3fb8aa3b, v20, -v74
	v_rndne_f32_e32 v76, v74
	v_fmac_f32_e32 v75, 0x32a5705f, v20
	v_sub_f32_e32 v74, v74, v76
	v_add_f32_e32 v74, v74, v75
	v_cvt_i32_f32_e32 v75, v76
	;; [unrolled: 14-line block ×60, first 2 shown]
	v_exp_f32_e32 v74, v74
	v_ldexp_f32 v74, v74, v75
	v_rndne_f32_e32 v75, v51
	v_cndmask_b32_e64 v74, 0, v74, s64
	v_cmp_nlt_f32_e64 s64, 0x42b17218, v8
	v_cndmask_b32_e64 v8, 0x7f800000, v74, s64
	v_fma_f32 v74, 0x3fb8aa3b, v7, -v51
	v_sub_f32_e32 v51, v51, v75
	v_cmp_ngt_f32_e64 s64, 0xc2ce8ed0, v7
	v_add_f32_e32 v73, v73, v8
	v_fmac_f32_e32 v74, 0x32a5705f, v7
	v_add_f32_e32 v51, v51, v74
	v_cvt_i32_f32_e32 v74, v75
	v_exp_f32_e32 v51, v51
	v_ldexp_f32 v51, v51, v74
	v_cndmask_b32_e64 v51, 0, v51, s64
	v_cmp_nlt_f32_e64 s64, 0x42b17218, v7
	v_cndmask_b32_e64 v7, 0x7f800000, v51, s64
	v_add_f32_e32 v51, v73, v7
	ds_bpermute_b32 v0, v0, v51
	s_waitcnt lgkmcnt(0)
	v_add_f32_e32 v0, v51, v0
	ds_bpermute_b32 v3, v3, v0
	s_waitcnt lgkmcnt(0)
	;; [unrolled: 3-line block ×4, first 2 shown]
	v_add_f32_e32 v0, v0, v3
	ds_bpermute_b32 v3, v16, v0
	v_cmpx_lt_i32_e32 0, v5
	s_cbranch_execz .LBB403_194
; %bb.129:
	s_and_b32 exec_lo, exec_lo, vcc_lo
	s_cbranch_execz .LBB403_194
; %bb.130:
	s_waitcnt lgkmcnt(0)
	v_add_f32_e32 v4, v0, v3
	v_div_scale_f32 v0, null, v4, v4, v14
	v_div_scale_f32 v6, vcc_lo, v14, v4, v14
	v_cmp_eq_f32_e64 s64, 0, v4
	v_rcp_f32_e32 v3, v0
	v_fma_f32 v5, -v0, v3, 1.0
	v_fmac_f32_e32 v3, v5, v3
	v_mul_f32_e32 v5, v6, v3
	v_fma_f32 v16, -v0, v5, v6
	v_fmac_f32_e32 v5, v16, v3
	v_fma_f32 v0, -v0, v5, v6
	v_div_fmas_f32 v0, v0, v3, v5
	v_div_fixup_f32 v3, v0, v4, v14
	v_add_co_u32 v0, vcc_lo, s68, v1
	v_add_co_ci_u32_e64 v1, null, s69, v2, vcc_lo
	v_cndmask_b32_e64 v2, v3, 0x7fc00000, s64
	global_store_dword v[0:1], v2, off
	s_and_b32 exec_lo, exec_lo, s63
	s_cbranch_execz .LBB403_194
; %bb.131:
	v_div_scale_f32 v2, null, v4, v4, v17
	v_rcp_f32_e32 v3, v2
	v_fma_f32 v5, -v2, v3, 1.0
	v_fmac_f32_e32 v3, v5, v3
	v_div_scale_f32 v5, vcc_lo, v17, v4, v17
	v_mul_f32_e32 v6, v5, v3
	v_fma_f32 v14, -v2, v6, v5
	v_fmac_f32_e32 v6, v14, v3
	v_fma_f32 v2, -v2, v6, v5
	v_div_fmas_f32 v2, v2, v3, v6
	v_div_fixup_f32 v2, v2, v4, v17
	v_cndmask_b32_e64 v2, v2, 0x7fc00000, s64
	global_store_dword v[0:1], v2, off offset:128
	s_and_b32 exec_lo, exec_lo, s62
	s_cbranch_execz .LBB403_194
; %bb.132:
	v_div_scale_f32 v2, null, v4, v4, v18
	v_rcp_f32_e32 v3, v2
	v_fma_f32 v5, -v2, v3, 1.0
	v_fmac_f32_e32 v3, v5, v3
	v_div_scale_f32 v5, vcc_lo, v18, v4, v18
	v_mul_f32_e32 v6, v5, v3
	v_fma_f32 v14, -v2, v6, v5
	v_fmac_f32_e32 v6, v14, v3
	v_fma_f32 v2, -v2, v6, v5
	v_div_fmas_f32 v2, v2, v3, v6
	v_div_fixup_f32 v2, v2, v4, v18
	v_cndmask_b32_e64 v2, v2, 0x7fc00000, s64
	global_store_dword v[0:1], v2, off offset:256
	;; [unrolled: 16-line block ×15, first 2 shown]
	s_and_b32 exec_lo, exec_lo, s48
	s_cbranch_execz .LBB403_194
; %bb.146:
	v_div_scale_f32 v2, null, v4, v4, v40
	v_div_scale_f32 v6, vcc_lo, v40, v4, v40
	v_rcp_f32_e32 v3, v2
	v_fma_f32 v5, -v2, v3, 1.0
	v_fmac_f32_e32 v3, v5, v3
	v_mul_f32_e32 v5, v6, v3
	v_fma_f32 v14, -v2, v5, v6
	v_fmac_f32_e32 v5, v14, v3
	v_fma_f32 v2, -v2, v5, v6
	v_div_fmas_f32 v2, v2, v3, v5
	v_div_fixup_f32 v2, v2, v4, v40
	v_cndmask_b32_e64 v5, v2, 0x7fc00000, s64
	v_add_co_u32 v2, vcc_lo, 0x800, v0
	v_add_co_ci_u32_e64 v3, null, 0, v1, vcc_lo
	global_store_dword v[2:3], v5, off
	s_and_b32 exec_lo, exec_lo, s47
	s_cbranch_execz .LBB403_194
; %bb.147:
	v_div_scale_f32 v5, null, v4, v4, v42
	v_rcp_f32_e32 v6, v5
	v_fma_f32 v14, -v5, v6, 1.0
	v_fmac_f32_e32 v6, v14, v6
	v_div_scale_f32 v14, vcc_lo, v42, v4, v42
	v_mul_f32_e32 v16, v14, v6
	v_fma_f32 v17, -v5, v16, v14
	v_fmac_f32_e32 v16, v17, v6
	v_fma_f32 v5, -v5, v16, v14
	v_div_fmas_f32 v5, v5, v6, v16
	v_div_fixup_f32 v5, v5, v4, v42
	v_cndmask_b32_e64 v5, v5, 0x7fc00000, s64
	global_store_dword v[2:3], v5, off offset:128
	s_and_b32 exec_lo, exec_lo, s46
	s_cbranch_execz .LBB403_194
; %bb.148:
	v_div_scale_f32 v5, null, v4, v4, v43
	v_rcp_f32_e32 v6, v5
	v_fma_f32 v14, -v5, v6, 1.0
	v_fmac_f32_e32 v6, v14, v6
	v_div_scale_f32 v14, vcc_lo, v43, v4, v43
	v_mul_f32_e32 v16, v14, v6
	v_fma_f32 v17, -v5, v16, v14
	v_fmac_f32_e32 v16, v17, v6
	v_fma_f32 v5, -v5, v16, v14
	v_div_fmas_f32 v5, v5, v6, v16
	v_div_fixup_f32 v5, v5, v4, v43
	v_cndmask_b32_e64 v5, v5, 0x7fc00000, s64
	global_store_dword v[2:3], v5, off offset:256
	;; [unrolled: 16-line block ×15, first 2 shown]
	s_and_b32 exec_lo, exec_lo, s31
	s_cbranch_execz .LBB403_194
; %bb.162:
	v_div_scale_f32 v2, null, v4, v4, v71
	v_div_scale_f32 v6, vcc_lo, v71, v4, v71
	v_rcp_f32_e32 v3, v2
	v_fma_f32 v5, -v2, v3, 1.0
	v_fmac_f32_e32 v3, v5, v3
	v_mul_f32_e32 v5, v6, v3
	v_fma_f32 v14, -v2, v5, v6
	v_fmac_f32_e32 v5, v14, v3
	v_fma_f32 v2, -v2, v5, v6
	v_div_fmas_f32 v2, v2, v3, v5
	v_div_fixup_f32 v2, v2, v4, v71
	v_cndmask_b32_e64 v5, v2, 0x7fc00000, s64
	v_add_co_u32 v2, vcc_lo, 0x1000, v0
	v_add_co_ci_u32_e64 v3, null, 0, v1, vcc_lo
	global_store_dword v[2:3], v5, off
	s_and_b32 exec_lo, exec_lo, s30
	s_cbranch_execz .LBB403_194
; %bb.163:
	v_div_scale_f32 v5, null, v4, v4, v68
	v_rcp_f32_e32 v6, v5
	v_fma_f32 v14, -v5, v6, 1.0
	v_fmac_f32_e32 v6, v14, v6
	v_div_scale_f32 v14, vcc_lo, v68, v4, v68
	v_mul_f32_e32 v16, v14, v6
	v_fma_f32 v17, -v5, v16, v14
	v_fmac_f32_e32 v16, v17, v6
	v_fma_f32 v5, -v5, v16, v14
	v_div_fmas_f32 v5, v5, v6, v16
	v_div_fixup_f32 v5, v5, v4, v68
	v_cndmask_b32_e64 v5, v5, 0x7fc00000, s64
	global_store_dword v[2:3], v5, off offset:128
	s_and_b32 exec_lo, exec_lo, s29
	s_cbranch_execz .LBB403_194
; %bb.164:
	v_div_scale_f32 v5, null, v4, v4, v67
	v_rcp_f32_e32 v6, v5
	v_fma_f32 v14, -v5, v6, 1.0
	v_fmac_f32_e32 v6, v14, v6
	v_div_scale_f32 v14, vcc_lo, v67, v4, v67
	v_mul_f32_e32 v16, v14, v6
	v_fma_f32 v17, -v5, v16, v14
	v_fmac_f32_e32 v16, v17, v6
	v_fma_f32 v5, -v5, v16, v14
	v_div_fmas_f32 v5, v5, v6, v16
	v_div_fixup_f32 v5, v5, v4, v67
	v_cndmask_b32_e64 v5, v5, 0x7fc00000, s64
	global_store_dword v[2:3], v5, off offset:256
	;; [unrolled: 16-line block ×15, first 2 shown]
	s_and_b32 exec_lo, exec_lo, s15
	s_cbranch_execz .LBB403_194
; %bb.178:
	v_div_scale_f32 v2, null, v4, v4, v39
	v_div_scale_f32 v6, vcc_lo, v39, v4, v39
	v_rcp_f32_e32 v3, v2
	v_fma_f32 v5, -v2, v3, 1.0
	v_fmac_f32_e32 v3, v5, v3
	v_mul_f32_e32 v5, v6, v3
	v_fma_f32 v14, -v2, v5, v6
	v_fmac_f32_e32 v5, v14, v3
	v_fma_f32 v2, -v2, v5, v6
	v_div_fmas_f32 v2, v2, v3, v5
	v_add_co_u32 v0, vcc_lo, 0x1800, v0
	v_add_co_ci_u32_e64 v1, null, 0, v1, vcc_lo
	v_div_fixup_f32 v2, v2, v4, v39
	v_cndmask_b32_e64 v2, v2, 0x7fc00000, s64
	global_store_dword v[0:1], v2, off
	s_and_b32 exec_lo, exec_lo, s14
	s_cbranch_execz .LBB403_194
; %bb.179:
	v_div_scale_f32 v2, null, v4, v4, v36
	v_rcp_f32_e32 v3, v2
	v_fma_f32 v5, -v2, v3, 1.0
	v_fmac_f32_e32 v3, v5, v3
	v_div_scale_f32 v5, vcc_lo, v36, v4, v36
	v_mul_f32_e32 v6, v5, v3
	v_fma_f32 v14, -v2, v6, v5
	v_fmac_f32_e32 v6, v14, v3
	v_fma_f32 v2, -v2, v6, v5
	v_div_fmas_f32 v2, v2, v3, v6
	v_div_fixup_f32 v2, v2, v4, v36
	v_cndmask_b32_e64 v2, v2, 0x7fc00000, s64
	global_store_dword v[0:1], v2, off offset:128
	s_and_b32 exec_lo, exec_lo, s13
	s_cbranch_execz .LBB403_194
; %bb.180:
	v_div_scale_f32 v2, null, v4, v4, v35
	v_rcp_f32_e32 v3, v2
	v_fma_f32 v5, -v2, v3, 1.0
	v_fmac_f32_e32 v3, v5, v3
	v_div_scale_f32 v5, vcc_lo, v35, v4, v35
	v_mul_f32_e32 v6, v5, v3
	v_fma_f32 v14, -v2, v6, v5
	v_fmac_f32_e32 v6, v14, v3
	v_fma_f32 v2, -v2, v6, v5
	v_div_fmas_f32 v2, v2, v3, v6
	v_div_fixup_f32 v2, v2, v4, v35
	v_cndmask_b32_e64 v2, v2, 0x7fc00000, s64
	global_store_dword v[0:1], v2, off offset:256
	;; [unrolled: 16-line block ×15, first 2 shown]
.LBB403_194:
	s_endpgm
	.section	.rodata,"a",@progbits
	.p2align	6, 0x0
	.amdhsa_kernel _ZN12_GLOBAL__N_120softmax_warp_forwardIfffLi11ELb0ELb0ELi32EEEvPT0_PKT_iiiPKbib
		.amdhsa_group_segment_fixed_size 0
		.amdhsa_private_segment_fixed_size 0
		.amdhsa_kernarg_size 304
		.amdhsa_user_sgpr_count 6
		.amdhsa_user_sgpr_private_segment_buffer 1
		.amdhsa_user_sgpr_dispatch_ptr 0
		.amdhsa_user_sgpr_queue_ptr 0
		.amdhsa_user_sgpr_kernarg_segment_ptr 1
		.amdhsa_user_sgpr_dispatch_id 0
		.amdhsa_user_sgpr_flat_scratch_init 0
		.amdhsa_user_sgpr_private_segment_size 0
		.amdhsa_wavefront_size32 1
		.amdhsa_uses_dynamic_stack 0
		.amdhsa_system_sgpr_private_segment_wavefront_offset 0
		.amdhsa_system_sgpr_workgroup_id_x 1
		.amdhsa_system_sgpr_workgroup_id_y 0
		.amdhsa_system_sgpr_workgroup_id_z 0
		.amdhsa_system_sgpr_workgroup_info 0
		.amdhsa_system_vgpr_workitem_id 1
		.amdhsa_next_free_vgpr 77
		.amdhsa_next_free_sgpr 76
		.amdhsa_reserve_vcc 1
		.amdhsa_reserve_flat_scratch 0
		.amdhsa_float_round_mode_32 0
		.amdhsa_float_round_mode_16_64 0
		.amdhsa_float_denorm_mode_32 3
		.amdhsa_float_denorm_mode_16_64 3
		.amdhsa_dx10_clamp 1
		.amdhsa_ieee_mode 1
		.amdhsa_fp16_overflow 0
		.amdhsa_workgroup_processor_mode 1
		.amdhsa_memory_ordered 1
		.amdhsa_forward_progress 1
		.amdhsa_shared_vgpr_count 0
		.amdhsa_exception_fp_ieee_invalid_op 0
		.amdhsa_exception_fp_denorm_src 0
		.amdhsa_exception_fp_ieee_div_zero 0
		.amdhsa_exception_fp_ieee_overflow 0
		.amdhsa_exception_fp_ieee_underflow 0
		.amdhsa_exception_fp_ieee_inexact 0
		.amdhsa_exception_int_div_zero 0
	.end_amdhsa_kernel
	.section	.text._ZN12_GLOBAL__N_120softmax_warp_forwardIfffLi11ELb0ELb0ELi32EEEvPT0_PKT_iiiPKbib,"axG",@progbits,_ZN12_GLOBAL__N_120softmax_warp_forwardIfffLi11ELb0ELb0ELi32EEEvPT0_PKT_iiiPKbib,comdat
.Lfunc_end403:
	.size	_ZN12_GLOBAL__N_120softmax_warp_forwardIfffLi11ELb0ELb0ELi32EEEvPT0_PKT_iiiPKbib, .Lfunc_end403-_ZN12_GLOBAL__N_120softmax_warp_forwardIfffLi11ELb0ELb0ELi32EEEvPT0_PKT_iiiPKbib
                                        ; -- End function
	.set _ZN12_GLOBAL__N_120softmax_warp_forwardIfffLi11ELb0ELb0ELi32EEEvPT0_PKT_iiiPKbib.num_vgpr, 77
	.set _ZN12_GLOBAL__N_120softmax_warp_forwardIfffLi11ELb0ELb0ELi32EEEvPT0_PKT_iiiPKbib.num_agpr, 0
	.set _ZN12_GLOBAL__N_120softmax_warp_forwardIfffLi11ELb0ELb0ELi32EEEvPT0_PKT_iiiPKbib.numbered_sgpr, 76
	.set _ZN12_GLOBAL__N_120softmax_warp_forwardIfffLi11ELb0ELb0ELi32EEEvPT0_PKT_iiiPKbib.num_named_barrier, 0
	.set _ZN12_GLOBAL__N_120softmax_warp_forwardIfffLi11ELb0ELb0ELi32EEEvPT0_PKT_iiiPKbib.private_seg_size, 0
	.set _ZN12_GLOBAL__N_120softmax_warp_forwardIfffLi11ELb0ELb0ELi32EEEvPT0_PKT_iiiPKbib.uses_vcc, 1
	.set _ZN12_GLOBAL__N_120softmax_warp_forwardIfffLi11ELb0ELb0ELi32EEEvPT0_PKT_iiiPKbib.uses_flat_scratch, 0
	.set _ZN12_GLOBAL__N_120softmax_warp_forwardIfffLi11ELb0ELb0ELi32EEEvPT0_PKT_iiiPKbib.has_dyn_sized_stack, 0
	.set _ZN12_GLOBAL__N_120softmax_warp_forwardIfffLi11ELb0ELb0ELi32EEEvPT0_PKT_iiiPKbib.has_recursion, 0
	.set _ZN12_GLOBAL__N_120softmax_warp_forwardIfffLi11ELb0ELb0ELi32EEEvPT0_PKT_iiiPKbib.has_indirect_call, 0
	.section	.AMDGPU.csdata,"",@progbits
; Kernel info:
; codeLenInByte = 18864
; TotalNumSgprs: 78
; NumVgprs: 77
; ScratchSize: 0
; MemoryBound: 0
; FloatMode: 240
; IeeeMode: 1
; LDSByteSize: 0 bytes/workgroup (compile time only)
; SGPRBlocks: 0
; VGPRBlocks: 9
; NumSGPRsForWavesPerEU: 78
; NumVGPRsForWavesPerEU: 77
; Occupancy: 12
; WaveLimiterHint : 0
; COMPUTE_PGM_RSRC2:SCRATCH_EN: 0
; COMPUTE_PGM_RSRC2:USER_SGPR: 6
; COMPUTE_PGM_RSRC2:TRAP_HANDLER: 0
; COMPUTE_PGM_RSRC2:TGID_X_EN: 1
; COMPUTE_PGM_RSRC2:TGID_Y_EN: 0
; COMPUTE_PGM_RSRC2:TGID_Z_EN: 0
; COMPUTE_PGM_RSRC2:TIDIG_COMP_CNT: 1
	.section	.text._ZN2at6native12_GLOBAL__N_123cunn_SoftMaxForwardGmemILi4EfffNS1_29SoftMaxForwardWithMulEpilogueElEEvPT2_PKT0_T4_,"axG",@progbits,_ZN2at6native12_GLOBAL__N_123cunn_SoftMaxForwardGmemILi4EfffNS1_29SoftMaxForwardWithMulEpilogueElEEvPT2_PKT0_T4_,comdat
	.globl	_ZN2at6native12_GLOBAL__N_123cunn_SoftMaxForwardGmemILi4EfffNS1_29SoftMaxForwardWithMulEpilogueElEEvPT2_PKT0_T4_ ; -- Begin function _ZN2at6native12_GLOBAL__N_123cunn_SoftMaxForwardGmemILi4EfffNS1_29SoftMaxForwardWithMulEpilogueElEEvPT2_PKT0_T4_
	.p2align	8
	.type	_ZN2at6native12_GLOBAL__N_123cunn_SoftMaxForwardGmemILi4EfffNS1_29SoftMaxForwardWithMulEpilogueElEEvPT2_PKT0_T4_,@function
_ZN2at6native12_GLOBAL__N_123cunn_SoftMaxForwardGmemILi4EfffNS1_29SoftMaxForwardWithMulEpilogueElEEvPT2_PKT0_T4_: ; @_ZN2at6native12_GLOBAL__N_123cunn_SoftMaxForwardGmemILi4EfffNS1_29SoftMaxForwardWithMulEpilogueElEEvPT2_PKT0_T4_
; %bb.0:
	s_clause 0x1
	s_load_dwordx2 s[12:13], s[4:5], 0x10
	s_load_dwordx4 s[8:11], s[4:5], 0x0
	v_mov_b32_e32 v1, 0
	v_lshlrev_b32_e32 v2, 2, v0
	v_mov_b32_e32 v7, 0xff7fffff
	v_lshlrev_b32_e32 v6, 4, v0
	s_mov_b32 s2, 0
	v_mov_b32_e32 v3, v1
	s_waitcnt lgkmcnt(0)
	v_cmp_gt_i64_e64 s0, s[12:13], v[2:3]
	s_mul_i32 s14, s13, s6
	s_mul_hi_u32 s15, s12, s6
	s_mul_i32 s6, s12, s6
	s_and_saveexec_b32 s3, s0
	s_cbranch_execz .LBB404_4
; %bb.1:
	s_load_dword s1, s[4:5], 0x24
	s_add_i32 s7, s15, s14
	v_mov_b32_e32 v5, v1
	s_lshl_b64 s[16:17], s[6:7], 2
	v_mov_b32_e32 v7, 0xff7fffff
	v_mov_b32_e32 v4, v0
	s_waitcnt lgkmcnt(0)
	s_and_b32 s7, s1, 0xffff
	s_add_u32 s1, s10, s16
	s_addc_u32 s16, s11, s17
	v_add_co_u32 v2, s1, s1, v6
	v_add_co_ci_u32_e64 v3, null, s16, 0, s1
	s_lshl_b32 s16, s7, 4
	v_add_co_u32 v2, vcc_lo, v2, 8
	v_add_co_ci_u32_e64 v3, null, 0, v3, vcc_lo
	.p2align	6
.LBB404_2:                              ; =>This Inner Loop Header: Depth=1
	global_load_dwordx4 v[8:11], v[2:3], off offset:-8
	v_add_co_u32 v4, vcc_lo, v4, s7
	v_add_co_ci_u32_e64 v5, null, 0, v5, vcc_lo
	v_add_co_u32 v2, s1, v2, s16
	v_add_co_ci_u32_e64 v3, null, 0, v3, s1
	v_lshlrev_b64 v[12:13], 2, v[4:5]
	v_cmp_le_i64_e32 vcc_lo, s[12:13], v[12:13]
	s_or_b32 s2, vcc_lo, s2
	s_waitcnt vmcnt(0)
	v_max3_f32 v7, v7, v8, v9
	v_max3_f32 v7, v7, v10, v11
	s_andn2_b32 exec_lo, exec_lo, s2
	s_cbranch_execnz .LBB404_2
; %bb.3:
	s_or_b32 exec_lo, exec_lo, s2
.LBB404_4:
	s_or_b32 exec_lo, exec_lo, s3
	v_mbcnt_lo_u32_b32 v2, -1, 0
	v_lshrrev_b32_e32 v13, 3, v0
	s_barrier
	buffer_gl0_inv
	v_lshl_or_b32 v8, v2, 2, 64
	v_cmp_gt_u32_e32 vcc_lo, 24, v2
	ds_bpermute_b32 v3, v8, v7
	v_cndmask_b32_e64 v4, 0, 8, vcc_lo
	v_add_lshl_u32 v9, v4, v2, 2
	s_waitcnt lgkmcnt(0)
	v_cmp_lt_f32_e32 vcc_lo, v7, v3
	v_cndmask_b32_e32 v3, v7, v3, vcc_lo
	v_cmp_gt_u32_e32 vcc_lo, 28, v2
	ds_bpermute_b32 v4, v9, v3
	v_cndmask_b32_e64 v5, 0, 4, vcc_lo
	v_add_lshl_u32 v10, v5, v2, 2
	s_waitcnt lgkmcnt(0)
	v_cmp_lt_f32_e32 vcc_lo, v3, v4
	v_cndmask_b32_e32 v3, v3, v4, vcc_lo
	;; [unrolled: 7-line block ×3, first 2 shown]
	v_cmp_ne_u32_e32 vcc_lo, 31, v2
	ds_bpermute_b32 v4, v11, v3
	v_add_co_ci_u32_e64 v5, null, 0, v2, vcc_lo
	v_lshlrev_b32_e32 v12, 2, v5
	s_waitcnt lgkmcnt(0)
	v_cmp_lt_f32_e32 vcc_lo, v3, v4
	v_cndmask_b32_e32 v2, v3, v4, vcc_lo
	v_and_b32_e32 v3, 31, v0
	ds_bpermute_b32 v4, v12, v2
	v_cmp_eq_u32_e32 vcc_lo, 0, v3
	s_and_saveexec_b32 s2, vcc_lo
	s_cbranch_execz .LBB404_6
; %bb.5:
	s_waitcnt lgkmcnt(0)
	v_cmp_lt_f32_e64 s1, v2, v4
	v_add_nc_u32_e32 v5, 0, v13
	v_cndmask_b32_e64 v2, v2, v4, s1
	ds_write_b32 v5, v2
.LBB404_6:
	s_or_b32 exec_lo, exec_lo, s2
	s_waitcnt lgkmcnt(0)
	s_barrier
	buffer_gl0_inv
	s_load_dword s16, s[4:5], 0x24
	v_mov_b32_e32 v2, 0xff7fffff
	v_lshl_add_u32 v14, v3, 2, 0
	s_waitcnt lgkmcnt(0)
	s_bfe_u32 s1, s16, 0xb0005
	v_cmp_gt_u32_e64 s1, s1, v0
	s_and_saveexec_b32 s2, s1
	s_cbranch_execnz .LBB404_24
; %bb.7:
	s_or_b32 exec_lo, exec_lo, s2
	v_cmp_gt_u32_e64 s2, 32, v0
	s_and_saveexec_b32 s4, s2
	s_cbranch_execnz .LBB404_25
.LBB404_8:
	s_or_b32 exec_lo, exec_lo, s4
	v_cmp_eq_u32_e64 s3, 0, v0
	s_and_saveexec_b32 s4, s3
	s_cbranch_execz .LBB404_10
.LBB404_9:
	v_mov_b32_e32 v3, 0
	s_waitcnt lgkmcnt(0)
	ds_write_b32 v3, v2
.LBB404_10:
	s_or_b32 exec_lo, exec_lo, s4
	v_mov_b32_e32 v15, 0
	s_waitcnt lgkmcnt(0)
	s_barrier
	buffer_gl0_inv
	s_mov_b32 s18, 0
	ds_read_b32 v7, v15
	s_and_saveexec_b32 s17, s0
	s_cbranch_execz .LBB404_14
; %bb.11:
	s_add_i32 s7, s15, s14
	v_mov_b32_e32 v5, v1
	s_lshl_b64 s[4:5], s[6:7], 2
	s_and_b32 s7, s16, 0xffff
	s_add_u32 s4, s10, s4
	s_addc_u32 s5, s11, s5
	v_add_co_u32 v2, s4, s4, v6
	v_add_co_ci_u32_e64 v3, null, s5, 0, s4
	v_mov_b32_e32 v15, 0
	v_add_co_u32 v2, s4, v2, 8
	v_add_co_ci_u32_e64 v3, null, 0, v3, s4
	v_mov_b32_e32 v4, v0
	s_lshl_b32 s19, s7, 4
	s_inst_prefetch 0x1
	.p2align	6
.LBB404_12:                             ; =>This Inner Loop Header: Depth=1
	global_load_dwordx4 v[16:19], v[2:3], off offset:-8
	v_add_co_u32 v4, s4, v4, s7
	v_add_co_ci_u32_e64 v5, null, 0, v5, s4
	v_add_co_u32 v2, s5, v2, s19
	v_add_co_ci_u32_e64 v3, null, 0, v3, s5
	s_waitcnt vmcnt(0) lgkmcnt(0)
	v_sub_f32_e32 v16, v16, v7
	v_sub_f32_e32 v17, v17, v7
	;; [unrolled: 1-line block ×4, first 2 shown]
	v_mul_f32_e32 v16, 0x3fb8aa3b, v16
	v_mul_f32_e32 v17, 0x3fb8aa3b, v17
	;; [unrolled: 1-line block ×4, first 2 shown]
	v_exp_f32_e32 v16, v16
	v_exp_f32_e32 v17, v17
	v_exp_f32_e32 v18, v18
	v_exp_f32_e32 v19, v19
	v_add_f32_e32 v20, v15, v16
	v_lshlrev_b64 v[15:16], 2, v[4:5]
	v_add_f32_e32 v17, v20, v17
	v_cmp_le_i64_e64 s4, s[12:13], v[15:16]
	v_add_f32_e32 v15, v17, v18
	s_or_b32 s18, s4, s18
	v_add_f32_e32 v15, v15, v19
	s_andn2_b32 exec_lo, exec_lo, s18
	s_cbranch_execnz .LBB404_12
; %bb.13:
	s_inst_prefetch 0x2
	s_or_b32 exec_lo, exec_lo, s18
.LBB404_14:
	s_or_b32 exec_lo, exec_lo, s17
	ds_bpermute_b32 v2, v8, v15
	s_waitcnt lgkmcnt(0)
	s_barrier
	buffer_gl0_inv
	v_add_f32_e32 v2, v15, v2
	ds_bpermute_b32 v3, v9, v2
	s_waitcnt lgkmcnt(0)
	v_add_f32_e32 v2, v2, v3
	ds_bpermute_b32 v3, v10, v2
	s_waitcnt lgkmcnt(0)
	;; [unrolled: 3-line block ×3, first 2 shown]
	v_add_f32_e32 v2, v2, v3
	ds_bpermute_b32 v3, v12, v2
	s_and_saveexec_b32 s4, vcc_lo
	s_cbranch_execz .LBB404_16
; %bb.15:
	v_add_nc_u32_e32 v4, 0, v13
	s_waitcnt lgkmcnt(0)
	v_add_f32_e32 v2, v2, v3
	ds_write_b32 v4, v2
.LBB404_16:
	s_or_b32 exec_lo, exec_lo, s4
	v_mov_b32_e32 v2, 0
	s_waitcnt lgkmcnt(0)
	s_barrier
	buffer_gl0_inv
	s_and_saveexec_b32 s4, s1
	s_cbranch_execnz .LBB404_26
; %bb.17:
	s_or_b32 exec_lo, exec_lo, s4
	s_and_saveexec_b32 s1, s2
	s_cbranch_execnz .LBB404_27
.LBB404_18:
	s_or_b32 exec_lo, exec_lo, s1
	s_and_saveexec_b32 s1, s3
	s_cbranch_execz .LBB404_20
.LBB404_19:
	s_waitcnt lgkmcnt(0)
	v_div_scale_f32 v3, null, v2, v2, 1.0
	v_div_scale_f32 v8, vcc_lo, 1.0, v2, 1.0
	v_rcp_f32_e32 v4, v3
	v_fma_f32 v5, -v3, v4, 1.0
	v_fmac_f32_e32 v4, v5, v4
	v_mul_f32_e32 v5, v8, v4
	v_fma_f32 v9, -v3, v5, v8
	v_fmac_f32_e32 v5, v9, v4
	v_fma_f32 v3, -v3, v5, v8
	v_div_fmas_f32 v3, v3, v4, v5
	v_div_fixup_f32 v2, v3, v2, 1.0
	v_mov_b32_e32 v3, 0
	ds_write_b32 v3, v2
.LBB404_20:
	s_or_b32 exec_lo, exec_lo, s1
	s_waitcnt lgkmcnt(0)
	s_barrier
	buffer_gl0_inv
	s_and_saveexec_b32 s1, s0
	s_cbranch_execz .LBB404_23
; %bb.21:
	v_mov_b32_e32 v2, 0
	s_add_i32 s7, s15, s14
	s_mov_b32 s2, 0
	s_lshl_b64 s[0:1], s[6:7], 2
	v_add_co_u32 v3, s0, s0, v6
	ds_read_b32 v2, v2
	v_add_co_ci_u32_e64 v4, null, s1, 0, s0
	s_and_b32 s1, s16, 0xffff
	s_lshl_b32 s3, s1, 4
	s_inst_prefetch 0x1
	.p2align	6
.LBB404_22:                             ; =>This Inner Loop Header: Depth=1
	v_add_co_u32 v5, vcc_lo, s10, v3
	v_add_co_ci_u32_e64 v6, null, s11, v4, vcc_lo
	v_add_co_u32 v0, vcc_lo, v0, s1
	v_add_co_ci_u32_e64 v1, null, 0, v1, vcc_lo
	global_load_dwordx4 v[8:11], v[5:6], off
	v_add_co_u32 v5, vcc_lo, s8, v3
	v_lshlrev_b64 v[12:13], 2, v[0:1]
	v_cmp_le_i64_e64 s0, s[12:13], v[12:13]
	s_or_b32 s2, s0, s2
	s_waitcnt vmcnt(0)
	v_sub_f32_e32 v6, v8, v7
	v_sub_f32_e32 v8, v9, v7
	;; [unrolled: 1-line block ×4, first 2 shown]
	v_mul_f32_e32 v6, 0x3fb8aa3b, v6
	v_mul_f32_e32 v8, 0x3fb8aa3b, v8
	;; [unrolled: 1-line block ×4, first 2 shown]
	v_exp_f32_e32 v11, v6
	v_exp_f32_e32 v14, v8
	;; [unrolled: 1-line block ×4, first 2 shown]
	v_add_co_ci_u32_e64 v6, null, s9, v4, vcc_lo
	v_add_co_u32 v3, vcc_lo, v3, s3
	v_add_co_ci_u32_e64 v4, null, 0, v4, vcc_lo
	s_waitcnt lgkmcnt(0)
	v_mul_f32_e32 v8, v2, v11
	v_mul_f32_e32 v9, v2, v14
	;; [unrolled: 1-line block ×4, first 2 shown]
	global_store_dwordx4 v[5:6], v[8:11], off
	s_andn2_b32 exec_lo, exec_lo, s2
	s_cbranch_execnz .LBB404_22
.LBB404_23:
	s_inst_prefetch 0x2
	s_endpgm
.LBB404_24:
	ds_read_b32 v2, v14
	s_or_b32 exec_lo, exec_lo, s2
	v_cmp_gt_u32_e64 s2, 32, v0
	s_and_saveexec_b32 s4, s2
	s_cbranch_execz .LBB404_8
.LBB404_25:
	s_waitcnt lgkmcnt(0)
	ds_bpermute_b32 v3, v8, v2
	s_waitcnt lgkmcnt(0)
	v_cmp_lt_f32_e64 s3, v2, v3
	v_cndmask_b32_e64 v2, v2, v3, s3
	ds_bpermute_b32 v3, v9, v2
	s_waitcnt lgkmcnt(0)
	v_cmp_lt_f32_e64 s3, v2, v3
	v_cndmask_b32_e64 v2, v2, v3, s3
	;; [unrolled: 4-line block ×5, first 2 shown]
	s_or_b32 exec_lo, exec_lo, s4
	v_cmp_eq_u32_e64 s3, 0, v0
	s_and_saveexec_b32 s4, s3
	s_cbranch_execnz .LBB404_9
	s_branch .LBB404_10
.LBB404_26:
	ds_read_b32 v2, v14
	s_or_b32 exec_lo, exec_lo, s4
	s_and_saveexec_b32 s1, s2
	s_cbranch_execz .LBB404_18
.LBB404_27:
	s_waitcnt lgkmcnt(0)
	ds_bpermute_b32 v3, v8, v2
	s_waitcnt lgkmcnt(0)
	v_add_f32_e32 v2, v2, v3
	ds_bpermute_b32 v3, v9, v2
	s_waitcnt lgkmcnt(0)
	v_add_f32_e32 v2, v2, v3
	;; [unrolled: 3-line block ×5, first 2 shown]
	s_or_b32 exec_lo, exec_lo, s1
	s_and_saveexec_b32 s1, s3
	s_cbranch_execnz .LBB404_19
	s_branch .LBB404_20
	.section	.rodata,"a",@progbits
	.p2align	6, 0x0
	.amdhsa_kernel _ZN2at6native12_GLOBAL__N_123cunn_SoftMaxForwardGmemILi4EfffNS1_29SoftMaxForwardWithMulEpilogueElEEvPT2_PKT0_T4_
		.amdhsa_group_segment_fixed_size 0
		.amdhsa_private_segment_fixed_size 0
		.amdhsa_kernarg_size 280
		.amdhsa_user_sgpr_count 6
		.amdhsa_user_sgpr_private_segment_buffer 1
		.amdhsa_user_sgpr_dispatch_ptr 0
		.amdhsa_user_sgpr_queue_ptr 0
		.amdhsa_user_sgpr_kernarg_segment_ptr 1
		.amdhsa_user_sgpr_dispatch_id 0
		.amdhsa_user_sgpr_flat_scratch_init 0
		.amdhsa_user_sgpr_private_segment_size 0
		.amdhsa_wavefront_size32 1
		.amdhsa_uses_dynamic_stack 0
		.amdhsa_system_sgpr_private_segment_wavefront_offset 0
		.amdhsa_system_sgpr_workgroup_id_x 1
		.amdhsa_system_sgpr_workgroup_id_y 0
		.amdhsa_system_sgpr_workgroup_id_z 0
		.amdhsa_system_sgpr_workgroup_info 0
		.amdhsa_system_vgpr_workitem_id 0
		.amdhsa_next_free_vgpr 21
		.amdhsa_next_free_sgpr 20
		.amdhsa_reserve_vcc 1
		.amdhsa_reserve_flat_scratch 0
		.amdhsa_float_round_mode_32 0
		.amdhsa_float_round_mode_16_64 0
		.amdhsa_float_denorm_mode_32 3
		.amdhsa_float_denorm_mode_16_64 3
		.amdhsa_dx10_clamp 1
		.amdhsa_ieee_mode 1
		.amdhsa_fp16_overflow 0
		.amdhsa_workgroup_processor_mode 1
		.amdhsa_memory_ordered 1
		.amdhsa_forward_progress 1
		.amdhsa_shared_vgpr_count 0
		.amdhsa_exception_fp_ieee_invalid_op 0
		.amdhsa_exception_fp_denorm_src 0
		.amdhsa_exception_fp_ieee_div_zero 0
		.amdhsa_exception_fp_ieee_overflow 0
		.amdhsa_exception_fp_ieee_underflow 0
		.amdhsa_exception_fp_ieee_inexact 0
		.amdhsa_exception_int_div_zero 0
	.end_amdhsa_kernel
	.section	.text._ZN2at6native12_GLOBAL__N_123cunn_SoftMaxForwardGmemILi4EfffNS1_29SoftMaxForwardWithMulEpilogueElEEvPT2_PKT0_T4_,"axG",@progbits,_ZN2at6native12_GLOBAL__N_123cunn_SoftMaxForwardGmemILi4EfffNS1_29SoftMaxForwardWithMulEpilogueElEEvPT2_PKT0_T4_,comdat
.Lfunc_end404:
	.size	_ZN2at6native12_GLOBAL__N_123cunn_SoftMaxForwardGmemILi4EfffNS1_29SoftMaxForwardWithMulEpilogueElEEvPT2_PKT0_T4_, .Lfunc_end404-_ZN2at6native12_GLOBAL__N_123cunn_SoftMaxForwardGmemILi4EfffNS1_29SoftMaxForwardWithMulEpilogueElEEvPT2_PKT0_T4_
                                        ; -- End function
	.set _ZN2at6native12_GLOBAL__N_123cunn_SoftMaxForwardGmemILi4EfffNS1_29SoftMaxForwardWithMulEpilogueElEEvPT2_PKT0_T4_.num_vgpr, 21
	.set _ZN2at6native12_GLOBAL__N_123cunn_SoftMaxForwardGmemILi4EfffNS1_29SoftMaxForwardWithMulEpilogueElEEvPT2_PKT0_T4_.num_agpr, 0
	.set _ZN2at6native12_GLOBAL__N_123cunn_SoftMaxForwardGmemILi4EfffNS1_29SoftMaxForwardWithMulEpilogueElEEvPT2_PKT0_T4_.numbered_sgpr, 20
	.set _ZN2at6native12_GLOBAL__N_123cunn_SoftMaxForwardGmemILi4EfffNS1_29SoftMaxForwardWithMulEpilogueElEEvPT2_PKT0_T4_.num_named_barrier, 0
	.set _ZN2at6native12_GLOBAL__N_123cunn_SoftMaxForwardGmemILi4EfffNS1_29SoftMaxForwardWithMulEpilogueElEEvPT2_PKT0_T4_.private_seg_size, 0
	.set _ZN2at6native12_GLOBAL__N_123cunn_SoftMaxForwardGmemILi4EfffNS1_29SoftMaxForwardWithMulEpilogueElEEvPT2_PKT0_T4_.uses_vcc, 1
	.set _ZN2at6native12_GLOBAL__N_123cunn_SoftMaxForwardGmemILi4EfffNS1_29SoftMaxForwardWithMulEpilogueElEEvPT2_PKT0_T4_.uses_flat_scratch, 0
	.set _ZN2at6native12_GLOBAL__N_123cunn_SoftMaxForwardGmemILi4EfffNS1_29SoftMaxForwardWithMulEpilogueElEEvPT2_PKT0_T4_.has_dyn_sized_stack, 0
	.set _ZN2at6native12_GLOBAL__N_123cunn_SoftMaxForwardGmemILi4EfffNS1_29SoftMaxForwardWithMulEpilogueElEEvPT2_PKT0_T4_.has_recursion, 0
	.set _ZN2at6native12_GLOBAL__N_123cunn_SoftMaxForwardGmemILi4EfffNS1_29SoftMaxForwardWithMulEpilogueElEEvPT2_PKT0_T4_.has_indirect_call, 0
	.section	.AMDGPU.csdata,"",@progbits
; Kernel info:
; codeLenInByte = 1864
; TotalNumSgprs: 22
; NumVgprs: 21
; ScratchSize: 0
; MemoryBound: 0
; FloatMode: 240
; IeeeMode: 1
; LDSByteSize: 0 bytes/workgroup (compile time only)
; SGPRBlocks: 0
; VGPRBlocks: 2
; NumSGPRsForWavesPerEU: 22
; NumVGPRsForWavesPerEU: 21
; Occupancy: 16
; WaveLimiterHint : 0
; COMPUTE_PGM_RSRC2:SCRATCH_EN: 0
; COMPUTE_PGM_RSRC2:USER_SGPR: 6
; COMPUTE_PGM_RSRC2:TRAP_HANDLER: 0
; COMPUTE_PGM_RSRC2:TGID_X_EN: 1
; COMPUTE_PGM_RSRC2:TGID_Y_EN: 0
; COMPUTE_PGM_RSRC2:TGID_Z_EN: 0
; COMPUTE_PGM_RSRC2:TIDIG_COMP_CNT: 0
	.section	.text._ZN2at6native12_GLOBAL__N_123cunn_SoftMaxForwardFastILi4EfffNS1_29SoftMaxForwardWithMulEpilogueEEEvPT2_PKT0_i,"axG",@progbits,_ZN2at6native12_GLOBAL__N_123cunn_SoftMaxForwardFastILi4EfffNS1_29SoftMaxForwardWithMulEpilogueEEEvPT2_PKT0_i,comdat
	.globl	_ZN2at6native12_GLOBAL__N_123cunn_SoftMaxForwardFastILi4EfffNS1_29SoftMaxForwardWithMulEpilogueEEEvPT2_PKT0_i ; -- Begin function _ZN2at6native12_GLOBAL__N_123cunn_SoftMaxForwardFastILi4EfffNS1_29SoftMaxForwardWithMulEpilogueEEEvPT2_PKT0_i
	.p2align	8
	.type	_ZN2at6native12_GLOBAL__N_123cunn_SoftMaxForwardFastILi4EfffNS1_29SoftMaxForwardWithMulEpilogueEEEvPT2_PKT0_i,@function
_ZN2at6native12_GLOBAL__N_123cunn_SoftMaxForwardFastILi4EfffNS1_29SoftMaxForwardWithMulEpilogueEEEvPT2_PKT0_i: ; @_ZN2at6native12_GLOBAL__N_123cunn_SoftMaxForwardFastILi4EfffNS1_29SoftMaxForwardWithMulEpilogueEEEvPT2_PKT0_i
; %bb.0:
	s_clause 0x1
	s_load_dword s7, s[4:5], 0x10
	s_load_dwordx4 s[8:11], s[4:5], 0x0
	s_mov_b32 s15, 0
	s_waitcnt lgkmcnt(0)
	s_ashr_i32 s0, s7, 31
	s_mul_hi_u32 s1, s7, s6
	s_mul_i32 s2, s0, s6
	s_mul_i32 s0, s7, s6
	s_add_i32 s1, s1, s2
	s_lshl_b64 s[12:13], s[0:1], 2
	s_add_u32 s10, s10, s12
	s_addc_u32 s11, s11, s13
	s_bfe_u32 s14, s10, 0x20002
	s_cmp_lg_u32 s14, 0
	v_cmp_le_u32_e64 s0, s14, v0
	s_cselect_b32 s18, -1, 0
	s_add_u32 s2, s4, 24
	s_addc_u32 s3, s5, 0
	s_and_b32 vcc_lo, exec_lo, s18
	s_cbranch_vccz .LBB405_25
; %bb.1:
	s_lshl_b64 s[2:3], s[14:15], 2
	v_mov_b32_e32 v5, 0xff7fffff
	s_sub_u32 s16, s10, s2
	s_subb_u32 s17, s11, s3
	s_add_i32 s1, s14, s7
	v_cmp_gt_i32_e32 vcc_lo, s1, v0
	s_and_b32 s2, s0, vcc_lo
	s_and_saveexec_b32 s0, s2
	s_cbranch_execz .LBB405_3
; %bb.2:
	v_lshlrev_b32_e32 v1, 2, v0
	global_load_dword v1, v1, s[16:17]
	s_waitcnt vmcnt(0)
	v_max_f32_e32 v1, v1, v1
	v_max_f32_e32 v5, 0xff7fffff, v1
.LBB405_3:
	s_or_b32 exec_lo, exec_lo, s0
	s_load_dword s0, s[4:5], 0x24
	s_add_u32 s2, s4, 24
	s_addc_u32 s3, s5, 0
	s_waitcnt lgkmcnt(0)
	s_and_b32 s0, s0, 0xffff
	v_sub_nc_u32_e64 v1, s1, s0 clamp
	s_lshl_b32 s0, s0, 2
	s_add_u32 s0, s16, s0
	s_addc_u32 s1, s17, 0
	v_readfirstlane_b32 s15, v1
	s_branch .LBB405_5
.LBB405_4:
	v_mov_b32_e32 v5, 0xff7fffff
	s_mov_b32 s15, s7
	s_mov_b64 s[0:1], s[10:11]
.LBB405_5:
	s_load_dword s16, s[2:3], 0x0
	v_mov_b32_e32 v1, 0
	v_lshlrev_b32_e32 v9, 2, v0
	s_waitcnt lgkmcnt(0)
	s_cmp_lt_u32 s6, s16
	s_cselect_b32 s16, 12, 18
	s_add_u32 s2, s2, s16
	s_addc_u32 s3, s3, 0
	global_load_ushort v3, v1, s[2:3]
	s_waitcnt vmcnt(0)
	v_readfirstlane_b32 s2, v3
	s_lshl_b32 s2, s2, 2
	v_cvt_f32_u32_e32 v1, s2
	s_sub_i32 s16, 0, s2
	v_rcp_iflag_f32_e32 v1, v1
	v_mul_f32_e32 v1, 0x4f7ffffe, v1
	v_cvt_u32_f32_e32 v1, v1
	v_readfirstlane_b32 s3, v1
	s_mul_i32 s16, s16, s3
	s_mul_hi_u32 s16, s3, s16
	s_add_i32 s3, s3, s16
	s_mul_hi_u32 s3, s15, s3
	s_mul_i32 s3, s3, s2
	s_sub_i32 s3, s15, s3
	s_sub_i32 s16, s3, s2
	s_cmp_ge_u32 s3, s2
	s_cselect_b32 s3, s16, s3
	s_sub_i32 s16, s3, s2
	s_cmp_ge_u32 s3, s2
	s_cselect_b32 s2, s16, s3
	s_mov_b32 s16, 0
	s_sub_i32 s2, s15, s2
	s_mov_b32 s3, exec_lo
	v_cmpx_gt_i32_e64 s2, v9
	s_cbranch_execz .LBB405_9
; %bb.6:
	v_mov_b32_e32 v1, v0
	.p2align	6
.LBB405_7:                              ; =>This Inner Loop Header: Depth=1
	v_ashrrev_i32_e32 v2, 31, v1
	v_lshlrev_b64 v[6:7], 4, v[1:2]
	v_add_nc_u32_e32 v1, v1, v3
	v_lshlrev_b32_e32 v2, 2, v1
	v_add_co_u32 v6, vcc_lo, s0, v6
	v_add_co_ci_u32_e64 v7, null, s1, v7, vcc_lo
	v_cmp_le_i32_e32 vcc_lo, s2, v2
	global_load_dwordx4 v[10:13], v[6:7], off
	s_or_b32 s16, vcc_lo, s16
	s_waitcnt vmcnt(0)
	v_max3_f32 v4, v5, v10, v11
	v_max3_f32 v5, v4, v12, v13
	s_andn2_b32 exec_lo, exec_lo, s16
	s_cbranch_execnz .LBB405_7
; %bb.8:
	s_or_b32 exec_lo, exec_lo, s16
.LBB405_9:
	s_or_b32 exec_lo, exec_lo, s3
	v_add_nc_u32_e32 v1, s2, v0
	s_mov_b32 s2, exec_lo
	v_cmpx_gt_i32_e64 s15, v1
	s_cbranch_execz .LBB405_13
; %bb.10:
	s_mov_b32 s3, 0
	.p2align	6
.LBB405_11:                             ; =>This Inner Loop Header: Depth=1
	v_ashrrev_i32_e32 v2, 31, v1
	v_max_f32_e32 v4, v5, v5
	v_lshlrev_b64 v[6:7], 2, v[1:2]
	v_add_nc_u32_e32 v1, v1, v3
	v_add_co_u32 v6, vcc_lo, s0, v6
	v_add_co_ci_u32_e64 v7, null, s1, v7, vcc_lo
	v_cmp_le_i32_e32 vcc_lo, s15, v1
	global_load_dword v2, v[6:7], off
	s_or_b32 s3, vcc_lo, s3
	s_waitcnt vmcnt(0)
	v_max_f32_e32 v2, v2, v2
	v_max_f32_e32 v5, v4, v2
	s_andn2_b32 exec_lo, exec_lo, s3
	s_cbranch_execnz .LBB405_11
; %bb.12:
	s_or_b32 exec_lo, exec_lo, s3
.LBB405_13:
	s_or_b32 exec_lo, exec_lo, s2
	v_mbcnt_lo_u32_b32 v1, -1, 0
	v_lshrrev_b32_e32 v10, 3, v0
	s_barrier
	buffer_gl0_inv
	v_lshl_or_b32 v3, v1, 2, 64
	v_cmp_gt_u32_e32 vcc_lo, 24, v1
	ds_bpermute_b32 v2, v3, v5
	v_cndmask_b32_e64 v4, 0, 8, vcc_lo
	v_add_lshl_u32 v4, v4, v1, 2
	s_waitcnt lgkmcnt(0)
	v_cmp_lt_f32_e32 vcc_lo, v5, v2
	v_cndmask_b32_e32 v2, v5, v2, vcc_lo
	v_cmp_gt_u32_e32 vcc_lo, 28, v1
	ds_bpermute_b32 v6, v4, v2
	v_cndmask_b32_e64 v5, 0, 4, vcc_lo
	v_add_lshl_u32 v5, v5, v1, 2
	s_waitcnt lgkmcnt(0)
	v_cmp_lt_f32_e32 vcc_lo, v2, v6
	v_cndmask_b32_e32 v2, v2, v6, vcc_lo
	;; [unrolled: 7-line block ×3, first 2 shown]
	v_cmp_ne_u32_e32 vcc_lo, 31, v1
	ds_bpermute_b32 v7, v6, v2
	v_add_co_ci_u32_e64 v8, null, 0, v1, vcc_lo
	s_waitcnt lgkmcnt(0)
	v_cmp_lt_f32_e32 vcc_lo, v2, v7
	v_cndmask_b32_e32 v1, v2, v7, vcc_lo
	v_lshlrev_b32_e32 v7, 2, v8
	v_and_b32_e32 v2, 31, v0
	ds_bpermute_b32 v8, v7, v1
	v_cmp_eq_u32_e64 s0, 0, v2
	s_and_saveexec_b32 s1, s0
	s_cbranch_execz .LBB405_15
; %bb.14:
	s_waitcnt lgkmcnt(0)
	v_cmp_lt_f32_e32 vcc_lo, v1, v8
	v_add_nc_u32_e32 v11, 0, v10
	v_cndmask_b32_e32 v1, v1, v8, vcc_lo
	ds_write_b32 v11, v1
.LBB405_15:
	s_or_b32 exec_lo, exec_lo, s1
	s_waitcnt lgkmcnt(0)
	s_barrier
	buffer_gl0_inv
	s_load_dword s20, s[4:5], 0x24
	s_add_u32 s16, s4, 24
	s_addc_u32 s17, s5, 0
	v_mov_b32_e32 v1, 0xff7fffff
	v_lshl_add_u32 v11, v2, 2, 0
	s_waitcnt lgkmcnt(0)
	s_bfe_u32 s1, s20, 0xb0005
	v_cmp_gt_u32_e64 s1, s1, v0
	s_and_saveexec_b32 s2, s1
	s_cbranch_execnz .LBB405_23
; %bb.16:
	s_or_b32 exec_lo, exec_lo, s2
	v_cmp_gt_u32_e64 s2, 32, v0
	s_and_saveexec_b32 s3, s2
	s_cbranch_execnz .LBB405_24
.LBB405_17:
	s_or_b32 exec_lo, exec_lo, s3
	v_cmp_eq_u32_e64 s3, 0, v0
	s_and_saveexec_b32 s4, s3
	s_cbranch_execz .LBB405_19
.LBB405_18:
	v_mov_b32_e32 v2, 0
	s_waitcnt lgkmcnt(0)
	ds_write_b32 v2, v1
.LBB405_19:
	s_or_b32 exec_lo, exec_lo, s4
	v_mov_b32_e32 v12, 0
	s_waitcnt lgkmcnt(0)
	s_barrier
	buffer_gl0_inv
	s_andn2_b32 vcc_lo, exec_lo, s18
	ds_read_b32 v8, v12
	s_mov_b32 s15, 0
	s_cbranch_vccnz .LBB405_26
; %bb.20:
	s_lshl_b64 s[4:5], s[14:15], 2
	v_cmp_le_u32_e32 vcc_lo, s14, v0
	s_sub_u32 s18, s10, s4
	s_subb_u32 s19, s11, s5
	s_add_i32 s5, s14, s7
	v_mov_b32_e32 v12, 0
	v_cmp_gt_i32_e64 s4, s5, v0
	s_and_b32 s14, vcc_lo, s4
	s_and_saveexec_b32 s4, s14
	s_cbranch_execz .LBB405_22
; %bb.21:
	global_load_dword v1, v9, s[18:19]
	s_waitcnt vmcnt(0) lgkmcnt(0)
	v_sub_f32_e32 v1, v1, v8
	v_mul_f32_e32 v1, 0x3fb8aa3b, v1
	v_exp_f32_e32 v1, v1
	v_add_f32_e32 v12, 0, v1
.LBB405_22:
	s_or_b32 exec_lo, exec_lo, s4
	s_and_b32 s4, 0xffff, s20
	v_sub_nc_u32_e64 v1, s5, s4 clamp
	s_lshl_b32 s4, s4, 2
	s_add_u32 s4, s18, s4
	s_addc_u32 s5, s19, 0
	v_readfirstlane_b32 s14, v1
	s_branch .LBB405_27
.LBB405_23:
	ds_read_b32 v1, v11
	s_or_b32 exec_lo, exec_lo, s2
	v_cmp_gt_u32_e64 s2, 32, v0
	s_and_saveexec_b32 s3, s2
	s_cbranch_execz .LBB405_17
.LBB405_24:
	s_waitcnt lgkmcnt(0)
	ds_bpermute_b32 v2, v3, v1
	s_waitcnt lgkmcnt(0)
	v_cmp_lt_f32_e32 vcc_lo, v1, v2
	v_cndmask_b32_e32 v1, v1, v2, vcc_lo
	ds_bpermute_b32 v2, v4, v1
	s_waitcnt lgkmcnt(0)
	v_cmp_lt_f32_e32 vcc_lo, v1, v2
	v_cndmask_b32_e32 v1, v1, v2, vcc_lo
	;; [unrolled: 4-line block ×5, first 2 shown]
	s_or_b32 exec_lo, exec_lo, s3
	v_cmp_eq_u32_e64 s3, 0, v0
	s_and_saveexec_b32 s4, s3
	s_cbranch_execnz .LBB405_18
	s_branch .LBB405_19
.LBB405_25:
                                        ; implicit-def: $sgpr0_sgpr1
                                        ; implicit-def: $sgpr15
                                        ; implicit-def: $vgpr5
	s_cbranch_execnz .LBB405_4
	s_branch .LBB405_5
.LBB405_26:
	s_mov_b64 s[4:5], s[10:11]
	s_mov_b32 s14, s7
.LBB405_27:
	s_load_dword s15, s[16:17], 0x0
	v_mov_b32_e32 v1, 0
	s_waitcnt lgkmcnt(0)
	s_cmp_lt_u32 s6, s15
	s_cselect_b32 s6, 12, 18
	s_add_u32 s16, s16, s6
	s_addc_u32 s17, s17, 0
	global_load_ushort v13, v1, s[16:17]
	s_waitcnt vmcnt(0)
	v_readfirstlane_b32 s6, v13
	s_lshl_b32 s6, s6, 2
	v_cvt_f32_u32_e32 v1, s6
	s_sub_i32 s16, 0, s6
	v_rcp_iflag_f32_e32 v1, v1
	v_mul_f32_e32 v1, 0x4f7ffffe, v1
	v_cvt_u32_f32_e32 v1, v1
	v_readfirstlane_b32 s15, v1
	s_mul_i32 s16, s16, s15
	s_mul_hi_u32 s16, s15, s16
	s_add_i32 s15, s15, s16
	s_mul_hi_u32 s15, s14, s15
	s_mul_i32 s15, s15, s6
	s_sub_i32 s15, s14, s15
	s_sub_i32 s16, s15, s6
	s_cmp_ge_u32 s15, s6
	s_cselect_b32 s15, s16, s15
	s_sub_i32 s16, s15, s6
	s_cmp_ge_u32 s15, s6
	s_cselect_b32 s6, s16, s15
	s_mov_b32 s16, 0
	s_sub_i32 s6, s14, s6
	s_mov_b32 s15, exec_lo
	v_cmpx_gt_i32_e64 s6, v9
	s_cbranch_execz .LBB405_31
; %bb.28:
	v_mov_b32_e32 v1, v0
	s_inst_prefetch 0x1
	.p2align	6
.LBB405_29:                             ; =>This Inner Loop Header: Depth=1
	v_ashrrev_i32_e32 v2, 31, v1
	v_lshlrev_b64 v[14:15], 4, v[1:2]
	v_add_nc_u32_e32 v1, v1, v13
	v_add_co_u32 v14, vcc_lo, s4, v14
	v_add_co_ci_u32_e64 v15, null, s5, v15, vcc_lo
	global_load_dwordx4 v[14:17], v[14:15], off
	s_waitcnt vmcnt(0)
	v_sub_f32_e32 v2, v14, v8
	v_sub_f32_e32 v9, v15, v8
	v_sub_f32_e32 v14, v16, v8
	v_sub_f32_e32 v15, v17, v8
	v_mul_f32_e32 v2, 0x3fb8aa3b, v2
	v_mul_f32_e32 v9, 0x3fb8aa3b, v9
	;; [unrolled: 1-line block ×4, first 2 shown]
	v_exp_f32_e32 v2, v2
	v_exp_f32_e32 v9, v9
	;; [unrolled: 1-line block ×3, first 2 shown]
	v_add_f32_e32 v2, v12, v2
	v_exp_f32_e32 v12, v15
	v_add_f32_e32 v2, v2, v9
	v_lshlrev_b32_e32 v9, 2, v1
	v_add_f32_e32 v2, v2, v14
	v_cmp_le_i32_e32 vcc_lo, s6, v9
	v_add_f32_e32 v12, v2, v12
	s_or_b32 s16, vcc_lo, s16
	s_andn2_b32 exec_lo, exec_lo, s16
	s_cbranch_execnz .LBB405_29
; %bb.30:
	s_inst_prefetch 0x2
	s_or_b32 exec_lo, exec_lo, s16
.LBB405_31:
	s_or_b32 exec_lo, exec_lo, s15
	v_add_nc_u32_e32 v1, s6, v0
	s_mov_b32 s6, exec_lo
	v_cmpx_gt_i32_e64 s14, v1
	s_cbranch_execz .LBB405_35
; %bb.32:
	s_mov_b32 s15, 0
	.p2align	6
.LBB405_33:                             ; =>This Inner Loop Header: Depth=1
	v_ashrrev_i32_e32 v2, 31, v1
	v_lshlrev_b64 v[14:15], 2, v[1:2]
	v_add_nc_u32_e32 v1, v1, v13
	v_add_co_u32 v14, vcc_lo, s4, v14
	v_add_co_ci_u32_e64 v15, null, s5, v15, vcc_lo
	v_cmp_le_i32_e32 vcc_lo, s14, v1
	global_load_dword v2, v[14:15], off
	s_or_b32 s15, vcc_lo, s15
	s_waitcnt vmcnt(0)
	v_sub_f32_e32 v2, v2, v8
	v_mul_f32_e32 v2, 0x3fb8aa3b, v2
	v_exp_f32_e32 v2, v2
	v_add_f32_e32 v12, v12, v2
	s_andn2_b32 exec_lo, exec_lo, s15
	s_cbranch_execnz .LBB405_33
; %bb.34:
	s_or_b32 exec_lo, exec_lo, s15
.LBB405_35:
	s_or_b32 exec_lo, exec_lo, s6
	ds_bpermute_b32 v1, v3, v12
	s_waitcnt lgkmcnt(0)
	s_barrier
	buffer_gl0_inv
	v_add_f32_e32 v1, v12, v1
	ds_bpermute_b32 v2, v4, v1
	s_waitcnt lgkmcnt(0)
	v_add_f32_e32 v1, v1, v2
	ds_bpermute_b32 v2, v5, v1
	s_waitcnt lgkmcnt(0)
	;; [unrolled: 3-line block ×3, first 2 shown]
	v_add_f32_e32 v1, v1, v2
	ds_bpermute_b32 v2, v7, v1
	s_and_saveexec_b32 s4, s0
	s_cbranch_execz .LBB405_37
; %bb.36:
	v_add_nc_u32_e32 v9, 0, v10
	s_waitcnt lgkmcnt(0)
	v_add_f32_e32 v1, v1, v2
	ds_write_b32 v9, v1
.LBB405_37:
	s_or_b32 exec_lo, exec_lo, s4
	v_mov_b32_e32 v1, 0
	s_waitcnt lgkmcnt(0)
	s_barrier
	buffer_gl0_inv
	s_and_saveexec_b32 s0, s1
	s_cbranch_execnz .LBB405_45
; %bb.38:
	s_or_b32 exec_lo, exec_lo, s0
	s_and_saveexec_b32 s0, s2
	s_cbranch_execnz .LBB405_46
.LBB405_39:
	s_or_b32 exec_lo, exec_lo, s0
	s_and_saveexec_b32 s0, s3
	s_cbranch_execz .LBB405_41
.LBB405_40:
	s_waitcnt lgkmcnt(0)
	v_div_scale_f32 v2, null, v1, v1, 1.0
	v_div_scale_f32 v5, vcc_lo, 1.0, v1, 1.0
	v_rcp_f32_e32 v3, v2
	v_fma_f32 v4, -v2, v3, 1.0
	v_fmac_f32_e32 v3, v4, v3
	v_mul_f32_e32 v4, v5, v3
	v_fma_f32 v6, -v2, v4, v5
	v_fmac_f32_e32 v4, v6, v3
	v_fma_f32 v2, -v2, v4, v5
	v_div_fmas_f32 v2, v2, v3, v4
	v_div_fixup_f32 v1, v2, v1, 1.0
	v_mov_b32_e32 v2, 0
	ds_write_b32 v2, v1
.LBB405_41:
	s_or_b32 exec_lo, exec_lo, s0
	s_waitcnt lgkmcnt(0)
	s_barrier
	buffer_gl0_inv
	s_mov_b32 s0, exec_lo
	v_cmpx_gt_i32_e64 s7, v0
	s_cbranch_execz .LBB405_44
; %bb.42:
	v_mov_b32_e32 v1, 0
	s_and_b32 s2, 0xffff, s20
	s_add_u32 s3, s8, s12
	s_mov_b32 s1, 0
	s_addc_u32 s4, s9, s13
	ds_read_b32 v2, v1
	.p2align	6
.LBB405_43:                             ; =>This Inner Loop Header: Depth=1
	v_ashrrev_i32_e32 v1, 31, v0
	v_lshlrev_b64 v[3:4], 2, v[0:1]
	v_add_nc_u32_e32 v0, s2, v0
	v_add_co_u32 v5, vcc_lo, s10, v3
	v_add_co_ci_u32_e64 v6, null, s11, v4, vcc_lo
	v_cmp_le_i32_e32 vcc_lo, s7, v0
	v_add_co_u32 v3, s0, s3, v3
	global_load_dword v1, v[5:6], off
	v_add_co_ci_u32_e64 v4, null, s4, v4, s0
	s_or_b32 s1, vcc_lo, s1
	s_waitcnt vmcnt(0)
	v_sub_f32_e32 v1, v1, v8
	v_mul_f32_e32 v1, 0x3fb8aa3b, v1
	v_exp_f32_e32 v1, v1
	s_waitcnt lgkmcnt(0)
	v_mul_f32_e32 v1, v2, v1
	global_store_dword v[3:4], v1, off
	s_andn2_b32 exec_lo, exec_lo, s1
	s_cbranch_execnz .LBB405_43
.LBB405_44:
	s_endpgm
.LBB405_45:
	ds_read_b32 v1, v11
	s_or_b32 exec_lo, exec_lo, s0
	s_and_saveexec_b32 s0, s2
	s_cbranch_execz .LBB405_39
.LBB405_46:
	s_waitcnt lgkmcnt(0)
	ds_bpermute_b32 v2, v3, v1
	s_waitcnt lgkmcnt(0)
	v_add_f32_e32 v1, v1, v2
	ds_bpermute_b32 v2, v4, v1
	s_waitcnt lgkmcnt(0)
	v_add_f32_e32 v1, v1, v2
	;; [unrolled: 3-line block ×5, first 2 shown]
	s_or_b32 exec_lo, exec_lo, s0
	s_and_saveexec_b32 s0, s3
	s_cbranch_execnz .LBB405_40
	s_branch .LBB405_41
	.section	.rodata,"a",@progbits
	.p2align	6, 0x0
	.amdhsa_kernel _ZN2at6native12_GLOBAL__N_123cunn_SoftMaxForwardFastILi4EfffNS1_29SoftMaxForwardWithMulEpilogueEEEvPT2_PKT0_i
		.amdhsa_group_segment_fixed_size 0
		.amdhsa_private_segment_fixed_size 0
		.amdhsa_kernarg_size 280
		.amdhsa_user_sgpr_count 6
		.amdhsa_user_sgpr_private_segment_buffer 1
		.amdhsa_user_sgpr_dispatch_ptr 0
		.amdhsa_user_sgpr_queue_ptr 0
		.amdhsa_user_sgpr_kernarg_segment_ptr 1
		.amdhsa_user_sgpr_dispatch_id 0
		.amdhsa_user_sgpr_flat_scratch_init 0
		.amdhsa_user_sgpr_private_segment_size 0
		.amdhsa_wavefront_size32 1
		.amdhsa_uses_dynamic_stack 0
		.amdhsa_system_sgpr_private_segment_wavefront_offset 0
		.amdhsa_system_sgpr_workgroup_id_x 1
		.amdhsa_system_sgpr_workgroup_id_y 0
		.amdhsa_system_sgpr_workgroup_id_z 0
		.amdhsa_system_sgpr_workgroup_info 0
		.amdhsa_system_vgpr_workitem_id 0
		.amdhsa_next_free_vgpr 18
		.amdhsa_next_free_sgpr 21
		.amdhsa_reserve_vcc 1
		.amdhsa_reserve_flat_scratch 0
		.amdhsa_float_round_mode_32 0
		.amdhsa_float_round_mode_16_64 0
		.amdhsa_float_denorm_mode_32 3
		.amdhsa_float_denorm_mode_16_64 3
		.amdhsa_dx10_clamp 1
		.amdhsa_ieee_mode 1
		.amdhsa_fp16_overflow 0
		.amdhsa_workgroup_processor_mode 1
		.amdhsa_memory_ordered 1
		.amdhsa_forward_progress 1
		.amdhsa_shared_vgpr_count 0
		.amdhsa_exception_fp_ieee_invalid_op 0
		.amdhsa_exception_fp_denorm_src 0
		.amdhsa_exception_fp_ieee_div_zero 0
		.amdhsa_exception_fp_ieee_overflow 0
		.amdhsa_exception_fp_ieee_underflow 0
		.amdhsa_exception_fp_ieee_inexact 0
		.amdhsa_exception_int_div_zero 0
	.end_amdhsa_kernel
	.section	.text._ZN2at6native12_GLOBAL__N_123cunn_SoftMaxForwardFastILi4EfffNS1_29SoftMaxForwardWithMulEpilogueEEEvPT2_PKT0_i,"axG",@progbits,_ZN2at6native12_GLOBAL__N_123cunn_SoftMaxForwardFastILi4EfffNS1_29SoftMaxForwardWithMulEpilogueEEEvPT2_PKT0_i,comdat
.Lfunc_end405:
	.size	_ZN2at6native12_GLOBAL__N_123cunn_SoftMaxForwardFastILi4EfffNS1_29SoftMaxForwardWithMulEpilogueEEEvPT2_PKT0_i, .Lfunc_end405-_ZN2at6native12_GLOBAL__N_123cunn_SoftMaxForwardFastILi4EfffNS1_29SoftMaxForwardWithMulEpilogueEEEvPT2_PKT0_i
                                        ; -- End function
	.set _ZN2at6native12_GLOBAL__N_123cunn_SoftMaxForwardFastILi4EfffNS1_29SoftMaxForwardWithMulEpilogueEEEvPT2_PKT0_i.num_vgpr, 18
	.set _ZN2at6native12_GLOBAL__N_123cunn_SoftMaxForwardFastILi4EfffNS1_29SoftMaxForwardWithMulEpilogueEEEvPT2_PKT0_i.num_agpr, 0
	.set _ZN2at6native12_GLOBAL__N_123cunn_SoftMaxForwardFastILi4EfffNS1_29SoftMaxForwardWithMulEpilogueEEEvPT2_PKT0_i.numbered_sgpr, 21
	.set _ZN2at6native12_GLOBAL__N_123cunn_SoftMaxForwardFastILi4EfffNS1_29SoftMaxForwardWithMulEpilogueEEEvPT2_PKT0_i.num_named_barrier, 0
	.set _ZN2at6native12_GLOBAL__N_123cunn_SoftMaxForwardFastILi4EfffNS1_29SoftMaxForwardWithMulEpilogueEEEvPT2_PKT0_i.private_seg_size, 0
	.set _ZN2at6native12_GLOBAL__N_123cunn_SoftMaxForwardFastILi4EfffNS1_29SoftMaxForwardWithMulEpilogueEEEvPT2_PKT0_i.uses_vcc, 1
	.set _ZN2at6native12_GLOBAL__N_123cunn_SoftMaxForwardFastILi4EfffNS1_29SoftMaxForwardWithMulEpilogueEEEvPT2_PKT0_i.uses_flat_scratch, 0
	.set _ZN2at6native12_GLOBAL__N_123cunn_SoftMaxForwardFastILi4EfffNS1_29SoftMaxForwardWithMulEpilogueEEEvPT2_PKT0_i.has_dyn_sized_stack, 0
	.set _ZN2at6native12_GLOBAL__N_123cunn_SoftMaxForwardFastILi4EfffNS1_29SoftMaxForwardWithMulEpilogueEEEvPT2_PKT0_i.has_recursion, 0
	.set _ZN2at6native12_GLOBAL__N_123cunn_SoftMaxForwardFastILi4EfffNS1_29SoftMaxForwardWithMulEpilogueEEEvPT2_PKT0_i.has_indirect_call, 0
	.section	.AMDGPU.csdata,"",@progbits
; Kernel info:
; codeLenInByte = 2408
; TotalNumSgprs: 23
; NumVgprs: 18
; ScratchSize: 0
; MemoryBound: 0
; FloatMode: 240
; IeeeMode: 1
; LDSByteSize: 0 bytes/workgroup (compile time only)
; SGPRBlocks: 0
; VGPRBlocks: 2
; NumSGPRsForWavesPerEU: 23
; NumVGPRsForWavesPerEU: 18
; Occupancy: 16
; WaveLimiterHint : 0
; COMPUTE_PGM_RSRC2:SCRATCH_EN: 0
; COMPUTE_PGM_RSRC2:USER_SGPR: 6
; COMPUTE_PGM_RSRC2:TRAP_HANDLER: 0
; COMPUTE_PGM_RSRC2:TGID_X_EN: 1
; COMPUTE_PGM_RSRC2:TGID_Y_EN: 0
; COMPUTE_PGM_RSRC2:TGID_Z_EN: 0
; COMPUTE_PGM_RSRC2:TIDIG_COMP_CNT: 0
	.section	.text._ZN12_GLOBAL__N_120softmax_warp_forwardIN3c104HalfES2_fLi0ELb0ELb0ELi64EEEvPT0_PKT_iiiPKbib,"axG",@progbits,_ZN12_GLOBAL__N_120softmax_warp_forwardIN3c104HalfES2_fLi0ELb0ELb0ELi64EEEvPT0_PKT_iiiPKbib,comdat
	.globl	_ZN12_GLOBAL__N_120softmax_warp_forwardIN3c104HalfES2_fLi0ELb0ELb0ELi64EEEvPT0_PKT_iiiPKbib ; -- Begin function _ZN12_GLOBAL__N_120softmax_warp_forwardIN3c104HalfES2_fLi0ELb0ELb0ELi64EEEvPT0_PKT_iiiPKbib
	.p2align	8
	.type	_ZN12_GLOBAL__N_120softmax_warp_forwardIN3c104HalfES2_fLi0ELb0ELb0ELi64EEEvPT0_PKT_iiiPKbib,@function
_ZN12_GLOBAL__N_120softmax_warp_forwardIN3c104HalfES2_fLi0ELb0ELb0ELi64EEEvPT0_PKT_iiiPKbib: ; @_ZN12_GLOBAL__N_120softmax_warp_forwardIN3c104HalfES2_fLi0ELb0ELb0ELi64EEEvPT0_PKT_iiiPKbib
; %bb.0:
	s_clause 0x1
	s_load_dword s0, s[4:5], 0x3c
	s_load_dwordx8 s[8:15], s[4:5], 0x0
	v_mov_b32_e32 v6, 0xff800000
	v_mov_b32_e32 v7, 0xff800000
	s_waitcnt lgkmcnt(0)
	s_lshr_b32 s0, s0, 16
	s_and_b32 s0, s0, 0xffff
	s_mul_i32 s6, s6, s0
	v_cmp_gt_i32_e64 s0, s14, v0
	v_add_lshl_u32 v3, s6, v1, 1
	v_mad_u64_u32 v[1:2], null, v3, s13, v[0:1]
	v_sub_nc_u32_e32 v5, s12, v3
	v_cmp_lt_i32_e32 vcc_lo, 0, v5
	v_ashrrev_i32_e32 v2, 31, v1
	s_and_b32 s2, s0, vcc_lo
	v_lshlrev_b64 v[1:2], 1, v[1:2]
	v_add_co_u32 v3, s1, s10, v1
	v_add_co_ci_u32_e64 v4, null, s11, v2, s1
	s_and_saveexec_b32 s1, s2
	s_cbranch_execz .LBB406_2
; %bb.1:
	global_load_ushort v0, v[3:4], off
	s_waitcnt vmcnt(0)
	v_cvt_f32_f16_e32 v7, v0
.LBB406_2:
	s_or_b32 exec_lo, exec_lo, s1
	v_cmp_lt_i32_e64 s1, 1, v5
	s_and_b32 s1, s0, s1
	s_and_saveexec_b32 s2, s1
	s_cbranch_execz .LBB406_4
; %bb.3:
	s_mov_b32 s15, 0
	s_lshl_b64 s[4:5], s[14:15], 1
	v_add_co_u32 v3, s1, v3, s4
	v_add_co_ci_u32_e64 v4, null, s5, v4, s1
	global_load_ushort v0, v[3:4], off
	s_waitcnt vmcnt(0)
	v_cvt_f32_f16_e32 v6, v0
.LBB406_4:
	s_or_b32 exec_lo, exec_lo, s2
	s_and_saveexec_b32 s1, vcc_lo
	s_cbranch_execz .LBB406_15
; %bb.5:
	v_add_co_u32 v0, vcc_lo, s8, v1
	v_add_co_ci_u32_e64 v1, null, s9, v2, vcc_lo
	s_and_saveexec_b32 s1, s0
	s_cbranch_execz .LBB406_10
; %bb.6:
	v_sub_f32_e32 v2, v7, v7
	s_mov_b32 s2, exec_lo
	v_mul_f32_e32 v3, 0x3fb8aa3b, v2
	v_cmp_ngt_f32_e32 vcc_lo, 0xc2ce8ed0, v2
	v_rndne_f32_e32 v4, v3
	v_fma_f32 v7, 0x3fb8aa3b, v2, -v3
	v_sub_f32_e32 v3, v3, v4
	v_fmamk_f32 v7, v2, 0x32a5705f, v7
	v_cvt_i32_f32_e32 v4, v4
	v_add_f32_e32 v3, v3, v7
	v_exp_f32_e32 v3, v3
	v_ldexp_f32 v3, v3, v4
	v_cndmask_b32_e32 v3, 0, v3, vcc_lo
	v_cmp_nlt_f32_e32 vcc_lo, 0x42b17218, v2
	v_cndmask_b32_e32 v2, 0x7f800000, v3, vcc_lo
	v_cmpx_neq_f32_e32 0, v2
	s_xor_b32 s2, exec_lo, s2
	s_cbranch_execz .LBB406_8
; %bb.7:
	v_div_scale_f32 v3, vcc_lo, v2, v2, v2
	v_rcp_f32_e32 v4, v3
	v_fma_f32 v7, -v3, v4, 1.0
	v_fmac_f32_e32 v4, v7, v4
	v_mul_f32_e32 v7, v3, v4
	v_fma_f32 v8, -v3, v7, v3
	v_fmac_f32_e32 v7, v8, v4
	v_fma_f32 v3, -v3, v7, v3
	v_div_fmas_f32 v3, v3, v4, v7
	v_div_fixup_f32 v2, v3, v2, v2
	v_cvt_f16_f32_e32 v2, v2
	global_store_short v[0:1], v2, off
.LBB406_8:
	s_andn2_saveexec_b32 s2, s2
	s_cbranch_execz .LBB406_10
; %bb.9:
	v_mov_b32_e32 v2, 0x7e00
	global_store_short v[0:1], v2, off
.LBB406_10:
	s_or_b32 exec_lo, exec_lo, s1
	v_cmp_ne_u32_e32 vcc_lo, 1, v5
	s_and_b32 s0, vcc_lo, s0
	s_and_b32 exec_lo, exec_lo, s0
	s_cbranch_execz .LBB406_15
; %bb.11:
	v_sub_f32_e32 v2, v6, v6
	s_mov_b32 s15, 0
	s_lshl_b64 s[0:1], s[14:15], 1
	v_add_co_u32 v0, s0, v0, s0
	v_mul_f32_e32 v3, 0x3fb8aa3b, v2
	v_cmp_ngt_f32_e32 vcc_lo, 0xc2ce8ed0, v2
	v_add_co_ci_u32_e64 v1, null, s1, v1, s0
	s_mov_b32 s0, exec_lo
	v_rndne_f32_e32 v4, v3
	v_fma_f32 v5, 0x3fb8aa3b, v2, -v3
	v_sub_f32_e32 v3, v3, v4
	v_fmamk_f32 v5, v2, 0x32a5705f, v5
	v_cvt_i32_f32_e32 v4, v4
	v_add_f32_e32 v3, v3, v5
	v_exp_f32_e32 v3, v3
	v_ldexp_f32 v3, v3, v4
	v_cndmask_b32_e32 v3, 0, v3, vcc_lo
	v_cmp_nlt_f32_e32 vcc_lo, 0x42b17218, v2
	v_cndmask_b32_e32 v2, 0x7f800000, v3, vcc_lo
	v_cmpx_neq_f32_e32 0, v2
	s_xor_b32 s0, exec_lo, s0
	s_cbranch_execz .LBB406_13
; %bb.12:
	v_div_scale_f32 v3, vcc_lo, v2, v2, v2
	v_rcp_f32_e32 v4, v3
	v_fma_f32 v5, -v3, v4, 1.0
	v_fmac_f32_e32 v4, v5, v4
	v_mul_f32_e32 v5, v3, v4
	v_fma_f32 v6, -v3, v5, v3
	v_fmac_f32_e32 v5, v6, v4
	v_fma_f32 v3, -v3, v5, v3
	v_div_fmas_f32 v3, v3, v4, v5
	v_div_fixup_f32 v2, v3, v2, v2
	v_cvt_f16_f32_e32 v2, v2
	global_store_short v[0:1], v2, off
                                        ; implicit-def: $vgpr0_vgpr1
.LBB406_13:
	s_andn2_saveexec_b32 s0, s0
	s_cbranch_execz .LBB406_15
; %bb.14:
	v_mov_b32_e32 v2, 0x7e00
	global_store_short v[0:1], v2, off
.LBB406_15:
	s_endpgm
	.section	.rodata,"a",@progbits
	.p2align	6, 0x0
	.amdhsa_kernel _ZN12_GLOBAL__N_120softmax_warp_forwardIN3c104HalfES2_fLi0ELb0ELb0ELi64EEEvPT0_PKT_iiiPKbib
		.amdhsa_group_segment_fixed_size 0
		.amdhsa_private_segment_fixed_size 0
		.amdhsa_kernarg_size 304
		.amdhsa_user_sgpr_count 6
		.amdhsa_user_sgpr_private_segment_buffer 1
		.amdhsa_user_sgpr_dispatch_ptr 0
		.amdhsa_user_sgpr_queue_ptr 0
		.amdhsa_user_sgpr_kernarg_segment_ptr 1
		.amdhsa_user_sgpr_dispatch_id 0
		.amdhsa_user_sgpr_flat_scratch_init 0
		.amdhsa_user_sgpr_private_segment_size 0
		.amdhsa_wavefront_size32 1
		.amdhsa_uses_dynamic_stack 0
		.amdhsa_system_sgpr_private_segment_wavefront_offset 0
		.amdhsa_system_sgpr_workgroup_id_x 1
		.amdhsa_system_sgpr_workgroup_id_y 0
		.amdhsa_system_sgpr_workgroup_id_z 0
		.amdhsa_system_sgpr_workgroup_info 0
		.amdhsa_system_vgpr_workitem_id 1
		.amdhsa_next_free_vgpr 9
		.amdhsa_next_free_sgpr 16
		.amdhsa_reserve_vcc 1
		.amdhsa_reserve_flat_scratch 0
		.amdhsa_float_round_mode_32 0
		.amdhsa_float_round_mode_16_64 0
		.amdhsa_float_denorm_mode_32 3
		.amdhsa_float_denorm_mode_16_64 3
		.amdhsa_dx10_clamp 1
		.amdhsa_ieee_mode 1
		.amdhsa_fp16_overflow 0
		.amdhsa_workgroup_processor_mode 1
		.amdhsa_memory_ordered 1
		.amdhsa_forward_progress 1
		.amdhsa_shared_vgpr_count 0
		.amdhsa_exception_fp_ieee_invalid_op 0
		.amdhsa_exception_fp_denorm_src 0
		.amdhsa_exception_fp_ieee_div_zero 0
		.amdhsa_exception_fp_ieee_overflow 0
		.amdhsa_exception_fp_ieee_underflow 0
		.amdhsa_exception_fp_ieee_inexact 0
		.amdhsa_exception_int_div_zero 0
	.end_amdhsa_kernel
	.section	.text._ZN12_GLOBAL__N_120softmax_warp_forwardIN3c104HalfES2_fLi0ELb0ELb0ELi64EEEvPT0_PKT_iiiPKbib,"axG",@progbits,_ZN12_GLOBAL__N_120softmax_warp_forwardIN3c104HalfES2_fLi0ELb0ELb0ELi64EEEvPT0_PKT_iiiPKbib,comdat
.Lfunc_end406:
	.size	_ZN12_GLOBAL__N_120softmax_warp_forwardIN3c104HalfES2_fLi0ELb0ELb0ELi64EEEvPT0_PKT_iiiPKbib, .Lfunc_end406-_ZN12_GLOBAL__N_120softmax_warp_forwardIN3c104HalfES2_fLi0ELb0ELb0ELi64EEEvPT0_PKT_iiiPKbib
                                        ; -- End function
	.set _ZN12_GLOBAL__N_120softmax_warp_forwardIN3c104HalfES2_fLi0ELb0ELb0ELi64EEEvPT0_PKT_iiiPKbib.num_vgpr, 9
	.set _ZN12_GLOBAL__N_120softmax_warp_forwardIN3c104HalfES2_fLi0ELb0ELb0ELi64EEEvPT0_PKT_iiiPKbib.num_agpr, 0
	.set _ZN12_GLOBAL__N_120softmax_warp_forwardIN3c104HalfES2_fLi0ELb0ELb0ELi64EEEvPT0_PKT_iiiPKbib.numbered_sgpr, 16
	.set _ZN12_GLOBAL__N_120softmax_warp_forwardIN3c104HalfES2_fLi0ELb0ELb0ELi64EEEvPT0_PKT_iiiPKbib.num_named_barrier, 0
	.set _ZN12_GLOBAL__N_120softmax_warp_forwardIN3c104HalfES2_fLi0ELb0ELb0ELi64EEEvPT0_PKT_iiiPKbib.private_seg_size, 0
	.set _ZN12_GLOBAL__N_120softmax_warp_forwardIN3c104HalfES2_fLi0ELb0ELb0ELi64EEEvPT0_PKT_iiiPKbib.uses_vcc, 1
	.set _ZN12_GLOBAL__N_120softmax_warp_forwardIN3c104HalfES2_fLi0ELb0ELb0ELi64EEEvPT0_PKT_iiiPKbib.uses_flat_scratch, 0
	.set _ZN12_GLOBAL__N_120softmax_warp_forwardIN3c104HalfES2_fLi0ELb0ELb0ELi64EEEvPT0_PKT_iiiPKbib.has_dyn_sized_stack, 0
	.set _ZN12_GLOBAL__N_120softmax_warp_forwardIN3c104HalfES2_fLi0ELb0ELb0ELi64EEEvPT0_PKT_iiiPKbib.has_recursion, 0
	.set _ZN12_GLOBAL__N_120softmax_warp_forwardIN3c104HalfES2_fLi0ELb0ELb0ELi64EEEvPT0_PKT_iiiPKbib.has_indirect_call, 0
	.section	.AMDGPU.csdata,"",@progbits
; Kernel info:
; codeLenInByte = 700
; TotalNumSgprs: 18
; NumVgprs: 9
; ScratchSize: 0
; MemoryBound: 0
; FloatMode: 240
; IeeeMode: 1
; LDSByteSize: 0 bytes/workgroup (compile time only)
; SGPRBlocks: 0
; VGPRBlocks: 1
; NumSGPRsForWavesPerEU: 18
; NumVGPRsForWavesPerEU: 9
; Occupancy: 16
; WaveLimiterHint : 0
; COMPUTE_PGM_RSRC2:SCRATCH_EN: 0
; COMPUTE_PGM_RSRC2:USER_SGPR: 6
; COMPUTE_PGM_RSRC2:TRAP_HANDLER: 0
; COMPUTE_PGM_RSRC2:TGID_X_EN: 1
; COMPUTE_PGM_RSRC2:TGID_Y_EN: 0
; COMPUTE_PGM_RSRC2:TGID_Z_EN: 0
; COMPUTE_PGM_RSRC2:TIDIG_COMP_CNT: 1
	.section	.text._ZN12_GLOBAL__N_120softmax_warp_forwardIN3c104HalfES2_fLi0ELb0ELb0ELi32EEEvPT0_PKT_iiiPKbib,"axG",@progbits,_ZN12_GLOBAL__N_120softmax_warp_forwardIN3c104HalfES2_fLi0ELb0ELb0ELi32EEEvPT0_PKT_iiiPKbib,comdat
	.globl	_ZN12_GLOBAL__N_120softmax_warp_forwardIN3c104HalfES2_fLi0ELb0ELb0ELi32EEEvPT0_PKT_iiiPKbib ; -- Begin function _ZN12_GLOBAL__N_120softmax_warp_forwardIN3c104HalfES2_fLi0ELb0ELb0ELi32EEEvPT0_PKT_iiiPKbib
	.p2align	8
	.type	_ZN12_GLOBAL__N_120softmax_warp_forwardIN3c104HalfES2_fLi0ELb0ELb0ELi32EEEvPT0_PKT_iiiPKbib,@function
_ZN12_GLOBAL__N_120softmax_warp_forwardIN3c104HalfES2_fLi0ELb0ELb0ELi32EEEvPT0_PKT_iiiPKbib: ; @_ZN12_GLOBAL__N_120softmax_warp_forwardIN3c104HalfES2_fLi0ELb0ELb0ELi32EEEvPT0_PKT_iiiPKbib
; %bb.0:
	s_clause 0x1
	s_load_dword s0, s[4:5], 0x3c
	s_load_dwordx8 s[8:15], s[4:5], 0x0
	v_mov_b32_e32 v6, 0xff800000
	v_mov_b32_e32 v7, 0xff800000
	s_waitcnt lgkmcnt(0)
	s_lshr_b32 s0, s0, 16
	s_and_b32 s0, s0, 0xffff
	s_mul_i32 s6, s6, s0
	v_cmp_gt_i32_e64 s0, s14, v0
	v_add_lshl_u32 v3, s6, v1, 1
	v_mad_u64_u32 v[1:2], null, v3, s13, v[0:1]
	v_sub_nc_u32_e32 v5, s12, v3
	v_cmp_lt_i32_e32 vcc_lo, 0, v5
	v_ashrrev_i32_e32 v2, 31, v1
	s_and_b32 s2, s0, vcc_lo
	v_lshlrev_b64 v[1:2], 1, v[1:2]
	v_add_co_u32 v3, s1, s10, v1
	v_add_co_ci_u32_e64 v4, null, s11, v2, s1
	s_and_saveexec_b32 s1, s2
	s_cbranch_execz .LBB407_2
; %bb.1:
	global_load_ushort v0, v[3:4], off
	s_waitcnt vmcnt(0)
	v_cvt_f32_f16_e32 v7, v0
.LBB407_2:
	s_or_b32 exec_lo, exec_lo, s1
	v_cmp_lt_i32_e64 s1, 1, v5
	s_and_b32 s1, s0, s1
	s_and_saveexec_b32 s2, s1
	s_cbranch_execz .LBB407_4
; %bb.3:
	s_mov_b32 s15, 0
	s_lshl_b64 s[4:5], s[14:15], 1
	v_add_co_u32 v3, s1, v3, s4
	v_add_co_ci_u32_e64 v4, null, s5, v4, s1
	global_load_ushort v0, v[3:4], off
	s_waitcnt vmcnt(0)
	v_cvt_f32_f16_e32 v6, v0
.LBB407_4:
	s_or_b32 exec_lo, exec_lo, s2
	s_and_saveexec_b32 s1, vcc_lo
	s_cbranch_execz .LBB407_15
; %bb.5:
	v_add_co_u32 v0, vcc_lo, s8, v1
	v_add_co_ci_u32_e64 v1, null, s9, v2, vcc_lo
	s_and_saveexec_b32 s1, s0
	s_cbranch_execz .LBB407_10
; %bb.6:
	v_sub_f32_e32 v2, v7, v7
	s_mov_b32 s2, exec_lo
	v_mul_f32_e32 v3, 0x3fb8aa3b, v2
	v_cmp_ngt_f32_e32 vcc_lo, 0xc2ce8ed0, v2
	v_rndne_f32_e32 v4, v3
	v_fma_f32 v7, 0x3fb8aa3b, v2, -v3
	v_sub_f32_e32 v3, v3, v4
	v_fmamk_f32 v7, v2, 0x32a5705f, v7
	v_cvt_i32_f32_e32 v4, v4
	v_add_f32_e32 v3, v3, v7
	v_exp_f32_e32 v3, v3
	v_ldexp_f32 v3, v3, v4
	v_cndmask_b32_e32 v3, 0, v3, vcc_lo
	v_cmp_nlt_f32_e32 vcc_lo, 0x42b17218, v2
	v_cndmask_b32_e32 v2, 0x7f800000, v3, vcc_lo
	v_cmpx_neq_f32_e32 0, v2
	s_xor_b32 s2, exec_lo, s2
	s_cbranch_execz .LBB407_8
; %bb.7:
	v_div_scale_f32 v3, vcc_lo, v2, v2, v2
	v_rcp_f32_e32 v4, v3
	v_fma_f32 v7, -v3, v4, 1.0
	v_fmac_f32_e32 v4, v7, v4
	v_mul_f32_e32 v7, v3, v4
	v_fma_f32 v8, -v3, v7, v3
	v_fmac_f32_e32 v7, v8, v4
	v_fma_f32 v3, -v3, v7, v3
	v_div_fmas_f32 v3, v3, v4, v7
	v_div_fixup_f32 v2, v3, v2, v2
	v_cvt_f16_f32_e32 v2, v2
	global_store_short v[0:1], v2, off
.LBB407_8:
	s_andn2_saveexec_b32 s2, s2
	s_cbranch_execz .LBB407_10
; %bb.9:
	v_mov_b32_e32 v2, 0x7e00
	global_store_short v[0:1], v2, off
.LBB407_10:
	s_or_b32 exec_lo, exec_lo, s1
	v_cmp_ne_u32_e32 vcc_lo, 1, v5
	s_and_b32 s0, vcc_lo, s0
	s_and_b32 exec_lo, exec_lo, s0
	s_cbranch_execz .LBB407_15
; %bb.11:
	v_sub_f32_e32 v2, v6, v6
	s_mov_b32 s15, 0
	s_lshl_b64 s[0:1], s[14:15], 1
	v_add_co_u32 v0, s0, v0, s0
	v_mul_f32_e32 v3, 0x3fb8aa3b, v2
	v_cmp_ngt_f32_e32 vcc_lo, 0xc2ce8ed0, v2
	v_add_co_ci_u32_e64 v1, null, s1, v1, s0
	s_mov_b32 s0, exec_lo
	v_rndne_f32_e32 v4, v3
	v_fma_f32 v5, 0x3fb8aa3b, v2, -v3
	v_sub_f32_e32 v3, v3, v4
	v_fmamk_f32 v5, v2, 0x32a5705f, v5
	v_cvt_i32_f32_e32 v4, v4
	v_add_f32_e32 v3, v3, v5
	v_exp_f32_e32 v3, v3
	v_ldexp_f32 v3, v3, v4
	v_cndmask_b32_e32 v3, 0, v3, vcc_lo
	v_cmp_nlt_f32_e32 vcc_lo, 0x42b17218, v2
	v_cndmask_b32_e32 v2, 0x7f800000, v3, vcc_lo
	v_cmpx_neq_f32_e32 0, v2
	s_xor_b32 s0, exec_lo, s0
	s_cbranch_execz .LBB407_13
; %bb.12:
	v_div_scale_f32 v3, vcc_lo, v2, v2, v2
	v_rcp_f32_e32 v4, v3
	v_fma_f32 v5, -v3, v4, 1.0
	v_fmac_f32_e32 v4, v5, v4
	v_mul_f32_e32 v5, v3, v4
	v_fma_f32 v6, -v3, v5, v3
	v_fmac_f32_e32 v5, v6, v4
	v_fma_f32 v3, -v3, v5, v3
	v_div_fmas_f32 v3, v3, v4, v5
	v_div_fixup_f32 v2, v3, v2, v2
	v_cvt_f16_f32_e32 v2, v2
	global_store_short v[0:1], v2, off
                                        ; implicit-def: $vgpr0_vgpr1
.LBB407_13:
	s_andn2_saveexec_b32 s0, s0
	s_cbranch_execz .LBB407_15
; %bb.14:
	v_mov_b32_e32 v2, 0x7e00
	global_store_short v[0:1], v2, off
.LBB407_15:
	s_endpgm
	.section	.rodata,"a",@progbits
	.p2align	6, 0x0
	.amdhsa_kernel _ZN12_GLOBAL__N_120softmax_warp_forwardIN3c104HalfES2_fLi0ELb0ELb0ELi32EEEvPT0_PKT_iiiPKbib
		.amdhsa_group_segment_fixed_size 0
		.amdhsa_private_segment_fixed_size 0
		.amdhsa_kernarg_size 304
		.amdhsa_user_sgpr_count 6
		.amdhsa_user_sgpr_private_segment_buffer 1
		.amdhsa_user_sgpr_dispatch_ptr 0
		.amdhsa_user_sgpr_queue_ptr 0
		.amdhsa_user_sgpr_kernarg_segment_ptr 1
		.amdhsa_user_sgpr_dispatch_id 0
		.amdhsa_user_sgpr_flat_scratch_init 0
		.amdhsa_user_sgpr_private_segment_size 0
		.amdhsa_wavefront_size32 1
		.amdhsa_uses_dynamic_stack 0
		.amdhsa_system_sgpr_private_segment_wavefront_offset 0
		.amdhsa_system_sgpr_workgroup_id_x 1
		.amdhsa_system_sgpr_workgroup_id_y 0
		.amdhsa_system_sgpr_workgroup_id_z 0
		.amdhsa_system_sgpr_workgroup_info 0
		.amdhsa_system_vgpr_workitem_id 1
		.amdhsa_next_free_vgpr 9
		.amdhsa_next_free_sgpr 16
		.amdhsa_reserve_vcc 1
		.amdhsa_reserve_flat_scratch 0
		.amdhsa_float_round_mode_32 0
		.amdhsa_float_round_mode_16_64 0
		.amdhsa_float_denorm_mode_32 3
		.amdhsa_float_denorm_mode_16_64 3
		.amdhsa_dx10_clamp 1
		.amdhsa_ieee_mode 1
		.amdhsa_fp16_overflow 0
		.amdhsa_workgroup_processor_mode 1
		.amdhsa_memory_ordered 1
		.amdhsa_forward_progress 1
		.amdhsa_shared_vgpr_count 0
		.amdhsa_exception_fp_ieee_invalid_op 0
		.amdhsa_exception_fp_denorm_src 0
		.amdhsa_exception_fp_ieee_div_zero 0
		.amdhsa_exception_fp_ieee_overflow 0
		.amdhsa_exception_fp_ieee_underflow 0
		.amdhsa_exception_fp_ieee_inexact 0
		.amdhsa_exception_int_div_zero 0
	.end_amdhsa_kernel
	.section	.text._ZN12_GLOBAL__N_120softmax_warp_forwardIN3c104HalfES2_fLi0ELb0ELb0ELi32EEEvPT0_PKT_iiiPKbib,"axG",@progbits,_ZN12_GLOBAL__N_120softmax_warp_forwardIN3c104HalfES2_fLi0ELb0ELb0ELi32EEEvPT0_PKT_iiiPKbib,comdat
.Lfunc_end407:
	.size	_ZN12_GLOBAL__N_120softmax_warp_forwardIN3c104HalfES2_fLi0ELb0ELb0ELi32EEEvPT0_PKT_iiiPKbib, .Lfunc_end407-_ZN12_GLOBAL__N_120softmax_warp_forwardIN3c104HalfES2_fLi0ELb0ELb0ELi32EEEvPT0_PKT_iiiPKbib
                                        ; -- End function
	.set _ZN12_GLOBAL__N_120softmax_warp_forwardIN3c104HalfES2_fLi0ELb0ELb0ELi32EEEvPT0_PKT_iiiPKbib.num_vgpr, 9
	.set _ZN12_GLOBAL__N_120softmax_warp_forwardIN3c104HalfES2_fLi0ELb0ELb0ELi32EEEvPT0_PKT_iiiPKbib.num_agpr, 0
	.set _ZN12_GLOBAL__N_120softmax_warp_forwardIN3c104HalfES2_fLi0ELb0ELb0ELi32EEEvPT0_PKT_iiiPKbib.numbered_sgpr, 16
	.set _ZN12_GLOBAL__N_120softmax_warp_forwardIN3c104HalfES2_fLi0ELb0ELb0ELi32EEEvPT0_PKT_iiiPKbib.num_named_barrier, 0
	.set _ZN12_GLOBAL__N_120softmax_warp_forwardIN3c104HalfES2_fLi0ELb0ELb0ELi32EEEvPT0_PKT_iiiPKbib.private_seg_size, 0
	.set _ZN12_GLOBAL__N_120softmax_warp_forwardIN3c104HalfES2_fLi0ELb0ELb0ELi32EEEvPT0_PKT_iiiPKbib.uses_vcc, 1
	.set _ZN12_GLOBAL__N_120softmax_warp_forwardIN3c104HalfES2_fLi0ELb0ELb0ELi32EEEvPT0_PKT_iiiPKbib.uses_flat_scratch, 0
	.set _ZN12_GLOBAL__N_120softmax_warp_forwardIN3c104HalfES2_fLi0ELb0ELb0ELi32EEEvPT0_PKT_iiiPKbib.has_dyn_sized_stack, 0
	.set _ZN12_GLOBAL__N_120softmax_warp_forwardIN3c104HalfES2_fLi0ELb0ELb0ELi32EEEvPT0_PKT_iiiPKbib.has_recursion, 0
	.set _ZN12_GLOBAL__N_120softmax_warp_forwardIN3c104HalfES2_fLi0ELb0ELb0ELi32EEEvPT0_PKT_iiiPKbib.has_indirect_call, 0
	.section	.AMDGPU.csdata,"",@progbits
; Kernel info:
; codeLenInByte = 700
; TotalNumSgprs: 18
; NumVgprs: 9
; ScratchSize: 0
; MemoryBound: 0
; FloatMode: 240
; IeeeMode: 1
; LDSByteSize: 0 bytes/workgroup (compile time only)
; SGPRBlocks: 0
; VGPRBlocks: 1
; NumSGPRsForWavesPerEU: 18
; NumVGPRsForWavesPerEU: 9
; Occupancy: 16
; WaveLimiterHint : 0
; COMPUTE_PGM_RSRC2:SCRATCH_EN: 0
; COMPUTE_PGM_RSRC2:USER_SGPR: 6
; COMPUTE_PGM_RSRC2:TRAP_HANDLER: 0
; COMPUTE_PGM_RSRC2:TGID_X_EN: 1
; COMPUTE_PGM_RSRC2:TGID_Y_EN: 0
; COMPUTE_PGM_RSRC2:TGID_Z_EN: 0
; COMPUTE_PGM_RSRC2:TIDIG_COMP_CNT: 1
	.section	.text._ZN12_GLOBAL__N_120softmax_warp_forwardIN3c104HalfES2_fLi1ELb0ELb0ELi64EEEvPT0_PKT_iiiPKbib,"axG",@progbits,_ZN12_GLOBAL__N_120softmax_warp_forwardIN3c104HalfES2_fLi1ELb0ELb0ELi64EEEvPT0_PKT_iiiPKbib,comdat
	.globl	_ZN12_GLOBAL__N_120softmax_warp_forwardIN3c104HalfES2_fLi1ELb0ELb0ELi64EEEvPT0_PKT_iiiPKbib ; -- Begin function _ZN12_GLOBAL__N_120softmax_warp_forwardIN3c104HalfES2_fLi1ELb0ELb0ELi64EEEvPT0_PKT_iiiPKbib
	.p2align	8
	.type	_ZN12_GLOBAL__N_120softmax_warp_forwardIN3c104HalfES2_fLi1ELb0ELb0ELi64EEEvPT0_PKT_iiiPKbib,@function
_ZN12_GLOBAL__N_120softmax_warp_forwardIN3c104HalfES2_fLi1ELb0ELb0ELi64EEEvPT0_PKT_iiiPKbib: ; @_ZN12_GLOBAL__N_120softmax_warp_forwardIN3c104HalfES2_fLi1ELb0ELb0ELi64EEEvPT0_PKT_iiiPKbib
; %bb.0:
	s_clause 0x1
	s_load_dword s0, s[4:5], 0x3c
	s_load_dwordx8 s[8:15], s[4:5], 0x0
	v_mov_b32_e32 v6, 0xff800000
	s_waitcnt lgkmcnt(0)
	s_lshr_b32 s0, s0, 16
	s_and_b32 s0, s0, 0xffff
	s_mul_i32 s6, s6, s0
	v_cmp_gt_i32_e64 s0, s14, v0
	v_add_lshl_u32 v3, s6, v1, 1
	v_mad_u64_u32 v[1:2], null, v3, s13, v[0:1]
	v_sub_nc_u32_e32 v5, s12, v3
	v_mov_b32_e32 v0, 0xff800000
	v_cmp_lt_i32_e32 vcc_lo, 0, v5
	v_ashrrev_i32_e32 v2, 31, v1
	s_and_b32 s2, s0, vcc_lo
	v_lshlrev_b64 v[1:2], 1, v[1:2]
	v_add_co_u32 v3, s1, s10, v1
	v_add_co_ci_u32_e64 v4, null, s11, v2, s1
	s_and_saveexec_b32 s1, s2
	s_cbranch_execz .LBB408_2
; %bb.1:
	global_load_ushort v0, v[3:4], off
	s_waitcnt vmcnt(0)
	v_cvt_f32_f16_e32 v0, v0
.LBB408_2:
	s_or_b32 exec_lo, exec_lo, s1
	v_cmp_lt_i32_e64 s1, 1, v5
	s_and_b32 s1, s0, s1
	s_and_saveexec_b32 s2, s1
	s_cbranch_execz .LBB408_4
; %bb.3:
	s_mov_b32 s15, 0
	s_lshl_b64 s[4:5], s[14:15], 1
	v_add_co_u32 v3, s1, v3, s4
	v_add_co_ci_u32_e64 v4, null, s5, v4, s1
	global_load_ushort v3, v[3:4], off
	s_waitcnt vmcnt(0)
	v_cvt_f32_f16_e32 v6, v3
.LBB408_4:
	s_or_b32 exec_lo, exec_lo, s2
	v_mbcnt_lo_u32_b32 v3, -1, 0
	v_and_b32_e32 v4, 30, v3
	v_xor_b32_e32 v7, 1, v3
	v_add_nc_u32_e32 v4, 2, v4
	v_cmp_lt_i32_e64 s1, v7, v4
	v_cndmask_b32_e64 v3, v3, v7, s1
	v_lshlrev_b32_e32 v4, 2, v3
	ds_bpermute_b32 v3, v4, v0
	ds_bpermute_b32 v7, v4, v6
	s_waitcnt lgkmcnt(1)
	v_cmp_lt_f32_e64 s1, v0, v3
	v_cndmask_b32_e64 v3, v0, v3, s1
	s_waitcnt lgkmcnt(0)
	v_cmp_lt_f32_e64 s1, v6, v7
	v_sub_f32_e32 v0, v0, v3
	v_cndmask_b32_e64 v7, v6, v7, s1
	v_cmp_ngt_f32_e64 s1, 0xc2ce8ed0, v0
	v_sub_f32_e32 v3, v6, v7
	v_mul_f32_e32 v6, 0x3fb8aa3b, v0
	v_mul_f32_e32 v7, 0x3fb8aa3b, v3
	v_fma_f32 v8, 0x3fb8aa3b, v0, -v6
	v_rndne_f32_e32 v9, v6
	v_fma_f32 v10, 0x3fb8aa3b, v3, -v7
	v_rndne_f32_e32 v11, v7
	v_fmac_f32_e32 v8, 0x32a5705f, v0
	v_sub_f32_e32 v6, v6, v9
	v_fmac_f32_e32 v10, 0x32a5705f, v3
	v_sub_f32_e32 v7, v7, v11
	v_add_f32_e32 v6, v6, v8
	v_cvt_i32_f32_e32 v8, v9
	v_cvt_i32_f32_e32 v9, v11
	v_add_f32_e32 v7, v7, v10
	v_exp_f32_e32 v6, v6
	v_exp_f32_e32 v7, v7
	v_ldexp_f32 v6, v6, v8
	v_ldexp_f32 v7, v7, v9
	v_cndmask_b32_e64 v6, 0, v6, s1
	v_cmp_ngt_f32_e64 s1, 0xc2ce8ed0, v3
	v_cndmask_b32_e64 v7, 0, v7, s1
	v_cmp_nlt_f32_e64 s1, 0x42b17218, v0
	v_cndmask_b32_e64 v6, 0x7f800000, v6, s1
	v_cmp_nlt_f32_e64 s1, 0x42b17218, v3
	v_cndmask_b32_e64 v3, 0x7f800000, v7, s1
	ds_bpermute_b32 v7, v4, v6
	ds_bpermute_b32 v4, v4, v3
	s_and_saveexec_b32 s1, vcc_lo
	s_cbranch_execz .LBB408_15
; %bb.5:
	v_add_co_u32 v0, vcc_lo, s8, v1
	v_add_co_ci_u32_e64 v1, null, s9, v2, vcc_lo
	s_and_saveexec_b32 s1, s0
	s_cbranch_execz .LBB408_10
; %bb.6:
	s_waitcnt lgkmcnt(1)
	v_add_f32_e32 v2, v6, v7
	s_mov_b32 s2, exec_lo
	v_cmpx_neq_f32_e32 0, v2
	s_xor_b32 s2, exec_lo, s2
	s_cbranch_execz .LBB408_8
; %bb.7:
	v_div_scale_f32 v7, null, v2, v2, v6
	v_rcp_f32_e32 v8, v7
	v_fma_f32 v9, -v7, v8, 1.0
	v_fmac_f32_e32 v8, v9, v8
	v_div_scale_f32 v9, vcc_lo, v6, v2, v6
	v_mul_f32_e32 v10, v9, v8
	v_fma_f32 v11, -v7, v10, v9
	v_fmac_f32_e32 v10, v11, v8
	v_fma_f32 v7, -v7, v10, v9
	v_div_fmas_f32 v7, v7, v8, v10
	v_div_fixup_f32 v2, v7, v2, v6
	v_cvt_f16_f32_e32 v2, v2
	global_store_short v[0:1], v2, off
.LBB408_8:
	s_andn2_saveexec_b32 s2, s2
	s_cbranch_execz .LBB408_10
; %bb.9:
	v_mov_b32_e32 v2, 0x7e00
	global_store_short v[0:1], v2, off
.LBB408_10:
	s_or_b32 exec_lo, exec_lo, s1
	v_cmp_ne_u32_e32 vcc_lo, 1, v5
	s_and_b32 s0, vcc_lo, s0
	s_and_b32 exec_lo, exec_lo, s0
	s_cbranch_execz .LBB408_15
; %bb.11:
	s_mov_b32 s15, 0
	s_waitcnt lgkmcnt(0)
	v_add_f32_e32 v2, v3, v4
	s_lshl_b64 s[0:1], s[14:15], 1
	v_add_co_u32 v0, s0, v0, s0
	v_add_co_ci_u32_e64 v1, null, s1, v1, s0
	s_mov_b32 s0, exec_lo
	v_cmpx_neq_f32_e32 0, v2
	s_xor_b32 s0, exec_lo, s0
	s_cbranch_execz .LBB408_13
; %bb.12:
	v_div_scale_f32 v4, null, v2, v2, v3
	v_rcp_f32_e32 v5, v4
	v_fma_f32 v6, -v4, v5, 1.0
	v_fmac_f32_e32 v5, v6, v5
	v_div_scale_f32 v6, vcc_lo, v3, v2, v3
	v_mul_f32_e32 v7, v6, v5
	v_fma_f32 v8, -v4, v7, v6
	v_fmac_f32_e32 v7, v8, v5
	v_fma_f32 v4, -v4, v7, v6
	v_div_fmas_f32 v4, v4, v5, v7
	v_div_fixup_f32 v2, v4, v2, v3
	v_cvt_f16_f32_e32 v2, v2
	global_store_short v[0:1], v2, off
                                        ; implicit-def: $vgpr0_vgpr1
.LBB408_13:
	s_andn2_saveexec_b32 s0, s0
	s_cbranch_execz .LBB408_15
; %bb.14:
	v_mov_b32_e32 v2, 0x7e00
	global_store_short v[0:1], v2, off
.LBB408_15:
	s_endpgm
	.section	.rodata,"a",@progbits
	.p2align	6, 0x0
	.amdhsa_kernel _ZN12_GLOBAL__N_120softmax_warp_forwardIN3c104HalfES2_fLi1ELb0ELb0ELi64EEEvPT0_PKT_iiiPKbib
		.amdhsa_group_segment_fixed_size 0
		.amdhsa_private_segment_fixed_size 0
		.amdhsa_kernarg_size 304
		.amdhsa_user_sgpr_count 6
		.amdhsa_user_sgpr_private_segment_buffer 1
		.amdhsa_user_sgpr_dispatch_ptr 0
		.amdhsa_user_sgpr_queue_ptr 0
		.amdhsa_user_sgpr_kernarg_segment_ptr 1
		.amdhsa_user_sgpr_dispatch_id 0
		.amdhsa_user_sgpr_flat_scratch_init 0
		.amdhsa_user_sgpr_private_segment_size 0
		.amdhsa_wavefront_size32 1
		.amdhsa_uses_dynamic_stack 0
		.amdhsa_system_sgpr_private_segment_wavefront_offset 0
		.amdhsa_system_sgpr_workgroup_id_x 1
		.amdhsa_system_sgpr_workgroup_id_y 0
		.amdhsa_system_sgpr_workgroup_id_z 0
		.amdhsa_system_sgpr_workgroup_info 0
		.amdhsa_system_vgpr_workitem_id 1
		.amdhsa_next_free_vgpr 12
		.amdhsa_next_free_sgpr 16
		.amdhsa_reserve_vcc 1
		.amdhsa_reserve_flat_scratch 0
		.amdhsa_float_round_mode_32 0
		.amdhsa_float_round_mode_16_64 0
		.amdhsa_float_denorm_mode_32 3
		.amdhsa_float_denorm_mode_16_64 3
		.amdhsa_dx10_clamp 1
		.amdhsa_ieee_mode 1
		.amdhsa_fp16_overflow 0
		.amdhsa_workgroup_processor_mode 1
		.amdhsa_memory_ordered 1
		.amdhsa_forward_progress 1
		.amdhsa_shared_vgpr_count 0
		.amdhsa_exception_fp_ieee_invalid_op 0
		.amdhsa_exception_fp_denorm_src 0
		.amdhsa_exception_fp_ieee_div_zero 0
		.amdhsa_exception_fp_ieee_overflow 0
		.amdhsa_exception_fp_ieee_underflow 0
		.amdhsa_exception_fp_ieee_inexact 0
		.amdhsa_exception_int_div_zero 0
	.end_amdhsa_kernel
	.section	.text._ZN12_GLOBAL__N_120softmax_warp_forwardIN3c104HalfES2_fLi1ELb0ELb0ELi64EEEvPT0_PKT_iiiPKbib,"axG",@progbits,_ZN12_GLOBAL__N_120softmax_warp_forwardIN3c104HalfES2_fLi1ELb0ELb0ELi64EEEvPT0_PKT_iiiPKbib,comdat
.Lfunc_end408:
	.size	_ZN12_GLOBAL__N_120softmax_warp_forwardIN3c104HalfES2_fLi1ELb0ELb0ELi64EEEvPT0_PKT_iiiPKbib, .Lfunc_end408-_ZN12_GLOBAL__N_120softmax_warp_forwardIN3c104HalfES2_fLi1ELb0ELb0ELi64EEEvPT0_PKT_iiiPKbib
                                        ; -- End function
	.set _ZN12_GLOBAL__N_120softmax_warp_forwardIN3c104HalfES2_fLi1ELb0ELb0ELi64EEEvPT0_PKT_iiiPKbib.num_vgpr, 12
	.set _ZN12_GLOBAL__N_120softmax_warp_forwardIN3c104HalfES2_fLi1ELb0ELb0ELi64EEEvPT0_PKT_iiiPKbib.num_agpr, 0
	.set _ZN12_GLOBAL__N_120softmax_warp_forwardIN3c104HalfES2_fLi1ELb0ELb0ELi64EEEvPT0_PKT_iiiPKbib.numbered_sgpr, 16
	.set _ZN12_GLOBAL__N_120softmax_warp_forwardIN3c104HalfES2_fLi1ELb0ELb0ELi64EEEvPT0_PKT_iiiPKbib.num_named_barrier, 0
	.set _ZN12_GLOBAL__N_120softmax_warp_forwardIN3c104HalfES2_fLi1ELb0ELb0ELi64EEEvPT0_PKT_iiiPKbib.private_seg_size, 0
	.set _ZN12_GLOBAL__N_120softmax_warp_forwardIN3c104HalfES2_fLi1ELb0ELb0ELi64EEEvPT0_PKT_iiiPKbib.uses_vcc, 1
	.set _ZN12_GLOBAL__N_120softmax_warp_forwardIN3c104HalfES2_fLi1ELb0ELb0ELi64EEEvPT0_PKT_iiiPKbib.uses_flat_scratch, 0
	.set _ZN12_GLOBAL__N_120softmax_warp_forwardIN3c104HalfES2_fLi1ELb0ELb0ELi64EEEvPT0_PKT_iiiPKbib.has_dyn_sized_stack, 0
	.set _ZN12_GLOBAL__N_120softmax_warp_forwardIN3c104HalfES2_fLi1ELb0ELb0ELi64EEEvPT0_PKT_iiiPKbib.has_recursion, 0
	.set _ZN12_GLOBAL__N_120softmax_warp_forwardIN3c104HalfES2_fLi1ELb0ELb0ELi64EEEvPT0_PKT_iiiPKbib.has_indirect_call, 0
	.section	.AMDGPU.csdata,"",@progbits
; Kernel info:
; codeLenInByte = 876
; TotalNumSgprs: 18
; NumVgprs: 12
; ScratchSize: 0
; MemoryBound: 0
; FloatMode: 240
; IeeeMode: 1
; LDSByteSize: 0 bytes/workgroup (compile time only)
; SGPRBlocks: 0
; VGPRBlocks: 1
; NumSGPRsForWavesPerEU: 18
; NumVGPRsForWavesPerEU: 12
; Occupancy: 16
; WaveLimiterHint : 0
; COMPUTE_PGM_RSRC2:SCRATCH_EN: 0
; COMPUTE_PGM_RSRC2:USER_SGPR: 6
; COMPUTE_PGM_RSRC2:TRAP_HANDLER: 0
; COMPUTE_PGM_RSRC2:TGID_X_EN: 1
; COMPUTE_PGM_RSRC2:TGID_Y_EN: 0
; COMPUTE_PGM_RSRC2:TGID_Z_EN: 0
; COMPUTE_PGM_RSRC2:TIDIG_COMP_CNT: 1
	.section	.text._ZN12_GLOBAL__N_120softmax_warp_forwardIN3c104HalfES2_fLi1ELb0ELb0ELi32EEEvPT0_PKT_iiiPKbib,"axG",@progbits,_ZN12_GLOBAL__N_120softmax_warp_forwardIN3c104HalfES2_fLi1ELb0ELb0ELi32EEEvPT0_PKT_iiiPKbib,comdat
	.globl	_ZN12_GLOBAL__N_120softmax_warp_forwardIN3c104HalfES2_fLi1ELb0ELb0ELi32EEEvPT0_PKT_iiiPKbib ; -- Begin function _ZN12_GLOBAL__N_120softmax_warp_forwardIN3c104HalfES2_fLi1ELb0ELb0ELi32EEEvPT0_PKT_iiiPKbib
	.p2align	8
	.type	_ZN12_GLOBAL__N_120softmax_warp_forwardIN3c104HalfES2_fLi1ELb0ELb0ELi32EEEvPT0_PKT_iiiPKbib,@function
_ZN12_GLOBAL__N_120softmax_warp_forwardIN3c104HalfES2_fLi1ELb0ELb0ELi32EEEvPT0_PKT_iiiPKbib: ; @_ZN12_GLOBAL__N_120softmax_warp_forwardIN3c104HalfES2_fLi1ELb0ELb0ELi32EEEvPT0_PKT_iiiPKbib
; %bb.0:
	s_clause 0x1
	s_load_dword s0, s[4:5], 0x3c
	s_load_dwordx8 s[8:15], s[4:5], 0x0
	v_mov_b32_e32 v6, 0xff800000
	s_waitcnt lgkmcnt(0)
	s_lshr_b32 s0, s0, 16
	s_and_b32 s0, s0, 0xffff
	s_mul_i32 s6, s6, s0
	v_cmp_gt_i32_e64 s0, s14, v0
	v_add_lshl_u32 v3, s6, v1, 1
	v_mad_u64_u32 v[1:2], null, v3, s13, v[0:1]
	v_sub_nc_u32_e32 v5, s12, v3
	v_mov_b32_e32 v0, 0xff800000
	v_cmp_lt_i32_e32 vcc_lo, 0, v5
	v_ashrrev_i32_e32 v2, 31, v1
	s_and_b32 s2, s0, vcc_lo
	v_lshlrev_b64 v[1:2], 1, v[1:2]
	v_add_co_u32 v3, s1, s10, v1
	v_add_co_ci_u32_e64 v4, null, s11, v2, s1
	s_and_saveexec_b32 s1, s2
	s_cbranch_execz .LBB409_2
; %bb.1:
	global_load_ushort v0, v[3:4], off
	s_waitcnt vmcnt(0)
	v_cvt_f32_f16_e32 v0, v0
.LBB409_2:
	s_or_b32 exec_lo, exec_lo, s1
	v_cmp_lt_i32_e64 s1, 1, v5
	s_and_b32 s1, s0, s1
	s_and_saveexec_b32 s2, s1
	s_cbranch_execz .LBB409_4
; %bb.3:
	s_mov_b32 s15, 0
	s_lshl_b64 s[4:5], s[14:15], 1
	v_add_co_u32 v3, s1, v3, s4
	v_add_co_ci_u32_e64 v4, null, s5, v4, s1
	global_load_ushort v3, v[3:4], off
	s_waitcnt vmcnt(0)
	v_cvt_f32_f16_e32 v6, v3
.LBB409_4:
	s_or_b32 exec_lo, exec_lo, s2
	v_mbcnt_lo_u32_b32 v3, -1, 0
	v_and_b32_e32 v4, 30, v3
	v_xor_b32_e32 v7, 1, v3
	v_add_nc_u32_e32 v4, 2, v4
	v_cmp_lt_i32_e64 s1, v7, v4
	v_cndmask_b32_e64 v3, v3, v7, s1
	v_lshlrev_b32_e32 v4, 2, v3
	ds_bpermute_b32 v3, v4, v0
	ds_bpermute_b32 v7, v4, v6
	s_waitcnt lgkmcnt(1)
	v_cmp_lt_f32_e64 s1, v0, v3
	v_cndmask_b32_e64 v3, v0, v3, s1
	s_waitcnt lgkmcnt(0)
	v_cmp_lt_f32_e64 s1, v6, v7
	v_sub_f32_e32 v0, v0, v3
	v_cndmask_b32_e64 v7, v6, v7, s1
	v_cmp_ngt_f32_e64 s1, 0xc2ce8ed0, v0
	v_sub_f32_e32 v3, v6, v7
	v_mul_f32_e32 v6, 0x3fb8aa3b, v0
	v_mul_f32_e32 v7, 0x3fb8aa3b, v3
	v_fma_f32 v8, 0x3fb8aa3b, v0, -v6
	v_rndne_f32_e32 v9, v6
	v_fma_f32 v10, 0x3fb8aa3b, v3, -v7
	v_rndne_f32_e32 v11, v7
	v_fmac_f32_e32 v8, 0x32a5705f, v0
	v_sub_f32_e32 v6, v6, v9
	v_fmac_f32_e32 v10, 0x32a5705f, v3
	v_sub_f32_e32 v7, v7, v11
	v_add_f32_e32 v6, v6, v8
	v_cvt_i32_f32_e32 v8, v9
	v_cvt_i32_f32_e32 v9, v11
	v_add_f32_e32 v7, v7, v10
	v_exp_f32_e32 v6, v6
	v_exp_f32_e32 v7, v7
	v_ldexp_f32 v6, v6, v8
	v_ldexp_f32 v7, v7, v9
	v_cndmask_b32_e64 v6, 0, v6, s1
	v_cmp_ngt_f32_e64 s1, 0xc2ce8ed0, v3
	v_cndmask_b32_e64 v7, 0, v7, s1
	v_cmp_nlt_f32_e64 s1, 0x42b17218, v0
	v_cndmask_b32_e64 v6, 0x7f800000, v6, s1
	v_cmp_nlt_f32_e64 s1, 0x42b17218, v3
	v_cndmask_b32_e64 v3, 0x7f800000, v7, s1
	ds_bpermute_b32 v7, v4, v6
	ds_bpermute_b32 v4, v4, v3
	s_and_saveexec_b32 s1, vcc_lo
	s_cbranch_execz .LBB409_15
; %bb.5:
	v_add_co_u32 v0, vcc_lo, s8, v1
	v_add_co_ci_u32_e64 v1, null, s9, v2, vcc_lo
	s_and_saveexec_b32 s1, s0
	s_cbranch_execz .LBB409_10
; %bb.6:
	s_waitcnt lgkmcnt(1)
	v_add_f32_e32 v2, v6, v7
	s_mov_b32 s2, exec_lo
	v_cmpx_neq_f32_e32 0, v2
	s_xor_b32 s2, exec_lo, s2
	s_cbranch_execz .LBB409_8
; %bb.7:
	v_div_scale_f32 v7, null, v2, v2, v6
	v_rcp_f32_e32 v8, v7
	v_fma_f32 v9, -v7, v8, 1.0
	v_fmac_f32_e32 v8, v9, v8
	v_div_scale_f32 v9, vcc_lo, v6, v2, v6
	v_mul_f32_e32 v10, v9, v8
	v_fma_f32 v11, -v7, v10, v9
	v_fmac_f32_e32 v10, v11, v8
	v_fma_f32 v7, -v7, v10, v9
	v_div_fmas_f32 v7, v7, v8, v10
	v_div_fixup_f32 v2, v7, v2, v6
	v_cvt_f16_f32_e32 v2, v2
	global_store_short v[0:1], v2, off
.LBB409_8:
	s_andn2_saveexec_b32 s2, s2
	s_cbranch_execz .LBB409_10
; %bb.9:
	v_mov_b32_e32 v2, 0x7e00
	global_store_short v[0:1], v2, off
.LBB409_10:
	s_or_b32 exec_lo, exec_lo, s1
	v_cmp_ne_u32_e32 vcc_lo, 1, v5
	s_and_b32 s0, vcc_lo, s0
	s_and_b32 exec_lo, exec_lo, s0
	s_cbranch_execz .LBB409_15
; %bb.11:
	s_mov_b32 s15, 0
	s_waitcnt lgkmcnt(0)
	v_add_f32_e32 v2, v3, v4
	s_lshl_b64 s[0:1], s[14:15], 1
	v_add_co_u32 v0, s0, v0, s0
	v_add_co_ci_u32_e64 v1, null, s1, v1, s0
	s_mov_b32 s0, exec_lo
	v_cmpx_neq_f32_e32 0, v2
	s_xor_b32 s0, exec_lo, s0
	s_cbranch_execz .LBB409_13
; %bb.12:
	v_div_scale_f32 v4, null, v2, v2, v3
	v_rcp_f32_e32 v5, v4
	v_fma_f32 v6, -v4, v5, 1.0
	v_fmac_f32_e32 v5, v6, v5
	v_div_scale_f32 v6, vcc_lo, v3, v2, v3
	v_mul_f32_e32 v7, v6, v5
	v_fma_f32 v8, -v4, v7, v6
	v_fmac_f32_e32 v7, v8, v5
	v_fma_f32 v4, -v4, v7, v6
	v_div_fmas_f32 v4, v4, v5, v7
	v_div_fixup_f32 v2, v4, v2, v3
	v_cvt_f16_f32_e32 v2, v2
	global_store_short v[0:1], v2, off
                                        ; implicit-def: $vgpr0_vgpr1
.LBB409_13:
	s_andn2_saveexec_b32 s0, s0
	s_cbranch_execz .LBB409_15
; %bb.14:
	v_mov_b32_e32 v2, 0x7e00
	global_store_short v[0:1], v2, off
.LBB409_15:
	s_endpgm
	.section	.rodata,"a",@progbits
	.p2align	6, 0x0
	.amdhsa_kernel _ZN12_GLOBAL__N_120softmax_warp_forwardIN3c104HalfES2_fLi1ELb0ELb0ELi32EEEvPT0_PKT_iiiPKbib
		.amdhsa_group_segment_fixed_size 0
		.amdhsa_private_segment_fixed_size 0
		.amdhsa_kernarg_size 304
		.amdhsa_user_sgpr_count 6
		.amdhsa_user_sgpr_private_segment_buffer 1
		.amdhsa_user_sgpr_dispatch_ptr 0
		.amdhsa_user_sgpr_queue_ptr 0
		.amdhsa_user_sgpr_kernarg_segment_ptr 1
		.amdhsa_user_sgpr_dispatch_id 0
		.amdhsa_user_sgpr_flat_scratch_init 0
		.amdhsa_user_sgpr_private_segment_size 0
		.amdhsa_wavefront_size32 1
		.amdhsa_uses_dynamic_stack 0
		.amdhsa_system_sgpr_private_segment_wavefront_offset 0
		.amdhsa_system_sgpr_workgroup_id_x 1
		.amdhsa_system_sgpr_workgroup_id_y 0
		.amdhsa_system_sgpr_workgroup_id_z 0
		.amdhsa_system_sgpr_workgroup_info 0
		.amdhsa_system_vgpr_workitem_id 1
		.amdhsa_next_free_vgpr 12
		.amdhsa_next_free_sgpr 16
		.amdhsa_reserve_vcc 1
		.amdhsa_reserve_flat_scratch 0
		.amdhsa_float_round_mode_32 0
		.amdhsa_float_round_mode_16_64 0
		.amdhsa_float_denorm_mode_32 3
		.amdhsa_float_denorm_mode_16_64 3
		.amdhsa_dx10_clamp 1
		.amdhsa_ieee_mode 1
		.amdhsa_fp16_overflow 0
		.amdhsa_workgroup_processor_mode 1
		.amdhsa_memory_ordered 1
		.amdhsa_forward_progress 1
		.amdhsa_shared_vgpr_count 0
		.amdhsa_exception_fp_ieee_invalid_op 0
		.amdhsa_exception_fp_denorm_src 0
		.amdhsa_exception_fp_ieee_div_zero 0
		.amdhsa_exception_fp_ieee_overflow 0
		.amdhsa_exception_fp_ieee_underflow 0
		.amdhsa_exception_fp_ieee_inexact 0
		.amdhsa_exception_int_div_zero 0
	.end_amdhsa_kernel
	.section	.text._ZN12_GLOBAL__N_120softmax_warp_forwardIN3c104HalfES2_fLi1ELb0ELb0ELi32EEEvPT0_PKT_iiiPKbib,"axG",@progbits,_ZN12_GLOBAL__N_120softmax_warp_forwardIN3c104HalfES2_fLi1ELb0ELb0ELi32EEEvPT0_PKT_iiiPKbib,comdat
.Lfunc_end409:
	.size	_ZN12_GLOBAL__N_120softmax_warp_forwardIN3c104HalfES2_fLi1ELb0ELb0ELi32EEEvPT0_PKT_iiiPKbib, .Lfunc_end409-_ZN12_GLOBAL__N_120softmax_warp_forwardIN3c104HalfES2_fLi1ELb0ELb0ELi32EEEvPT0_PKT_iiiPKbib
                                        ; -- End function
	.set _ZN12_GLOBAL__N_120softmax_warp_forwardIN3c104HalfES2_fLi1ELb0ELb0ELi32EEEvPT0_PKT_iiiPKbib.num_vgpr, 12
	.set _ZN12_GLOBAL__N_120softmax_warp_forwardIN3c104HalfES2_fLi1ELb0ELb0ELi32EEEvPT0_PKT_iiiPKbib.num_agpr, 0
	.set _ZN12_GLOBAL__N_120softmax_warp_forwardIN3c104HalfES2_fLi1ELb0ELb0ELi32EEEvPT0_PKT_iiiPKbib.numbered_sgpr, 16
	.set _ZN12_GLOBAL__N_120softmax_warp_forwardIN3c104HalfES2_fLi1ELb0ELb0ELi32EEEvPT0_PKT_iiiPKbib.num_named_barrier, 0
	.set _ZN12_GLOBAL__N_120softmax_warp_forwardIN3c104HalfES2_fLi1ELb0ELb0ELi32EEEvPT0_PKT_iiiPKbib.private_seg_size, 0
	.set _ZN12_GLOBAL__N_120softmax_warp_forwardIN3c104HalfES2_fLi1ELb0ELb0ELi32EEEvPT0_PKT_iiiPKbib.uses_vcc, 1
	.set _ZN12_GLOBAL__N_120softmax_warp_forwardIN3c104HalfES2_fLi1ELb0ELb0ELi32EEEvPT0_PKT_iiiPKbib.uses_flat_scratch, 0
	.set _ZN12_GLOBAL__N_120softmax_warp_forwardIN3c104HalfES2_fLi1ELb0ELb0ELi32EEEvPT0_PKT_iiiPKbib.has_dyn_sized_stack, 0
	.set _ZN12_GLOBAL__N_120softmax_warp_forwardIN3c104HalfES2_fLi1ELb0ELb0ELi32EEEvPT0_PKT_iiiPKbib.has_recursion, 0
	.set _ZN12_GLOBAL__N_120softmax_warp_forwardIN3c104HalfES2_fLi1ELb0ELb0ELi32EEEvPT0_PKT_iiiPKbib.has_indirect_call, 0
	.section	.AMDGPU.csdata,"",@progbits
; Kernel info:
; codeLenInByte = 876
; TotalNumSgprs: 18
; NumVgprs: 12
; ScratchSize: 0
; MemoryBound: 0
; FloatMode: 240
; IeeeMode: 1
; LDSByteSize: 0 bytes/workgroup (compile time only)
; SGPRBlocks: 0
; VGPRBlocks: 1
; NumSGPRsForWavesPerEU: 18
; NumVGPRsForWavesPerEU: 12
; Occupancy: 16
; WaveLimiterHint : 0
; COMPUTE_PGM_RSRC2:SCRATCH_EN: 0
; COMPUTE_PGM_RSRC2:USER_SGPR: 6
; COMPUTE_PGM_RSRC2:TRAP_HANDLER: 0
; COMPUTE_PGM_RSRC2:TGID_X_EN: 1
; COMPUTE_PGM_RSRC2:TGID_Y_EN: 0
; COMPUTE_PGM_RSRC2:TGID_Z_EN: 0
; COMPUTE_PGM_RSRC2:TIDIG_COMP_CNT: 1
	.section	.text._ZN12_GLOBAL__N_120softmax_warp_forwardIN3c104HalfES2_fLi2ELb0ELb0ELi64EEEvPT0_PKT_iiiPKbib,"axG",@progbits,_ZN12_GLOBAL__N_120softmax_warp_forwardIN3c104HalfES2_fLi2ELb0ELb0ELi64EEEvPT0_PKT_iiiPKbib,comdat
	.globl	_ZN12_GLOBAL__N_120softmax_warp_forwardIN3c104HalfES2_fLi2ELb0ELb0ELi64EEEvPT0_PKT_iiiPKbib ; -- Begin function _ZN12_GLOBAL__N_120softmax_warp_forwardIN3c104HalfES2_fLi2ELb0ELb0ELi64EEEvPT0_PKT_iiiPKbib
	.p2align	8
	.type	_ZN12_GLOBAL__N_120softmax_warp_forwardIN3c104HalfES2_fLi2ELb0ELb0ELi64EEEvPT0_PKT_iiiPKbib,@function
_ZN12_GLOBAL__N_120softmax_warp_forwardIN3c104HalfES2_fLi2ELb0ELb0ELi64EEEvPT0_PKT_iiiPKbib: ; @_ZN12_GLOBAL__N_120softmax_warp_forwardIN3c104HalfES2_fLi2ELb0ELb0ELi64EEEvPT0_PKT_iiiPKbib
; %bb.0:
	s_clause 0x1
	s_load_dword s0, s[4:5], 0x3c
	s_load_dwordx8 s[8:15], s[4:5], 0x0
	v_mov_b32_e32 v6, 0xff800000
	s_waitcnt lgkmcnt(0)
	s_lshr_b32 s0, s0, 16
	s_and_b32 s0, s0, 0xffff
	s_mul_i32 s6, s6, s0
	v_cmp_gt_i32_e64 s0, s14, v0
	v_add_lshl_u32 v3, s6, v1, 1
	v_mad_u64_u32 v[1:2], null, v3, s13, v[0:1]
	v_sub_nc_u32_e32 v5, s12, v3
	v_mov_b32_e32 v0, 0xff800000
	v_cmp_lt_i32_e32 vcc_lo, 0, v5
	v_ashrrev_i32_e32 v2, 31, v1
	s_and_b32 s2, s0, vcc_lo
	v_lshlrev_b64 v[1:2], 1, v[1:2]
	v_add_co_u32 v3, s1, s10, v1
	v_add_co_ci_u32_e64 v4, null, s11, v2, s1
	s_and_saveexec_b32 s1, s2
	s_cbranch_execz .LBB410_2
; %bb.1:
	global_load_ushort v0, v[3:4], off
	s_waitcnt vmcnt(0)
	v_cvt_f32_f16_e32 v0, v0
.LBB410_2:
	s_or_b32 exec_lo, exec_lo, s1
	v_cmp_lt_i32_e64 s1, 1, v5
	s_and_b32 s1, s0, s1
	s_and_saveexec_b32 s2, s1
	s_cbranch_execz .LBB410_4
; %bb.3:
	s_mov_b32 s15, 0
	s_lshl_b64 s[4:5], s[14:15], 1
	v_add_co_u32 v3, s1, v3, s4
	v_add_co_ci_u32_e64 v4, null, s5, v4, s1
	global_load_ushort v3, v[3:4], off
	s_waitcnt vmcnt(0)
	v_cvt_f32_f16_e32 v6, v3
.LBB410_4:
	s_or_b32 exec_lo, exec_lo, s2
	v_mbcnt_lo_u32_b32 v3, -1, 0
	v_and_b32_e32 v4, 28, v3
	v_xor_b32_e32 v7, 2, v3
	v_xor_b32_e32 v10, 1, v3
	v_add_nc_u32_e32 v4, 4, v4
	v_cmp_lt_i32_e64 s1, v7, v4
	v_cndmask_b32_e64 v7, v3, v7, s1
	v_cmp_lt_i32_e64 s1, v10, v4
	v_lshlrev_b32_e32 v8, 2, v7
	v_cndmask_b32_e64 v3, v3, v10, s1
	ds_bpermute_b32 v7, v8, v0
	ds_bpermute_b32 v9, v8, v6
	v_lshlrev_b32_e32 v10, 2, v3
	s_waitcnt lgkmcnt(1)
	v_cmp_lt_f32_e64 s1, v0, v7
	v_cndmask_b32_e64 v3, v0, v7, s1
	s_waitcnt lgkmcnt(0)
	v_cmp_lt_f32_e64 s1, v6, v9
	ds_bpermute_b32 v7, v10, v3
	v_cndmask_b32_e64 v4, v6, v9, s1
	ds_bpermute_b32 v9, v10, v4
	s_waitcnt lgkmcnt(1)
	v_cmp_lt_f32_e64 s1, v3, v7
	v_cndmask_b32_e64 v3, v3, v7, s1
	s_waitcnt lgkmcnt(0)
	v_cmp_lt_f32_e64 s1, v4, v9
	v_sub_f32_e32 v0, v0, v3
	v_cndmask_b32_e64 v4, v4, v9, s1
	v_cmp_ngt_f32_e64 s1, 0xc2ce8ed0, v0
	v_sub_f32_e32 v3, v6, v4
	v_mul_f32_e32 v4, 0x3fb8aa3b, v0
	v_mul_f32_e32 v6, 0x3fb8aa3b, v3
	v_fma_f32 v7, 0x3fb8aa3b, v0, -v4
	v_rndne_f32_e32 v9, v4
	v_fma_f32 v11, 0x3fb8aa3b, v3, -v6
	v_rndne_f32_e32 v12, v6
	v_fmac_f32_e32 v7, 0x32a5705f, v0
	v_sub_f32_e32 v4, v4, v9
	v_fmac_f32_e32 v11, 0x32a5705f, v3
	v_sub_f32_e32 v6, v6, v12
	v_add_f32_e32 v4, v4, v7
	v_cvt_i32_f32_e32 v7, v9
	v_cvt_i32_f32_e32 v9, v12
	v_add_f32_e32 v6, v6, v11
	v_exp_f32_e32 v4, v4
	v_exp_f32_e32 v6, v6
	v_ldexp_f32 v4, v4, v7
	v_ldexp_f32 v6, v6, v9
	v_cndmask_b32_e64 v4, 0, v4, s1
	v_cmp_ngt_f32_e64 s1, 0xc2ce8ed0, v3
	v_cndmask_b32_e64 v6, 0, v6, s1
	v_cmp_nlt_f32_e64 s1, 0x42b17218, v0
	v_cndmask_b32_e64 v7, 0x7f800000, v4, s1
	v_cmp_nlt_f32_e64 s1, 0x42b17218, v3
	ds_bpermute_b32 v0, v8, v7
	v_cndmask_b32_e64 v3, 0x7f800000, v6, s1
	ds_bpermute_b32 v4, v8, v3
	s_waitcnt lgkmcnt(1)
	v_add_f32_e32 v8, v7, v0
	ds_bpermute_b32 v9, v10, v8
	s_waitcnt lgkmcnt(1)
	v_add_f32_e32 v4, v3, v4
	ds_bpermute_b32 v6, v10, v4
	s_and_saveexec_b32 s1, vcc_lo
	s_cbranch_execz .LBB410_15
; %bb.5:
	v_add_co_u32 v0, vcc_lo, s8, v1
	v_add_co_ci_u32_e64 v1, null, s9, v2, vcc_lo
	s_and_saveexec_b32 s1, s0
	s_cbranch_execz .LBB410_10
; %bb.6:
	s_waitcnt lgkmcnt(1)
	v_add_f32_e32 v2, v8, v9
	s_mov_b32 s2, exec_lo
	v_cmpx_neq_f32_e32 0, v2
	s_xor_b32 s2, exec_lo, s2
	s_cbranch_execz .LBB410_8
; %bb.7:
	v_div_scale_f32 v8, null, v2, v2, v7
	v_rcp_f32_e32 v9, v8
	v_fma_f32 v10, -v8, v9, 1.0
	v_fmac_f32_e32 v9, v10, v9
	v_div_scale_f32 v10, vcc_lo, v7, v2, v7
	v_mul_f32_e32 v11, v10, v9
	v_fma_f32 v12, -v8, v11, v10
	v_fmac_f32_e32 v11, v12, v9
	v_fma_f32 v8, -v8, v11, v10
	v_div_fmas_f32 v8, v8, v9, v11
	v_div_fixup_f32 v2, v8, v2, v7
	v_cvt_f16_f32_e32 v2, v2
	global_store_short v[0:1], v2, off
.LBB410_8:
	s_andn2_saveexec_b32 s2, s2
	s_cbranch_execz .LBB410_10
; %bb.9:
	v_mov_b32_e32 v2, 0x7e00
	global_store_short v[0:1], v2, off
.LBB410_10:
	s_or_b32 exec_lo, exec_lo, s1
	v_cmp_ne_u32_e32 vcc_lo, 1, v5
	s_and_b32 s0, vcc_lo, s0
	s_and_b32 exec_lo, exec_lo, s0
	s_cbranch_execz .LBB410_15
; %bb.11:
	s_mov_b32 s15, 0
	s_waitcnt lgkmcnt(0)
	v_add_f32_e32 v2, v4, v6
	s_lshl_b64 s[0:1], s[14:15], 1
	v_add_co_u32 v0, s0, v0, s0
	v_add_co_ci_u32_e64 v1, null, s1, v1, s0
	s_mov_b32 s0, exec_lo
	v_cmpx_neq_f32_e32 0, v2
	s_xor_b32 s0, exec_lo, s0
	s_cbranch_execz .LBB410_13
; %bb.12:
	v_div_scale_f32 v4, null, v2, v2, v3
	v_rcp_f32_e32 v5, v4
	v_fma_f32 v6, -v4, v5, 1.0
	v_fmac_f32_e32 v5, v6, v5
	v_div_scale_f32 v6, vcc_lo, v3, v2, v3
	v_mul_f32_e32 v7, v6, v5
	v_fma_f32 v8, -v4, v7, v6
	v_fmac_f32_e32 v7, v8, v5
	v_fma_f32 v4, -v4, v7, v6
	v_div_fmas_f32 v4, v4, v5, v7
	v_div_fixup_f32 v2, v4, v2, v3
	v_cvt_f16_f32_e32 v2, v2
	global_store_short v[0:1], v2, off
                                        ; implicit-def: $vgpr0_vgpr1
.LBB410_13:
	s_andn2_saveexec_b32 s0, s0
	s_cbranch_execz .LBB410_15
; %bb.14:
	v_mov_b32_e32 v2, 0x7e00
	global_store_short v[0:1], v2, off
.LBB410_15:
	s_endpgm
	.section	.rodata,"a",@progbits
	.p2align	6, 0x0
	.amdhsa_kernel _ZN12_GLOBAL__N_120softmax_warp_forwardIN3c104HalfES2_fLi2ELb0ELb0ELi64EEEvPT0_PKT_iiiPKbib
		.amdhsa_group_segment_fixed_size 0
		.amdhsa_private_segment_fixed_size 0
		.amdhsa_kernarg_size 304
		.amdhsa_user_sgpr_count 6
		.amdhsa_user_sgpr_private_segment_buffer 1
		.amdhsa_user_sgpr_dispatch_ptr 0
		.amdhsa_user_sgpr_queue_ptr 0
		.amdhsa_user_sgpr_kernarg_segment_ptr 1
		.amdhsa_user_sgpr_dispatch_id 0
		.amdhsa_user_sgpr_flat_scratch_init 0
		.amdhsa_user_sgpr_private_segment_size 0
		.amdhsa_wavefront_size32 1
		.amdhsa_uses_dynamic_stack 0
		.amdhsa_system_sgpr_private_segment_wavefront_offset 0
		.amdhsa_system_sgpr_workgroup_id_x 1
		.amdhsa_system_sgpr_workgroup_id_y 0
		.amdhsa_system_sgpr_workgroup_id_z 0
		.amdhsa_system_sgpr_workgroup_info 0
		.amdhsa_system_vgpr_workitem_id 1
		.amdhsa_next_free_vgpr 13
		.amdhsa_next_free_sgpr 16
		.amdhsa_reserve_vcc 1
		.amdhsa_reserve_flat_scratch 0
		.amdhsa_float_round_mode_32 0
		.amdhsa_float_round_mode_16_64 0
		.amdhsa_float_denorm_mode_32 3
		.amdhsa_float_denorm_mode_16_64 3
		.amdhsa_dx10_clamp 1
		.amdhsa_ieee_mode 1
		.amdhsa_fp16_overflow 0
		.amdhsa_workgroup_processor_mode 1
		.amdhsa_memory_ordered 1
		.amdhsa_forward_progress 1
		.amdhsa_shared_vgpr_count 0
		.amdhsa_exception_fp_ieee_invalid_op 0
		.amdhsa_exception_fp_denorm_src 0
		.amdhsa_exception_fp_ieee_div_zero 0
		.amdhsa_exception_fp_ieee_overflow 0
		.amdhsa_exception_fp_ieee_underflow 0
		.amdhsa_exception_fp_ieee_inexact 0
		.amdhsa_exception_int_div_zero 0
	.end_amdhsa_kernel
	.section	.text._ZN12_GLOBAL__N_120softmax_warp_forwardIN3c104HalfES2_fLi2ELb0ELb0ELi64EEEvPT0_PKT_iiiPKbib,"axG",@progbits,_ZN12_GLOBAL__N_120softmax_warp_forwardIN3c104HalfES2_fLi2ELb0ELb0ELi64EEEvPT0_PKT_iiiPKbib,comdat
.Lfunc_end410:
	.size	_ZN12_GLOBAL__N_120softmax_warp_forwardIN3c104HalfES2_fLi2ELb0ELb0ELi64EEEvPT0_PKT_iiiPKbib, .Lfunc_end410-_ZN12_GLOBAL__N_120softmax_warp_forwardIN3c104HalfES2_fLi2ELb0ELb0ELi64EEEvPT0_PKT_iiiPKbib
                                        ; -- End function
	.set _ZN12_GLOBAL__N_120softmax_warp_forwardIN3c104HalfES2_fLi2ELb0ELb0ELi64EEEvPT0_PKT_iiiPKbib.num_vgpr, 13
	.set _ZN12_GLOBAL__N_120softmax_warp_forwardIN3c104HalfES2_fLi2ELb0ELb0ELi64EEEvPT0_PKT_iiiPKbib.num_agpr, 0
	.set _ZN12_GLOBAL__N_120softmax_warp_forwardIN3c104HalfES2_fLi2ELb0ELb0ELi64EEEvPT0_PKT_iiiPKbib.numbered_sgpr, 16
	.set _ZN12_GLOBAL__N_120softmax_warp_forwardIN3c104HalfES2_fLi2ELb0ELb0ELi64EEEvPT0_PKT_iiiPKbib.num_named_barrier, 0
	.set _ZN12_GLOBAL__N_120softmax_warp_forwardIN3c104HalfES2_fLi2ELb0ELb0ELi64EEEvPT0_PKT_iiiPKbib.private_seg_size, 0
	.set _ZN12_GLOBAL__N_120softmax_warp_forwardIN3c104HalfES2_fLi2ELb0ELb0ELi64EEEvPT0_PKT_iiiPKbib.uses_vcc, 1
	.set _ZN12_GLOBAL__N_120softmax_warp_forwardIN3c104HalfES2_fLi2ELb0ELb0ELi64EEEvPT0_PKT_iiiPKbib.uses_flat_scratch, 0
	.set _ZN12_GLOBAL__N_120softmax_warp_forwardIN3c104HalfES2_fLi2ELb0ELb0ELi64EEEvPT0_PKT_iiiPKbib.has_dyn_sized_stack, 0
	.set _ZN12_GLOBAL__N_120softmax_warp_forwardIN3c104HalfES2_fLi2ELb0ELb0ELi64EEEvPT0_PKT_iiiPKbib.has_recursion, 0
	.set _ZN12_GLOBAL__N_120softmax_warp_forwardIN3c104HalfES2_fLi2ELb0ELb0ELi64EEEvPT0_PKT_iiiPKbib.has_indirect_call, 0
	.section	.AMDGPU.csdata,"",@progbits
; Kernel info:
; codeLenInByte = 988
; TotalNumSgprs: 18
; NumVgprs: 13
; ScratchSize: 0
; MemoryBound: 0
; FloatMode: 240
; IeeeMode: 1
; LDSByteSize: 0 bytes/workgroup (compile time only)
; SGPRBlocks: 0
; VGPRBlocks: 1
; NumSGPRsForWavesPerEU: 18
; NumVGPRsForWavesPerEU: 13
; Occupancy: 16
; WaveLimiterHint : 0
; COMPUTE_PGM_RSRC2:SCRATCH_EN: 0
; COMPUTE_PGM_RSRC2:USER_SGPR: 6
; COMPUTE_PGM_RSRC2:TRAP_HANDLER: 0
; COMPUTE_PGM_RSRC2:TGID_X_EN: 1
; COMPUTE_PGM_RSRC2:TGID_Y_EN: 0
; COMPUTE_PGM_RSRC2:TGID_Z_EN: 0
; COMPUTE_PGM_RSRC2:TIDIG_COMP_CNT: 1
	.section	.text._ZN12_GLOBAL__N_120softmax_warp_forwardIN3c104HalfES2_fLi2ELb0ELb0ELi32EEEvPT0_PKT_iiiPKbib,"axG",@progbits,_ZN12_GLOBAL__N_120softmax_warp_forwardIN3c104HalfES2_fLi2ELb0ELb0ELi32EEEvPT0_PKT_iiiPKbib,comdat
	.globl	_ZN12_GLOBAL__N_120softmax_warp_forwardIN3c104HalfES2_fLi2ELb0ELb0ELi32EEEvPT0_PKT_iiiPKbib ; -- Begin function _ZN12_GLOBAL__N_120softmax_warp_forwardIN3c104HalfES2_fLi2ELb0ELb0ELi32EEEvPT0_PKT_iiiPKbib
	.p2align	8
	.type	_ZN12_GLOBAL__N_120softmax_warp_forwardIN3c104HalfES2_fLi2ELb0ELb0ELi32EEEvPT0_PKT_iiiPKbib,@function
_ZN12_GLOBAL__N_120softmax_warp_forwardIN3c104HalfES2_fLi2ELb0ELb0ELi32EEEvPT0_PKT_iiiPKbib: ; @_ZN12_GLOBAL__N_120softmax_warp_forwardIN3c104HalfES2_fLi2ELb0ELb0ELi32EEEvPT0_PKT_iiiPKbib
; %bb.0:
	s_clause 0x1
	s_load_dword s0, s[4:5], 0x3c
	s_load_dwordx8 s[8:15], s[4:5], 0x0
	v_mov_b32_e32 v6, 0xff800000
	s_waitcnt lgkmcnt(0)
	s_lshr_b32 s0, s0, 16
	s_and_b32 s0, s0, 0xffff
	s_mul_i32 s6, s6, s0
	v_cmp_gt_i32_e64 s0, s14, v0
	v_add_lshl_u32 v3, s6, v1, 1
	v_mad_u64_u32 v[1:2], null, v3, s13, v[0:1]
	v_sub_nc_u32_e32 v5, s12, v3
	v_mov_b32_e32 v0, 0xff800000
	v_cmp_lt_i32_e32 vcc_lo, 0, v5
	v_ashrrev_i32_e32 v2, 31, v1
	s_and_b32 s2, s0, vcc_lo
	v_lshlrev_b64 v[1:2], 1, v[1:2]
	v_add_co_u32 v3, s1, s10, v1
	v_add_co_ci_u32_e64 v4, null, s11, v2, s1
	s_and_saveexec_b32 s1, s2
	s_cbranch_execz .LBB411_2
; %bb.1:
	global_load_ushort v0, v[3:4], off
	s_waitcnt vmcnt(0)
	v_cvt_f32_f16_e32 v0, v0
.LBB411_2:
	s_or_b32 exec_lo, exec_lo, s1
	v_cmp_lt_i32_e64 s1, 1, v5
	s_and_b32 s1, s0, s1
	s_and_saveexec_b32 s2, s1
	s_cbranch_execz .LBB411_4
; %bb.3:
	s_mov_b32 s15, 0
	s_lshl_b64 s[4:5], s[14:15], 1
	v_add_co_u32 v3, s1, v3, s4
	v_add_co_ci_u32_e64 v4, null, s5, v4, s1
	global_load_ushort v3, v[3:4], off
	s_waitcnt vmcnt(0)
	v_cvt_f32_f16_e32 v6, v3
.LBB411_4:
	s_or_b32 exec_lo, exec_lo, s2
	v_mbcnt_lo_u32_b32 v3, -1, 0
	v_and_b32_e32 v4, 28, v3
	v_xor_b32_e32 v7, 2, v3
	v_xor_b32_e32 v10, 1, v3
	v_add_nc_u32_e32 v4, 4, v4
	v_cmp_lt_i32_e64 s1, v7, v4
	v_cndmask_b32_e64 v7, v3, v7, s1
	v_cmp_lt_i32_e64 s1, v10, v4
	v_lshlrev_b32_e32 v8, 2, v7
	v_cndmask_b32_e64 v3, v3, v10, s1
	ds_bpermute_b32 v7, v8, v0
	ds_bpermute_b32 v9, v8, v6
	v_lshlrev_b32_e32 v10, 2, v3
	s_waitcnt lgkmcnt(1)
	v_cmp_lt_f32_e64 s1, v0, v7
	v_cndmask_b32_e64 v3, v0, v7, s1
	s_waitcnt lgkmcnt(0)
	v_cmp_lt_f32_e64 s1, v6, v9
	ds_bpermute_b32 v7, v10, v3
	v_cndmask_b32_e64 v4, v6, v9, s1
	ds_bpermute_b32 v9, v10, v4
	s_waitcnt lgkmcnt(1)
	v_cmp_lt_f32_e64 s1, v3, v7
	v_cndmask_b32_e64 v3, v3, v7, s1
	s_waitcnt lgkmcnt(0)
	v_cmp_lt_f32_e64 s1, v4, v9
	v_sub_f32_e32 v0, v0, v3
	v_cndmask_b32_e64 v4, v4, v9, s1
	v_cmp_ngt_f32_e64 s1, 0xc2ce8ed0, v0
	v_sub_f32_e32 v3, v6, v4
	v_mul_f32_e32 v4, 0x3fb8aa3b, v0
	v_mul_f32_e32 v6, 0x3fb8aa3b, v3
	v_fma_f32 v7, 0x3fb8aa3b, v0, -v4
	v_rndne_f32_e32 v9, v4
	v_fma_f32 v11, 0x3fb8aa3b, v3, -v6
	v_rndne_f32_e32 v12, v6
	v_fmac_f32_e32 v7, 0x32a5705f, v0
	v_sub_f32_e32 v4, v4, v9
	v_fmac_f32_e32 v11, 0x32a5705f, v3
	v_sub_f32_e32 v6, v6, v12
	v_add_f32_e32 v4, v4, v7
	v_cvt_i32_f32_e32 v7, v9
	v_cvt_i32_f32_e32 v9, v12
	v_add_f32_e32 v6, v6, v11
	v_exp_f32_e32 v4, v4
	v_exp_f32_e32 v6, v6
	v_ldexp_f32 v4, v4, v7
	v_ldexp_f32 v6, v6, v9
	v_cndmask_b32_e64 v4, 0, v4, s1
	v_cmp_ngt_f32_e64 s1, 0xc2ce8ed0, v3
	v_cndmask_b32_e64 v6, 0, v6, s1
	v_cmp_nlt_f32_e64 s1, 0x42b17218, v0
	v_cndmask_b32_e64 v7, 0x7f800000, v4, s1
	v_cmp_nlt_f32_e64 s1, 0x42b17218, v3
	ds_bpermute_b32 v0, v8, v7
	v_cndmask_b32_e64 v3, 0x7f800000, v6, s1
	ds_bpermute_b32 v4, v8, v3
	s_waitcnt lgkmcnt(1)
	v_add_f32_e32 v8, v7, v0
	ds_bpermute_b32 v9, v10, v8
	s_waitcnt lgkmcnt(1)
	v_add_f32_e32 v4, v3, v4
	ds_bpermute_b32 v6, v10, v4
	s_and_saveexec_b32 s1, vcc_lo
	s_cbranch_execz .LBB411_15
; %bb.5:
	v_add_co_u32 v0, vcc_lo, s8, v1
	v_add_co_ci_u32_e64 v1, null, s9, v2, vcc_lo
	s_and_saveexec_b32 s1, s0
	s_cbranch_execz .LBB411_10
; %bb.6:
	s_waitcnt lgkmcnt(1)
	v_add_f32_e32 v2, v8, v9
	s_mov_b32 s2, exec_lo
	v_cmpx_neq_f32_e32 0, v2
	s_xor_b32 s2, exec_lo, s2
	s_cbranch_execz .LBB411_8
; %bb.7:
	v_div_scale_f32 v8, null, v2, v2, v7
	v_rcp_f32_e32 v9, v8
	v_fma_f32 v10, -v8, v9, 1.0
	v_fmac_f32_e32 v9, v10, v9
	v_div_scale_f32 v10, vcc_lo, v7, v2, v7
	v_mul_f32_e32 v11, v10, v9
	v_fma_f32 v12, -v8, v11, v10
	v_fmac_f32_e32 v11, v12, v9
	v_fma_f32 v8, -v8, v11, v10
	v_div_fmas_f32 v8, v8, v9, v11
	v_div_fixup_f32 v2, v8, v2, v7
	v_cvt_f16_f32_e32 v2, v2
	global_store_short v[0:1], v2, off
.LBB411_8:
	s_andn2_saveexec_b32 s2, s2
	s_cbranch_execz .LBB411_10
; %bb.9:
	v_mov_b32_e32 v2, 0x7e00
	global_store_short v[0:1], v2, off
.LBB411_10:
	s_or_b32 exec_lo, exec_lo, s1
	v_cmp_ne_u32_e32 vcc_lo, 1, v5
	s_and_b32 s0, vcc_lo, s0
	s_and_b32 exec_lo, exec_lo, s0
	s_cbranch_execz .LBB411_15
; %bb.11:
	s_mov_b32 s15, 0
	s_waitcnt lgkmcnt(0)
	v_add_f32_e32 v2, v4, v6
	s_lshl_b64 s[0:1], s[14:15], 1
	v_add_co_u32 v0, s0, v0, s0
	v_add_co_ci_u32_e64 v1, null, s1, v1, s0
	s_mov_b32 s0, exec_lo
	v_cmpx_neq_f32_e32 0, v2
	s_xor_b32 s0, exec_lo, s0
	s_cbranch_execz .LBB411_13
; %bb.12:
	v_div_scale_f32 v4, null, v2, v2, v3
	v_rcp_f32_e32 v5, v4
	v_fma_f32 v6, -v4, v5, 1.0
	v_fmac_f32_e32 v5, v6, v5
	v_div_scale_f32 v6, vcc_lo, v3, v2, v3
	v_mul_f32_e32 v7, v6, v5
	v_fma_f32 v8, -v4, v7, v6
	v_fmac_f32_e32 v7, v8, v5
	v_fma_f32 v4, -v4, v7, v6
	v_div_fmas_f32 v4, v4, v5, v7
	v_div_fixup_f32 v2, v4, v2, v3
	v_cvt_f16_f32_e32 v2, v2
	global_store_short v[0:1], v2, off
                                        ; implicit-def: $vgpr0_vgpr1
.LBB411_13:
	s_andn2_saveexec_b32 s0, s0
	s_cbranch_execz .LBB411_15
; %bb.14:
	v_mov_b32_e32 v2, 0x7e00
	global_store_short v[0:1], v2, off
.LBB411_15:
	s_endpgm
	.section	.rodata,"a",@progbits
	.p2align	6, 0x0
	.amdhsa_kernel _ZN12_GLOBAL__N_120softmax_warp_forwardIN3c104HalfES2_fLi2ELb0ELb0ELi32EEEvPT0_PKT_iiiPKbib
		.amdhsa_group_segment_fixed_size 0
		.amdhsa_private_segment_fixed_size 0
		.amdhsa_kernarg_size 304
		.amdhsa_user_sgpr_count 6
		.amdhsa_user_sgpr_private_segment_buffer 1
		.amdhsa_user_sgpr_dispatch_ptr 0
		.amdhsa_user_sgpr_queue_ptr 0
		.amdhsa_user_sgpr_kernarg_segment_ptr 1
		.amdhsa_user_sgpr_dispatch_id 0
		.amdhsa_user_sgpr_flat_scratch_init 0
		.amdhsa_user_sgpr_private_segment_size 0
		.amdhsa_wavefront_size32 1
		.amdhsa_uses_dynamic_stack 0
		.amdhsa_system_sgpr_private_segment_wavefront_offset 0
		.amdhsa_system_sgpr_workgroup_id_x 1
		.amdhsa_system_sgpr_workgroup_id_y 0
		.amdhsa_system_sgpr_workgroup_id_z 0
		.amdhsa_system_sgpr_workgroup_info 0
		.amdhsa_system_vgpr_workitem_id 1
		.amdhsa_next_free_vgpr 13
		.amdhsa_next_free_sgpr 16
		.amdhsa_reserve_vcc 1
		.amdhsa_reserve_flat_scratch 0
		.amdhsa_float_round_mode_32 0
		.amdhsa_float_round_mode_16_64 0
		.amdhsa_float_denorm_mode_32 3
		.amdhsa_float_denorm_mode_16_64 3
		.amdhsa_dx10_clamp 1
		.amdhsa_ieee_mode 1
		.amdhsa_fp16_overflow 0
		.amdhsa_workgroup_processor_mode 1
		.amdhsa_memory_ordered 1
		.amdhsa_forward_progress 1
		.amdhsa_shared_vgpr_count 0
		.amdhsa_exception_fp_ieee_invalid_op 0
		.amdhsa_exception_fp_denorm_src 0
		.amdhsa_exception_fp_ieee_div_zero 0
		.amdhsa_exception_fp_ieee_overflow 0
		.amdhsa_exception_fp_ieee_underflow 0
		.amdhsa_exception_fp_ieee_inexact 0
		.amdhsa_exception_int_div_zero 0
	.end_amdhsa_kernel
	.section	.text._ZN12_GLOBAL__N_120softmax_warp_forwardIN3c104HalfES2_fLi2ELb0ELb0ELi32EEEvPT0_PKT_iiiPKbib,"axG",@progbits,_ZN12_GLOBAL__N_120softmax_warp_forwardIN3c104HalfES2_fLi2ELb0ELb0ELi32EEEvPT0_PKT_iiiPKbib,comdat
.Lfunc_end411:
	.size	_ZN12_GLOBAL__N_120softmax_warp_forwardIN3c104HalfES2_fLi2ELb0ELb0ELi32EEEvPT0_PKT_iiiPKbib, .Lfunc_end411-_ZN12_GLOBAL__N_120softmax_warp_forwardIN3c104HalfES2_fLi2ELb0ELb0ELi32EEEvPT0_PKT_iiiPKbib
                                        ; -- End function
	.set _ZN12_GLOBAL__N_120softmax_warp_forwardIN3c104HalfES2_fLi2ELb0ELb0ELi32EEEvPT0_PKT_iiiPKbib.num_vgpr, 13
	.set _ZN12_GLOBAL__N_120softmax_warp_forwardIN3c104HalfES2_fLi2ELb0ELb0ELi32EEEvPT0_PKT_iiiPKbib.num_agpr, 0
	.set _ZN12_GLOBAL__N_120softmax_warp_forwardIN3c104HalfES2_fLi2ELb0ELb0ELi32EEEvPT0_PKT_iiiPKbib.numbered_sgpr, 16
	.set _ZN12_GLOBAL__N_120softmax_warp_forwardIN3c104HalfES2_fLi2ELb0ELb0ELi32EEEvPT0_PKT_iiiPKbib.num_named_barrier, 0
	.set _ZN12_GLOBAL__N_120softmax_warp_forwardIN3c104HalfES2_fLi2ELb0ELb0ELi32EEEvPT0_PKT_iiiPKbib.private_seg_size, 0
	.set _ZN12_GLOBAL__N_120softmax_warp_forwardIN3c104HalfES2_fLi2ELb0ELb0ELi32EEEvPT0_PKT_iiiPKbib.uses_vcc, 1
	.set _ZN12_GLOBAL__N_120softmax_warp_forwardIN3c104HalfES2_fLi2ELb0ELb0ELi32EEEvPT0_PKT_iiiPKbib.uses_flat_scratch, 0
	.set _ZN12_GLOBAL__N_120softmax_warp_forwardIN3c104HalfES2_fLi2ELb0ELb0ELi32EEEvPT0_PKT_iiiPKbib.has_dyn_sized_stack, 0
	.set _ZN12_GLOBAL__N_120softmax_warp_forwardIN3c104HalfES2_fLi2ELb0ELb0ELi32EEEvPT0_PKT_iiiPKbib.has_recursion, 0
	.set _ZN12_GLOBAL__N_120softmax_warp_forwardIN3c104HalfES2_fLi2ELb0ELb0ELi32EEEvPT0_PKT_iiiPKbib.has_indirect_call, 0
	.section	.AMDGPU.csdata,"",@progbits
; Kernel info:
; codeLenInByte = 988
; TotalNumSgprs: 18
; NumVgprs: 13
; ScratchSize: 0
; MemoryBound: 0
; FloatMode: 240
; IeeeMode: 1
; LDSByteSize: 0 bytes/workgroup (compile time only)
; SGPRBlocks: 0
; VGPRBlocks: 1
; NumSGPRsForWavesPerEU: 18
; NumVGPRsForWavesPerEU: 13
; Occupancy: 16
; WaveLimiterHint : 0
; COMPUTE_PGM_RSRC2:SCRATCH_EN: 0
; COMPUTE_PGM_RSRC2:USER_SGPR: 6
; COMPUTE_PGM_RSRC2:TRAP_HANDLER: 0
; COMPUTE_PGM_RSRC2:TGID_X_EN: 1
; COMPUTE_PGM_RSRC2:TGID_Y_EN: 0
; COMPUTE_PGM_RSRC2:TGID_Z_EN: 0
; COMPUTE_PGM_RSRC2:TIDIG_COMP_CNT: 1
	.section	.text._ZN12_GLOBAL__N_120softmax_warp_forwardIN3c104HalfES2_fLi3ELb0ELb0ELi64EEEvPT0_PKT_iiiPKbib,"axG",@progbits,_ZN12_GLOBAL__N_120softmax_warp_forwardIN3c104HalfES2_fLi3ELb0ELb0ELi64EEEvPT0_PKT_iiiPKbib,comdat
	.globl	_ZN12_GLOBAL__N_120softmax_warp_forwardIN3c104HalfES2_fLi3ELb0ELb0ELi64EEEvPT0_PKT_iiiPKbib ; -- Begin function _ZN12_GLOBAL__N_120softmax_warp_forwardIN3c104HalfES2_fLi3ELb0ELb0ELi64EEEvPT0_PKT_iiiPKbib
	.p2align	8
	.type	_ZN12_GLOBAL__N_120softmax_warp_forwardIN3c104HalfES2_fLi3ELb0ELb0ELi64EEEvPT0_PKT_iiiPKbib,@function
_ZN12_GLOBAL__N_120softmax_warp_forwardIN3c104HalfES2_fLi3ELb0ELb0ELi64EEEvPT0_PKT_iiiPKbib: ; @_ZN12_GLOBAL__N_120softmax_warp_forwardIN3c104HalfES2_fLi3ELb0ELb0ELi64EEEvPT0_PKT_iiiPKbib
; %bb.0:
	s_clause 0x1
	s_load_dword s0, s[4:5], 0x3c
	s_load_dwordx8 s[8:15], s[4:5], 0x0
	v_mov_b32_e32 v6, 0xff800000
	s_waitcnt lgkmcnt(0)
	s_lshr_b32 s0, s0, 16
	s_and_b32 s0, s0, 0xffff
	s_mul_i32 s6, s6, s0
	v_cmp_gt_i32_e64 s0, s14, v0
	v_add_lshl_u32 v3, s6, v1, 1
	v_mad_u64_u32 v[1:2], null, v3, s13, v[0:1]
	v_sub_nc_u32_e32 v5, s12, v3
	v_mov_b32_e32 v0, 0xff800000
	v_cmp_lt_i32_e32 vcc_lo, 0, v5
	v_ashrrev_i32_e32 v2, 31, v1
	s_and_b32 s2, s0, vcc_lo
	v_lshlrev_b64 v[1:2], 1, v[1:2]
	v_add_co_u32 v3, s1, s10, v1
	v_add_co_ci_u32_e64 v4, null, s11, v2, s1
	s_and_saveexec_b32 s1, s2
	s_cbranch_execz .LBB412_2
; %bb.1:
	global_load_ushort v0, v[3:4], off
	s_waitcnt vmcnt(0)
	v_cvt_f32_f16_e32 v0, v0
.LBB412_2:
	s_or_b32 exec_lo, exec_lo, s1
	v_cmp_lt_i32_e64 s1, 1, v5
	s_and_b32 s1, s0, s1
	s_and_saveexec_b32 s2, s1
	s_cbranch_execz .LBB412_4
; %bb.3:
	s_mov_b32 s15, 0
	s_lshl_b64 s[4:5], s[14:15], 1
	v_add_co_u32 v3, s1, v3, s4
	v_add_co_ci_u32_e64 v4, null, s5, v4, s1
	global_load_ushort v3, v[3:4], off
	s_waitcnt vmcnt(0)
	v_cvt_f32_f16_e32 v6, v3
.LBB412_4:
	s_or_b32 exec_lo, exec_lo, s2
	v_mbcnt_lo_u32_b32 v3, -1, 0
	v_and_b32_e32 v4, 24, v3
	v_xor_b32_e32 v7, 4, v3
	v_xor_b32_e32 v10, 2, v3
	v_xor_b32_e32 v13, 1, v3
	v_add_nc_u32_e32 v4, 8, v4
	v_cmp_lt_i32_e64 s1, v7, v4
	v_cndmask_b32_e64 v7, v3, v7, s1
	v_cmp_lt_i32_e64 s1, v10, v4
	v_lshlrev_b32_e32 v8, 2, v7
	v_cndmask_b32_e64 v10, v3, v10, s1
	ds_bpermute_b32 v7, v8, v0
	ds_bpermute_b32 v9, v8, v6
	v_lshlrev_b32_e32 v10, 2, v10
	s_waitcnt lgkmcnt(1)
	v_cmp_lt_f32_e64 s1, v0, v7
	v_cndmask_b32_e64 v7, v0, v7, s1
	s_waitcnt lgkmcnt(0)
	v_cmp_lt_f32_e64 s1, v6, v9
	ds_bpermute_b32 v11, v10, v7
	v_cndmask_b32_e64 v9, v6, v9, s1
	v_cmp_lt_i32_e64 s1, v13, v4
	ds_bpermute_b32 v12, v10, v9
	v_cndmask_b32_e64 v3, v3, v13, s1
	v_lshlrev_b32_e32 v13, 2, v3
	s_waitcnt lgkmcnt(1)
	v_cmp_lt_f32_e64 s1, v7, v11
	v_cndmask_b32_e64 v3, v7, v11, s1
	s_waitcnt lgkmcnt(0)
	v_cmp_lt_f32_e64 s1, v9, v12
	ds_bpermute_b32 v7, v13, v3
	v_cndmask_b32_e64 v4, v9, v12, s1
	ds_bpermute_b32 v9, v13, v4
	s_waitcnt lgkmcnt(1)
	v_cmp_lt_f32_e64 s1, v3, v7
	v_cndmask_b32_e64 v3, v3, v7, s1
	s_waitcnt lgkmcnt(0)
	v_cmp_lt_f32_e64 s1, v4, v9
	v_sub_f32_e32 v0, v0, v3
	v_cndmask_b32_e64 v4, v4, v9, s1
	v_cmp_ngt_f32_e64 s1, 0xc2ce8ed0, v0
	v_sub_f32_e32 v3, v6, v4
	v_mul_f32_e32 v4, 0x3fb8aa3b, v0
	v_mul_f32_e32 v6, 0x3fb8aa3b, v3
	v_fma_f32 v7, 0x3fb8aa3b, v0, -v4
	v_rndne_f32_e32 v9, v4
	v_fma_f32 v11, 0x3fb8aa3b, v3, -v6
	v_rndne_f32_e32 v12, v6
	v_fmac_f32_e32 v7, 0x32a5705f, v0
	v_sub_f32_e32 v4, v4, v9
	v_fmac_f32_e32 v11, 0x32a5705f, v3
	v_sub_f32_e32 v6, v6, v12
	v_add_f32_e32 v4, v4, v7
	v_cvt_i32_f32_e32 v7, v9
	v_cvt_i32_f32_e32 v9, v12
	v_add_f32_e32 v6, v6, v11
	v_exp_f32_e32 v4, v4
	v_exp_f32_e32 v6, v6
	v_ldexp_f32 v4, v4, v7
	v_ldexp_f32 v6, v6, v9
	v_cndmask_b32_e64 v4, 0, v4, s1
	v_cmp_ngt_f32_e64 s1, 0xc2ce8ed0, v3
	v_cndmask_b32_e64 v6, 0, v6, s1
	v_cmp_nlt_f32_e64 s1, 0x42b17218, v0
	v_cndmask_b32_e64 v7, 0x7f800000, v4, s1
	v_cmp_nlt_f32_e64 s1, 0x42b17218, v3
	ds_bpermute_b32 v0, v8, v7
	v_cndmask_b32_e64 v3, 0x7f800000, v6, s1
	ds_bpermute_b32 v4, v8, v3
	s_waitcnt lgkmcnt(1)
	v_add_f32_e32 v0, v7, v0
	ds_bpermute_b32 v6, v10, v0
	s_waitcnt lgkmcnt(1)
	v_add_f32_e32 v4, v3, v4
	;; [unrolled: 3-line block ×3, first 2 shown]
	s_waitcnt lgkmcnt(0)
	v_add_f32_e32 v4, v4, v9
	ds_bpermute_b32 v9, v13, v8
	ds_bpermute_b32 v6, v13, v4
	s_and_saveexec_b32 s1, vcc_lo
	s_cbranch_execz .LBB412_15
; %bb.5:
	v_add_co_u32 v0, vcc_lo, s8, v1
	v_add_co_ci_u32_e64 v1, null, s9, v2, vcc_lo
	s_and_saveexec_b32 s1, s0
	s_cbranch_execz .LBB412_10
; %bb.6:
	s_waitcnt lgkmcnt(1)
	v_add_f32_e32 v2, v8, v9
	s_mov_b32 s2, exec_lo
	v_cmpx_neq_f32_e32 0, v2
	s_xor_b32 s2, exec_lo, s2
	s_cbranch_execz .LBB412_8
; %bb.7:
	v_div_scale_f32 v8, null, v2, v2, v7
	v_rcp_f32_e32 v9, v8
	v_fma_f32 v10, -v8, v9, 1.0
	v_fmac_f32_e32 v9, v10, v9
	v_div_scale_f32 v10, vcc_lo, v7, v2, v7
	v_mul_f32_e32 v11, v10, v9
	v_fma_f32 v12, -v8, v11, v10
	v_fmac_f32_e32 v11, v12, v9
	v_fma_f32 v8, -v8, v11, v10
	v_div_fmas_f32 v8, v8, v9, v11
	v_div_fixup_f32 v2, v8, v2, v7
	v_cvt_f16_f32_e32 v2, v2
	global_store_short v[0:1], v2, off
.LBB412_8:
	s_andn2_saveexec_b32 s2, s2
	s_cbranch_execz .LBB412_10
; %bb.9:
	v_mov_b32_e32 v2, 0x7e00
	global_store_short v[0:1], v2, off
.LBB412_10:
	s_or_b32 exec_lo, exec_lo, s1
	v_cmp_ne_u32_e32 vcc_lo, 1, v5
	s_and_b32 s0, vcc_lo, s0
	s_and_b32 exec_lo, exec_lo, s0
	s_cbranch_execz .LBB412_15
; %bb.11:
	s_mov_b32 s15, 0
	s_waitcnt lgkmcnt(0)
	v_add_f32_e32 v2, v4, v6
	s_lshl_b64 s[0:1], s[14:15], 1
	v_add_co_u32 v0, s0, v0, s0
	v_add_co_ci_u32_e64 v1, null, s1, v1, s0
	s_mov_b32 s0, exec_lo
	v_cmpx_neq_f32_e32 0, v2
	s_xor_b32 s0, exec_lo, s0
	s_cbranch_execz .LBB412_13
; %bb.12:
	v_div_scale_f32 v4, null, v2, v2, v3
	v_rcp_f32_e32 v5, v4
	v_fma_f32 v6, -v4, v5, 1.0
	v_fmac_f32_e32 v5, v6, v5
	v_div_scale_f32 v6, vcc_lo, v3, v2, v3
	v_mul_f32_e32 v7, v6, v5
	v_fma_f32 v8, -v4, v7, v6
	v_fmac_f32_e32 v7, v8, v5
	v_fma_f32 v4, -v4, v7, v6
	v_div_fmas_f32 v4, v4, v5, v7
	v_div_fixup_f32 v2, v4, v2, v3
	v_cvt_f16_f32_e32 v2, v2
	global_store_short v[0:1], v2, off
                                        ; implicit-def: $vgpr0_vgpr1
.LBB412_13:
	s_andn2_saveexec_b32 s0, s0
	s_cbranch_execz .LBB412_15
; %bb.14:
	v_mov_b32_e32 v2, 0x7e00
	global_store_short v[0:1], v2, off
.LBB412_15:
	s_endpgm
	.section	.rodata,"a",@progbits
	.p2align	6, 0x0
	.amdhsa_kernel _ZN12_GLOBAL__N_120softmax_warp_forwardIN3c104HalfES2_fLi3ELb0ELb0ELi64EEEvPT0_PKT_iiiPKbib
		.amdhsa_group_segment_fixed_size 0
		.amdhsa_private_segment_fixed_size 0
		.amdhsa_kernarg_size 304
		.amdhsa_user_sgpr_count 6
		.amdhsa_user_sgpr_private_segment_buffer 1
		.amdhsa_user_sgpr_dispatch_ptr 0
		.amdhsa_user_sgpr_queue_ptr 0
		.amdhsa_user_sgpr_kernarg_segment_ptr 1
		.amdhsa_user_sgpr_dispatch_id 0
		.amdhsa_user_sgpr_flat_scratch_init 0
		.amdhsa_user_sgpr_private_segment_size 0
		.amdhsa_wavefront_size32 1
		.amdhsa_uses_dynamic_stack 0
		.amdhsa_system_sgpr_private_segment_wavefront_offset 0
		.amdhsa_system_sgpr_workgroup_id_x 1
		.amdhsa_system_sgpr_workgroup_id_y 0
		.amdhsa_system_sgpr_workgroup_id_z 0
		.amdhsa_system_sgpr_workgroup_info 0
		.amdhsa_system_vgpr_workitem_id 1
		.amdhsa_next_free_vgpr 14
		.amdhsa_next_free_sgpr 16
		.amdhsa_reserve_vcc 1
		.amdhsa_reserve_flat_scratch 0
		.amdhsa_float_round_mode_32 0
		.amdhsa_float_round_mode_16_64 0
		.amdhsa_float_denorm_mode_32 3
		.amdhsa_float_denorm_mode_16_64 3
		.amdhsa_dx10_clamp 1
		.amdhsa_ieee_mode 1
		.amdhsa_fp16_overflow 0
		.amdhsa_workgroup_processor_mode 1
		.amdhsa_memory_ordered 1
		.amdhsa_forward_progress 1
		.amdhsa_shared_vgpr_count 0
		.amdhsa_exception_fp_ieee_invalid_op 0
		.amdhsa_exception_fp_denorm_src 0
		.amdhsa_exception_fp_ieee_div_zero 0
		.amdhsa_exception_fp_ieee_overflow 0
		.amdhsa_exception_fp_ieee_underflow 0
		.amdhsa_exception_fp_ieee_inexact 0
		.amdhsa_exception_int_div_zero 0
	.end_amdhsa_kernel
	.section	.text._ZN12_GLOBAL__N_120softmax_warp_forwardIN3c104HalfES2_fLi3ELb0ELb0ELi64EEEvPT0_PKT_iiiPKbib,"axG",@progbits,_ZN12_GLOBAL__N_120softmax_warp_forwardIN3c104HalfES2_fLi3ELb0ELb0ELi64EEEvPT0_PKT_iiiPKbib,comdat
.Lfunc_end412:
	.size	_ZN12_GLOBAL__N_120softmax_warp_forwardIN3c104HalfES2_fLi3ELb0ELb0ELi64EEEvPT0_PKT_iiiPKbib, .Lfunc_end412-_ZN12_GLOBAL__N_120softmax_warp_forwardIN3c104HalfES2_fLi3ELb0ELb0ELi64EEEvPT0_PKT_iiiPKbib
                                        ; -- End function
	.set _ZN12_GLOBAL__N_120softmax_warp_forwardIN3c104HalfES2_fLi3ELb0ELb0ELi64EEEvPT0_PKT_iiiPKbib.num_vgpr, 14
	.set _ZN12_GLOBAL__N_120softmax_warp_forwardIN3c104HalfES2_fLi3ELb0ELb0ELi64EEEvPT0_PKT_iiiPKbib.num_agpr, 0
	.set _ZN12_GLOBAL__N_120softmax_warp_forwardIN3c104HalfES2_fLi3ELb0ELb0ELi64EEEvPT0_PKT_iiiPKbib.numbered_sgpr, 16
	.set _ZN12_GLOBAL__N_120softmax_warp_forwardIN3c104HalfES2_fLi3ELb0ELb0ELi64EEEvPT0_PKT_iiiPKbib.num_named_barrier, 0
	.set _ZN12_GLOBAL__N_120softmax_warp_forwardIN3c104HalfES2_fLi3ELb0ELb0ELi64EEEvPT0_PKT_iiiPKbib.private_seg_size, 0
	.set _ZN12_GLOBAL__N_120softmax_warp_forwardIN3c104HalfES2_fLi3ELb0ELb0ELi64EEEvPT0_PKT_iiiPKbib.uses_vcc, 1
	.set _ZN12_GLOBAL__N_120softmax_warp_forwardIN3c104HalfES2_fLi3ELb0ELb0ELi64EEEvPT0_PKT_iiiPKbib.uses_flat_scratch, 0
	.set _ZN12_GLOBAL__N_120softmax_warp_forwardIN3c104HalfES2_fLi3ELb0ELb0ELi64EEEvPT0_PKT_iiiPKbib.has_dyn_sized_stack, 0
	.set _ZN12_GLOBAL__N_120softmax_warp_forwardIN3c104HalfES2_fLi3ELb0ELb0ELi64EEEvPT0_PKT_iiiPKbib.has_recursion, 0
	.set _ZN12_GLOBAL__N_120softmax_warp_forwardIN3c104HalfES2_fLi3ELb0ELb0ELi64EEEvPT0_PKT_iiiPKbib.has_indirect_call, 0
	.section	.AMDGPU.csdata,"",@progbits
; Kernel info:
; codeLenInByte = 1100
; TotalNumSgprs: 18
; NumVgprs: 14
; ScratchSize: 0
; MemoryBound: 0
; FloatMode: 240
; IeeeMode: 1
; LDSByteSize: 0 bytes/workgroup (compile time only)
; SGPRBlocks: 0
; VGPRBlocks: 1
; NumSGPRsForWavesPerEU: 18
; NumVGPRsForWavesPerEU: 14
; Occupancy: 16
; WaveLimiterHint : 0
; COMPUTE_PGM_RSRC2:SCRATCH_EN: 0
; COMPUTE_PGM_RSRC2:USER_SGPR: 6
; COMPUTE_PGM_RSRC2:TRAP_HANDLER: 0
; COMPUTE_PGM_RSRC2:TGID_X_EN: 1
; COMPUTE_PGM_RSRC2:TGID_Y_EN: 0
; COMPUTE_PGM_RSRC2:TGID_Z_EN: 0
; COMPUTE_PGM_RSRC2:TIDIG_COMP_CNT: 1
	.section	.text._ZN12_GLOBAL__N_120softmax_warp_forwardIN3c104HalfES2_fLi3ELb0ELb0ELi32EEEvPT0_PKT_iiiPKbib,"axG",@progbits,_ZN12_GLOBAL__N_120softmax_warp_forwardIN3c104HalfES2_fLi3ELb0ELb0ELi32EEEvPT0_PKT_iiiPKbib,comdat
	.globl	_ZN12_GLOBAL__N_120softmax_warp_forwardIN3c104HalfES2_fLi3ELb0ELb0ELi32EEEvPT0_PKT_iiiPKbib ; -- Begin function _ZN12_GLOBAL__N_120softmax_warp_forwardIN3c104HalfES2_fLi3ELb0ELb0ELi32EEEvPT0_PKT_iiiPKbib
	.p2align	8
	.type	_ZN12_GLOBAL__N_120softmax_warp_forwardIN3c104HalfES2_fLi3ELb0ELb0ELi32EEEvPT0_PKT_iiiPKbib,@function
_ZN12_GLOBAL__N_120softmax_warp_forwardIN3c104HalfES2_fLi3ELb0ELb0ELi32EEEvPT0_PKT_iiiPKbib: ; @_ZN12_GLOBAL__N_120softmax_warp_forwardIN3c104HalfES2_fLi3ELb0ELb0ELi32EEEvPT0_PKT_iiiPKbib
; %bb.0:
	s_clause 0x1
	s_load_dword s0, s[4:5], 0x3c
	s_load_dwordx8 s[8:15], s[4:5], 0x0
	v_mov_b32_e32 v6, 0xff800000
	s_waitcnt lgkmcnt(0)
	s_lshr_b32 s0, s0, 16
	s_and_b32 s0, s0, 0xffff
	s_mul_i32 s6, s6, s0
	v_cmp_gt_i32_e64 s0, s14, v0
	v_add_lshl_u32 v3, s6, v1, 1
	v_mad_u64_u32 v[1:2], null, v3, s13, v[0:1]
	v_sub_nc_u32_e32 v5, s12, v3
	v_mov_b32_e32 v0, 0xff800000
	v_cmp_lt_i32_e32 vcc_lo, 0, v5
	v_ashrrev_i32_e32 v2, 31, v1
	s_and_b32 s2, s0, vcc_lo
	v_lshlrev_b64 v[1:2], 1, v[1:2]
	v_add_co_u32 v3, s1, s10, v1
	v_add_co_ci_u32_e64 v4, null, s11, v2, s1
	s_and_saveexec_b32 s1, s2
	s_cbranch_execz .LBB413_2
; %bb.1:
	global_load_ushort v0, v[3:4], off
	s_waitcnt vmcnt(0)
	v_cvt_f32_f16_e32 v0, v0
.LBB413_2:
	s_or_b32 exec_lo, exec_lo, s1
	v_cmp_lt_i32_e64 s1, 1, v5
	s_and_b32 s1, s0, s1
	s_and_saveexec_b32 s2, s1
	s_cbranch_execz .LBB413_4
; %bb.3:
	s_mov_b32 s15, 0
	s_lshl_b64 s[4:5], s[14:15], 1
	v_add_co_u32 v3, s1, v3, s4
	v_add_co_ci_u32_e64 v4, null, s5, v4, s1
	global_load_ushort v3, v[3:4], off
	s_waitcnt vmcnt(0)
	v_cvt_f32_f16_e32 v6, v3
.LBB413_4:
	s_or_b32 exec_lo, exec_lo, s2
	v_mbcnt_lo_u32_b32 v3, -1, 0
	v_and_b32_e32 v4, 24, v3
	v_xor_b32_e32 v7, 4, v3
	v_xor_b32_e32 v10, 2, v3
	;; [unrolled: 1-line block ×3, first 2 shown]
	v_add_nc_u32_e32 v4, 8, v4
	v_cmp_lt_i32_e64 s1, v7, v4
	v_cndmask_b32_e64 v7, v3, v7, s1
	v_cmp_lt_i32_e64 s1, v10, v4
	v_lshlrev_b32_e32 v8, 2, v7
	v_cndmask_b32_e64 v10, v3, v10, s1
	ds_bpermute_b32 v7, v8, v0
	ds_bpermute_b32 v9, v8, v6
	v_lshlrev_b32_e32 v10, 2, v10
	s_waitcnt lgkmcnt(1)
	v_cmp_lt_f32_e64 s1, v0, v7
	v_cndmask_b32_e64 v7, v0, v7, s1
	s_waitcnt lgkmcnt(0)
	v_cmp_lt_f32_e64 s1, v6, v9
	ds_bpermute_b32 v11, v10, v7
	v_cndmask_b32_e64 v9, v6, v9, s1
	v_cmp_lt_i32_e64 s1, v13, v4
	ds_bpermute_b32 v12, v10, v9
	v_cndmask_b32_e64 v3, v3, v13, s1
	v_lshlrev_b32_e32 v13, 2, v3
	s_waitcnt lgkmcnt(1)
	v_cmp_lt_f32_e64 s1, v7, v11
	v_cndmask_b32_e64 v3, v7, v11, s1
	s_waitcnt lgkmcnt(0)
	v_cmp_lt_f32_e64 s1, v9, v12
	ds_bpermute_b32 v7, v13, v3
	v_cndmask_b32_e64 v4, v9, v12, s1
	ds_bpermute_b32 v9, v13, v4
	s_waitcnt lgkmcnt(1)
	v_cmp_lt_f32_e64 s1, v3, v7
	v_cndmask_b32_e64 v3, v3, v7, s1
	s_waitcnt lgkmcnt(0)
	v_cmp_lt_f32_e64 s1, v4, v9
	v_sub_f32_e32 v0, v0, v3
	v_cndmask_b32_e64 v4, v4, v9, s1
	v_cmp_ngt_f32_e64 s1, 0xc2ce8ed0, v0
	v_sub_f32_e32 v3, v6, v4
	v_mul_f32_e32 v4, 0x3fb8aa3b, v0
	v_mul_f32_e32 v6, 0x3fb8aa3b, v3
	v_fma_f32 v7, 0x3fb8aa3b, v0, -v4
	v_rndne_f32_e32 v9, v4
	v_fma_f32 v11, 0x3fb8aa3b, v3, -v6
	v_rndne_f32_e32 v12, v6
	v_fmac_f32_e32 v7, 0x32a5705f, v0
	v_sub_f32_e32 v4, v4, v9
	v_fmac_f32_e32 v11, 0x32a5705f, v3
	v_sub_f32_e32 v6, v6, v12
	v_add_f32_e32 v4, v4, v7
	v_cvt_i32_f32_e32 v7, v9
	v_cvt_i32_f32_e32 v9, v12
	v_add_f32_e32 v6, v6, v11
	v_exp_f32_e32 v4, v4
	v_exp_f32_e32 v6, v6
	v_ldexp_f32 v4, v4, v7
	v_ldexp_f32 v6, v6, v9
	v_cndmask_b32_e64 v4, 0, v4, s1
	v_cmp_ngt_f32_e64 s1, 0xc2ce8ed0, v3
	v_cndmask_b32_e64 v6, 0, v6, s1
	v_cmp_nlt_f32_e64 s1, 0x42b17218, v0
	v_cndmask_b32_e64 v7, 0x7f800000, v4, s1
	v_cmp_nlt_f32_e64 s1, 0x42b17218, v3
	ds_bpermute_b32 v0, v8, v7
	v_cndmask_b32_e64 v3, 0x7f800000, v6, s1
	ds_bpermute_b32 v4, v8, v3
	s_waitcnt lgkmcnt(1)
	v_add_f32_e32 v0, v7, v0
	ds_bpermute_b32 v6, v10, v0
	s_waitcnt lgkmcnt(1)
	v_add_f32_e32 v4, v3, v4
	;; [unrolled: 3-line block ×3, first 2 shown]
	s_waitcnt lgkmcnt(0)
	v_add_f32_e32 v4, v4, v9
	ds_bpermute_b32 v9, v13, v8
	ds_bpermute_b32 v6, v13, v4
	s_and_saveexec_b32 s1, vcc_lo
	s_cbranch_execz .LBB413_15
; %bb.5:
	v_add_co_u32 v0, vcc_lo, s8, v1
	v_add_co_ci_u32_e64 v1, null, s9, v2, vcc_lo
	s_and_saveexec_b32 s1, s0
	s_cbranch_execz .LBB413_10
; %bb.6:
	s_waitcnt lgkmcnt(1)
	v_add_f32_e32 v2, v8, v9
	s_mov_b32 s2, exec_lo
	v_cmpx_neq_f32_e32 0, v2
	s_xor_b32 s2, exec_lo, s2
	s_cbranch_execz .LBB413_8
; %bb.7:
	v_div_scale_f32 v8, null, v2, v2, v7
	v_rcp_f32_e32 v9, v8
	v_fma_f32 v10, -v8, v9, 1.0
	v_fmac_f32_e32 v9, v10, v9
	v_div_scale_f32 v10, vcc_lo, v7, v2, v7
	v_mul_f32_e32 v11, v10, v9
	v_fma_f32 v12, -v8, v11, v10
	v_fmac_f32_e32 v11, v12, v9
	v_fma_f32 v8, -v8, v11, v10
	v_div_fmas_f32 v8, v8, v9, v11
	v_div_fixup_f32 v2, v8, v2, v7
	v_cvt_f16_f32_e32 v2, v2
	global_store_short v[0:1], v2, off
.LBB413_8:
	s_andn2_saveexec_b32 s2, s2
	s_cbranch_execz .LBB413_10
; %bb.9:
	v_mov_b32_e32 v2, 0x7e00
	global_store_short v[0:1], v2, off
.LBB413_10:
	s_or_b32 exec_lo, exec_lo, s1
	v_cmp_ne_u32_e32 vcc_lo, 1, v5
	s_and_b32 s0, vcc_lo, s0
	s_and_b32 exec_lo, exec_lo, s0
	s_cbranch_execz .LBB413_15
; %bb.11:
	s_mov_b32 s15, 0
	s_waitcnt lgkmcnt(0)
	v_add_f32_e32 v2, v4, v6
	s_lshl_b64 s[0:1], s[14:15], 1
	v_add_co_u32 v0, s0, v0, s0
	v_add_co_ci_u32_e64 v1, null, s1, v1, s0
	s_mov_b32 s0, exec_lo
	v_cmpx_neq_f32_e32 0, v2
	s_xor_b32 s0, exec_lo, s0
	s_cbranch_execz .LBB413_13
; %bb.12:
	v_div_scale_f32 v4, null, v2, v2, v3
	v_rcp_f32_e32 v5, v4
	v_fma_f32 v6, -v4, v5, 1.0
	v_fmac_f32_e32 v5, v6, v5
	v_div_scale_f32 v6, vcc_lo, v3, v2, v3
	v_mul_f32_e32 v7, v6, v5
	v_fma_f32 v8, -v4, v7, v6
	v_fmac_f32_e32 v7, v8, v5
	v_fma_f32 v4, -v4, v7, v6
	v_div_fmas_f32 v4, v4, v5, v7
	v_div_fixup_f32 v2, v4, v2, v3
	v_cvt_f16_f32_e32 v2, v2
	global_store_short v[0:1], v2, off
                                        ; implicit-def: $vgpr0_vgpr1
.LBB413_13:
	s_andn2_saveexec_b32 s0, s0
	s_cbranch_execz .LBB413_15
; %bb.14:
	v_mov_b32_e32 v2, 0x7e00
	global_store_short v[0:1], v2, off
.LBB413_15:
	s_endpgm
	.section	.rodata,"a",@progbits
	.p2align	6, 0x0
	.amdhsa_kernel _ZN12_GLOBAL__N_120softmax_warp_forwardIN3c104HalfES2_fLi3ELb0ELb0ELi32EEEvPT0_PKT_iiiPKbib
		.amdhsa_group_segment_fixed_size 0
		.amdhsa_private_segment_fixed_size 0
		.amdhsa_kernarg_size 304
		.amdhsa_user_sgpr_count 6
		.amdhsa_user_sgpr_private_segment_buffer 1
		.amdhsa_user_sgpr_dispatch_ptr 0
		.amdhsa_user_sgpr_queue_ptr 0
		.amdhsa_user_sgpr_kernarg_segment_ptr 1
		.amdhsa_user_sgpr_dispatch_id 0
		.amdhsa_user_sgpr_flat_scratch_init 0
		.amdhsa_user_sgpr_private_segment_size 0
		.amdhsa_wavefront_size32 1
		.amdhsa_uses_dynamic_stack 0
		.amdhsa_system_sgpr_private_segment_wavefront_offset 0
		.amdhsa_system_sgpr_workgroup_id_x 1
		.amdhsa_system_sgpr_workgroup_id_y 0
		.amdhsa_system_sgpr_workgroup_id_z 0
		.amdhsa_system_sgpr_workgroup_info 0
		.amdhsa_system_vgpr_workitem_id 1
		.amdhsa_next_free_vgpr 14
		.amdhsa_next_free_sgpr 16
		.amdhsa_reserve_vcc 1
		.amdhsa_reserve_flat_scratch 0
		.amdhsa_float_round_mode_32 0
		.amdhsa_float_round_mode_16_64 0
		.amdhsa_float_denorm_mode_32 3
		.amdhsa_float_denorm_mode_16_64 3
		.amdhsa_dx10_clamp 1
		.amdhsa_ieee_mode 1
		.amdhsa_fp16_overflow 0
		.amdhsa_workgroup_processor_mode 1
		.amdhsa_memory_ordered 1
		.amdhsa_forward_progress 1
		.amdhsa_shared_vgpr_count 0
		.amdhsa_exception_fp_ieee_invalid_op 0
		.amdhsa_exception_fp_denorm_src 0
		.amdhsa_exception_fp_ieee_div_zero 0
		.amdhsa_exception_fp_ieee_overflow 0
		.amdhsa_exception_fp_ieee_underflow 0
		.amdhsa_exception_fp_ieee_inexact 0
		.amdhsa_exception_int_div_zero 0
	.end_amdhsa_kernel
	.section	.text._ZN12_GLOBAL__N_120softmax_warp_forwardIN3c104HalfES2_fLi3ELb0ELb0ELi32EEEvPT0_PKT_iiiPKbib,"axG",@progbits,_ZN12_GLOBAL__N_120softmax_warp_forwardIN3c104HalfES2_fLi3ELb0ELb0ELi32EEEvPT0_PKT_iiiPKbib,comdat
.Lfunc_end413:
	.size	_ZN12_GLOBAL__N_120softmax_warp_forwardIN3c104HalfES2_fLi3ELb0ELb0ELi32EEEvPT0_PKT_iiiPKbib, .Lfunc_end413-_ZN12_GLOBAL__N_120softmax_warp_forwardIN3c104HalfES2_fLi3ELb0ELb0ELi32EEEvPT0_PKT_iiiPKbib
                                        ; -- End function
	.set _ZN12_GLOBAL__N_120softmax_warp_forwardIN3c104HalfES2_fLi3ELb0ELb0ELi32EEEvPT0_PKT_iiiPKbib.num_vgpr, 14
	.set _ZN12_GLOBAL__N_120softmax_warp_forwardIN3c104HalfES2_fLi3ELb0ELb0ELi32EEEvPT0_PKT_iiiPKbib.num_agpr, 0
	.set _ZN12_GLOBAL__N_120softmax_warp_forwardIN3c104HalfES2_fLi3ELb0ELb0ELi32EEEvPT0_PKT_iiiPKbib.numbered_sgpr, 16
	.set _ZN12_GLOBAL__N_120softmax_warp_forwardIN3c104HalfES2_fLi3ELb0ELb0ELi32EEEvPT0_PKT_iiiPKbib.num_named_barrier, 0
	.set _ZN12_GLOBAL__N_120softmax_warp_forwardIN3c104HalfES2_fLi3ELb0ELb0ELi32EEEvPT0_PKT_iiiPKbib.private_seg_size, 0
	.set _ZN12_GLOBAL__N_120softmax_warp_forwardIN3c104HalfES2_fLi3ELb0ELb0ELi32EEEvPT0_PKT_iiiPKbib.uses_vcc, 1
	.set _ZN12_GLOBAL__N_120softmax_warp_forwardIN3c104HalfES2_fLi3ELb0ELb0ELi32EEEvPT0_PKT_iiiPKbib.uses_flat_scratch, 0
	.set _ZN12_GLOBAL__N_120softmax_warp_forwardIN3c104HalfES2_fLi3ELb0ELb0ELi32EEEvPT0_PKT_iiiPKbib.has_dyn_sized_stack, 0
	.set _ZN12_GLOBAL__N_120softmax_warp_forwardIN3c104HalfES2_fLi3ELb0ELb0ELi32EEEvPT0_PKT_iiiPKbib.has_recursion, 0
	.set _ZN12_GLOBAL__N_120softmax_warp_forwardIN3c104HalfES2_fLi3ELb0ELb0ELi32EEEvPT0_PKT_iiiPKbib.has_indirect_call, 0
	.section	.AMDGPU.csdata,"",@progbits
; Kernel info:
; codeLenInByte = 1100
; TotalNumSgprs: 18
; NumVgprs: 14
; ScratchSize: 0
; MemoryBound: 0
; FloatMode: 240
; IeeeMode: 1
; LDSByteSize: 0 bytes/workgroup (compile time only)
; SGPRBlocks: 0
; VGPRBlocks: 1
; NumSGPRsForWavesPerEU: 18
; NumVGPRsForWavesPerEU: 14
; Occupancy: 16
; WaveLimiterHint : 0
; COMPUTE_PGM_RSRC2:SCRATCH_EN: 0
; COMPUTE_PGM_RSRC2:USER_SGPR: 6
; COMPUTE_PGM_RSRC2:TRAP_HANDLER: 0
; COMPUTE_PGM_RSRC2:TGID_X_EN: 1
; COMPUTE_PGM_RSRC2:TGID_Y_EN: 0
; COMPUTE_PGM_RSRC2:TGID_Z_EN: 0
; COMPUTE_PGM_RSRC2:TIDIG_COMP_CNT: 1
	.section	.text._ZN12_GLOBAL__N_120softmax_warp_forwardIN3c104HalfES2_fLi4ELb0ELb0ELi64EEEvPT0_PKT_iiiPKbib,"axG",@progbits,_ZN12_GLOBAL__N_120softmax_warp_forwardIN3c104HalfES2_fLi4ELb0ELb0ELi64EEEvPT0_PKT_iiiPKbib,comdat
	.globl	_ZN12_GLOBAL__N_120softmax_warp_forwardIN3c104HalfES2_fLi4ELb0ELb0ELi64EEEvPT0_PKT_iiiPKbib ; -- Begin function _ZN12_GLOBAL__N_120softmax_warp_forwardIN3c104HalfES2_fLi4ELb0ELb0ELi64EEEvPT0_PKT_iiiPKbib
	.p2align	8
	.type	_ZN12_GLOBAL__N_120softmax_warp_forwardIN3c104HalfES2_fLi4ELb0ELb0ELi64EEEvPT0_PKT_iiiPKbib,@function
_ZN12_GLOBAL__N_120softmax_warp_forwardIN3c104HalfES2_fLi4ELb0ELb0ELi64EEEvPT0_PKT_iiiPKbib: ; @_ZN12_GLOBAL__N_120softmax_warp_forwardIN3c104HalfES2_fLi4ELb0ELb0ELi64EEEvPT0_PKT_iiiPKbib
; %bb.0:
	s_clause 0x1
	s_load_dword s0, s[4:5], 0x3c
	s_load_dwordx8 s[8:15], s[4:5], 0x0
	v_mov_b32_e32 v6, 0xff800000
	s_waitcnt lgkmcnt(0)
	s_lshr_b32 s0, s0, 16
	s_and_b32 s0, s0, 0xffff
	s_mul_i32 s6, s6, s0
	v_cmp_gt_i32_e64 s0, s14, v0
	v_add_lshl_u32 v3, s6, v1, 1
	v_mad_u64_u32 v[1:2], null, v3, s13, v[0:1]
	v_sub_nc_u32_e32 v5, s12, v3
	v_mov_b32_e32 v0, 0xff800000
	v_cmp_lt_i32_e32 vcc_lo, 0, v5
	v_ashrrev_i32_e32 v2, 31, v1
	s_and_b32 s2, s0, vcc_lo
	v_lshlrev_b64 v[1:2], 1, v[1:2]
	v_add_co_u32 v3, s1, s10, v1
	v_add_co_ci_u32_e64 v4, null, s11, v2, s1
	s_and_saveexec_b32 s1, s2
	s_cbranch_execz .LBB414_2
; %bb.1:
	global_load_ushort v0, v[3:4], off
	s_waitcnt vmcnt(0)
	v_cvt_f32_f16_e32 v0, v0
.LBB414_2:
	s_or_b32 exec_lo, exec_lo, s1
	v_cmp_lt_i32_e64 s1, 1, v5
	s_and_b32 s1, s0, s1
	s_and_saveexec_b32 s2, s1
	s_cbranch_execz .LBB414_4
; %bb.3:
	s_mov_b32 s15, 0
	s_lshl_b64 s[4:5], s[14:15], 1
	v_add_co_u32 v3, s1, v3, s4
	v_add_co_ci_u32_e64 v4, null, s5, v4, s1
	global_load_ushort v3, v[3:4], off
	s_waitcnt vmcnt(0)
	v_cvt_f32_f16_e32 v6, v3
.LBB414_4:
	s_or_b32 exec_lo, exec_lo, s2
	v_mbcnt_lo_u32_b32 v3, -1, 0
	v_and_b32_e32 v4, 16, v3
	v_xor_b32_e32 v7, 8, v3
	v_xor_b32_e32 v10, 4, v3
	;; [unrolled: 1-line block ×4, first 2 shown]
	v_add_nc_u32_e32 v4, 16, v4
	v_cmp_lt_i32_e64 s1, v7, v4
	v_cndmask_b32_e64 v7, v3, v7, s1
	v_cmp_lt_i32_e64 s1, v10, v4
	v_lshlrev_b32_e32 v8, 2, v7
	v_cndmask_b32_e64 v10, v3, v10, s1
	ds_bpermute_b32 v7, v8, v0
	ds_bpermute_b32 v9, v8, v6
	v_lshlrev_b32_e32 v10, 2, v10
	s_waitcnt lgkmcnt(1)
	v_cmp_lt_f32_e64 s1, v0, v7
	v_cndmask_b32_e64 v7, v0, v7, s1
	s_waitcnt lgkmcnt(0)
	v_cmp_lt_f32_e64 s1, v6, v9
	ds_bpermute_b32 v11, v10, v7
	v_cndmask_b32_e64 v9, v6, v9, s1
	v_cmp_lt_i32_e64 s1, v13, v4
	ds_bpermute_b32 v12, v10, v9
	v_cndmask_b32_e64 v13, v3, v13, s1
	v_lshlrev_b32_e32 v13, 2, v13
	s_waitcnt lgkmcnt(1)
	v_cmp_lt_f32_e64 s1, v7, v11
	v_cndmask_b32_e64 v7, v7, v11, s1
	s_waitcnt lgkmcnt(0)
	v_cmp_lt_f32_e64 s1, v9, v12
	ds_bpermute_b32 v11, v13, v7
	v_cndmask_b32_e64 v9, v9, v12, s1
	v_cmp_lt_i32_e64 s1, v14, v4
	ds_bpermute_b32 v12, v13, v9
	v_cndmask_b32_e64 v3, v3, v14, s1
	v_lshlrev_b32_e32 v14, 2, v3
	s_waitcnt lgkmcnt(1)
	v_cmp_lt_f32_e64 s1, v7, v11
	v_cndmask_b32_e64 v3, v7, v11, s1
	s_waitcnt lgkmcnt(0)
	v_cmp_lt_f32_e64 s1, v9, v12
	ds_bpermute_b32 v7, v14, v3
	v_cndmask_b32_e64 v4, v9, v12, s1
	ds_bpermute_b32 v9, v14, v4
	s_waitcnt lgkmcnt(1)
	v_cmp_lt_f32_e64 s1, v3, v7
	v_cndmask_b32_e64 v3, v3, v7, s1
	s_waitcnt lgkmcnt(0)
	v_cmp_lt_f32_e64 s1, v4, v9
	v_sub_f32_e32 v0, v0, v3
	v_cndmask_b32_e64 v4, v4, v9, s1
	v_cmp_ngt_f32_e64 s1, 0xc2ce8ed0, v0
	v_sub_f32_e32 v3, v6, v4
	v_mul_f32_e32 v4, 0x3fb8aa3b, v0
	v_mul_f32_e32 v6, 0x3fb8aa3b, v3
	v_fma_f32 v7, 0x3fb8aa3b, v0, -v4
	v_rndne_f32_e32 v9, v4
	v_fma_f32 v11, 0x3fb8aa3b, v3, -v6
	v_rndne_f32_e32 v12, v6
	v_fmac_f32_e32 v7, 0x32a5705f, v0
	v_sub_f32_e32 v4, v4, v9
	v_fmac_f32_e32 v11, 0x32a5705f, v3
	v_sub_f32_e32 v6, v6, v12
	v_add_f32_e32 v4, v4, v7
	v_cvt_i32_f32_e32 v7, v9
	v_cvt_i32_f32_e32 v9, v12
	v_add_f32_e32 v6, v6, v11
	v_exp_f32_e32 v4, v4
	v_exp_f32_e32 v6, v6
	v_ldexp_f32 v4, v4, v7
	v_ldexp_f32 v6, v6, v9
	v_cndmask_b32_e64 v4, 0, v4, s1
	v_cmp_ngt_f32_e64 s1, 0xc2ce8ed0, v3
	v_cndmask_b32_e64 v6, 0, v6, s1
	v_cmp_nlt_f32_e64 s1, 0x42b17218, v0
	v_cndmask_b32_e64 v7, 0x7f800000, v4, s1
	v_cmp_nlt_f32_e64 s1, 0x42b17218, v3
	ds_bpermute_b32 v0, v8, v7
	v_cndmask_b32_e64 v3, 0x7f800000, v6, s1
	ds_bpermute_b32 v4, v8, v3
	s_waitcnt lgkmcnt(1)
	v_add_f32_e32 v0, v7, v0
	ds_bpermute_b32 v6, v10, v0
	s_waitcnt lgkmcnt(1)
	v_add_f32_e32 v4, v3, v4
	ds_bpermute_b32 v8, v10, v4
	s_waitcnt lgkmcnt(1)
	v_add_f32_e32 v0, v0, v6
	ds_bpermute_b32 v6, v13, v0
	s_waitcnt lgkmcnt(1)
	v_add_f32_e32 v4, v4, v8
	ds_bpermute_b32 v9, v13, v4
	s_waitcnt lgkmcnt(1)
	v_add_f32_e32 v8, v0, v6
	s_waitcnt lgkmcnt(0)
	v_add_f32_e32 v4, v4, v9
	ds_bpermute_b32 v9, v14, v8
	ds_bpermute_b32 v6, v14, v4
	s_and_saveexec_b32 s1, vcc_lo
	s_cbranch_execz .LBB414_15
; %bb.5:
	v_add_co_u32 v0, vcc_lo, s8, v1
	v_add_co_ci_u32_e64 v1, null, s9, v2, vcc_lo
	s_and_saveexec_b32 s1, s0
	s_cbranch_execz .LBB414_10
; %bb.6:
	s_waitcnt lgkmcnt(1)
	v_add_f32_e32 v2, v8, v9
	s_mov_b32 s2, exec_lo
	v_cmpx_neq_f32_e32 0, v2
	s_xor_b32 s2, exec_lo, s2
	s_cbranch_execz .LBB414_8
; %bb.7:
	v_div_scale_f32 v8, null, v2, v2, v7
	v_rcp_f32_e32 v9, v8
	v_fma_f32 v10, -v8, v9, 1.0
	v_fmac_f32_e32 v9, v10, v9
	v_div_scale_f32 v10, vcc_lo, v7, v2, v7
	v_mul_f32_e32 v11, v10, v9
	v_fma_f32 v12, -v8, v11, v10
	v_fmac_f32_e32 v11, v12, v9
	v_fma_f32 v8, -v8, v11, v10
	v_div_fmas_f32 v8, v8, v9, v11
	v_div_fixup_f32 v2, v8, v2, v7
	v_cvt_f16_f32_e32 v2, v2
	global_store_short v[0:1], v2, off
.LBB414_8:
	s_andn2_saveexec_b32 s2, s2
	s_cbranch_execz .LBB414_10
; %bb.9:
	v_mov_b32_e32 v2, 0x7e00
	global_store_short v[0:1], v2, off
.LBB414_10:
	s_or_b32 exec_lo, exec_lo, s1
	v_cmp_ne_u32_e32 vcc_lo, 1, v5
	s_and_b32 s0, vcc_lo, s0
	s_and_b32 exec_lo, exec_lo, s0
	s_cbranch_execz .LBB414_15
; %bb.11:
	s_mov_b32 s15, 0
	s_waitcnt lgkmcnt(0)
	v_add_f32_e32 v2, v4, v6
	s_lshl_b64 s[0:1], s[14:15], 1
	v_add_co_u32 v0, s0, v0, s0
	v_add_co_ci_u32_e64 v1, null, s1, v1, s0
	s_mov_b32 s0, exec_lo
	v_cmpx_neq_f32_e32 0, v2
	s_xor_b32 s0, exec_lo, s0
	s_cbranch_execz .LBB414_13
; %bb.12:
	v_div_scale_f32 v4, null, v2, v2, v3
	v_rcp_f32_e32 v5, v4
	v_fma_f32 v6, -v4, v5, 1.0
	v_fmac_f32_e32 v5, v6, v5
	v_div_scale_f32 v6, vcc_lo, v3, v2, v3
	v_mul_f32_e32 v7, v6, v5
	v_fma_f32 v8, -v4, v7, v6
	v_fmac_f32_e32 v7, v8, v5
	v_fma_f32 v4, -v4, v7, v6
	v_div_fmas_f32 v4, v4, v5, v7
	v_div_fixup_f32 v2, v4, v2, v3
	v_cvt_f16_f32_e32 v2, v2
	global_store_short v[0:1], v2, off
                                        ; implicit-def: $vgpr0_vgpr1
.LBB414_13:
	s_andn2_saveexec_b32 s0, s0
	s_cbranch_execz .LBB414_15
; %bb.14:
	v_mov_b32_e32 v2, 0x7e00
	global_store_short v[0:1], v2, off
.LBB414_15:
	s_endpgm
	.section	.rodata,"a",@progbits
	.p2align	6, 0x0
	.amdhsa_kernel _ZN12_GLOBAL__N_120softmax_warp_forwardIN3c104HalfES2_fLi4ELb0ELb0ELi64EEEvPT0_PKT_iiiPKbib
		.amdhsa_group_segment_fixed_size 0
		.amdhsa_private_segment_fixed_size 0
		.amdhsa_kernarg_size 304
		.amdhsa_user_sgpr_count 6
		.amdhsa_user_sgpr_private_segment_buffer 1
		.amdhsa_user_sgpr_dispatch_ptr 0
		.amdhsa_user_sgpr_queue_ptr 0
		.amdhsa_user_sgpr_kernarg_segment_ptr 1
		.amdhsa_user_sgpr_dispatch_id 0
		.amdhsa_user_sgpr_flat_scratch_init 0
		.amdhsa_user_sgpr_private_segment_size 0
		.amdhsa_wavefront_size32 1
		.amdhsa_uses_dynamic_stack 0
		.amdhsa_system_sgpr_private_segment_wavefront_offset 0
		.amdhsa_system_sgpr_workgroup_id_x 1
		.amdhsa_system_sgpr_workgroup_id_y 0
		.amdhsa_system_sgpr_workgroup_id_z 0
		.amdhsa_system_sgpr_workgroup_info 0
		.amdhsa_system_vgpr_workitem_id 1
		.amdhsa_next_free_vgpr 15
		.amdhsa_next_free_sgpr 16
		.amdhsa_reserve_vcc 1
		.amdhsa_reserve_flat_scratch 0
		.amdhsa_float_round_mode_32 0
		.amdhsa_float_round_mode_16_64 0
		.amdhsa_float_denorm_mode_32 3
		.amdhsa_float_denorm_mode_16_64 3
		.amdhsa_dx10_clamp 1
		.amdhsa_ieee_mode 1
		.amdhsa_fp16_overflow 0
		.amdhsa_workgroup_processor_mode 1
		.amdhsa_memory_ordered 1
		.amdhsa_forward_progress 1
		.amdhsa_shared_vgpr_count 0
		.amdhsa_exception_fp_ieee_invalid_op 0
		.amdhsa_exception_fp_denorm_src 0
		.amdhsa_exception_fp_ieee_div_zero 0
		.amdhsa_exception_fp_ieee_overflow 0
		.amdhsa_exception_fp_ieee_underflow 0
		.amdhsa_exception_fp_ieee_inexact 0
		.amdhsa_exception_int_div_zero 0
	.end_amdhsa_kernel
	.section	.text._ZN12_GLOBAL__N_120softmax_warp_forwardIN3c104HalfES2_fLi4ELb0ELb0ELi64EEEvPT0_PKT_iiiPKbib,"axG",@progbits,_ZN12_GLOBAL__N_120softmax_warp_forwardIN3c104HalfES2_fLi4ELb0ELb0ELi64EEEvPT0_PKT_iiiPKbib,comdat
.Lfunc_end414:
	.size	_ZN12_GLOBAL__N_120softmax_warp_forwardIN3c104HalfES2_fLi4ELb0ELb0ELi64EEEvPT0_PKT_iiiPKbib, .Lfunc_end414-_ZN12_GLOBAL__N_120softmax_warp_forwardIN3c104HalfES2_fLi4ELb0ELb0ELi64EEEvPT0_PKT_iiiPKbib
                                        ; -- End function
	.set _ZN12_GLOBAL__N_120softmax_warp_forwardIN3c104HalfES2_fLi4ELb0ELb0ELi64EEEvPT0_PKT_iiiPKbib.num_vgpr, 15
	.set _ZN12_GLOBAL__N_120softmax_warp_forwardIN3c104HalfES2_fLi4ELb0ELb0ELi64EEEvPT0_PKT_iiiPKbib.num_agpr, 0
	.set _ZN12_GLOBAL__N_120softmax_warp_forwardIN3c104HalfES2_fLi4ELb0ELb0ELi64EEEvPT0_PKT_iiiPKbib.numbered_sgpr, 16
	.set _ZN12_GLOBAL__N_120softmax_warp_forwardIN3c104HalfES2_fLi4ELb0ELb0ELi64EEEvPT0_PKT_iiiPKbib.num_named_barrier, 0
	.set _ZN12_GLOBAL__N_120softmax_warp_forwardIN3c104HalfES2_fLi4ELb0ELb0ELi64EEEvPT0_PKT_iiiPKbib.private_seg_size, 0
	.set _ZN12_GLOBAL__N_120softmax_warp_forwardIN3c104HalfES2_fLi4ELb0ELb0ELi64EEEvPT0_PKT_iiiPKbib.uses_vcc, 1
	.set _ZN12_GLOBAL__N_120softmax_warp_forwardIN3c104HalfES2_fLi4ELb0ELb0ELi64EEEvPT0_PKT_iiiPKbib.uses_flat_scratch, 0
	.set _ZN12_GLOBAL__N_120softmax_warp_forwardIN3c104HalfES2_fLi4ELb0ELb0ELi64EEEvPT0_PKT_iiiPKbib.has_dyn_sized_stack, 0
	.set _ZN12_GLOBAL__N_120softmax_warp_forwardIN3c104HalfES2_fLi4ELb0ELb0ELi64EEEvPT0_PKT_iiiPKbib.has_recursion, 0
	.set _ZN12_GLOBAL__N_120softmax_warp_forwardIN3c104HalfES2_fLi4ELb0ELb0ELi64EEEvPT0_PKT_iiiPKbib.has_indirect_call, 0
	.section	.AMDGPU.csdata,"",@progbits
; Kernel info:
; codeLenInByte = 1212
; TotalNumSgprs: 18
; NumVgprs: 15
; ScratchSize: 0
; MemoryBound: 0
; FloatMode: 240
; IeeeMode: 1
; LDSByteSize: 0 bytes/workgroup (compile time only)
; SGPRBlocks: 0
; VGPRBlocks: 1
; NumSGPRsForWavesPerEU: 18
; NumVGPRsForWavesPerEU: 15
; Occupancy: 16
; WaveLimiterHint : 0
; COMPUTE_PGM_RSRC2:SCRATCH_EN: 0
; COMPUTE_PGM_RSRC2:USER_SGPR: 6
; COMPUTE_PGM_RSRC2:TRAP_HANDLER: 0
; COMPUTE_PGM_RSRC2:TGID_X_EN: 1
; COMPUTE_PGM_RSRC2:TGID_Y_EN: 0
; COMPUTE_PGM_RSRC2:TGID_Z_EN: 0
; COMPUTE_PGM_RSRC2:TIDIG_COMP_CNT: 1
	.section	.text._ZN12_GLOBAL__N_120softmax_warp_forwardIN3c104HalfES2_fLi4ELb0ELb0ELi32EEEvPT0_PKT_iiiPKbib,"axG",@progbits,_ZN12_GLOBAL__N_120softmax_warp_forwardIN3c104HalfES2_fLi4ELb0ELb0ELi32EEEvPT0_PKT_iiiPKbib,comdat
	.globl	_ZN12_GLOBAL__N_120softmax_warp_forwardIN3c104HalfES2_fLi4ELb0ELb0ELi32EEEvPT0_PKT_iiiPKbib ; -- Begin function _ZN12_GLOBAL__N_120softmax_warp_forwardIN3c104HalfES2_fLi4ELb0ELb0ELi32EEEvPT0_PKT_iiiPKbib
	.p2align	8
	.type	_ZN12_GLOBAL__N_120softmax_warp_forwardIN3c104HalfES2_fLi4ELb0ELb0ELi32EEEvPT0_PKT_iiiPKbib,@function
_ZN12_GLOBAL__N_120softmax_warp_forwardIN3c104HalfES2_fLi4ELb0ELb0ELi32EEEvPT0_PKT_iiiPKbib: ; @_ZN12_GLOBAL__N_120softmax_warp_forwardIN3c104HalfES2_fLi4ELb0ELb0ELi32EEEvPT0_PKT_iiiPKbib
; %bb.0:
	s_clause 0x1
	s_load_dword s0, s[4:5], 0x3c
	s_load_dwordx8 s[8:15], s[4:5], 0x0
	v_mov_b32_e32 v6, 0xff800000
	s_waitcnt lgkmcnt(0)
	s_lshr_b32 s0, s0, 16
	s_and_b32 s0, s0, 0xffff
	s_mul_i32 s6, s6, s0
	v_cmp_gt_i32_e64 s0, s14, v0
	v_add_lshl_u32 v3, s6, v1, 1
	v_mad_u64_u32 v[1:2], null, v3, s13, v[0:1]
	v_sub_nc_u32_e32 v5, s12, v3
	v_mov_b32_e32 v0, 0xff800000
	v_cmp_lt_i32_e32 vcc_lo, 0, v5
	v_ashrrev_i32_e32 v2, 31, v1
	s_and_b32 s2, s0, vcc_lo
	v_lshlrev_b64 v[1:2], 1, v[1:2]
	v_add_co_u32 v3, s1, s10, v1
	v_add_co_ci_u32_e64 v4, null, s11, v2, s1
	s_and_saveexec_b32 s1, s2
	s_cbranch_execz .LBB415_2
; %bb.1:
	global_load_ushort v0, v[3:4], off
	s_waitcnt vmcnt(0)
	v_cvt_f32_f16_e32 v0, v0
.LBB415_2:
	s_or_b32 exec_lo, exec_lo, s1
	v_cmp_lt_i32_e64 s1, 1, v5
	s_and_b32 s1, s0, s1
	s_and_saveexec_b32 s2, s1
	s_cbranch_execz .LBB415_4
; %bb.3:
	s_mov_b32 s15, 0
	s_lshl_b64 s[4:5], s[14:15], 1
	v_add_co_u32 v3, s1, v3, s4
	v_add_co_ci_u32_e64 v4, null, s5, v4, s1
	global_load_ushort v3, v[3:4], off
	s_waitcnt vmcnt(0)
	v_cvt_f32_f16_e32 v6, v3
.LBB415_4:
	s_or_b32 exec_lo, exec_lo, s2
	v_mbcnt_lo_u32_b32 v3, -1, 0
	v_and_b32_e32 v4, 16, v3
	v_xor_b32_e32 v7, 8, v3
	v_xor_b32_e32 v10, 4, v3
	;; [unrolled: 1-line block ×4, first 2 shown]
	v_add_nc_u32_e32 v4, 16, v4
	v_cmp_lt_i32_e64 s1, v7, v4
	v_cndmask_b32_e64 v7, v3, v7, s1
	v_cmp_lt_i32_e64 s1, v10, v4
	v_lshlrev_b32_e32 v8, 2, v7
	v_cndmask_b32_e64 v10, v3, v10, s1
	ds_bpermute_b32 v7, v8, v0
	ds_bpermute_b32 v9, v8, v6
	v_lshlrev_b32_e32 v10, 2, v10
	s_waitcnt lgkmcnt(1)
	v_cmp_lt_f32_e64 s1, v0, v7
	v_cndmask_b32_e64 v7, v0, v7, s1
	s_waitcnt lgkmcnt(0)
	v_cmp_lt_f32_e64 s1, v6, v9
	ds_bpermute_b32 v11, v10, v7
	v_cndmask_b32_e64 v9, v6, v9, s1
	v_cmp_lt_i32_e64 s1, v13, v4
	ds_bpermute_b32 v12, v10, v9
	v_cndmask_b32_e64 v13, v3, v13, s1
	v_lshlrev_b32_e32 v13, 2, v13
	s_waitcnt lgkmcnt(1)
	v_cmp_lt_f32_e64 s1, v7, v11
	v_cndmask_b32_e64 v7, v7, v11, s1
	s_waitcnt lgkmcnt(0)
	v_cmp_lt_f32_e64 s1, v9, v12
	ds_bpermute_b32 v11, v13, v7
	v_cndmask_b32_e64 v9, v9, v12, s1
	v_cmp_lt_i32_e64 s1, v14, v4
	ds_bpermute_b32 v12, v13, v9
	v_cndmask_b32_e64 v3, v3, v14, s1
	v_lshlrev_b32_e32 v14, 2, v3
	s_waitcnt lgkmcnt(1)
	v_cmp_lt_f32_e64 s1, v7, v11
	v_cndmask_b32_e64 v3, v7, v11, s1
	s_waitcnt lgkmcnt(0)
	v_cmp_lt_f32_e64 s1, v9, v12
	ds_bpermute_b32 v7, v14, v3
	v_cndmask_b32_e64 v4, v9, v12, s1
	ds_bpermute_b32 v9, v14, v4
	s_waitcnt lgkmcnt(1)
	v_cmp_lt_f32_e64 s1, v3, v7
	v_cndmask_b32_e64 v3, v3, v7, s1
	s_waitcnt lgkmcnt(0)
	v_cmp_lt_f32_e64 s1, v4, v9
	v_sub_f32_e32 v0, v0, v3
	v_cndmask_b32_e64 v4, v4, v9, s1
	v_cmp_ngt_f32_e64 s1, 0xc2ce8ed0, v0
	v_sub_f32_e32 v3, v6, v4
	v_mul_f32_e32 v4, 0x3fb8aa3b, v0
	v_mul_f32_e32 v6, 0x3fb8aa3b, v3
	v_fma_f32 v7, 0x3fb8aa3b, v0, -v4
	v_rndne_f32_e32 v9, v4
	v_fma_f32 v11, 0x3fb8aa3b, v3, -v6
	v_rndne_f32_e32 v12, v6
	v_fmac_f32_e32 v7, 0x32a5705f, v0
	v_sub_f32_e32 v4, v4, v9
	v_fmac_f32_e32 v11, 0x32a5705f, v3
	v_sub_f32_e32 v6, v6, v12
	v_add_f32_e32 v4, v4, v7
	v_cvt_i32_f32_e32 v7, v9
	v_cvt_i32_f32_e32 v9, v12
	v_add_f32_e32 v6, v6, v11
	v_exp_f32_e32 v4, v4
	v_exp_f32_e32 v6, v6
	v_ldexp_f32 v4, v4, v7
	v_ldexp_f32 v6, v6, v9
	v_cndmask_b32_e64 v4, 0, v4, s1
	v_cmp_ngt_f32_e64 s1, 0xc2ce8ed0, v3
	v_cndmask_b32_e64 v6, 0, v6, s1
	v_cmp_nlt_f32_e64 s1, 0x42b17218, v0
	v_cndmask_b32_e64 v7, 0x7f800000, v4, s1
	v_cmp_nlt_f32_e64 s1, 0x42b17218, v3
	ds_bpermute_b32 v0, v8, v7
	v_cndmask_b32_e64 v3, 0x7f800000, v6, s1
	ds_bpermute_b32 v4, v8, v3
	s_waitcnt lgkmcnt(1)
	v_add_f32_e32 v0, v7, v0
	ds_bpermute_b32 v6, v10, v0
	s_waitcnt lgkmcnt(1)
	v_add_f32_e32 v4, v3, v4
	;; [unrolled: 3-line block ×5, first 2 shown]
	s_waitcnt lgkmcnt(0)
	v_add_f32_e32 v4, v4, v9
	ds_bpermute_b32 v9, v14, v8
	ds_bpermute_b32 v6, v14, v4
	s_and_saveexec_b32 s1, vcc_lo
	s_cbranch_execz .LBB415_15
; %bb.5:
	v_add_co_u32 v0, vcc_lo, s8, v1
	v_add_co_ci_u32_e64 v1, null, s9, v2, vcc_lo
	s_and_saveexec_b32 s1, s0
	s_cbranch_execz .LBB415_10
; %bb.6:
	s_waitcnt lgkmcnt(1)
	v_add_f32_e32 v2, v8, v9
	s_mov_b32 s2, exec_lo
	v_cmpx_neq_f32_e32 0, v2
	s_xor_b32 s2, exec_lo, s2
	s_cbranch_execz .LBB415_8
; %bb.7:
	v_div_scale_f32 v8, null, v2, v2, v7
	v_rcp_f32_e32 v9, v8
	v_fma_f32 v10, -v8, v9, 1.0
	v_fmac_f32_e32 v9, v10, v9
	v_div_scale_f32 v10, vcc_lo, v7, v2, v7
	v_mul_f32_e32 v11, v10, v9
	v_fma_f32 v12, -v8, v11, v10
	v_fmac_f32_e32 v11, v12, v9
	v_fma_f32 v8, -v8, v11, v10
	v_div_fmas_f32 v8, v8, v9, v11
	v_div_fixup_f32 v2, v8, v2, v7
	v_cvt_f16_f32_e32 v2, v2
	global_store_short v[0:1], v2, off
.LBB415_8:
	s_andn2_saveexec_b32 s2, s2
	s_cbranch_execz .LBB415_10
; %bb.9:
	v_mov_b32_e32 v2, 0x7e00
	global_store_short v[0:1], v2, off
.LBB415_10:
	s_or_b32 exec_lo, exec_lo, s1
	v_cmp_ne_u32_e32 vcc_lo, 1, v5
	s_and_b32 s0, vcc_lo, s0
	s_and_b32 exec_lo, exec_lo, s0
	s_cbranch_execz .LBB415_15
; %bb.11:
	s_mov_b32 s15, 0
	s_waitcnt lgkmcnt(0)
	v_add_f32_e32 v2, v4, v6
	s_lshl_b64 s[0:1], s[14:15], 1
	v_add_co_u32 v0, s0, v0, s0
	v_add_co_ci_u32_e64 v1, null, s1, v1, s0
	s_mov_b32 s0, exec_lo
	v_cmpx_neq_f32_e32 0, v2
	s_xor_b32 s0, exec_lo, s0
	s_cbranch_execz .LBB415_13
; %bb.12:
	v_div_scale_f32 v4, null, v2, v2, v3
	v_rcp_f32_e32 v5, v4
	v_fma_f32 v6, -v4, v5, 1.0
	v_fmac_f32_e32 v5, v6, v5
	v_div_scale_f32 v6, vcc_lo, v3, v2, v3
	v_mul_f32_e32 v7, v6, v5
	v_fma_f32 v8, -v4, v7, v6
	v_fmac_f32_e32 v7, v8, v5
	v_fma_f32 v4, -v4, v7, v6
	v_div_fmas_f32 v4, v4, v5, v7
	v_div_fixup_f32 v2, v4, v2, v3
	v_cvt_f16_f32_e32 v2, v2
	global_store_short v[0:1], v2, off
                                        ; implicit-def: $vgpr0_vgpr1
.LBB415_13:
	s_andn2_saveexec_b32 s0, s0
	s_cbranch_execz .LBB415_15
; %bb.14:
	v_mov_b32_e32 v2, 0x7e00
	global_store_short v[0:1], v2, off
.LBB415_15:
	s_endpgm
	.section	.rodata,"a",@progbits
	.p2align	6, 0x0
	.amdhsa_kernel _ZN12_GLOBAL__N_120softmax_warp_forwardIN3c104HalfES2_fLi4ELb0ELb0ELi32EEEvPT0_PKT_iiiPKbib
		.amdhsa_group_segment_fixed_size 0
		.amdhsa_private_segment_fixed_size 0
		.amdhsa_kernarg_size 304
		.amdhsa_user_sgpr_count 6
		.amdhsa_user_sgpr_private_segment_buffer 1
		.amdhsa_user_sgpr_dispatch_ptr 0
		.amdhsa_user_sgpr_queue_ptr 0
		.amdhsa_user_sgpr_kernarg_segment_ptr 1
		.amdhsa_user_sgpr_dispatch_id 0
		.amdhsa_user_sgpr_flat_scratch_init 0
		.amdhsa_user_sgpr_private_segment_size 0
		.amdhsa_wavefront_size32 1
		.amdhsa_uses_dynamic_stack 0
		.amdhsa_system_sgpr_private_segment_wavefront_offset 0
		.amdhsa_system_sgpr_workgroup_id_x 1
		.amdhsa_system_sgpr_workgroup_id_y 0
		.amdhsa_system_sgpr_workgroup_id_z 0
		.amdhsa_system_sgpr_workgroup_info 0
		.amdhsa_system_vgpr_workitem_id 1
		.amdhsa_next_free_vgpr 15
		.amdhsa_next_free_sgpr 16
		.amdhsa_reserve_vcc 1
		.amdhsa_reserve_flat_scratch 0
		.amdhsa_float_round_mode_32 0
		.amdhsa_float_round_mode_16_64 0
		.amdhsa_float_denorm_mode_32 3
		.amdhsa_float_denorm_mode_16_64 3
		.amdhsa_dx10_clamp 1
		.amdhsa_ieee_mode 1
		.amdhsa_fp16_overflow 0
		.amdhsa_workgroup_processor_mode 1
		.amdhsa_memory_ordered 1
		.amdhsa_forward_progress 1
		.amdhsa_shared_vgpr_count 0
		.amdhsa_exception_fp_ieee_invalid_op 0
		.amdhsa_exception_fp_denorm_src 0
		.amdhsa_exception_fp_ieee_div_zero 0
		.amdhsa_exception_fp_ieee_overflow 0
		.amdhsa_exception_fp_ieee_underflow 0
		.amdhsa_exception_fp_ieee_inexact 0
		.amdhsa_exception_int_div_zero 0
	.end_amdhsa_kernel
	.section	.text._ZN12_GLOBAL__N_120softmax_warp_forwardIN3c104HalfES2_fLi4ELb0ELb0ELi32EEEvPT0_PKT_iiiPKbib,"axG",@progbits,_ZN12_GLOBAL__N_120softmax_warp_forwardIN3c104HalfES2_fLi4ELb0ELb0ELi32EEEvPT0_PKT_iiiPKbib,comdat
.Lfunc_end415:
	.size	_ZN12_GLOBAL__N_120softmax_warp_forwardIN3c104HalfES2_fLi4ELb0ELb0ELi32EEEvPT0_PKT_iiiPKbib, .Lfunc_end415-_ZN12_GLOBAL__N_120softmax_warp_forwardIN3c104HalfES2_fLi4ELb0ELb0ELi32EEEvPT0_PKT_iiiPKbib
                                        ; -- End function
	.set _ZN12_GLOBAL__N_120softmax_warp_forwardIN3c104HalfES2_fLi4ELb0ELb0ELi32EEEvPT0_PKT_iiiPKbib.num_vgpr, 15
	.set _ZN12_GLOBAL__N_120softmax_warp_forwardIN3c104HalfES2_fLi4ELb0ELb0ELi32EEEvPT0_PKT_iiiPKbib.num_agpr, 0
	.set _ZN12_GLOBAL__N_120softmax_warp_forwardIN3c104HalfES2_fLi4ELb0ELb0ELi32EEEvPT0_PKT_iiiPKbib.numbered_sgpr, 16
	.set _ZN12_GLOBAL__N_120softmax_warp_forwardIN3c104HalfES2_fLi4ELb0ELb0ELi32EEEvPT0_PKT_iiiPKbib.num_named_barrier, 0
	.set _ZN12_GLOBAL__N_120softmax_warp_forwardIN3c104HalfES2_fLi4ELb0ELb0ELi32EEEvPT0_PKT_iiiPKbib.private_seg_size, 0
	.set _ZN12_GLOBAL__N_120softmax_warp_forwardIN3c104HalfES2_fLi4ELb0ELb0ELi32EEEvPT0_PKT_iiiPKbib.uses_vcc, 1
	.set _ZN12_GLOBAL__N_120softmax_warp_forwardIN3c104HalfES2_fLi4ELb0ELb0ELi32EEEvPT0_PKT_iiiPKbib.uses_flat_scratch, 0
	.set _ZN12_GLOBAL__N_120softmax_warp_forwardIN3c104HalfES2_fLi4ELb0ELb0ELi32EEEvPT0_PKT_iiiPKbib.has_dyn_sized_stack, 0
	.set _ZN12_GLOBAL__N_120softmax_warp_forwardIN3c104HalfES2_fLi4ELb0ELb0ELi32EEEvPT0_PKT_iiiPKbib.has_recursion, 0
	.set _ZN12_GLOBAL__N_120softmax_warp_forwardIN3c104HalfES2_fLi4ELb0ELb0ELi32EEEvPT0_PKT_iiiPKbib.has_indirect_call, 0
	.section	.AMDGPU.csdata,"",@progbits
; Kernel info:
; codeLenInByte = 1212
; TotalNumSgprs: 18
; NumVgprs: 15
; ScratchSize: 0
; MemoryBound: 0
; FloatMode: 240
; IeeeMode: 1
; LDSByteSize: 0 bytes/workgroup (compile time only)
; SGPRBlocks: 0
; VGPRBlocks: 1
; NumSGPRsForWavesPerEU: 18
; NumVGPRsForWavesPerEU: 15
; Occupancy: 16
; WaveLimiterHint : 0
; COMPUTE_PGM_RSRC2:SCRATCH_EN: 0
; COMPUTE_PGM_RSRC2:USER_SGPR: 6
; COMPUTE_PGM_RSRC2:TRAP_HANDLER: 0
; COMPUTE_PGM_RSRC2:TGID_X_EN: 1
; COMPUTE_PGM_RSRC2:TGID_Y_EN: 0
; COMPUTE_PGM_RSRC2:TGID_Z_EN: 0
; COMPUTE_PGM_RSRC2:TIDIG_COMP_CNT: 1
	.section	.text._ZN12_GLOBAL__N_120softmax_warp_forwardIN3c104HalfES2_fLi5ELb0ELb0ELi64EEEvPT0_PKT_iiiPKbib,"axG",@progbits,_ZN12_GLOBAL__N_120softmax_warp_forwardIN3c104HalfES2_fLi5ELb0ELb0ELi64EEEvPT0_PKT_iiiPKbib,comdat
	.globl	_ZN12_GLOBAL__N_120softmax_warp_forwardIN3c104HalfES2_fLi5ELb0ELb0ELi64EEEvPT0_PKT_iiiPKbib ; -- Begin function _ZN12_GLOBAL__N_120softmax_warp_forwardIN3c104HalfES2_fLi5ELb0ELb0ELi64EEEvPT0_PKT_iiiPKbib
	.p2align	8
	.type	_ZN12_GLOBAL__N_120softmax_warp_forwardIN3c104HalfES2_fLi5ELb0ELb0ELi64EEEvPT0_PKT_iiiPKbib,@function
_ZN12_GLOBAL__N_120softmax_warp_forwardIN3c104HalfES2_fLi5ELb0ELb0ELi64EEEvPT0_PKT_iiiPKbib: ; @_ZN12_GLOBAL__N_120softmax_warp_forwardIN3c104HalfES2_fLi5ELb0ELb0ELi64EEEvPT0_PKT_iiiPKbib
; %bb.0:
	s_clause 0x1
	s_load_dword s0, s[4:5], 0x3c
	s_load_dwordx8 s[8:15], s[4:5], 0x0
	v_mov_b32_e32 v6, 0xff800000
	s_waitcnt lgkmcnt(0)
	s_lshr_b32 s0, s0, 16
	s_and_b32 s0, s0, 0xffff
	s_mul_i32 s6, s6, s0
	v_cmp_gt_i32_e64 s0, s14, v0
	v_add_lshl_u32 v3, s6, v1, 1
	v_mad_u64_u32 v[1:2], null, v3, s13, v[0:1]
	v_sub_nc_u32_e32 v5, s12, v3
	v_mov_b32_e32 v0, 0xff800000
	v_cmp_lt_i32_e32 vcc_lo, 0, v5
	v_ashrrev_i32_e32 v2, 31, v1
	s_and_b32 s2, s0, vcc_lo
	v_lshlrev_b64 v[1:2], 1, v[1:2]
	v_add_co_u32 v3, s1, s10, v1
	v_add_co_ci_u32_e64 v4, null, s11, v2, s1
	s_and_saveexec_b32 s1, s2
	s_cbranch_execz .LBB416_2
; %bb.1:
	global_load_ushort v0, v[3:4], off
	s_waitcnt vmcnt(0)
	v_cvt_f32_f16_e32 v0, v0
.LBB416_2:
	s_or_b32 exec_lo, exec_lo, s1
	v_cmp_lt_i32_e64 s1, 1, v5
	s_and_b32 s1, s0, s1
	s_and_saveexec_b32 s2, s1
	s_cbranch_execz .LBB416_4
; %bb.3:
	s_mov_b32 s15, 0
	s_lshl_b64 s[4:5], s[14:15], 1
	v_add_co_u32 v3, s1, v3, s4
	v_add_co_ci_u32_e64 v4, null, s5, v4, s1
	global_load_ushort v3, v[3:4], off
	s_waitcnt vmcnt(0)
	v_cvt_f32_f16_e32 v6, v3
.LBB416_4:
	s_or_b32 exec_lo, exec_lo, s2
	v_mbcnt_lo_u32_b32 v3, -1, 0
	v_xor_b32_e32 v4, 16, v3
	v_xor_b32_e32 v9, 8, v3
	;; [unrolled: 1-line block ×5, first 2 shown]
	v_cmp_gt_i32_e64 s1, 32, v4
	v_cndmask_b32_e64 v4, v3, v4, s1
	v_cmp_gt_i32_e64 s1, 32, v9
	v_lshlrev_b32_e32 v4, 2, v4
	v_cndmask_b32_e64 v9, v3, v9, s1
	ds_bpermute_b32 v7, v4, v0
	ds_bpermute_b32 v8, v4, v6
	v_lshlrev_b32_e32 v9, 2, v9
	s_waitcnt lgkmcnt(1)
	v_cmp_lt_f32_e64 s1, v0, v7
	v_cndmask_b32_e64 v7, v0, v7, s1
	s_waitcnt lgkmcnt(0)
	v_cmp_lt_f32_e64 s1, v6, v8
	ds_bpermute_b32 v10, v9, v7
	v_cndmask_b32_e64 v8, v6, v8, s1
	v_cmp_gt_i32_e64 s1, 32, v12
	ds_bpermute_b32 v11, v9, v8
	v_cndmask_b32_e64 v12, v3, v12, s1
	v_lshlrev_b32_e32 v12, 2, v12
	s_waitcnt lgkmcnt(1)
	v_cmp_lt_f32_e64 s1, v7, v10
	v_cndmask_b32_e64 v7, v7, v10, s1
	s_waitcnt lgkmcnt(0)
	v_cmp_lt_f32_e64 s1, v8, v11
	ds_bpermute_b32 v10, v12, v7
	v_cndmask_b32_e64 v8, v8, v11, s1
	v_cmp_gt_i32_e64 s1, 32, v13
	ds_bpermute_b32 v11, v12, v8
	v_cndmask_b32_e64 v13, v3, v13, s1
	;; [unrolled: 11-line block ×3, first 2 shown]
	v_lshlrev_b32_e32 v14, 2, v3
	s_waitcnt lgkmcnt(1)
	v_cmp_lt_f32_e64 s1, v7, v10
	v_cndmask_b32_e64 v3, v7, v10, s1
	s_waitcnt lgkmcnt(0)
	v_cmp_lt_f32_e64 s1, v8, v11
	v_cndmask_b32_e64 v7, v8, v11, s1
	ds_bpermute_b32 v8, v14, v3
	ds_bpermute_b32 v10, v14, v7
	s_waitcnt lgkmcnt(1)
	v_cmp_lt_f32_e64 s1, v3, v8
	v_cndmask_b32_e64 v3, v3, v8, s1
	s_waitcnt lgkmcnt(0)
	v_cmp_lt_f32_e64 s1, v7, v10
	v_sub_f32_e32 v0, v0, v3
	v_cndmask_b32_e64 v7, v7, v10, s1
	v_cmp_ngt_f32_e64 s1, 0xc2ce8ed0, v0
	v_sub_f32_e32 v3, v6, v7
	v_mul_f32_e32 v6, 0x3fb8aa3b, v0
	v_mul_f32_e32 v7, 0x3fb8aa3b, v3
	v_fma_f32 v8, 0x3fb8aa3b, v0, -v6
	v_rndne_f32_e32 v10, v6
	v_fma_f32 v11, 0x3fb8aa3b, v3, -v7
	v_rndne_f32_e32 v15, v7
	v_fmac_f32_e32 v8, 0x32a5705f, v0
	v_sub_f32_e32 v6, v6, v10
	v_fmac_f32_e32 v11, 0x32a5705f, v3
	v_sub_f32_e32 v7, v7, v15
	v_add_f32_e32 v6, v6, v8
	v_cvt_i32_f32_e32 v8, v10
	v_cvt_i32_f32_e32 v10, v15
	v_add_f32_e32 v7, v7, v11
	v_exp_f32_e32 v6, v6
	v_exp_f32_e32 v7, v7
	v_ldexp_f32 v6, v6, v8
	v_ldexp_f32 v7, v7, v10
	v_cndmask_b32_e64 v6, 0, v6, s1
	v_cmp_ngt_f32_e64 s1, 0xc2ce8ed0, v3
	v_cndmask_b32_e64 v8, 0, v7, s1
	v_cmp_nlt_f32_e64 s1, 0x42b17218, v0
	v_cndmask_b32_e64 v7, 0x7f800000, v6, s1
	v_cmp_nlt_f32_e64 s1, 0x42b17218, v3
	ds_bpermute_b32 v0, v4, v7
	v_cndmask_b32_e64 v3, 0x7f800000, v8, s1
	ds_bpermute_b32 v4, v4, v3
	s_waitcnt lgkmcnt(1)
	v_add_f32_e32 v0, v7, v0
	ds_bpermute_b32 v6, v9, v0
	s_waitcnt lgkmcnt(1)
	v_add_f32_e32 v4, v3, v4
	;; [unrolled: 3-line block ×7, first 2 shown]
	s_waitcnt lgkmcnt(0)
	v_add_f32_e32 v4, v4, v9
	ds_bpermute_b32 v9, v14, v8
	ds_bpermute_b32 v6, v14, v4
	s_and_saveexec_b32 s1, vcc_lo
	s_cbranch_execz .LBB416_15
; %bb.5:
	v_add_co_u32 v0, vcc_lo, s8, v1
	v_add_co_ci_u32_e64 v1, null, s9, v2, vcc_lo
	s_and_saveexec_b32 s1, s0
	s_cbranch_execz .LBB416_10
; %bb.6:
	s_waitcnt lgkmcnt(1)
	v_add_f32_e32 v2, v8, v9
	s_mov_b32 s2, exec_lo
	v_cmpx_neq_f32_e32 0, v2
	s_xor_b32 s2, exec_lo, s2
	s_cbranch_execz .LBB416_8
; %bb.7:
	v_div_scale_f32 v8, null, v2, v2, v7
	v_rcp_f32_e32 v9, v8
	v_fma_f32 v10, -v8, v9, 1.0
	v_fmac_f32_e32 v9, v10, v9
	v_div_scale_f32 v10, vcc_lo, v7, v2, v7
	v_mul_f32_e32 v11, v10, v9
	v_fma_f32 v12, -v8, v11, v10
	v_fmac_f32_e32 v11, v12, v9
	v_fma_f32 v8, -v8, v11, v10
	v_div_fmas_f32 v8, v8, v9, v11
	v_div_fixup_f32 v2, v8, v2, v7
	v_cvt_f16_f32_e32 v2, v2
	global_store_short v[0:1], v2, off
.LBB416_8:
	s_andn2_saveexec_b32 s2, s2
	s_cbranch_execz .LBB416_10
; %bb.9:
	v_mov_b32_e32 v2, 0x7e00
	global_store_short v[0:1], v2, off
.LBB416_10:
	s_or_b32 exec_lo, exec_lo, s1
	v_cmp_ne_u32_e32 vcc_lo, 1, v5
	s_and_b32 s0, vcc_lo, s0
	s_and_b32 exec_lo, exec_lo, s0
	s_cbranch_execz .LBB416_15
; %bb.11:
	s_mov_b32 s15, 0
	s_waitcnt lgkmcnt(0)
	v_add_f32_e32 v2, v4, v6
	s_lshl_b64 s[0:1], s[14:15], 1
	v_add_co_u32 v0, s0, v0, s0
	v_add_co_ci_u32_e64 v1, null, s1, v1, s0
	s_mov_b32 s0, exec_lo
	v_cmpx_neq_f32_e32 0, v2
	s_xor_b32 s0, exec_lo, s0
	s_cbranch_execz .LBB416_13
; %bb.12:
	v_div_scale_f32 v4, null, v2, v2, v3
	v_rcp_f32_e32 v5, v4
	v_fma_f32 v6, -v4, v5, 1.0
	v_fmac_f32_e32 v5, v6, v5
	v_div_scale_f32 v6, vcc_lo, v3, v2, v3
	v_mul_f32_e32 v7, v6, v5
	v_fma_f32 v8, -v4, v7, v6
	v_fmac_f32_e32 v7, v8, v5
	v_fma_f32 v4, -v4, v7, v6
	v_div_fmas_f32 v4, v4, v5, v7
	v_div_fixup_f32 v2, v4, v2, v3
	v_cvt_f16_f32_e32 v2, v2
	global_store_short v[0:1], v2, off
                                        ; implicit-def: $vgpr0_vgpr1
.LBB416_13:
	s_andn2_saveexec_b32 s0, s0
	s_cbranch_execz .LBB416_15
; %bb.14:
	v_mov_b32_e32 v2, 0x7e00
	global_store_short v[0:1], v2, off
.LBB416_15:
	s_endpgm
	.section	.rodata,"a",@progbits
	.p2align	6, 0x0
	.amdhsa_kernel _ZN12_GLOBAL__N_120softmax_warp_forwardIN3c104HalfES2_fLi5ELb0ELb0ELi64EEEvPT0_PKT_iiiPKbib
		.amdhsa_group_segment_fixed_size 0
		.amdhsa_private_segment_fixed_size 0
		.amdhsa_kernarg_size 304
		.amdhsa_user_sgpr_count 6
		.amdhsa_user_sgpr_private_segment_buffer 1
		.amdhsa_user_sgpr_dispatch_ptr 0
		.amdhsa_user_sgpr_queue_ptr 0
		.amdhsa_user_sgpr_kernarg_segment_ptr 1
		.amdhsa_user_sgpr_dispatch_id 0
		.amdhsa_user_sgpr_flat_scratch_init 0
		.amdhsa_user_sgpr_private_segment_size 0
		.amdhsa_wavefront_size32 1
		.amdhsa_uses_dynamic_stack 0
		.amdhsa_system_sgpr_private_segment_wavefront_offset 0
		.amdhsa_system_sgpr_workgroup_id_x 1
		.amdhsa_system_sgpr_workgroup_id_y 0
		.amdhsa_system_sgpr_workgroup_id_z 0
		.amdhsa_system_sgpr_workgroup_info 0
		.amdhsa_system_vgpr_workitem_id 1
		.amdhsa_next_free_vgpr 16
		.amdhsa_next_free_sgpr 16
		.amdhsa_reserve_vcc 1
		.amdhsa_reserve_flat_scratch 0
		.amdhsa_float_round_mode_32 0
		.amdhsa_float_round_mode_16_64 0
		.amdhsa_float_denorm_mode_32 3
		.amdhsa_float_denorm_mode_16_64 3
		.amdhsa_dx10_clamp 1
		.amdhsa_ieee_mode 1
		.amdhsa_fp16_overflow 0
		.amdhsa_workgroup_processor_mode 1
		.amdhsa_memory_ordered 1
		.amdhsa_forward_progress 1
		.amdhsa_shared_vgpr_count 0
		.amdhsa_exception_fp_ieee_invalid_op 0
		.amdhsa_exception_fp_denorm_src 0
		.amdhsa_exception_fp_ieee_div_zero 0
		.amdhsa_exception_fp_ieee_overflow 0
		.amdhsa_exception_fp_ieee_underflow 0
		.amdhsa_exception_fp_ieee_inexact 0
		.amdhsa_exception_int_div_zero 0
	.end_amdhsa_kernel
	.section	.text._ZN12_GLOBAL__N_120softmax_warp_forwardIN3c104HalfES2_fLi5ELb0ELb0ELi64EEEvPT0_PKT_iiiPKbib,"axG",@progbits,_ZN12_GLOBAL__N_120softmax_warp_forwardIN3c104HalfES2_fLi5ELb0ELb0ELi64EEEvPT0_PKT_iiiPKbib,comdat
.Lfunc_end416:
	.size	_ZN12_GLOBAL__N_120softmax_warp_forwardIN3c104HalfES2_fLi5ELb0ELb0ELi64EEEvPT0_PKT_iiiPKbib, .Lfunc_end416-_ZN12_GLOBAL__N_120softmax_warp_forwardIN3c104HalfES2_fLi5ELb0ELb0ELi64EEEvPT0_PKT_iiiPKbib
                                        ; -- End function
	.set _ZN12_GLOBAL__N_120softmax_warp_forwardIN3c104HalfES2_fLi5ELb0ELb0ELi64EEEvPT0_PKT_iiiPKbib.num_vgpr, 16
	.set _ZN12_GLOBAL__N_120softmax_warp_forwardIN3c104HalfES2_fLi5ELb0ELb0ELi64EEEvPT0_PKT_iiiPKbib.num_agpr, 0
	.set _ZN12_GLOBAL__N_120softmax_warp_forwardIN3c104HalfES2_fLi5ELb0ELb0ELi64EEEvPT0_PKT_iiiPKbib.numbered_sgpr, 16
	.set _ZN12_GLOBAL__N_120softmax_warp_forwardIN3c104HalfES2_fLi5ELb0ELb0ELi64EEEvPT0_PKT_iiiPKbib.num_named_barrier, 0
	.set _ZN12_GLOBAL__N_120softmax_warp_forwardIN3c104HalfES2_fLi5ELb0ELb0ELi64EEEvPT0_PKT_iiiPKbib.private_seg_size, 0
	.set _ZN12_GLOBAL__N_120softmax_warp_forwardIN3c104HalfES2_fLi5ELb0ELb0ELi64EEEvPT0_PKT_iiiPKbib.uses_vcc, 1
	.set _ZN12_GLOBAL__N_120softmax_warp_forwardIN3c104HalfES2_fLi5ELb0ELb0ELi64EEEvPT0_PKT_iiiPKbib.uses_flat_scratch, 0
	.set _ZN12_GLOBAL__N_120softmax_warp_forwardIN3c104HalfES2_fLi5ELb0ELb0ELi64EEEvPT0_PKT_iiiPKbib.has_dyn_sized_stack, 0
	.set _ZN12_GLOBAL__N_120softmax_warp_forwardIN3c104HalfES2_fLi5ELb0ELb0ELi64EEEvPT0_PKT_iiiPKbib.has_recursion, 0
	.set _ZN12_GLOBAL__N_120softmax_warp_forwardIN3c104HalfES2_fLi5ELb0ELb0ELi64EEEvPT0_PKT_iiiPKbib.has_indirect_call, 0
	.section	.AMDGPU.csdata,"",@progbits
; Kernel info:
; codeLenInByte = 1316
; TotalNumSgprs: 18
; NumVgprs: 16
; ScratchSize: 0
; MemoryBound: 0
; FloatMode: 240
; IeeeMode: 1
; LDSByteSize: 0 bytes/workgroup (compile time only)
; SGPRBlocks: 0
; VGPRBlocks: 1
; NumSGPRsForWavesPerEU: 18
; NumVGPRsForWavesPerEU: 16
; Occupancy: 16
; WaveLimiterHint : 0
; COMPUTE_PGM_RSRC2:SCRATCH_EN: 0
; COMPUTE_PGM_RSRC2:USER_SGPR: 6
; COMPUTE_PGM_RSRC2:TRAP_HANDLER: 0
; COMPUTE_PGM_RSRC2:TGID_X_EN: 1
; COMPUTE_PGM_RSRC2:TGID_Y_EN: 0
; COMPUTE_PGM_RSRC2:TGID_Z_EN: 0
; COMPUTE_PGM_RSRC2:TIDIG_COMP_CNT: 1
	.section	.text._ZN12_GLOBAL__N_120softmax_warp_forwardIN3c104HalfES2_fLi5ELb0ELb0ELi32EEEvPT0_PKT_iiiPKbib,"axG",@progbits,_ZN12_GLOBAL__N_120softmax_warp_forwardIN3c104HalfES2_fLi5ELb0ELb0ELi32EEEvPT0_PKT_iiiPKbib,comdat
	.globl	_ZN12_GLOBAL__N_120softmax_warp_forwardIN3c104HalfES2_fLi5ELb0ELb0ELi32EEEvPT0_PKT_iiiPKbib ; -- Begin function _ZN12_GLOBAL__N_120softmax_warp_forwardIN3c104HalfES2_fLi5ELb0ELb0ELi32EEEvPT0_PKT_iiiPKbib
	.p2align	8
	.type	_ZN12_GLOBAL__N_120softmax_warp_forwardIN3c104HalfES2_fLi5ELb0ELb0ELi32EEEvPT0_PKT_iiiPKbib,@function
_ZN12_GLOBAL__N_120softmax_warp_forwardIN3c104HalfES2_fLi5ELb0ELb0ELi32EEEvPT0_PKT_iiiPKbib: ; @_ZN12_GLOBAL__N_120softmax_warp_forwardIN3c104HalfES2_fLi5ELb0ELb0ELi32EEEvPT0_PKT_iiiPKbib
; %bb.0:
	s_clause 0x1
	s_load_dword s0, s[4:5], 0x3c
	s_load_dwordx8 s[8:15], s[4:5], 0x0
	v_mov_b32_e32 v6, 0xff800000
	s_waitcnt lgkmcnt(0)
	s_lshr_b32 s0, s0, 16
	s_and_b32 s0, s0, 0xffff
	s_mul_i32 s6, s6, s0
	v_cmp_gt_i32_e64 s0, s14, v0
	v_add_lshl_u32 v3, s6, v1, 1
	v_mad_u64_u32 v[1:2], null, v3, s13, v[0:1]
	v_sub_nc_u32_e32 v5, s12, v3
	v_mov_b32_e32 v0, 0xff800000
	v_cmp_lt_i32_e32 vcc_lo, 0, v5
	v_ashrrev_i32_e32 v2, 31, v1
	s_and_b32 s2, s0, vcc_lo
	v_lshlrev_b64 v[1:2], 1, v[1:2]
	v_add_co_u32 v3, s1, s10, v1
	v_add_co_ci_u32_e64 v4, null, s11, v2, s1
	s_and_saveexec_b32 s1, s2
	s_cbranch_execz .LBB417_2
; %bb.1:
	global_load_ushort v0, v[3:4], off
	s_waitcnt vmcnt(0)
	v_cvt_f32_f16_e32 v0, v0
.LBB417_2:
	s_or_b32 exec_lo, exec_lo, s1
	v_cmp_lt_i32_e64 s1, 1, v5
	s_and_b32 s1, s0, s1
	s_and_saveexec_b32 s2, s1
	s_cbranch_execz .LBB417_4
; %bb.3:
	s_mov_b32 s15, 0
	s_lshl_b64 s[4:5], s[14:15], 1
	v_add_co_u32 v3, s1, v3, s4
	v_add_co_ci_u32_e64 v4, null, s5, v4, s1
	global_load_ushort v3, v[3:4], off
	s_waitcnt vmcnt(0)
	v_cvt_f32_f16_e32 v6, v3
.LBB417_4:
	s_or_b32 exec_lo, exec_lo, s2
	v_mbcnt_lo_u32_b32 v3, -1, 0
	v_xor_b32_e32 v4, 16, v3
	v_xor_b32_e32 v9, 8, v3
	;; [unrolled: 1-line block ×5, first 2 shown]
	v_cmp_gt_i32_e64 s1, 32, v4
	v_cndmask_b32_e64 v4, v3, v4, s1
	v_cmp_gt_i32_e64 s1, 32, v9
	v_lshlrev_b32_e32 v4, 2, v4
	v_cndmask_b32_e64 v9, v3, v9, s1
	ds_bpermute_b32 v7, v4, v0
	ds_bpermute_b32 v8, v4, v6
	v_lshlrev_b32_e32 v9, 2, v9
	s_waitcnt lgkmcnt(1)
	v_cmp_lt_f32_e64 s1, v0, v7
	v_cndmask_b32_e64 v7, v0, v7, s1
	s_waitcnt lgkmcnt(0)
	v_cmp_lt_f32_e64 s1, v6, v8
	ds_bpermute_b32 v10, v9, v7
	v_cndmask_b32_e64 v8, v6, v8, s1
	v_cmp_gt_i32_e64 s1, 32, v12
	ds_bpermute_b32 v11, v9, v8
	v_cndmask_b32_e64 v12, v3, v12, s1
	v_lshlrev_b32_e32 v12, 2, v12
	s_waitcnt lgkmcnt(1)
	v_cmp_lt_f32_e64 s1, v7, v10
	v_cndmask_b32_e64 v7, v7, v10, s1
	s_waitcnt lgkmcnt(0)
	v_cmp_lt_f32_e64 s1, v8, v11
	ds_bpermute_b32 v10, v12, v7
	v_cndmask_b32_e64 v8, v8, v11, s1
	v_cmp_gt_i32_e64 s1, 32, v13
	ds_bpermute_b32 v11, v12, v8
	v_cndmask_b32_e64 v13, v3, v13, s1
	;; [unrolled: 11-line block ×3, first 2 shown]
	v_lshlrev_b32_e32 v14, 2, v3
	s_waitcnt lgkmcnt(1)
	v_cmp_lt_f32_e64 s1, v7, v10
	v_cndmask_b32_e64 v3, v7, v10, s1
	s_waitcnt lgkmcnt(0)
	v_cmp_lt_f32_e64 s1, v8, v11
	v_cndmask_b32_e64 v7, v8, v11, s1
	ds_bpermute_b32 v8, v14, v3
	ds_bpermute_b32 v10, v14, v7
	s_waitcnt lgkmcnt(1)
	v_cmp_lt_f32_e64 s1, v3, v8
	v_cndmask_b32_e64 v3, v3, v8, s1
	s_waitcnt lgkmcnt(0)
	v_cmp_lt_f32_e64 s1, v7, v10
	v_sub_f32_e32 v0, v0, v3
	v_cndmask_b32_e64 v7, v7, v10, s1
	v_cmp_ngt_f32_e64 s1, 0xc2ce8ed0, v0
	v_sub_f32_e32 v3, v6, v7
	v_mul_f32_e32 v6, 0x3fb8aa3b, v0
	v_mul_f32_e32 v7, 0x3fb8aa3b, v3
	v_fma_f32 v8, 0x3fb8aa3b, v0, -v6
	v_rndne_f32_e32 v10, v6
	v_fma_f32 v11, 0x3fb8aa3b, v3, -v7
	v_rndne_f32_e32 v15, v7
	v_fmac_f32_e32 v8, 0x32a5705f, v0
	v_sub_f32_e32 v6, v6, v10
	v_fmac_f32_e32 v11, 0x32a5705f, v3
	v_sub_f32_e32 v7, v7, v15
	v_add_f32_e32 v6, v6, v8
	v_cvt_i32_f32_e32 v8, v10
	v_cvt_i32_f32_e32 v10, v15
	v_add_f32_e32 v7, v7, v11
	v_exp_f32_e32 v6, v6
	v_exp_f32_e32 v7, v7
	v_ldexp_f32 v6, v6, v8
	v_ldexp_f32 v7, v7, v10
	v_cndmask_b32_e64 v6, 0, v6, s1
	v_cmp_ngt_f32_e64 s1, 0xc2ce8ed0, v3
	v_cndmask_b32_e64 v8, 0, v7, s1
	v_cmp_nlt_f32_e64 s1, 0x42b17218, v0
	v_cndmask_b32_e64 v7, 0x7f800000, v6, s1
	v_cmp_nlt_f32_e64 s1, 0x42b17218, v3
	ds_bpermute_b32 v0, v4, v7
	v_cndmask_b32_e64 v3, 0x7f800000, v8, s1
	ds_bpermute_b32 v4, v4, v3
	s_waitcnt lgkmcnt(1)
	v_add_f32_e32 v0, v7, v0
	ds_bpermute_b32 v6, v9, v0
	s_waitcnt lgkmcnt(1)
	v_add_f32_e32 v4, v3, v4
	;; [unrolled: 3-line block ×7, first 2 shown]
	s_waitcnt lgkmcnt(0)
	v_add_f32_e32 v4, v4, v9
	ds_bpermute_b32 v9, v14, v8
	ds_bpermute_b32 v6, v14, v4
	s_and_saveexec_b32 s1, vcc_lo
	s_cbranch_execz .LBB417_15
; %bb.5:
	v_add_co_u32 v0, vcc_lo, s8, v1
	v_add_co_ci_u32_e64 v1, null, s9, v2, vcc_lo
	s_and_saveexec_b32 s1, s0
	s_cbranch_execz .LBB417_10
; %bb.6:
	s_waitcnt lgkmcnt(1)
	v_add_f32_e32 v2, v8, v9
	s_mov_b32 s2, exec_lo
	v_cmpx_neq_f32_e32 0, v2
	s_xor_b32 s2, exec_lo, s2
	s_cbranch_execz .LBB417_8
; %bb.7:
	v_div_scale_f32 v8, null, v2, v2, v7
	v_rcp_f32_e32 v9, v8
	v_fma_f32 v10, -v8, v9, 1.0
	v_fmac_f32_e32 v9, v10, v9
	v_div_scale_f32 v10, vcc_lo, v7, v2, v7
	v_mul_f32_e32 v11, v10, v9
	v_fma_f32 v12, -v8, v11, v10
	v_fmac_f32_e32 v11, v12, v9
	v_fma_f32 v8, -v8, v11, v10
	v_div_fmas_f32 v8, v8, v9, v11
	v_div_fixup_f32 v2, v8, v2, v7
	v_cvt_f16_f32_e32 v2, v2
	global_store_short v[0:1], v2, off
.LBB417_8:
	s_andn2_saveexec_b32 s2, s2
	s_cbranch_execz .LBB417_10
; %bb.9:
	v_mov_b32_e32 v2, 0x7e00
	global_store_short v[0:1], v2, off
.LBB417_10:
	s_or_b32 exec_lo, exec_lo, s1
	v_cmp_ne_u32_e32 vcc_lo, 1, v5
	s_and_b32 s0, vcc_lo, s0
	s_and_b32 exec_lo, exec_lo, s0
	s_cbranch_execz .LBB417_15
; %bb.11:
	s_mov_b32 s15, 0
	s_waitcnt lgkmcnt(0)
	v_add_f32_e32 v2, v4, v6
	s_lshl_b64 s[0:1], s[14:15], 1
	v_add_co_u32 v0, s0, v0, s0
	v_add_co_ci_u32_e64 v1, null, s1, v1, s0
	s_mov_b32 s0, exec_lo
	v_cmpx_neq_f32_e32 0, v2
	s_xor_b32 s0, exec_lo, s0
	s_cbranch_execz .LBB417_13
; %bb.12:
	v_div_scale_f32 v4, null, v2, v2, v3
	v_rcp_f32_e32 v5, v4
	v_fma_f32 v6, -v4, v5, 1.0
	v_fmac_f32_e32 v5, v6, v5
	v_div_scale_f32 v6, vcc_lo, v3, v2, v3
	v_mul_f32_e32 v7, v6, v5
	v_fma_f32 v8, -v4, v7, v6
	v_fmac_f32_e32 v7, v8, v5
	v_fma_f32 v4, -v4, v7, v6
	v_div_fmas_f32 v4, v4, v5, v7
	v_div_fixup_f32 v2, v4, v2, v3
	v_cvt_f16_f32_e32 v2, v2
	global_store_short v[0:1], v2, off
                                        ; implicit-def: $vgpr0_vgpr1
.LBB417_13:
	s_andn2_saveexec_b32 s0, s0
	s_cbranch_execz .LBB417_15
; %bb.14:
	v_mov_b32_e32 v2, 0x7e00
	global_store_short v[0:1], v2, off
.LBB417_15:
	s_endpgm
	.section	.rodata,"a",@progbits
	.p2align	6, 0x0
	.amdhsa_kernel _ZN12_GLOBAL__N_120softmax_warp_forwardIN3c104HalfES2_fLi5ELb0ELb0ELi32EEEvPT0_PKT_iiiPKbib
		.amdhsa_group_segment_fixed_size 0
		.amdhsa_private_segment_fixed_size 0
		.amdhsa_kernarg_size 304
		.amdhsa_user_sgpr_count 6
		.amdhsa_user_sgpr_private_segment_buffer 1
		.amdhsa_user_sgpr_dispatch_ptr 0
		.amdhsa_user_sgpr_queue_ptr 0
		.amdhsa_user_sgpr_kernarg_segment_ptr 1
		.amdhsa_user_sgpr_dispatch_id 0
		.amdhsa_user_sgpr_flat_scratch_init 0
		.amdhsa_user_sgpr_private_segment_size 0
		.amdhsa_wavefront_size32 1
		.amdhsa_uses_dynamic_stack 0
		.amdhsa_system_sgpr_private_segment_wavefront_offset 0
		.amdhsa_system_sgpr_workgroup_id_x 1
		.amdhsa_system_sgpr_workgroup_id_y 0
		.amdhsa_system_sgpr_workgroup_id_z 0
		.amdhsa_system_sgpr_workgroup_info 0
		.amdhsa_system_vgpr_workitem_id 1
		.amdhsa_next_free_vgpr 16
		.amdhsa_next_free_sgpr 16
		.amdhsa_reserve_vcc 1
		.amdhsa_reserve_flat_scratch 0
		.amdhsa_float_round_mode_32 0
		.amdhsa_float_round_mode_16_64 0
		.amdhsa_float_denorm_mode_32 3
		.amdhsa_float_denorm_mode_16_64 3
		.amdhsa_dx10_clamp 1
		.amdhsa_ieee_mode 1
		.amdhsa_fp16_overflow 0
		.amdhsa_workgroup_processor_mode 1
		.amdhsa_memory_ordered 1
		.amdhsa_forward_progress 1
		.amdhsa_shared_vgpr_count 0
		.amdhsa_exception_fp_ieee_invalid_op 0
		.amdhsa_exception_fp_denorm_src 0
		.amdhsa_exception_fp_ieee_div_zero 0
		.amdhsa_exception_fp_ieee_overflow 0
		.amdhsa_exception_fp_ieee_underflow 0
		.amdhsa_exception_fp_ieee_inexact 0
		.amdhsa_exception_int_div_zero 0
	.end_amdhsa_kernel
	.section	.text._ZN12_GLOBAL__N_120softmax_warp_forwardIN3c104HalfES2_fLi5ELb0ELb0ELi32EEEvPT0_PKT_iiiPKbib,"axG",@progbits,_ZN12_GLOBAL__N_120softmax_warp_forwardIN3c104HalfES2_fLi5ELb0ELb0ELi32EEEvPT0_PKT_iiiPKbib,comdat
.Lfunc_end417:
	.size	_ZN12_GLOBAL__N_120softmax_warp_forwardIN3c104HalfES2_fLi5ELb0ELb0ELi32EEEvPT0_PKT_iiiPKbib, .Lfunc_end417-_ZN12_GLOBAL__N_120softmax_warp_forwardIN3c104HalfES2_fLi5ELb0ELb0ELi32EEEvPT0_PKT_iiiPKbib
                                        ; -- End function
	.set _ZN12_GLOBAL__N_120softmax_warp_forwardIN3c104HalfES2_fLi5ELb0ELb0ELi32EEEvPT0_PKT_iiiPKbib.num_vgpr, 16
	.set _ZN12_GLOBAL__N_120softmax_warp_forwardIN3c104HalfES2_fLi5ELb0ELb0ELi32EEEvPT0_PKT_iiiPKbib.num_agpr, 0
	.set _ZN12_GLOBAL__N_120softmax_warp_forwardIN3c104HalfES2_fLi5ELb0ELb0ELi32EEEvPT0_PKT_iiiPKbib.numbered_sgpr, 16
	.set _ZN12_GLOBAL__N_120softmax_warp_forwardIN3c104HalfES2_fLi5ELb0ELb0ELi32EEEvPT0_PKT_iiiPKbib.num_named_barrier, 0
	.set _ZN12_GLOBAL__N_120softmax_warp_forwardIN3c104HalfES2_fLi5ELb0ELb0ELi32EEEvPT0_PKT_iiiPKbib.private_seg_size, 0
	.set _ZN12_GLOBAL__N_120softmax_warp_forwardIN3c104HalfES2_fLi5ELb0ELb0ELi32EEEvPT0_PKT_iiiPKbib.uses_vcc, 1
	.set _ZN12_GLOBAL__N_120softmax_warp_forwardIN3c104HalfES2_fLi5ELb0ELb0ELi32EEEvPT0_PKT_iiiPKbib.uses_flat_scratch, 0
	.set _ZN12_GLOBAL__N_120softmax_warp_forwardIN3c104HalfES2_fLi5ELb0ELb0ELi32EEEvPT0_PKT_iiiPKbib.has_dyn_sized_stack, 0
	.set _ZN12_GLOBAL__N_120softmax_warp_forwardIN3c104HalfES2_fLi5ELb0ELb0ELi32EEEvPT0_PKT_iiiPKbib.has_recursion, 0
	.set _ZN12_GLOBAL__N_120softmax_warp_forwardIN3c104HalfES2_fLi5ELb0ELb0ELi32EEEvPT0_PKT_iiiPKbib.has_indirect_call, 0
	.section	.AMDGPU.csdata,"",@progbits
; Kernel info:
; codeLenInByte = 1316
; TotalNumSgprs: 18
; NumVgprs: 16
; ScratchSize: 0
; MemoryBound: 0
; FloatMode: 240
; IeeeMode: 1
; LDSByteSize: 0 bytes/workgroup (compile time only)
; SGPRBlocks: 0
; VGPRBlocks: 1
; NumSGPRsForWavesPerEU: 18
; NumVGPRsForWavesPerEU: 16
; Occupancy: 16
; WaveLimiterHint : 0
; COMPUTE_PGM_RSRC2:SCRATCH_EN: 0
; COMPUTE_PGM_RSRC2:USER_SGPR: 6
; COMPUTE_PGM_RSRC2:TRAP_HANDLER: 0
; COMPUTE_PGM_RSRC2:TGID_X_EN: 1
; COMPUTE_PGM_RSRC2:TGID_Y_EN: 0
; COMPUTE_PGM_RSRC2:TGID_Z_EN: 0
; COMPUTE_PGM_RSRC2:TIDIG_COMP_CNT: 1
	.section	.text._ZN12_GLOBAL__N_120softmax_warp_forwardIN3c104HalfES2_fLi6ELb0ELb0ELi64EEEvPT0_PKT_iiiPKbib,"axG",@progbits,_ZN12_GLOBAL__N_120softmax_warp_forwardIN3c104HalfES2_fLi6ELb0ELb0ELi64EEEvPT0_PKT_iiiPKbib,comdat
	.globl	_ZN12_GLOBAL__N_120softmax_warp_forwardIN3c104HalfES2_fLi6ELb0ELb0ELi64EEEvPT0_PKT_iiiPKbib ; -- Begin function _ZN12_GLOBAL__N_120softmax_warp_forwardIN3c104HalfES2_fLi6ELb0ELb0ELi64EEEvPT0_PKT_iiiPKbib
	.p2align	8
	.type	_ZN12_GLOBAL__N_120softmax_warp_forwardIN3c104HalfES2_fLi6ELb0ELb0ELi64EEEvPT0_PKT_iiiPKbib,@function
_ZN12_GLOBAL__N_120softmax_warp_forwardIN3c104HalfES2_fLi6ELb0ELb0ELi64EEEvPT0_PKT_iiiPKbib: ; @_ZN12_GLOBAL__N_120softmax_warp_forwardIN3c104HalfES2_fLi6ELb0ELb0ELi64EEEvPT0_PKT_iiiPKbib
; %bb.0:
	s_clause 0x1
	s_load_dword s0, s[4:5], 0x3c
	s_load_dwordx8 s[8:15], s[4:5], 0x0
	v_mov_b32_e32 v6, 0xff800000
	s_waitcnt lgkmcnt(0)
	s_lshr_b32 s0, s0, 16
	s_and_b32 s0, s0, 0xffff
	s_mul_i32 s6, s6, s0
	v_cmp_gt_i32_e64 s0, s14, v0
	v_add_lshl_u32 v3, s6, v1, 1
	v_mad_u64_u32 v[1:2], null, v3, s13, v[0:1]
	v_sub_nc_u32_e32 v5, s12, v3
	v_mov_b32_e32 v0, 0xff800000
	v_cmp_lt_i32_e32 vcc_lo, 0, v5
	v_ashrrev_i32_e32 v2, 31, v1
	s_and_b32 s2, s0, vcc_lo
	v_lshlrev_b64 v[1:2], 1, v[1:2]
	v_add_co_u32 v3, s1, s10, v1
	v_add_co_ci_u32_e64 v4, null, s11, v2, s1
	s_and_saveexec_b32 s1, s2
	s_cbranch_execz .LBB418_2
; %bb.1:
	global_load_ushort v0, v[3:4], off
	s_waitcnt vmcnt(0)
	v_cvt_f32_f16_e32 v0, v0
.LBB418_2:
	s_or_b32 exec_lo, exec_lo, s1
	v_cmp_lt_i32_e64 s1, 1, v5
	s_and_b32 s1, s0, s1
	s_and_saveexec_b32 s2, s1
	s_cbranch_execz .LBB418_4
; %bb.3:
	s_mov_b32 s15, 0
	s_lshl_b64 s[4:5], s[14:15], 1
	v_add_co_u32 v3, s1, v3, s4
	v_add_co_ci_u32_e64 v4, null, s5, v4, s1
	global_load_ushort v3, v[3:4], off
	s_waitcnt vmcnt(0)
	v_cvt_f32_f16_e32 v6, v3
.LBB418_4:
	s_or_b32 exec_lo, exec_lo, s2
	v_mbcnt_lo_u32_b32 v3, -1, 0
	v_or_b32_e32 v4, 32, v3
	v_xor_b32_e32 v9, 16, v3
	v_xor_b32_e32 v12, 8, v3
	;; [unrolled: 1-line block ×4, first 2 shown]
	v_cmp_gt_i32_e64 s1, 64, v4
	v_xor_b32_e32 v15, 1, v3
	v_cndmask_b32_e64 v4, v3, v4, s1
	v_cmp_gt_i32_e64 s1, 64, v9
	v_lshlrev_b32_e32 v7, 2, v4
	v_cndmask_b32_e64 v9, v3, v9, s1
	ds_bpermute_b32 v4, v7, v0
	ds_bpermute_b32 v8, v7, v6
	v_lshlrev_b32_e32 v9, 2, v9
	s_waitcnt lgkmcnt(1)
	v_cmp_lt_f32_e64 s1, v0, v4
	v_cndmask_b32_e64 v4, v0, v4, s1
	s_waitcnt lgkmcnt(0)
	v_cmp_lt_f32_e64 s1, v6, v8
	ds_bpermute_b32 v10, v9, v4
	v_cndmask_b32_e64 v8, v6, v8, s1
	v_cmp_gt_i32_e64 s1, 64, v12
	ds_bpermute_b32 v11, v9, v8
	v_cndmask_b32_e64 v12, v3, v12, s1
	v_lshlrev_b32_e32 v12, 2, v12
	s_waitcnt lgkmcnt(1)
	v_cmp_lt_f32_e64 s1, v4, v10
	v_cndmask_b32_e64 v4, v4, v10, s1
	s_waitcnt lgkmcnt(0)
	v_cmp_lt_f32_e64 s1, v8, v11
	ds_bpermute_b32 v10, v12, v4
	v_cndmask_b32_e64 v8, v8, v11, s1
	v_cmp_gt_i32_e64 s1, 64, v13
	ds_bpermute_b32 v11, v12, v8
	v_cndmask_b32_e64 v13, v3, v13, s1
	;; [unrolled: 11-line block ×4, first 2 shown]
	v_lshlrev_b32_e32 v15, 2, v3
	s_waitcnt lgkmcnt(1)
	v_cmp_lt_f32_e64 s1, v4, v10
	v_cndmask_b32_e64 v3, v4, v10, s1
	s_waitcnt lgkmcnt(0)
	v_cmp_lt_f32_e64 s1, v8, v11
	v_cndmask_b32_e64 v4, v8, v11, s1
	ds_bpermute_b32 v8, v15, v3
	ds_bpermute_b32 v10, v15, v4
	s_waitcnt lgkmcnt(1)
	v_cmp_lt_f32_e64 s1, v3, v8
	v_cndmask_b32_e64 v3, v3, v8, s1
	s_waitcnt lgkmcnt(0)
	v_cmp_lt_f32_e64 s1, v4, v10
	v_sub_f32_e32 v0, v0, v3
	v_cndmask_b32_e64 v4, v4, v10, s1
	v_cmp_ngt_f32_e64 s1, 0xc2ce8ed0, v0
	v_sub_f32_e32 v3, v6, v4
	v_mul_f32_e32 v4, 0x3fb8aa3b, v0
	v_mul_f32_e32 v6, 0x3fb8aa3b, v3
	v_fma_f32 v8, 0x3fb8aa3b, v0, -v4
	v_rndne_f32_e32 v10, v4
	v_fma_f32 v11, 0x3fb8aa3b, v3, -v6
	v_rndne_f32_e32 v16, v6
	v_fmac_f32_e32 v8, 0x32a5705f, v0
	v_sub_f32_e32 v4, v4, v10
	v_fmac_f32_e32 v11, 0x32a5705f, v3
	v_sub_f32_e32 v6, v6, v16
	v_add_f32_e32 v4, v4, v8
	v_cvt_i32_f32_e32 v8, v10
	v_cvt_i32_f32_e32 v10, v16
	v_add_f32_e32 v6, v6, v11
	v_exp_f32_e32 v4, v4
	v_exp_f32_e32 v6, v6
	v_ldexp_f32 v4, v4, v8
	v_ldexp_f32 v6, v6, v10
	v_cndmask_b32_e64 v4, 0, v4, s1
	v_cmp_ngt_f32_e64 s1, 0xc2ce8ed0, v3
	v_cndmask_b32_e64 v6, 0, v6, s1
	v_cmp_nlt_f32_e64 s1, 0x42b17218, v0
	v_cndmask_b32_e64 v4, 0x7f800000, v4, s1
	v_cmp_nlt_f32_e64 s1, 0x42b17218, v3
	ds_bpermute_b32 v0, v7, v4
	v_cndmask_b32_e64 v3, 0x7f800000, v6, s1
	ds_bpermute_b32 v6, v7, v3
	s_waitcnt lgkmcnt(1)
	v_add_f32_e32 v0, v4, v0
	ds_bpermute_b32 v7, v9, v0
	s_waitcnt lgkmcnt(1)
	v_add_f32_e32 v6, v3, v6
	;; [unrolled: 3-line block ×9, first 2 shown]
	s_waitcnt lgkmcnt(0)
	v_add_f32_e32 v6, v6, v9
	ds_bpermute_b32 v9, v15, v8
	ds_bpermute_b32 v7, v15, v6
	s_and_saveexec_b32 s1, vcc_lo
	s_cbranch_execz .LBB418_15
; %bb.5:
	v_add_co_u32 v0, vcc_lo, s8, v1
	v_add_co_ci_u32_e64 v1, null, s9, v2, vcc_lo
	s_and_saveexec_b32 s1, s0
	s_cbranch_execz .LBB418_10
; %bb.6:
	s_waitcnt lgkmcnt(1)
	v_add_f32_e32 v2, v8, v9
	s_mov_b32 s2, exec_lo
	v_cmpx_neq_f32_e32 0, v2
	s_xor_b32 s2, exec_lo, s2
	s_cbranch_execz .LBB418_8
; %bb.7:
	v_div_scale_f32 v8, null, v2, v2, v4
	v_rcp_f32_e32 v9, v8
	v_fma_f32 v10, -v8, v9, 1.0
	v_fmac_f32_e32 v9, v10, v9
	v_div_scale_f32 v10, vcc_lo, v4, v2, v4
	v_mul_f32_e32 v11, v10, v9
	v_fma_f32 v12, -v8, v11, v10
	v_fmac_f32_e32 v11, v12, v9
	v_fma_f32 v8, -v8, v11, v10
	v_div_fmas_f32 v8, v8, v9, v11
	v_div_fixup_f32 v2, v8, v2, v4
	v_cvt_f16_f32_e32 v2, v2
	global_store_short v[0:1], v2, off
.LBB418_8:
	s_andn2_saveexec_b32 s2, s2
	s_cbranch_execz .LBB418_10
; %bb.9:
	v_mov_b32_e32 v2, 0x7e00
	global_store_short v[0:1], v2, off
.LBB418_10:
	s_or_b32 exec_lo, exec_lo, s1
	v_cmp_ne_u32_e32 vcc_lo, 1, v5
	s_and_b32 s0, vcc_lo, s0
	s_and_b32 exec_lo, exec_lo, s0
	s_cbranch_execz .LBB418_15
; %bb.11:
	s_mov_b32 s15, 0
	s_waitcnt lgkmcnt(0)
	v_add_f32_e32 v2, v6, v7
	s_lshl_b64 s[0:1], s[14:15], 1
	v_add_co_u32 v0, s0, v0, s0
	v_add_co_ci_u32_e64 v1, null, s1, v1, s0
	s_mov_b32 s0, exec_lo
	v_cmpx_neq_f32_e32 0, v2
	s_xor_b32 s0, exec_lo, s0
	s_cbranch_execz .LBB418_13
; %bb.12:
	v_div_scale_f32 v4, null, v2, v2, v3
	v_rcp_f32_e32 v5, v4
	v_fma_f32 v6, -v4, v5, 1.0
	v_fmac_f32_e32 v5, v6, v5
	v_div_scale_f32 v6, vcc_lo, v3, v2, v3
	v_mul_f32_e32 v7, v6, v5
	v_fma_f32 v8, -v4, v7, v6
	v_fmac_f32_e32 v7, v8, v5
	v_fma_f32 v4, -v4, v7, v6
	v_div_fmas_f32 v4, v4, v5, v7
	v_div_fixup_f32 v2, v4, v2, v3
	v_cvt_f16_f32_e32 v2, v2
	global_store_short v[0:1], v2, off
                                        ; implicit-def: $vgpr0_vgpr1
.LBB418_13:
	s_andn2_saveexec_b32 s0, s0
	s_cbranch_execz .LBB418_15
; %bb.14:
	v_mov_b32_e32 v2, 0x7e00
	global_store_short v[0:1], v2, off
.LBB418_15:
	s_endpgm
	.section	.rodata,"a",@progbits
	.p2align	6, 0x0
	.amdhsa_kernel _ZN12_GLOBAL__N_120softmax_warp_forwardIN3c104HalfES2_fLi6ELb0ELb0ELi64EEEvPT0_PKT_iiiPKbib
		.amdhsa_group_segment_fixed_size 0
		.amdhsa_private_segment_fixed_size 0
		.amdhsa_kernarg_size 304
		.amdhsa_user_sgpr_count 6
		.amdhsa_user_sgpr_private_segment_buffer 1
		.amdhsa_user_sgpr_dispatch_ptr 0
		.amdhsa_user_sgpr_queue_ptr 0
		.amdhsa_user_sgpr_kernarg_segment_ptr 1
		.amdhsa_user_sgpr_dispatch_id 0
		.amdhsa_user_sgpr_flat_scratch_init 0
		.amdhsa_user_sgpr_private_segment_size 0
		.amdhsa_wavefront_size32 1
		.amdhsa_uses_dynamic_stack 0
		.amdhsa_system_sgpr_private_segment_wavefront_offset 0
		.amdhsa_system_sgpr_workgroup_id_x 1
		.amdhsa_system_sgpr_workgroup_id_y 0
		.amdhsa_system_sgpr_workgroup_id_z 0
		.amdhsa_system_sgpr_workgroup_info 0
		.amdhsa_system_vgpr_workitem_id 1
		.amdhsa_next_free_vgpr 17
		.amdhsa_next_free_sgpr 16
		.amdhsa_reserve_vcc 1
		.amdhsa_reserve_flat_scratch 0
		.amdhsa_float_round_mode_32 0
		.amdhsa_float_round_mode_16_64 0
		.amdhsa_float_denorm_mode_32 3
		.amdhsa_float_denorm_mode_16_64 3
		.amdhsa_dx10_clamp 1
		.amdhsa_ieee_mode 1
		.amdhsa_fp16_overflow 0
		.amdhsa_workgroup_processor_mode 1
		.amdhsa_memory_ordered 1
		.amdhsa_forward_progress 1
		.amdhsa_shared_vgpr_count 0
		.amdhsa_exception_fp_ieee_invalid_op 0
		.amdhsa_exception_fp_denorm_src 0
		.amdhsa_exception_fp_ieee_div_zero 0
		.amdhsa_exception_fp_ieee_overflow 0
		.amdhsa_exception_fp_ieee_underflow 0
		.amdhsa_exception_fp_ieee_inexact 0
		.amdhsa_exception_int_div_zero 0
	.end_amdhsa_kernel
	.section	.text._ZN12_GLOBAL__N_120softmax_warp_forwardIN3c104HalfES2_fLi6ELb0ELb0ELi64EEEvPT0_PKT_iiiPKbib,"axG",@progbits,_ZN12_GLOBAL__N_120softmax_warp_forwardIN3c104HalfES2_fLi6ELb0ELb0ELi64EEEvPT0_PKT_iiiPKbib,comdat
.Lfunc_end418:
	.size	_ZN12_GLOBAL__N_120softmax_warp_forwardIN3c104HalfES2_fLi6ELb0ELb0ELi64EEEvPT0_PKT_iiiPKbib, .Lfunc_end418-_ZN12_GLOBAL__N_120softmax_warp_forwardIN3c104HalfES2_fLi6ELb0ELb0ELi64EEEvPT0_PKT_iiiPKbib
                                        ; -- End function
	.set _ZN12_GLOBAL__N_120softmax_warp_forwardIN3c104HalfES2_fLi6ELb0ELb0ELi64EEEvPT0_PKT_iiiPKbib.num_vgpr, 17
	.set _ZN12_GLOBAL__N_120softmax_warp_forwardIN3c104HalfES2_fLi6ELb0ELb0ELi64EEEvPT0_PKT_iiiPKbib.num_agpr, 0
	.set _ZN12_GLOBAL__N_120softmax_warp_forwardIN3c104HalfES2_fLi6ELb0ELb0ELi64EEEvPT0_PKT_iiiPKbib.numbered_sgpr, 16
	.set _ZN12_GLOBAL__N_120softmax_warp_forwardIN3c104HalfES2_fLi6ELb0ELb0ELi64EEEvPT0_PKT_iiiPKbib.num_named_barrier, 0
	.set _ZN12_GLOBAL__N_120softmax_warp_forwardIN3c104HalfES2_fLi6ELb0ELb0ELi64EEEvPT0_PKT_iiiPKbib.private_seg_size, 0
	.set _ZN12_GLOBAL__N_120softmax_warp_forwardIN3c104HalfES2_fLi6ELb0ELb0ELi64EEEvPT0_PKT_iiiPKbib.uses_vcc, 1
	.set _ZN12_GLOBAL__N_120softmax_warp_forwardIN3c104HalfES2_fLi6ELb0ELb0ELi64EEEvPT0_PKT_iiiPKbib.uses_flat_scratch, 0
	.set _ZN12_GLOBAL__N_120softmax_warp_forwardIN3c104HalfES2_fLi6ELb0ELb0ELi64EEEvPT0_PKT_iiiPKbib.has_dyn_sized_stack, 0
	.set _ZN12_GLOBAL__N_120softmax_warp_forwardIN3c104HalfES2_fLi6ELb0ELb0ELi64EEEvPT0_PKT_iiiPKbib.has_recursion, 0
	.set _ZN12_GLOBAL__N_120softmax_warp_forwardIN3c104HalfES2_fLi6ELb0ELb0ELi64EEEvPT0_PKT_iiiPKbib.has_indirect_call, 0
	.section	.AMDGPU.csdata,"",@progbits
; Kernel info:
; codeLenInByte = 1428
; TotalNumSgprs: 18
; NumVgprs: 17
; ScratchSize: 0
; MemoryBound: 0
; FloatMode: 240
; IeeeMode: 1
; LDSByteSize: 0 bytes/workgroup (compile time only)
; SGPRBlocks: 0
; VGPRBlocks: 2
; NumSGPRsForWavesPerEU: 18
; NumVGPRsForWavesPerEU: 17
; Occupancy: 16
; WaveLimiterHint : 0
; COMPUTE_PGM_RSRC2:SCRATCH_EN: 0
; COMPUTE_PGM_RSRC2:USER_SGPR: 6
; COMPUTE_PGM_RSRC2:TRAP_HANDLER: 0
; COMPUTE_PGM_RSRC2:TGID_X_EN: 1
; COMPUTE_PGM_RSRC2:TGID_Y_EN: 0
; COMPUTE_PGM_RSRC2:TGID_Z_EN: 0
; COMPUTE_PGM_RSRC2:TIDIG_COMP_CNT: 1
	.section	.text._ZN12_GLOBAL__N_120softmax_warp_forwardIN3c104HalfES2_fLi6ELb0ELb0ELi32EEEvPT0_PKT_iiiPKbib,"axG",@progbits,_ZN12_GLOBAL__N_120softmax_warp_forwardIN3c104HalfES2_fLi6ELb0ELb0ELi32EEEvPT0_PKT_iiiPKbib,comdat
	.globl	_ZN12_GLOBAL__N_120softmax_warp_forwardIN3c104HalfES2_fLi6ELb0ELb0ELi32EEEvPT0_PKT_iiiPKbib ; -- Begin function _ZN12_GLOBAL__N_120softmax_warp_forwardIN3c104HalfES2_fLi6ELb0ELb0ELi32EEEvPT0_PKT_iiiPKbib
	.p2align	8
	.type	_ZN12_GLOBAL__N_120softmax_warp_forwardIN3c104HalfES2_fLi6ELb0ELb0ELi32EEEvPT0_PKT_iiiPKbib,@function
_ZN12_GLOBAL__N_120softmax_warp_forwardIN3c104HalfES2_fLi6ELb0ELb0ELi32EEEvPT0_PKT_iiiPKbib: ; @_ZN12_GLOBAL__N_120softmax_warp_forwardIN3c104HalfES2_fLi6ELb0ELb0ELi32EEEvPT0_PKT_iiiPKbib
; %bb.0:
	s_clause 0x1
	s_load_dword s0, s[4:5], 0x3c
	s_load_dwordx8 s[8:15], s[4:5], 0x0
	v_mov_b32_e32 v6, 0xff800000
	v_mov_b32_e32 v7, 0xff800000
	s_waitcnt lgkmcnt(0)
	s_lshr_b32 s0, s0, 16
	v_cmp_gt_i32_e64 s1, s14, v0
	s_and_b32 s0, s0, 0xffff
	s_mul_i32 s6, s6, s0
	v_add_lshl_u32 v3, s6, v1, 1
	v_mad_u64_u32 v[1:2], null, v3, s13, v[0:1]
	v_sub_nc_u32_e32 v5, s12, v3
	v_cmp_lt_i32_e32 vcc_lo, 0, v5
	v_ashrrev_i32_e32 v2, 31, v1
	s_and_b32 s2, vcc_lo, s1
	v_lshlrev_b64 v[1:2], 1, v[1:2]
	v_add_co_u32 v3, s0, s10, v1
	v_add_co_ci_u32_e64 v4, null, s11, v2, s0
	s_and_saveexec_b32 s0, s2
	s_cbranch_execz .LBB419_2
; %bb.1:
	global_load_ushort v7, v[3:4], off
	s_waitcnt vmcnt(0)
	v_cvt_f32_f16_e32 v7, v7
.LBB419_2:
	s_or_b32 exec_lo, exec_lo, s0
	v_add_nc_u32_e32 v0, 32, v0
	v_cmp_gt_i32_e64 s0, s14, v0
	s_and_b32 s3, vcc_lo, s0
	s_and_saveexec_b32 s2, s3
	s_cbranch_execz .LBB419_4
; %bb.3:
	global_load_ushort v0, v[3:4], off offset:64
	s_waitcnt vmcnt(0)
	v_cvt_f32_f16_e32 v6, v0
.LBB419_4:
	s_or_b32 exec_lo, exec_lo, s2
	v_cmp_lt_i32_e64 s2, 1, v5
	v_mov_b32_e32 v0, 0xff800000
	v_mov_b32_e32 v8, 0xff800000
	s_and_b32 s3, s2, s1
	s_and_saveexec_b32 s4, s3
	s_cbranch_execz .LBB419_6
; %bb.5:
	s_mov_b32 s15, 0
	s_lshl_b64 s[6:7], s[14:15], 1
	v_add_co_u32 v8, s3, v3, s6
	v_add_co_ci_u32_e64 v9, null, s7, v4, s3
	global_load_ushort v8, v[8:9], off
	s_waitcnt vmcnt(0)
	v_cvt_f32_f16_e32 v8, v8
.LBB419_6:
	s_or_b32 exec_lo, exec_lo, s4
	s_and_b32 s2, s2, s0
	s_and_saveexec_b32 s3, s2
	s_cbranch_execz .LBB419_8
; %bb.7:
	s_mov_b32 s15, 0
	s_lshl_b64 s[4:5], s[14:15], 1
	v_add_co_u32 v3, s2, v3, s4
	v_add_co_ci_u32_e64 v4, null, s5, v4, s2
	global_load_ushort v0, v[3:4], off offset:64
	s_waitcnt vmcnt(0)
	v_cvt_f32_f16_e32 v0, v0
.LBB419_8:
	s_or_b32 exec_lo, exec_lo, s3
	v_mbcnt_lo_u32_b32 v3, -1, 0
	v_xor_b32_e32 v4, 16, v3
	v_xor_b32_e32 v13, 8, v3
	;; [unrolled: 1-line block ×5, first 2 shown]
	v_cmp_gt_i32_e64 s2, 32, v4
	v_cndmask_b32_e64 v4, v3, v4, s2
	v_cmp_gt_f32_e64 s2, v7, v6
	v_lshlrev_b32_e32 v10, 2, v4
	v_cndmask_b32_e64 v9, v6, v7, s2
	v_cmp_gt_f32_e64 s2, v8, v0
	ds_bpermute_b32 v11, v10, v9
	v_cndmask_b32_e64 v4, v0, v8, s2
	v_cmp_gt_i32_e64 s2, 32, v13
	ds_bpermute_b32 v12, v10, v4
	v_cndmask_b32_e64 v13, v3, v13, s2
	v_lshlrev_b32_e32 v13, 2, v13
	s_waitcnt lgkmcnt(1)
	v_cmp_lt_f32_e64 s2, v9, v11
	v_cndmask_b32_e64 v9, v9, v11, s2
	s_waitcnt lgkmcnt(0)
	v_cmp_lt_f32_e64 s2, v4, v12
	ds_bpermute_b32 v11, v13, v9
	v_cndmask_b32_e64 v4, v4, v12, s2
	v_cmp_gt_i32_e64 s2, 32, v14
	ds_bpermute_b32 v12, v13, v4
	v_cndmask_b32_e64 v14, v3, v14, s2
	v_lshlrev_b32_e32 v14, 2, v14
	s_waitcnt lgkmcnt(1)
	v_cmp_lt_f32_e64 s2, v9, v11
	v_cndmask_b32_e64 v9, v9, v11, s2
	s_waitcnt lgkmcnt(0)
	v_cmp_lt_f32_e64 s2, v4, v12
	;; [unrolled: 11-line block ×4, first 2 shown]
	ds_bpermute_b32 v9, v16, v3
	v_cndmask_b32_e64 v4, v4, v12, s2
	ds_bpermute_b32 v11, v16, v4
	s_waitcnt lgkmcnt(1)
	v_cmp_lt_f32_e64 s2, v3, v9
	v_cndmask_b32_e64 v3, v3, v9, s2
	s_waitcnt lgkmcnt(0)
	v_cmp_lt_f32_e64 s2, v4, v11
	v_sub_f32_e32 v7, v7, v3
	v_cndmask_b32_e64 v4, v4, v11, s2
	v_sub_f32_e32 v3, v6, v3
	v_cmp_ngt_f32_e64 s2, 0xc2ce8ed0, v7
	v_sub_f32_e32 v8, v8, v4
	v_sub_f32_e32 v0, v0, v4
	v_mul_f32_e32 v4, 0x3fb8aa3b, v7
	v_mul_f32_e32 v6, 0x3fb8aa3b, v3
	v_mul_f32_e32 v9, 0x3fb8aa3b, v8
	v_mul_f32_e32 v11, 0x3fb8aa3b, v0
	v_fma_f32 v12, 0x3fb8aa3b, v7, -v4
	v_rndne_f32_e32 v17, v4
	v_fma_f32 v18, 0x3fb8aa3b, v3, -v6
	v_rndne_f32_e32 v19, v6
	v_fma_f32 v20, 0x3fb8aa3b, v8, -v9
	v_fmac_f32_e32 v12, 0x32a5705f, v7
	v_sub_f32_e32 v4, v4, v17
	v_rndne_f32_e32 v21, v9
	v_fmac_f32_e32 v18, 0x32a5705f, v3
	v_sub_f32_e32 v6, v6, v19
	v_fma_f32 v22, 0x3fb8aa3b, v0, -v11
	v_add_f32_e32 v4, v4, v12
	v_rndne_f32_e32 v23, v11
	v_fmac_f32_e32 v20, 0x32a5705f, v8
	v_sub_f32_e32 v9, v9, v21
	v_add_f32_e32 v6, v6, v18
	v_exp_f32_e32 v4, v4
	v_fmac_f32_e32 v22, 0x32a5705f, v0
	v_sub_f32_e32 v11, v11, v23
	v_add_f32_e32 v9, v9, v20
	v_exp_f32_e32 v6, v6
	v_cvt_i32_f32_e32 v12, v17
	v_cvt_i32_f32_e32 v17, v19
	v_add_f32_e32 v11, v11, v22
	v_exp_f32_e32 v9, v9
	v_cvt_i32_f32_e32 v18, v21
	v_ldexp_f32 v4, v4, v12
	v_cvt_i32_f32_e32 v19, v23
	v_exp_f32_e32 v11, v11
	v_ldexp_f32 v6, v6, v17
	v_cndmask_b32_e64 v4, 0, v4, s2
	v_cmp_ngt_f32_e64 s2, 0xc2ce8ed0, v3
	v_ldexp_f32 v9, v9, v18
	v_cndmask_b32_e64 v6, 0, v6, s2
	v_cmp_ngt_f32_e64 s2, 0xc2ce8ed0, v8
	;; [unrolled: 3-line block ×3, first 2 shown]
	v_cndmask_b32_e64 v11, 0, v11, s2
	v_cmp_nlt_f32_e64 s2, 0x42b17218, v7
	v_cndmask_b32_e64 v9, 0x7f800000, v4, s2
	v_cmp_nlt_f32_e64 s2, 0x42b17218, v3
	;; [unrolled: 2-line block ×4, first 2 shown]
	v_add_f32_e32 v0, v9, v6
	v_cndmask_b32_e64 v3, 0x7f800000, v11, s2
	ds_bpermute_b32 v8, v10, v0
	v_add_f32_e32 v7, v4, v3
	ds_bpermute_b32 v10, v10, v7
	s_waitcnt lgkmcnt(1)
	v_add_f32_e32 v0, v0, v8
	ds_bpermute_b32 v8, v13, v0
	s_waitcnt lgkmcnt(1)
	;; [unrolled: 3-line block ×7, first 2 shown]
	v_add_f32_e32 v10, v0, v8
	s_waitcnt lgkmcnt(0)
	v_add_f32_e32 v7, v7, v11
	ds_bpermute_b32 v11, v16, v10
	ds_bpermute_b32 v8, v16, v7
	s_and_saveexec_b32 s2, vcc_lo
	s_cbranch_execz .LBB419_21
; %bb.9:
	v_add_co_u32 v0, vcc_lo, s8, v1
	v_add_co_ci_u32_e64 v1, null, s9, v2, vcc_lo
	s_and_saveexec_b32 s3, s1
	s_cbranch_execz .LBB419_16
; %bb.10:
	s_waitcnt lgkmcnt(1)
	v_add_f32_e32 v2, v10, v11
	v_mov_b32_e32 v10, 0x7e00
	v_cmp_neq_f32_e64 s2, 0, v2
	s_and_saveexec_b32 s4, s2
	s_cbranch_execz .LBB419_12
; %bb.11:
	v_div_scale_f32 v10, null, v2, v2, v9
	v_rcp_f32_e32 v11, v10
	v_fma_f32 v12, -v10, v11, 1.0
	v_fmac_f32_e32 v11, v12, v11
	v_div_scale_f32 v12, vcc_lo, v9, v2, v9
	v_mul_f32_e32 v13, v12, v11
	v_fma_f32 v14, -v10, v13, v12
	v_fmac_f32_e32 v13, v14, v11
	v_fma_f32 v10, -v10, v13, v12
	v_div_fmas_f32 v10, v10, v11, v13
	v_div_fixup_f32 v9, v10, v2, v9
	v_cvt_f16_f32_e32 v10, v9
.LBB419_12:
	s_or_b32 exec_lo, exec_lo, s4
	global_store_short v[0:1], v10, off
	s_and_b32 exec_lo, exec_lo, s0
	s_cbranch_execz .LBB419_16
; %bb.13:
	v_mov_b32_e32 v9, 0x7e00
	s_and_saveexec_b32 s4, s2
	s_cbranch_execz .LBB419_15
; %bb.14:
	v_div_scale_f32 v9, null, v2, v2, v6
	v_rcp_f32_e32 v10, v9
	v_fma_f32 v11, -v9, v10, 1.0
	v_fmac_f32_e32 v10, v11, v10
	v_div_scale_f32 v11, vcc_lo, v6, v2, v6
	v_mul_f32_e32 v12, v11, v10
	v_fma_f32 v13, -v9, v12, v11
	v_fmac_f32_e32 v12, v13, v10
	v_fma_f32 v9, -v9, v12, v11
	v_div_fmas_f32 v9, v9, v10, v12
	v_div_fixup_f32 v2, v9, v2, v6
	v_cvt_f16_f32_e32 v9, v2
.LBB419_15:
	s_or_b32 exec_lo, exec_lo, s4
	global_store_short v[0:1], v9, off offset:64
.LBB419_16:
	s_or_b32 exec_lo, exec_lo, s3
	v_cmp_ne_u32_e32 vcc_lo, 1, v5
	s_and_b32 exec_lo, exec_lo, vcc_lo
	s_cbranch_execz .LBB419_21
; %bb.17:
	s_and_b32 exec_lo, exec_lo, s1
	s_cbranch_execz .LBB419_21
; %bb.18:
	s_waitcnt lgkmcnt(0)
	v_add_f32_e32 v2, v7, v8
	s_mov_b32 s15, 0
	v_cmp_neq_f32_e64 s1, 0, v2
	s_and_saveexec_b32 s2, s1
	s_xor_b32 s2, exec_lo, s2
	s_cbranch_execnz .LBB419_22
; %bb.19:
	s_andn2_saveexec_b32 s2, s2
	s_cbranch_execnz .LBB419_23
.LBB419_20:
	s_or_b32 exec_lo, exec_lo, s2
	s_and_b32 exec_lo, exec_lo, s0
	s_cbranch_execnz .LBB419_24
.LBB419_21:
	s_endpgm
.LBB419_22:
	v_div_scale_f32 v5, null, v2, v2, v4
	v_div_scale_f32 v8, vcc_lo, v4, v2, v4
	s_lshl_b64 s[4:5], s[14:15], 1
	v_rcp_f32_e32 v6, v5
	v_fma_f32 v7, -v5, v6, 1.0
	v_fmac_f32_e32 v6, v7, v6
	v_mul_f32_e32 v7, v8, v6
	v_fma_f32 v9, -v5, v7, v8
	v_fmac_f32_e32 v7, v9, v6
	v_fma_f32 v5, -v5, v7, v8
	v_div_fmas_f32 v5, v5, v6, v7
	v_div_fixup_f32 v4, v5, v2, v4
	v_cvt_f16_f32_e32 v6, v4
	v_add_co_u32 v4, vcc_lo, v0, s4
	v_add_co_ci_u32_e64 v5, null, s5, v1, vcc_lo
	global_store_short v[4:5], v6, off
	s_andn2_saveexec_b32 s2, s2
	s_cbranch_execz .LBB419_20
.LBB419_23:
	s_lshl_b64 s[4:5], s[14:15], 1
	v_mov_b32_e32 v6, 0x7e00
	v_add_co_u32 v4, vcc_lo, v0, s4
	v_add_co_ci_u32_e64 v5, null, s5, v1, vcc_lo
	global_store_short v[4:5], v6, off
	s_or_b32 exec_lo, exec_lo, s2
	s_and_b32 exec_lo, exec_lo, s0
	s_cbranch_execz .LBB419_21
.LBB419_24:
	s_and_saveexec_b32 s0, s1
	s_xor_b32 s0, exec_lo, s0
	s_cbranch_execz .LBB419_26
; %bb.25:
	v_div_scale_f32 v4, null, v2, v2, v3
	v_div_scale_f32 v7, vcc_lo, v3, v2, v3
	s_lshl_b64 s[2:3], s[14:15], 1
	v_rcp_f32_e32 v5, v4
	v_fma_f32 v6, -v4, v5, 1.0
	v_fmac_f32_e32 v5, v6, v5
	v_mul_f32_e32 v6, v7, v5
	v_fma_f32 v8, -v4, v6, v7
	v_fmac_f32_e32 v6, v8, v5
	v_fma_f32 v4, -v4, v6, v7
	v_div_fmas_f32 v4, v4, v5, v6
	v_add_co_u32 v0, vcc_lo, v0, s2
	v_add_co_ci_u32_e64 v1, null, s3, v1, vcc_lo
	v_div_fixup_f32 v2, v4, v2, v3
	v_cvt_f16_f32_e32 v2, v2
	global_store_short v[0:1], v2, off offset:64
                                        ; implicit-def: $vgpr0
.LBB419_26:
	s_andn2_saveexec_b32 s0, s0
	s_cbranch_execz .LBB419_21
; %bb.27:
	s_lshl_b64 s[0:1], s[14:15], 1
	v_mov_b32_e32 v2, 0x7e00
	v_add_co_u32 v0, vcc_lo, v0, s0
	v_add_co_ci_u32_e64 v1, null, s1, v1, vcc_lo
	global_store_short v[0:1], v2, off offset:64
	s_endpgm
	.section	.rodata,"a",@progbits
	.p2align	6, 0x0
	.amdhsa_kernel _ZN12_GLOBAL__N_120softmax_warp_forwardIN3c104HalfES2_fLi6ELb0ELb0ELi32EEEvPT0_PKT_iiiPKbib
		.amdhsa_group_segment_fixed_size 0
		.amdhsa_private_segment_fixed_size 0
		.amdhsa_kernarg_size 304
		.amdhsa_user_sgpr_count 6
		.amdhsa_user_sgpr_private_segment_buffer 1
		.amdhsa_user_sgpr_dispatch_ptr 0
		.amdhsa_user_sgpr_queue_ptr 0
		.amdhsa_user_sgpr_kernarg_segment_ptr 1
		.amdhsa_user_sgpr_dispatch_id 0
		.amdhsa_user_sgpr_flat_scratch_init 0
		.amdhsa_user_sgpr_private_segment_size 0
		.amdhsa_wavefront_size32 1
		.amdhsa_uses_dynamic_stack 0
		.amdhsa_system_sgpr_private_segment_wavefront_offset 0
		.amdhsa_system_sgpr_workgroup_id_x 1
		.amdhsa_system_sgpr_workgroup_id_y 0
		.amdhsa_system_sgpr_workgroup_id_z 0
		.amdhsa_system_sgpr_workgroup_info 0
		.amdhsa_system_vgpr_workitem_id 1
		.amdhsa_next_free_vgpr 24
		.amdhsa_next_free_sgpr 16
		.amdhsa_reserve_vcc 1
		.amdhsa_reserve_flat_scratch 0
		.amdhsa_float_round_mode_32 0
		.amdhsa_float_round_mode_16_64 0
		.amdhsa_float_denorm_mode_32 3
		.amdhsa_float_denorm_mode_16_64 3
		.amdhsa_dx10_clamp 1
		.amdhsa_ieee_mode 1
		.amdhsa_fp16_overflow 0
		.amdhsa_workgroup_processor_mode 1
		.amdhsa_memory_ordered 1
		.amdhsa_forward_progress 1
		.amdhsa_shared_vgpr_count 0
		.amdhsa_exception_fp_ieee_invalid_op 0
		.amdhsa_exception_fp_denorm_src 0
		.amdhsa_exception_fp_ieee_div_zero 0
		.amdhsa_exception_fp_ieee_overflow 0
		.amdhsa_exception_fp_ieee_underflow 0
		.amdhsa_exception_fp_ieee_inexact 0
		.amdhsa_exception_int_div_zero 0
	.end_amdhsa_kernel
	.section	.text._ZN12_GLOBAL__N_120softmax_warp_forwardIN3c104HalfES2_fLi6ELb0ELb0ELi32EEEvPT0_PKT_iiiPKbib,"axG",@progbits,_ZN12_GLOBAL__N_120softmax_warp_forwardIN3c104HalfES2_fLi6ELb0ELb0ELi32EEEvPT0_PKT_iiiPKbib,comdat
.Lfunc_end419:
	.size	_ZN12_GLOBAL__N_120softmax_warp_forwardIN3c104HalfES2_fLi6ELb0ELb0ELi32EEEvPT0_PKT_iiiPKbib, .Lfunc_end419-_ZN12_GLOBAL__N_120softmax_warp_forwardIN3c104HalfES2_fLi6ELb0ELb0ELi32EEEvPT0_PKT_iiiPKbib
                                        ; -- End function
	.set _ZN12_GLOBAL__N_120softmax_warp_forwardIN3c104HalfES2_fLi6ELb0ELb0ELi32EEEvPT0_PKT_iiiPKbib.num_vgpr, 24
	.set _ZN12_GLOBAL__N_120softmax_warp_forwardIN3c104HalfES2_fLi6ELb0ELb0ELi32EEEvPT0_PKT_iiiPKbib.num_agpr, 0
	.set _ZN12_GLOBAL__N_120softmax_warp_forwardIN3c104HalfES2_fLi6ELb0ELb0ELi32EEEvPT0_PKT_iiiPKbib.numbered_sgpr, 16
	.set _ZN12_GLOBAL__N_120softmax_warp_forwardIN3c104HalfES2_fLi6ELb0ELb0ELi32EEEvPT0_PKT_iiiPKbib.num_named_barrier, 0
	.set _ZN12_GLOBAL__N_120softmax_warp_forwardIN3c104HalfES2_fLi6ELb0ELb0ELi32EEEvPT0_PKT_iiiPKbib.private_seg_size, 0
	.set _ZN12_GLOBAL__N_120softmax_warp_forwardIN3c104HalfES2_fLi6ELb0ELb0ELi32EEEvPT0_PKT_iiiPKbib.uses_vcc, 1
	.set _ZN12_GLOBAL__N_120softmax_warp_forwardIN3c104HalfES2_fLi6ELb0ELb0ELi32EEEvPT0_PKT_iiiPKbib.uses_flat_scratch, 0
	.set _ZN12_GLOBAL__N_120softmax_warp_forwardIN3c104HalfES2_fLi6ELb0ELb0ELi32EEEvPT0_PKT_iiiPKbib.has_dyn_sized_stack, 0
	.set _ZN12_GLOBAL__N_120softmax_warp_forwardIN3c104HalfES2_fLi6ELb0ELb0ELi32EEEvPT0_PKT_iiiPKbib.has_recursion, 0
	.set _ZN12_GLOBAL__N_120softmax_warp_forwardIN3c104HalfES2_fLi6ELb0ELb0ELi32EEEvPT0_PKT_iiiPKbib.has_indirect_call, 0
	.section	.AMDGPU.csdata,"",@progbits
; Kernel info:
; codeLenInByte = 2004
; TotalNumSgprs: 18
; NumVgprs: 24
; ScratchSize: 0
; MemoryBound: 0
; FloatMode: 240
; IeeeMode: 1
; LDSByteSize: 0 bytes/workgroup (compile time only)
; SGPRBlocks: 0
; VGPRBlocks: 2
; NumSGPRsForWavesPerEU: 18
; NumVGPRsForWavesPerEU: 24
; Occupancy: 16
; WaveLimiterHint : 0
; COMPUTE_PGM_RSRC2:SCRATCH_EN: 0
; COMPUTE_PGM_RSRC2:USER_SGPR: 6
; COMPUTE_PGM_RSRC2:TRAP_HANDLER: 0
; COMPUTE_PGM_RSRC2:TGID_X_EN: 1
; COMPUTE_PGM_RSRC2:TGID_Y_EN: 0
; COMPUTE_PGM_RSRC2:TGID_Z_EN: 0
; COMPUTE_PGM_RSRC2:TIDIG_COMP_CNT: 1
	.section	.text._ZN12_GLOBAL__N_120softmax_warp_forwardIN3c104HalfES2_fLi7ELb0ELb0ELi64EEEvPT0_PKT_iiiPKbib,"axG",@progbits,_ZN12_GLOBAL__N_120softmax_warp_forwardIN3c104HalfES2_fLi7ELb0ELb0ELi64EEEvPT0_PKT_iiiPKbib,comdat
	.globl	_ZN12_GLOBAL__N_120softmax_warp_forwardIN3c104HalfES2_fLi7ELb0ELb0ELi64EEEvPT0_PKT_iiiPKbib ; -- Begin function _ZN12_GLOBAL__N_120softmax_warp_forwardIN3c104HalfES2_fLi7ELb0ELb0ELi64EEEvPT0_PKT_iiiPKbib
	.p2align	8
	.type	_ZN12_GLOBAL__N_120softmax_warp_forwardIN3c104HalfES2_fLi7ELb0ELb0ELi64EEEvPT0_PKT_iiiPKbib,@function
_ZN12_GLOBAL__N_120softmax_warp_forwardIN3c104HalfES2_fLi7ELb0ELb0ELi64EEEvPT0_PKT_iiiPKbib: ; @_ZN12_GLOBAL__N_120softmax_warp_forwardIN3c104HalfES2_fLi7ELb0ELb0ELi64EEEvPT0_PKT_iiiPKbib
; %bb.0:
	s_clause 0x1
	s_load_dword s0, s[4:5], 0x3c
	s_load_dwordx8 s[8:15], s[4:5], 0x0
	v_mov_b32_e32 v6, 0xff800000
	v_mov_b32_e32 v7, 0xff800000
	s_waitcnt lgkmcnt(0)
	s_lshr_b32 s0, s0, 16
	v_cmp_gt_i32_e64 s1, s14, v0
	s_and_b32 s0, s0, 0xffff
	s_mul_i32 s6, s6, s0
	v_add_lshl_u32 v3, s6, v1, 1
	v_mad_u64_u32 v[1:2], null, v3, s13, v[0:1]
	v_sub_nc_u32_e32 v5, s12, v3
	v_cmp_lt_i32_e32 vcc_lo, 0, v5
	v_ashrrev_i32_e32 v2, 31, v1
	s_and_b32 s2, vcc_lo, s1
	v_lshlrev_b64 v[1:2], 1, v[1:2]
	v_add_co_u32 v3, s0, s10, v1
	v_add_co_ci_u32_e64 v4, null, s11, v2, s0
	s_and_saveexec_b32 s0, s2
	s_cbranch_execz .LBB420_2
; %bb.1:
	global_load_ushort v7, v[3:4], off
	s_waitcnt vmcnt(0)
	v_cvt_f32_f16_e32 v7, v7
.LBB420_2:
	s_or_b32 exec_lo, exec_lo, s0
	v_add_nc_u32_e32 v0, 64, v0
	v_cmp_gt_i32_e64 s0, s14, v0
	s_and_b32 s3, vcc_lo, s0
	s_and_saveexec_b32 s2, s3
	s_cbranch_execz .LBB420_4
; %bb.3:
	global_load_ushort v0, v[3:4], off offset:128
	s_waitcnt vmcnt(0)
	v_cvt_f32_f16_e32 v6, v0
.LBB420_4:
	s_or_b32 exec_lo, exec_lo, s2
	v_cmp_lt_i32_e64 s2, 1, v5
	v_mov_b32_e32 v0, 0xff800000
	v_mov_b32_e32 v8, 0xff800000
	s_and_b32 s3, s2, s1
	s_and_saveexec_b32 s4, s3
	s_cbranch_execz .LBB420_6
; %bb.5:
	s_mov_b32 s15, 0
	s_lshl_b64 s[6:7], s[14:15], 1
	v_add_co_u32 v8, s3, v3, s6
	v_add_co_ci_u32_e64 v9, null, s7, v4, s3
	global_load_ushort v8, v[8:9], off
	s_waitcnt vmcnt(0)
	v_cvt_f32_f16_e32 v8, v8
.LBB420_6:
	s_or_b32 exec_lo, exec_lo, s4
	s_and_b32 s2, s2, s0
	s_and_saveexec_b32 s3, s2
	s_cbranch_execz .LBB420_8
; %bb.7:
	s_mov_b32 s15, 0
	s_lshl_b64 s[4:5], s[14:15], 1
	v_add_co_u32 v3, s2, v3, s4
	v_add_co_ci_u32_e64 v4, null, s5, v4, s2
	global_load_ushort v0, v[3:4], off offset:128
	s_waitcnt vmcnt(0)
	v_cvt_f32_f16_e32 v0, v0
.LBB420_8:
	s_or_b32 exec_lo, exec_lo, s3
	v_mbcnt_lo_u32_b32 v3, -1, 0
	v_or_b32_e32 v4, 32, v3
	v_xor_b32_e32 v13, 16, v3
	v_xor_b32_e32 v14, 8, v3
	;; [unrolled: 1-line block ×4, first 2 shown]
	v_cmp_gt_i32_e64 s2, 64, v4
	v_xor_b32_e32 v17, 1, v3
	v_cndmask_b32_e64 v4, v3, v4, s2
	v_cmp_gt_f32_e64 s2, v7, v6
	v_lshlrev_b32_e32 v10, 2, v4
	v_cndmask_b32_e64 v9, v6, v7, s2
	v_cmp_gt_f32_e64 s2, v8, v0
	ds_bpermute_b32 v11, v10, v9
	v_cndmask_b32_e64 v4, v0, v8, s2
	v_cmp_gt_i32_e64 s2, 64, v13
	ds_bpermute_b32 v12, v10, v4
	v_cndmask_b32_e64 v13, v3, v13, s2
	v_lshlrev_b32_e32 v13, 2, v13
	s_waitcnt lgkmcnt(1)
	v_cmp_lt_f32_e64 s2, v9, v11
	v_cndmask_b32_e64 v9, v9, v11, s2
	s_waitcnt lgkmcnt(0)
	v_cmp_lt_f32_e64 s2, v4, v12
	ds_bpermute_b32 v11, v13, v9
	v_cndmask_b32_e64 v4, v4, v12, s2
	v_cmp_gt_i32_e64 s2, 64, v14
	ds_bpermute_b32 v12, v13, v4
	v_cndmask_b32_e64 v14, v3, v14, s2
	v_lshlrev_b32_e32 v14, 2, v14
	s_waitcnt lgkmcnt(1)
	v_cmp_lt_f32_e64 s2, v9, v11
	v_cndmask_b32_e64 v9, v9, v11, s2
	s_waitcnt lgkmcnt(0)
	v_cmp_lt_f32_e64 s2, v4, v12
	;; [unrolled: 11-line block ×5, first 2 shown]
	ds_bpermute_b32 v9, v17, v3
	v_cndmask_b32_e64 v4, v4, v12, s2
	ds_bpermute_b32 v11, v17, v4
	s_waitcnt lgkmcnt(1)
	v_cmp_lt_f32_e64 s2, v3, v9
	v_cndmask_b32_e64 v3, v3, v9, s2
	s_waitcnt lgkmcnt(0)
	v_cmp_lt_f32_e64 s2, v4, v11
	v_sub_f32_e32 v7, v7, v3
	v_cndmask_b32_e64 v4, v4, v11, s2
	v_sub_f32_e32 v3, v6, v3
	v_cmp_ngt_f32_e64 s2, 0xc2ce8ed0, v7
	v_sub_f32_e32 v8, v8, v4
	v_sub_f32_e32 v0, v0, v4
	v_mul_f32_e32 v4, 0x3fb8aa3b, v7
	v_mul_f32_e32 v6, 0x3fb8aa3b, v3
	;; [unrolled: 1-line block ×4, first 2 shown]
	v_fma_f32 v12, 0x3fb8aa3b, v7, -v4
	v_rndne_f32_e32 v18, v4
	v_fma_f32 v19, 0x3fb8aa3b, v3, -v6
	v_rndne_f32_e32 v20, v6
	v_fma_f32 v21, 0x3fb8aa3b, v8, -v9
	v_fmac_f32_e32 v12, 0x32a5705f, v7
	v_sub_f32_e32 v4, v4, v18
	v_rndne_f32_e32 v22, v9
	v_fmac_f32_e32 v19, 0x32a5705f, v3
	v_sub_f32_e32 v6, v6, v20
	v_fma_f32 v23, 0x3fb8aa3b, v0, -v11
	v_add_f32_e32 v4, v4, v12
	v_rndne_f32_e32 v24, v11
	v_fmac_f32_e32 v21, 0x32a5705f, v8
	v_sub_f32_e32 v9, v9, v22
	v_add_f32_e32 v6, v6, v19
	v_exp_f32_e32 v4, v4
	v_fmac_f32_e32 v23, 0x32a5705f, v0
	v_sub_f32_e32 v11, v11, v24
	v_add_f32_e32 v9, v9, v21
	v_exp_f32_e32 v6, v6
	v_cvt_i32_f32_e32 v12, v18
	v_cvt_i32_f32_e32 v18, v20
	v_add_f32_e32 v11, v11, v23
	v_exp_f32_e32 v9, v9
	v_cvt_i32_f32_e32 v19, v22
	v_ldexp_f32 v4, v4, v12
	v_cvt_i32_f32_e32 v20, v24
	v_exp_f32_e32 v11, v11
	v_ldexp_f32 v6, v6, v18
	v_cndmask_b32_e64 v4, 0, v4, s2
	v_cmp_ngt_f32_e64 s2, 0xc2ce8ed0, v3
	v_ldexp_f32 v9, v9, v19
	v_cndmask_b32_e64 v6, 0, v6, s2
	v_cmp_ngt_f32_e64 s2, 0xc2ce8ed0, v8
	v_ldexp_f32 v11, v11, v20
	v_cndmask_b32_e64 v12, 0, v9, s2
	v_cmp_ngt_f32_e64 s2, 0xc2ce8ed0, v0
	v_cndmask_b32_e64 v11, 0, v11, s2
	v_cmp_nlt_f32_e64 s2, 0x42b17218, v7
	v_cndmask_b32_e64 v9, 0x7f800000, v4, s2
	v_cmp_nlt_f32_e64 s2, 0x42b17218, v3
	;; [unrolled: 2-line block ×4, first 2 shown]
	v_add_f32_e32 v0, v9, v6
	v_cndmask_b32_e64 v3, 0x7f800000, v11, s2
	ds_bpermute_b32 v8, v10, v0
	v_add_f32_e32 v7, v4, v3
	ds_bpermute_b32 v10, v10, v7
	s_waitcnt lgkmcnt(1)
	v_add_f32_e32 v0, v0, v8
	ds_bpermute_b32 v8, v13, v0
	s_waitcnt lgkmcnt(1)
	;; [unrolled: 3-line block ×9, first 2 shown]
	v_add_f32_e32 v10, v0, v8
	s_waitcnt lgkmcnt(0)
	v_add_f32_e32 v7, v7, v11
	ds_bpermute_b32 v11, v17, v10
	ds_bpermute_b32 v8, v17, v7
	s_and_saveexec_b32 s2, vcc_lo
	s_cbranch_execz .LBB420_21
; %bb.9:
	v_add_co_u32 v0, vcc_lo, s8, v1
	v_add_co_ci_u32_e64 v1, null, s9, v2, vcc_lo
	s_and_saveexec_b32 s3, s1
	s_cbranch_execz .LBB420_16
; %bb.10:
	s_waitcnt lgkmcnt(1)
	v_add_f32_e32 v2, v10, v11
	v_mov_b32_e32 v10, 0x7e00
	v_cmp_neq_f32_e64 s2, 0, v2
	s_and_saveexec_b32 s4, s2
	s_cbranch_execz .LBB420_12
; %bb.11:
	v_div_scale_f32 v10, null, v2, v2, v9
	v_rcp_f32_e32 v11, v10
	v_fma_f32 v12, -v10, v11, 1.0
	v_fmac_f32_e32 v11, v12, v11
	v_div_scale_f32 v12, vcc_lo, v9, v2, v9
	v_mul_f32_e32 v13, v12, v11
	v_fma_f32 v14, -v10, v13, v12
	v_fmac_f32_e32 v13, v14, v11
	v_fma_f32 v10, -v10, v13, v12
	v_div_fmas_f32 v10, v10, v11, v13
	v_div_fixup_f32 v9, v10, v2, v9
	v_cvt_f16_f32_e32 v10, v9
.LBB420_12:
	s_or_b32 exec_lo, exec_lo, s4
	global_store_short v[0:1], v10, off
	s_and_b32 exec_lo, exec_lo, s0
	s_cbranch_execz .LBB420_16
; %bb.13:
	v_mov_b32_e32 v9, 0x7e00
	s_and_saveexec_b32 s4, s2
	s_cbranch_execz .LBB420_15
; %bb.14:
	v_div_scale_f32 v9, null, v2, v2, v6
	v_rcp_f32_e32 v10, v9
	v_fma_f32 v11, -v9, v10, 1.0
	v_fmac_f32_e32 v10, v11, v10
	v_div_scale_f32 v11, vcc_lo, v6, v2, v6
	v_mul_f32_e32 v12, v11, v10
	v_fma_f32 v13, -v9, v12, v11
	v_fmac_f32_e32 v12, v13, v10
	v_fma_f32 v9, -v9, v12, v11
	v_div_fmas_f32 v9, v9, v10, v12
	v_div_fixup_f32 v2, v9, v2, v6
	v_cvt_f16_f32_e32 v9, v2
.LBB420_15:
	s_or_b32 exec_lo, exec_lo, s4
	global_store_short v[0:1], v9, off offset:128
.LBB420_16:
	s_or_b32 exec_lo, exec_lo, s3
	v_cmp_ne_u32_e32 vcc_lo, 1, v5
	s_and_b32 exec_lo, exec_lo, vcc_lo
	s_cbranch_execz .LBB420_21
; %bb.17:
	s_and_b32 exec_lo, exec_lo, s1
	s_cbranch_execz .LBB420_21
; %bb.18:
	s_waitcnt lgkmcnt(0)
	v_add_f32_e32 v2, v7, v8
	s_mov_b32 s15, 0
	v_cmp_neq_f32_e64 s1, 0, v2
	s_and_saveexec_b32 s2, s1
	s_xor_b32 s2, exec_lo, s2
	s_cbranch_execnz .LBB420_22
; %bb.19:
	s_andn2_saveexec_b32 s2, s2
	s_cbranch_execnz .LBB420_23
.LBB420_20:
	s_or_b32 exec_lo, exec_lo, s2
	s_and_b32 exec_lo, exec_lo, s0
	s_cbranch_execnz .LBB420_24
.LBB420_21:
	s_endpgm
.LBB420_22:
	v_div_scale_f32 v5, null, v2, v2, v4
	v_div_scale_f32 v8, vcc_lo, v4, v2, v4
	s_lshl_b64 s[4:5], s[14:15], 1
	v_rcp_f32_e32 v6, v5
	v_fma_f32 v7, -v5, v6, 1.0
	v_fmac_f32_e32 v6, v7, v6
	v_mul_f32_e32 v7, v8, v6
	v_fma_f32 v9, -v5, v7, v8
	v_fmac_f32_e32 v7, v9, v6
	v_fma_f32 v5, -v5, v7, v8
	v_div_fmas_f32 v5, v5, v6, v7
	v_div_fixup_f32 v4, v5, v2, v4
	v_cvt_f16_f32_e32 v6, v4
	v_add_co_u32 v4, vcc_lo, v0, s4
	v_add_co_ci_u32_e64 v5, null, s5, v1, vcc_lo
	global_store_short v[4:5], v6, off
	s_andn2_saveexec_b32 s2, s2
	s_cbranch_execz .LBB420_20
.LBB420_23:
	s_lshl_b64 s[4:5], s[14:15], 1
	v_mov_b32_e32 v6, 0x7e00
	v_add_co_u32 v4, vcc_lo, v0, s4
	v_add_co_ci_u32_e64 v5, null, s5, v1, vcc_lo
	global_store_short v[4:5], v6, off
	s_or_b32 exec_lo, exec_lo, s2
	s_and_b32 exec_lo, exec_lo, s0
	s_cbranch_execz .LBB420_21
.LBB420_24:
	s_and_saveexec_b32 s0, s1
	s_xor_b32 s0, exec_lo, s0
	s_cbranch_execz .LBB420_26
; %bb.25:
	v_div_scale_f32 v4, null, v2, v2, v3
	v_div_scale_f32 v7, vcc_lo, v3, v2, v3
	s_lshl_b64 s[2:3], s[14:15], 1
	v_rcp_f32_e32 v5, v4
	v_fma_f32 v6, -v4, v5, 1.0
	v_fmac_f32_e32 v5, v6, v5
	v_mul_f32_e32 v6, v7, v5
	v_fma_f32 v8, -v4, v6, v7
	v_fmac_f32_e32 v6, v8, v5
	v_fma_f32 v4, -v4, v6, v7
	v_div_fmas_f32 v4, v4, v5, v6
	v_add_co_u32 v0, vcc_lo, v0, s2
	v_add_co_ci_u32_e64 v1, null, s3, v1, vcc_lo
	v_div_fixup_f32 v2, v4, v2, v3
	v_cvt_f16_f32_e32 v2, v2
	global_store_short v[0:1], v2, off offset:128
                                        ; implicit-def: $vgpr0
.LBB420_26:
	s_andn2_saveexec_b32 s0, s0
	s_cbranch_execz .LBB420_21
; %bb.27:
	s_lshl_b64 s[0:1], s[14:15], 1
	v_mov_b32_e32 v2, 0x7e00
	v_add_co_u32 v0, vcc_lo, v0, s0
	v_add_co_ci_u32_e64 v1, null, s1, v1, vcc_lo
	global_store_short v[0:1], v2, off offset:128
	s_endpgm
	.section	.rodata,"a",@progbits
	.p2align	6, 0x0
	.amdhsa_kernel _ZN12_GLOBAL__N_120softmax_warp_forwardIN3c104HalfES2_fLi7ELb0ELb0ELi64EEEvPT0_PKT_iiiPKbib
		.amdhsa_group_segment_fixed_size 0
		.amdhsa_private_segment_fixed_size 0
		.amdhsa_kernarg_size 304
		.amdhsa_user_sgpr_count 6
		.amdhsa_user_sgpr_private_segment_buffer 1
		.amdhsa_user_sgpr_dispatch_ptr 0
		.amdhsa_user_sgpr_queue_ptr 0
		.amdhsa_user_sgpr_kernarg_segment_ptr 1
		.amdhsa_user_sgpr_dispatch_id 0
		.amdhsa_user_sgpr_flat_scratch_init 0
		.amdhsa_user_sgpr_private_segment_size 0
		.amdhsa_wavefront_size32 1
		.amdhsa_uses_dynamic_stack 0
		.amdhsa_system_sgpr_private_segment_wavefront_offset 0
		.amdhsa_system_sgpr_workgroup_id_x 1
		.amdhsa_system_sgpr_workgroup_id_y 0
		.amdhsa_system_sgpr_workgroup_id_z 0
		.amdhsa_system_sgpr_workgroup_info 0
		.amdhsa_system_vgpr_workitem_id 1
		.amdhsa_next_free_vgpr 25
		.amdhsa_next_free_sgpr 16
		.amdhsa_reserve_vcc 1
		.amdhsa_reserve_flat_scratch 0
		.amdhsa_float_round_mode_32 0
		.amdhsa_float_round_mode_16_64 0
		.amdhsa_float_denorm_mode_32 3
		.amdhsa_float_denorm_mode_16_64 3
		.amdhsa_dx10_clamp 1
		.amdhsa_ieee_mode 1
		.amdhsa_fp16_overflow 0
		.amdhsa_workgroup_processor_mode 1
		.amdhsa_memory_ordered 1
		.amdhsa_forward_progress 1
		.amdhsa_shared_vgpr_count 0
		.amdhsa_exception_fp_ieee_invalid_op 0
		.amdhsa_exception_fp_denorm_src 0
		.amdhsa_exception_fp_ieee_div_zero 0
		.amdhsa_exception_fp_ieee_overflow 0
		.amdhsa_exception_fp_ieee_underflow 0
		.amdhsa_exception_fp_ieee_inexact 0
		.amdhsa_exception_int_div_zero 0
	.end_amdhsa_kernel
	.section	.text._ZN12_GLOBAL__N_120softmax_warp_forwardIN3c104HalfES2_fLi7ELb0ELb0ELi64EEEvPT0_PKT_iiiPKbib,"axG",@progbits,_ZN12_GLOBAL__N_120softmax_warp_forwardIN3c104HalfES2_fLi7ELb0ELb0ELi64EEEvPT0_PKT_iiiPKbib,comdat
.Lfunc_end420:
	.size	_ZN12_GLOBAL__N_120softmax_warp_forwardIN3c104HalfES2_fLi7ELb0ELb0ELi64EEEvPT0_PKT_iiiPKbib, .Lfunc_end420-_ZN12_GLOBAL__N_120softmax_warp_forwardIN3c104HalfES2_fLi7ELb0ELb0ELi64EEEvPT0_PKT_iiiPKbib
                                        ; -- End function
	.set _ZN12_GLOBAL__N_120softmax_warp_forwardIN3c104HalfES2_fLi7ELb0ELb0ELi64EEEvPT0_PKT_iiiPKbib.num_vgpr, 25
	.set _ZN12_GLOBAL__N_120softmax_warp_forwardIN3c104HalfES2_fLi7ELb0ELb0ELi64EEEvPT0_PKT_iiiPKbib.num_agpr, 0
	.set _ZN12_GLOBAL__N_120softmax_warp_forwardIN3c104HalfES2_fLi7ELb0ELb0ELi64EEEvPT0_PKT_iiiPKbib.numbered_sgpr, 16
	.set _ZN12_GLOBAL__N_120softmax_warp_forwardIN3c104HalfES2_fLi7ELb0ELb0ELi64EEEvPT0_PKT_iiiPKbib.num_named_barrier, 0
	.set _ZN12_GLOBAL__N_120softmax_warp_forwardIN3c104HalfES2_fLi7ELb0ELb0ELi64EEEvPT0_PKT_iiiPKbib.private_seg_size, 0
	.set _ZN12_GLOBAL__N_120softmax_warp_forwardIN3c104HalfES2_fLi7ELb0ELb0ELi64EEEvPT0_PKT_iiiPKbib.uses_vcc, 1
	.set _ZN12_GLOBAL__N_120softmax_warp_forwardIN3c104HalfES2_fLi7ELb0ELb0ELi64EEEvPT0_PKT_iiiPKbib.uses_flat_scratch, 0
	.set _ZN12_GLOBAL__N_120softmax_warp_forwardIN3c104HalfES2_fLi7ELb0ELb0ELi64EEEvPT0_PKT_iiiPKbib.has_dyn_sized_stack, 0
	.set _ZN12_GLOBAL__N_120softmax_warp_forwardIN3c104HalfES2_fLi7ELb0ELb0ELi64EEEvPT0_PKT_iiiPKbib.has_recursion, 0
	.set _ZN12_GLOBAL__N_120softmax_warp_forwardIN3c104HalfES2_fLi7ELb0ELb0ELi64EEEvPT0_PKT_iiiPKbib.has_indirect_call, 0
	.section	.AMDGPU.csdata,"",@progbits
; Kernel info:
; codeLenInByte = 2116
; TotalNumSgprs: 18
; NumVgprs: 25
; ScratchSize: 0
; MemoryBound: 0
; FloatMode: 240
; IeeeMode: 1
; LDSByteSize: 0 bytes/workgroup (compile time only)
; SGPRBlocks: 0
; VGPRBlocks: 3
; NumSGPRsForWavesPerEU: 18
; NumVGPRsForWavesPerEU: 25
; Occupancy: 16
; WaveLimiterHint : 0
; COMPUTE_PGM_RSRC2:SCRATCH_EN: 0
; COMPUTE_PGM_RSRC2:USER_SGPR: 6
; COMPUTE_PGM_RSRC2:TRAP_HANDLER: 0
; COMPUTE_PGM_RSRC2:TGID_X_EN: 1
; COMPUTE_PGM_RSRC2:TGID_Y_EN: 0
; COMPUTE_PGM_RSRC2:TGID_Z_EN: 0
; COMPUTE_PGM_RSRC2:TIDIG_COMP_CNT: 1
	.section	.text._ZN12_GLOBAL__N_120softmax_warp_forwardIN3c104HalfES2_fLi7ELb0ELb0ELi32EEEvPT0_PKT_iiiPKbib,"axG",@progbits,_ZN12_GLOBAL__N_120softmax_warp_forwardIN3c104HalfES2_fLi7ELb0ELb0ELi32EEEvPT0_PKT_iiiPKbib,comdat
	.globl	_ZN12_GLOBAL__N_120softmax_warp_forwardIN3c104HalfES2_fLi7ELb0ELb0ELi32EEEvPT0_PKT_iiiPKbib ; -- Begin function _ZN12_GLOBAL__N_120softmax_warp_forwardIN3c104HalfES2_fLi7ELb0ELb0ELi32EEEvPT0_PKT_iiiPKbib
	.p2align	8
	.type	_ZN12_GLOBAL__N_120softmax_warp_forwardIN3c104HalfES2_fLi7ELb0ELb0ELi32EEEvPT0_PKT_iiiPKbib,@function
_ZN12_GLOBAL__N_120softmax_warp_forwardIN3c104HalfES2_fLi7ELb0ELb0ELi32EEEvPT0_PKT_iiiPKbib: ; @_ZN12_GLOBAL__N_120softmax_warp_forwardIN3c104HalfES2_fLi7ELb0ELb0ELi32EEEvPT0_PKT_iiiPKbib
; %bb.0:
	s_clause 0x1
	s_load_dword s0, s[4:5], 0x3c
	s_load_dwordx8 s[8:15], s[4:5], 0x0
	v_mov_b32_e32 v6, 0xff800000
	v_mov_b32_e32 v13, 0xff800000
	s_waitcnt lgkmcnt(0)
	s_lshr_b32 s0, s0, 16
	v_cmp_gt_i32_e64 s3, s14, v0
	s_and_b32 s0, s0, 0xffff
	s_mul_i32 s6, s6, s0
	v_add_lshl_u32 v3, s6, v1, 1
	v_mad_u64_u32 v[1:2], null, v3, s13, v[0:1]
	v_sub_nc_u32_e32 v5, s12, v3
	v_cmp_lt_i32_e32 vcc_lo, 0, v5
	v_ashrrev_i32_e32 v2, 31, v1
	s_and_b32 s1, vcc_lo, s3
	v_lshlrev_b64 v[1:2], 1, v[1:2]
	v_add_co_u32 v3, s0, s10, v1
	v_add_co_ci_u32_e64 v4, null, s11, v2, s0
	s_and_saveexec_b32 s0, s1
	s_cbranch_execz .LBB421_2
; %bb.1:
	global_load_ushort v7, v[3:4], off
	s_waitcnt vmcnt(0)
	v_cvt_f32_f16_e32 v13, v7
.LBB421_2:
	s_or_b32 exec_lo, exec_lo, s0
	v_add_nc_u32_e32 v7, 32, v0
	v_cmp_gt_i32_e64 s2, s14, v7
	s_and_b32 s1, vcc_lo, s2
	s_and_saveexec_b32 s0, s1
	s_cbranch_execz .LBB421_4
; %bb.3:
	global_load_ushort v6, v[3:4], off offset:64
	s_waitcnt vmcnt(0)
	v_cvt_f32_f16_e32 v6, v6
.LBB421_4:
	s_or_b32 exec_lo, exec_lo, s0
	v_add_nc_u32_e32 v7, 64, v0
	v_mov_b32_e32 v10, 0xff800000
	v_mov_b32_e32 v14, 0xff800000
	v_cmp_gt_i32_e64 s1, s14, v7
	s_and_b32 s4, vcc_lo, s1
	s_and_saveexec_b32 s0, s4
	s_cbranch_execz .LBB421_6
; %bb.5:
	global_load_ushort v7, v[3:4], off offset:128
	s_waitcnt vmcnt(0)
	v_cvt_f32_f16_e32 v14, v7
.LBB421_6:
	s_or_b32 exec_lo, exec_lo, s0
	v_add_nc_u32_e32 v0, 0x60, v0
	v_cmp_gt_i32_e64 s0, s14, v0
	s_and_b32 s5, vcc_lo, s0
	s_and_saveexec_b32 s4, s5
	s_cbranch_execz .LBB421_8
; %bb.7:
	global_load_ushort v0, v[3:4], off offset:192
	s_waitcnt vmcnt(0)
	v_cvt_f32_f16_e32 v10, v0
.LBB421_8:
	s_or_b32 exec_lo, exec_lo, s4
	v_cmp_lt_i32_e64 s4, 1, v5
	v_mov_b32_e32 v12, 0xff800000
	v_mov_b32_e32 v16, 0xff800000
	s_and_b32 s5, s4, s3
	s_and_saveexec_b32 s6, s5
	s_cbranch_execz .LBB421_10
; %bb.9:
	s_mov_b32 s15, 0
	s_lshl_b64 s[10:11], s[14:15], 1
	v_add_co_u32 v7, s5, v3, s10
	v_add_co_ci_u32_e64 v8, null, s11, v4, s5
	global_load_ushort v0, v[7:8], off
	s_waitcnt vmcnt(0)
	v_cvt_f32_f16_e32 v16, v0
.LBB421_10:
	s_or_b32 exec_lo, exec_lo, s6
	s_and_b32 s5, s4, s2
	s_and_saveexec_b32 s6, s5
	s_cbranch_execz .LBB421_12
; %bb.11:
	s_mov_b32 s15, 0
	s_lshl_b64 s[10:11], s[14:15], 1
	v_add_co_u32 v7, s5, v3, s10
	v_add_co_ci_u32_e64 v8, null, s11, v4, s5
	global_load_ushort v0, v[7:8], off offset:64
	s_waitcnt vmcnt(0)
	v_cvt_f32_f16_e32 v12, v0
.LBB421_12:
	s_or_b32 exec_lo, exec_lo, s6
	v_mov_b32_e32 v15, 0xff800000
	v_mov_b32_e32 v17, 0xff800000
	s_and_b32 s5, s4, s1
	s_and_saveexec_b32 s6, s5
	s_cbranch_execz .LBB421_14
; %bb.13:
	s_mov_b32 s15, 0
	s_lshl_b64 s[10:11], s[14:15], 1
	v_add_co_u32 v7, s5, v3, s10
	v_add_co_ci_u32_e64 v8, null, s11, v4, s5
	global_load_ushort v0, v[7:8], off offset:128
	s_waitcnt vmcnt(0)
	v_cvt_f32_f16_e32 v17, v0
.LBB421_14:
	s_or_b32 exec_lo, exec_lo, s6
	s_and_b32 s4, s4, s0
	s_and_saveexec_b32 s5, s4
	s_cbranch_execz .LBB421_16
; %bb.15:
	s_mov_b32 s15, 0
	s_lshl_b64 s[6:7], s[14:15], 1
	v_add_co_u32 v3, s4, v3, s6
	v_add_co_ci_u32_e64 v4, null, s7, v4, s4
	global_load_ushort v0, v[3:4], off offset:192
	s_waitcnt vmcnt(0)
	v_cvt_f32_f16_e32 v15, v0
.LBB421_16:
	s_or_b32 exec_lo, exec_lo, s5
	v_cmp_gt_f32_e64 s4, v13, v6
	v_mbcnt_lo_u32_b32 v3, -1, 0
	v_cndmask_b32_e64 v0, v6, v13, s4
	v_cmp_gt_f32_e64 s4, v16, v12
	v_xor_b32_e32 v4, 16, v3
	v_cndmask_b32_e64 v7, v12, v16, s4
	v_cmp_gt_f32_e64 s4, v0, v14
	v_cndmask_b32_e64 v0, v14, v0, s4
	v_cmp_gt_i32_e64 s4, 32, v4
	v_cndmask_b32_e64 v4, v3, v4, s4
	v_cmp_gt_f32_e64 s4, v7, v17
	v_cndmask_b32_e64 v7, v17, v7, s4
	v_cmp_gt_f32_e64 s4, v0, v10
	v_cndmask_b32_e64 v8, v10, v0, s4
	v_lshlrev_b32_e32 v0, 2, v4
	v_cmp_gt_f32_e64 s4, v7, v15
	ds_bpermute_b32 v9, v0, v8
	v_cndmask_b32_e64 v4, v15, v7, s4
	v_xor_b32_e32 v7, 8, v3
	ds_bpermute_b32 v11, v0, v4
	v_cmp_gt_i32_e64 s4, 32, v7
	v_cndmask_b32_e64 v7, v3, v7, s4
	v_lshlrev_b32_e32 v7, 2, v7
	s_waitcnt lgkmcnt(1)
	v_cmp_lt_f32_e64 s4, v8, v9
	v_cndmask_b32_e64 v9, v8, v9, s4
	s_waitcnt lgkmcnt(0)
	v_cmp_lt_f32_e64 s4, v4, v11
	v_xor_b32_e32 v8, 4, v3
	v_cndmask_b32_e64 v4, v4, v11, s4
	ds_bpermute_b32 v11, v7, v9
	v_cmp_gt_i32_e64 s4, 32, v8
	ds_bpermute_b32 v18, v7, v4
	v_cndmask_b32_e64 v8, v3, v8, s4
	v_lshlrev_b32_e32 v8, 2, v8
	s_waitcnt lgkmcnt(1)
	v_cmp_lt_f32_e64 s4, v9, v11
	v_cndmask_b32_e64 v11, v9, v11, s4
	s_waitcnt lgkmcnt(0)
	v_cmp_lt_f32_e64 s4, v4, v18
	v_xor_b32_e32 v9, 2, v3
	v_cndmask_b32_e64 v4, v4, v18, s4
	ds_bpermute_b32 v18, v8, v11
	v_cmp_gt_i32_e64 s4, 32, v9
	ds_bpermute_b32 v19, v8, v4
	;; [unrolled: 12-line block ×3, first 2 shown]
	v_cndmask_b32_e64 v3, v3, v11, s4
	v_lshlrev_b32_e32 v11, 2, v3
	s_waitcnt lgkmcnt(1)
	v_cmp_lt_f32_e64 s4, v18, v19
	v_cndmask_b32_e64 v3, v18, v19, s4
	s_waitcnt lgkmcnt(0)
	v_cmp_lt_f32_e64 s4, v4, v20
	ds_bpermute_b32 v18, v11, v3
	v_cndmask_b32_e64 v4, v4, v20, s4
	ds_bpermute_b32 v19, v11, v4
	s_waitcnt lgkmcnt(1)
	v_cmp_lt_f32_e64 s4, v3, v18
	v_cndmask_b32_e64 v3, v3, v18, s4
	s_waitcnt lgkmcnt(0)
	v_cmp_lt_f32_e64 s4, v4, v19
	v_sub_f32_e32 v13, v13, v3
	v_cndmask_b32_e64 v4, v4, v19, s4
	v_sub_f32_e32 v6, v6, v3
	v_sub_f32_e32 v18, v14, v3
	;; [unrolled: 1-line block ×3, first 2 shown]
	v_cmp_ngt_f32_e64 s4, 0xc2ce8ed0, v13
	v_sub_f32_e32 v10, v16, v4
	v_sub_f32_e32 v12, v12, v4
	v_sub_f32_e32 v16, v17, v4
	v_sub_f32_e32 v17, v15, v4
	v_mul_f32_e32 v4, 0x3fb8aa3b, v13
	v_mul_f32_e32 v14, 0x3fb8aa3b, v6
	;; [unrolled: 1-line block ×5, first 2 shown]
	v_fma_f32 v24, 0x3fb8aa3b, v13, -v4
	v_rndne_f32_e32 v25, v4
	v_fma_f32 v26, 0x3fb8aa3b, v6, -v14
	v_rndne_f32_e32 v27, v14
	v_fma_f32 v28, 0x3fb8aa3b, v18, -v15
	v_fmac_f32_e32 v24, 0x32a5705f, v13
	v_sub_f32_e32 v4, v4, v25
	v_rndne_f32_e32 v29, v15
	v_fmac_f32_e32 v26, 0x32a5705f, v6
	v_sub_f32_e32 v14, v14, v27
	v_mul_f32_e32 v20, 0x3fb8aa3b, v10
	v_add_f32_e32 v4, v4, v24
	v_fma_f32 v30, 0x3fb8aa3b, v3, -v19
	v_rndne_f32_e32 v31, v19
	v_fma_f32 v36, 0x3fb8aa3b, v16, -v22
	v_rndne_f32_e32 v37, v22
	v_fmac_f32_e32 v28, 0x32a5705f, v18
	v_sub_f32_e32 v15, v15, v29
	v_add_f32_e32 v14, v14, v26
	v_exp_f32_e32 v4, v4
	v_mul_f32_e32 v21, 0x3fb8aa3b, v12
	v_fma_f32 v32, 0x3fb8aa3b, v10, -v20
	v_rndne_f32_e32 v33, v20
	v_cvt_i32_f32_e32 v25, v25
	v_fmac_f32_e32 v30, 0x32a5705f, v3
	v_sub_f32_e32 v19, v19, v31
	v_fmac_f32_e32 v36, 0x32a5705f, v16
	v_sub_f32_e32 v22, v22, v37
	v_add_f32_e32 v15, v15, v28
	v_exp_f32_e32 v14, v14
	v_fma_f32 v34, 0x3fb8aa3b, v12, -v21
	v_rndne_f32_e32 v35, v21
	v_cvt_i32_f32_e32 v27, v27
	v_fmac_f32_e32 v32, 0x32a5705f, v10
	v_sub_f32_e32 v20, v20, v33
	v_add_f32_e32 v19, v19, v30
	v_add_f32_e32 v22, v22, v36
	v_exp_f32_e32 v15, v15
	v_ldexp_f32 v4, v4, v25
	v_mul_f32_e32 v23, 0x3fb8aa3b, v17
	v_cvt_i32_f32_e32 v29, v29
	v_fmac_f32_e32 v34, 0x32a5705f, v12
	v_sub_f32_e32 v21, v21, v35
	v_add_f32_e32 v20, v20, v32
	v_exp_f32_e32 v19, v19
	v_exp_f32_e32 v22, v22
	v_ldexp_f32 v14, v14, v27
	v_cndmask_b32_e64 v4, 0, v4, s4
	v_cmp_ngt_f32_e64 s4, 0xc2ce8ed0, v6
	v_fma_f32 v38, 0x3fb8aa3b, v17, -v23
	v_rndne_f32_e32 v39, v23
	v_cvt_i32_f32_e32 v31, v31
	v_add_f32_e32 v21, v21, v34
	v_exp_f32_e32 v20, v20
	v_cvt_i32_f32_e32 v24, v37
	v_ldexp_f32 v15, v15, v29
	v_cndmask_b32_e64 v14, 0, v14, s4
	v_cmp_ngt_f32_e64 s4, 0xc2ce8ed0, v18
	v_cvt_i32_f32_e32 v33, v33
	v_fmac_f32_e32 v38, 0x32a5705f, v17
	v_sub_f32_e32 v23, v23, v39
	v_exp_f32_e32 v21, v21
	v_ldexp_f32 v19, v19, v31
	v_ldexp_f32 v22, v22, v24
	v_cndmask_b32_e64 v24, 0, v15, s4
	v_cmp_ngt_f32_e64 s4, 0xc2ce8ed0, v3
	v_cvt_i32_f32_e32 v35, v35
	v_add_f32_e32 v23, v23, v38
	v_ldexp_f32 v20, v20, v33
	v_cvt_i32_f32_e32 v26, v39
	v_cndmask_b32_e64 v19, 0, v19, s4
	v_cmp_ngt_f32_e64 s4, 0xc2ce8ed0, v10
	v_exp_f32_e32 v23, v23
	v_ldexp_f32 v21, v21, v35
	v_cndmask_b32_e64 v20, 0, v20, s4
	v_cmp_ngt_f32_e64 s4, 0xc2ce8ed0, v12
	v_cndmask_b32_e64 v21, 0, v21, s4
	v_cmp_ngt_f32_e64 s4, 0xc2ce8ed0, v16
	v_ldexp_f32 v23, v23, v26
	v_cndmask_b32_e64 v22, 0, v22, s4
	v_cmp_ngt_f32_e64 s4, 0xc2ce8ed0, v17
	v_cndmask_b32_e64 v23, 0, v23, s4
	v_cmp_nlt_f32_e64 s4, 0x42b17218, v13
	v_cndmask_b32_e64 v15, 0x7f800000, v4, s4
	v_cmp_nlt_f32_e64 s4, 0x42b17218, v6
	;; [unrolled: 2-line block ×5, first 2 shown]
	v_add_f32_e32 v18, v10, v6
	v_cndmask_b32_e64 v13, 0x7f800000, v24, s4
	v_cmp_nlt_f32_e64 s4, 0x42b17218, v16
	v_add_f32_e32 v16, v15, v14
	v_cndmask_b32_e64 v4, 0x7f800000, v22, s4
	v_cmp_nlt_f32_e64 s4, 0x42b17218, v3
	;; [unrolled: 3-line block ×3, first 2 shown]
	v_add_f32_e32 v17, v18, v4
	v_add_f32_e32 v16, v16, v12
	v_cndmask_b32_e64 v3, 0x7f800000, v23, s4
	ds_bpermute_b32 v18, v0, v16
	v_add_f32_e32 v17, v17, v3
	ds_bpermute_b32 v0, v0, v17
	s_waitcnt lgkmcnt(1)
	v_add_f32_e32 v16, v16, v18
	s_waitcnt lgkmcnt(0)
	v_add_f32_e32 v0, v17, v0
	ds_bpermute_b32 v17, v7, v16
	ds_bpermute_b32 v7, v7, v0
	s_waitcnt lgkmcnt(1)
	v_add_f32_e32 v16, v16, v17
	s_waitcnt lgkmcnt(0)
	v_add_f32_e32 v0, v0, v7
	ds_bpermute_b32 v7, v8, v16
	;; [unrolled: 6-line block ×4, first 2 shown]
	ds_bpermute_b32 v8, v11, v7
	s_and_saveexec_b32 s4, vcc_lo
	s_cbranch_execz .LBB421_35
; %bb.17:
	v_add_co_u32 v0, vcc_lo, s8, v1
	v_add_co_ci_u32_e64 v1, null, s9, v2, vcc_lo
	s_and_saveexec_b32 s5, s3
	s_cbranch_execz .LBB421_30
; %bb.18:
	s_waitcnt lgkmcnt(1)
	v_add_f32_e32 v2, v9, v16
	v_mov_b32_e32 v9, 0x7e00
	v_cmp_neq_f32_e64 s4, 0, v2
	s_and_saveexec_b32 s6, s4
	s_cbranch_execz .LBB421_20
; %bb.19:
	v_div_scale_f32 v9, null, v2, v2, v15
	v_rcp_f32_e32 v11, v9
	v_fma_f32 v16, -v9, v11, 1.0
	v_fmac_f32_e32 v11, v16, v11
	v_div_scale_f32 v16, vcc_lo, v15, v2, v15
	v_mul_f32_e32 v17, v16, v11
	v_fma_f32 v18, -v9, v17, v16
	v_fmac_f32_e32 v17, v18, v11
	v_fma_f32 v9, -v9, v17, v16
	v_div_fmas_f32 v9, v9, v11, v17
	v_div_fixup_f32 v9, v9, v2, v15
	v_cvt_f16_f32_e32 v9, v9
.LBB421_20:
	s_or_b32 exec_lo, exec_lo, s6
	global_store_short v[0:1], v9, off
	s_and_b32 exec_lo, exec_lo, s2
	s_cbranch_execz .LBB421_30
; %bb.21:
	v_mov_b32_e32 v9, 0x7e00
	s_and_saveexec_b32 s6, s4
	s_cbranch_execz .LBB421_23
; %bb.22:
	v_div_scale_f32 v9, null, v2, v2, v14
	v_rcp_f32_e32 v11, v9
	v_fma_f32 v15, -v9, v11, 1.0
	v_fmac_f32_e32 v11, v15, v11
	v_div_scale_f32 v15, vcc_lo, v14, v2, v14
	v_mul_f32_e32 v16, v15, v11
	v_fma_f32 v17, -v9, v16, v15
	v_fmac_f32_e32 v16, v17, v11
	v_fma_f32 v9, -v9, v16, v15
	v_div_fmas_f32 v9, v9, v11, v16
	v_div_fixup_f32 v9, v9, v2, v14
	v_cvt_f16_f32_e32 v9, v9
.LBB421_23:
	s_or_b32 exec_lo, exec_lo, s6
	global_store_short v[0:1], v9, off offset:64
	s_and_b32 exec_lo, exec_lo, s1
	s_cbranch_execz .LBB421_30
; %bb.24:
	v_mov_b32_e32 v9, 0x7e00
	s_and_saveexec_b32 s6, s4
	s_cbranch_execz .LBB421_26
; %bb.25:
	v_div_scale_f32 v9, null, v2, v2, v13
	v_rcp_f32_e32 v11, v9
	v_fma_f32 v14, -v9, v11, 1.0
	v_fmac_f32_e32 v11, v14, v11
	v_div_scale_f32 v14, vcc_lo, v13, v2, v13
	v_mul_f32_e32 v15, v14, v11
	v_fma_f32 v16, -v9, v15, v14
	v_fmac_f32_e32 v15, v16, v11
	v_fma_f32 v9, -v9, v15, v14
	v_div_fmas_f32 v9, v9, v11, v15
	v_div_fixup_f32 v9, v9, v2, v13
	v_cvt_f16_f32_e32 v9, v9
.LBB421_26:
	s_or_b32 exec_lo, exec_lo, s6
	global_store_short v[0:1], v9, off offset:128
	;; [unrolled: 22-line block ×3, first 2 shown]
.LBB421_30:
	s_or_b32 exec_lo, exec_lo, s5
	v_cmp_ne_u32_e32 vcc_lo, 1, v5
	s_and_b32 exec_lo, exec_lo, vcc_lo
	s_cbranch_execz .LBB421_35
; %bb.31:
	s_and_b32 exec_lo, exec_lo, s3
	s_cbranch_execz .LBB421_35
; %bb.32:
	s_waitcnt lgkmcnt(0)
	v_add_f32_e32 v2, v7, v8
	s_mov_b32 s15, 0
	v_cmp_neq_f32_e64 s3, 0, v2
	s_and_saveexec_b32 s4, s3
	s_xor_b32 s4, exec_lo, s4
	s_cbranch_execnz .LBB421_36
; %bb.33:
	s_andn2_saveexec_b32 s4, s4
	s_cbranch_execnz .LBB421_37
.LBB421_34:
	s_or_b32 exec_lo, exec_lo, s4
	s_and_b32 exec_lo, exec_lo, s2
	s_cbranch_execnz .LBB421_38
.LBB421_35:
	s_endpgm
.LBB421_36:
	v_div_scale_f32 v5, null, v2, v2, v10
	v_div_scale_f32 v9, vcc_lo, v10, v2, v10
	s_lshl_b64 s[6:7], s[14:15], 1
	v_rcp_f32_e32 v7, v5
	v_fma_f32 v8, -v5, v7, 1.0
	v_fmac_f32_e32 v7, v8, v7
	v_mul_f32_e32 v8, v9, v7
	v_fma_f32 v11, -v5, v8, v9
	v_fmac_f32_e32 v8, v11, v7
	v_fma_f32 v5, -v5, v8, v9
	v_div_fmas_f32 v5, v5, v7, v8
	v_add_co_u32 v7, vcc_lo, v0, s6
	v_add_co_ci_u32_e64 v8, null, s7, v1, vcc_lo
	v_div_fixup_f32 v5, v5, v2, v10
	v_cvt_f16_f32_e32 v5, v5
	global_store_short v[7:8], v5, off
	s_andn2_saveexec_b32 s4, s4
	s_cbranch_execz .LBB421_34
.LBB421_37:
	s_lshl_b64 s[6:7], s[14:15], 1
	v_mov_b32_e32 v5, 0x7e00
	v_add_co_u32 v7, vcc_lo, v0, s6
	v_add_co_ci_u32_e64 v8, null, s7, v1, vcc_lo
	global_store_short v[7:8], v5, off
	s_or_b32 exec_lo, exec_lo, s4
	s_and_b32 exec_lo, exec_lo, s2
	s_cbranch_execz .LBB421_35
.LBB421_38:
	s_and_saveexec_b32 s2, s3
	s_xor_b32 s2, exec_lo, s2
	s_cbranch_execnz .LBB421_41
; %bb.39:
	s_andn2_saveexec_b32 s2, s2
	s_cbranch_execnz .LBB421_42
.LBB421_40:
	s_or_b32 exec_lo, exec_lo, s2
	s_and_b32 exec_lo, exec_lo, s1
	s_cbranch_execz .LBB421_35
	s_branch .LBB421_43
.LBB421_41:
	v_div_scale_f32 v5, null, v2, v2, v6
	v_div_scale_f32 v9, vcc_lo, v6, v2, v6
	s_lshl_b64 s[4:5], s[14:15], 1
	v_rcp_f32_e32 v7, v5
	v_fma_f32 v8, -v5, v7, 1.0
	v_fmac_f32_e32 v7, v8, v7
	v_mul_f32_e32 v8, v9, v7
	v_fma_f32 v10, -v5, v8, v9
	v_fmac_f32_e32 v8, v10, v7
	v_fma_f32 v5, -v5, v8, v9
	v_div_fmas_f32 v5, v5, v7, v8
	v_div_fixup_f32 v5, v5, v2, v6
	v_cvt_f16_f32_e32 v7, v5
	v_add_co_u32 v5, vcc_lo, v0, s4
	v_add_co_ci_u32_e64 v6, null, s5, v1, vcc_lo
	global_store_short v[5:6], v7, off offset:64
	s_andn2_saveexec_b32 s2, s2
	s_cbranch_execz .LBB421_40
.LBB421_42:
	s_lshl_b64 s[4:5], s[14:15], 1
	v_mov_b32_e32 v7, 0x7e00
	v_add_co_u32 v5, vcc_lo, v0, s4
	v_add_co_ci_u32_e64 v6, null, s5, v1, vcc_lo
	global_store_short v[5:6], v7, off offset:64
	s_or_b32 exec_lo, exec_lo, s2
	s_and_b32 exec_lo, exec_lo, s1
	s_cbranch_execz .LBB421_35
.LBB421_43:
	s_and_saveexec_b32 s1, s3
	s_xor_b32 s1, exec_lo, s1
	s_cbranch_execnz .LBB421_46
; %bb.44:
	s_andn2_saveexec_b32 s1, s1
	s_cbranch_execnz .LBB421_47
.LBB421_45:
	s_or_b32 exec_lo, exec_lo, s1
	s_and_b32 exec_lo, exec_lo, s0
	s_cbranch_execz .LBB421_35
	s_branch .LBB421_48
.LBB421_46:
	v_div_scale_f32 v5, null, v2, v2, v4
	v_div_scale_f32 v8, vcc_lo, v4, v2, v4
	s_lshl_b64 s[4:5], s[14:15], 1
	v_rcp_f32_e32 v6, v5
	v_fma_f32 v7, -v5, v6, 1.0
	v_fmac_f32_e32 v6, v7, v6
	v_mul_f32_e32 v7, v8, v6
	v_fma_f32 v9, -v5, v7, v8
	v_fmac_f32_e32 v7, v9, v6
	v_fma_f32 v5, -v5, v7, v8
	v_div_fmas_f32 v5, v5, v6, v7
	v_div_fixup_f32 v4, v5, v2, v4
	v_cvt_f16_f32_e32 v6, v4
	v_add_co_u32 v4, vcc_lo, v0, s4
	v_add_co_ci_u32_e64 v5, null, s5, v1, vcc_lo
	global_store_short v[4:5], v6, off offset:128
	s_andn2_saveexec_b32 s1, s1
	s_cbranch_execz .LBB421_45
.LBB421_47:
	s_lshl_b64 s[4:5], s[14:15], 1
	v_mov_b32_e32 v6, 0x7e00
	v_add_co_u32 v4, vcc_lo, v0, s4
	v_add_co_ci_u32_e64 v5, null, s5, v1, vcc_lo
	global_store_short v[4:5], v6, off offset:128
	s_or_b32 exec_lo, exec_lo, s1
	s_and_b32 exec_lo, exec_lo, s0
	s_cbranch_execz .LBB421_35
.LBB421_48:
	s_and_saveexec_b32 s0, s3
	s_xor_b32 s0, exec_lo, s0
	s_cbranch_execz .LBB421_50
; %bb.49:
	v_div_scale_f32 v4, null, v2, v2, v3
	v_div_scale_f32 v7, vcc_lo, v3, v2, v3
	s_lshl_b64 s[2:3], s[14:15], 1
	v_rcp_f32_e32 v5, v4
	v_fma_f32 v6, -v4, v5, 1.0
	v_fmac_f32_e32 v5, v6, v5
	v_mul_f32_e32 v6, v7, v5
	v_fma_f32 v8, -v4, v6, v7
	v_fmac_f32_e32 v6, v8, v5
	v_fma_f32 v4, -v4, v6, v7
	v_div_fmas_f32 v4, v4, v5, v6
	v_add_co_u32 v0, vcc_lo, v0, s2
	v_add_co_ci_u32_e64 v1, null, s3, v1, vcc_lo
	v_div_fixup_f32 v2, v4, v2, v3
	v_cvt_f16_f32_e32 v2, v2
	global_store_short v[0:1], v2, off offset:192
                                        ; implicit-def: $vgpr0
.LBB421_50:
	s_andn2_saveexec_b32 s0, s0
	s_cbranch_execz .LBB421_35
; %bb.51:
	s_lshl_b64 s[0:1], s[14:15], 1
	v_mov_b32_e32 v2, 0x7e00
	v_add_co_u32 v0, vcc_lo, v0, s0
	v_add_co_ci_u32_e64 v1, null, s1, v1, vcc_lo
	global_store_short v[0:1], v2, off offset:192
	s_endpgm
	.section	.rodata,"a",@progbits
	.p2align	6, 0x0
	.amdhsa_kernel _ZN12_GLOBAL__N_120softmax_warp_forwardIN3c104HalfES2_fLi7ELb0ELb0ELi32EEEvPT0_PKT_iiiPKbib
		.amdhsa_group_segment_fixed_size 0
		.amdhsa_private_segment_fixed_size 0
		.amdhsa_kernarg_size 304
		.amdhsa_user_sgpr_count 6
		.amdhsa_user_sgpr_private_segment_buffer 1
		.amdhsa_user_sgpr_dispatch_ptr 0
		.amdhsa_user_sgpr_queue_ptr 0
		.amdhsa_user_sgpr_kernarg_segment_ptr 1
		.amdhsa_user_sgpr_dispatch_id 0
		.amdhsa_user_sgpr_flat_scratch_init 0
		.amdhsa_user_sgpr_private_segment_size 0
		.amdhsa_wavefront_size32 1
		.amdhsa_uses_dynamic_stack 0
		.amdhsa_system_sgpr_private_segment_wavefront_offset 0
		.amdhsa_system_sgpr_workgroup_id_x 1
		.amdhsa_system_sgpr_workgroup_id_y 0
		.amdhsa_system_sgpr_workgroup_id_z 0
		.amdhsa_system_sgpr_workgroup_info 0
		.amdhsa_system_vgpr_workitem_id 1
		.amdhsa_next_free_vgpr 40
		.amdhsa_next_free_sgpr 16
		.amdhsa_reserve_vcc 1
		.amdhsa_reserve_flat_scratch 0
		.amdhsa_float_round_mode_32 0
		.amdhsa_float_round_mode_16_64 0
		.amdhsa_float_denorm_mode_32 3
		.amdhsa_float_denorm_mode_16_64 3
		.amdhsa_dx10_clamp 1
		.amdhsa_ieee_mode 1
		.amdhsa_fp16_overflow 0
		.amdhsa_workgroup_processor_mode 1
		.amdhsa_memory_ordered 1
		.amdhsa_forward_progress 1
		.amdhsa_shared_vgpr_count 0
		.amdhsa_exception_fp_ieee_invalid_op 0
		.amdhsa_exception_fp_denorm_src 0
		.amdhsa_exception_fp_ieee_div_zero 0
		.amdhsa_exception_fp_ieee_overflow 0
		.amdhsa_exception_fp_ieee_underflow 0
		.amdhsa_exception_fp_ieee_inexact 0
		.amdhsa_exception_int_div_zero 0
	.end_amdhsa_kernel
	.section	.text._ZN12_GLOBAL__N_120softmax_warp_forwardIN3c104HalfES2_fLi7ELb0ELb0ELi32EEEvPT0_PKT_iiiPKbib,"axG",@progbits,_ZN12_GLOBAL__N_120softmax_warp_forwardIN3c104HalfES2_fLi7ELb0ELb0ELi32EEEvPT0_PKT_iiiPKbib,comdat
.Lfunc_end421:
	.size	_ZN12_GLOBAL__N_120softmax_warp_forwardIN3c104HalfES2_fLi7ELb0ELb0ELi32EEEvPT0_PKT_iiiPKbib, .Lfunc_end421-_ZN12_GLOBAL__N_120softmax_warp_forwardIN3c104HalfES2_fLi7ELb0ELb0ELi32EEEvPT0_PKT_iiiPKbib
                                        ; -- End function
	.set _ZN12_GLOBAL__N_120softmax_warp_forwardIN3c104HalfES2_fLi7ELb0ELb0ELi32EEEvPT0_PKT_iiiPKbib.num_vgpr, 40
	.set _ZN12_GLOBAL__N_120softmax_warp_forwardIN3c104HalfES2_fLi7ELb0ELb0ELi32EEEvPT0_PKT_iiiPKbib.num_agpr, 0
	.set _ZN12_GLOBAL__N_120softmax_warp_forwardIN3c104HalfES2_fLi7ELb0ELb0ELi32EEEvPT0_PKT_iiiPKbib.numbered_sgpr, 16
	.set _ZN12_GLOBAL__N_120softmax_warp_forwardIN3c104HalfES2_fLi7ELb0ELb0ELi32EEEvPT0_PKT_iiiPKbib.num_named_barrier, 0
	.set _ZN12_GLOBAL__N_120softmax_warp_forwardIN3c104HalfES2_fLi7ELb0ELb0ELi32EEEvPT0_PKT_iiiPKbib.private_seg_size, 0
	.set _ZN12_GLOBAL__N_120softmax_warp_forwardIN3c104HalfES2_fLi7ELb0ELb0ELi32EEEvPT0_PKT_iiiPKbib.uses_vcc, 1
	.set _ZN12_GLOBAL__N_120softmax_warp_forwardIN3c104HalfES2_fLi7ELb0ELb0ELi32EEEvPT0_PKT_iiiPKbib.uses_flat_scratch, 0
	.set _ZN12_GLOBAL__N_120softmax_warp_forwardIN3c104HalfES2_fLi7ELb0ELb0ELi32EEEvPT0_PKT_iiiPKbib.has_dyn_sized_stack, 0
	.set _ZN12_GLOBAL__N_120softmax_warp_forwardIN3c104HalfES2_fLi7ELb0ELb0ELi32EEEvPT0_PKT_iiiPKbib.has_recursion, 0
	.set _ZN12_GLOBAL__N_120softmax_warp_forwardIN3c104HalfES2_fLi7ELb0ELb0ELi32EEEvPT0_PKT_iiiPKbib.has_indirect_call, 0
	.section	.AMDGPU.csdata,"",@progbits
; Kernel info:
; codeLenInByte = 3352
; TotalNumSgprs: 18
; NumVgprs: 40
; ScratchSize: 0
; MemoryBound: 0
; FloatMode: 240
; IeeeMode: 1
; LDSByteSize: 0 bytes/workgroup (compile time only)
; SGPRBlocks: 0
; VGPRBlocks: 4
; NumSGPRsForWavesPerEU: 18
; NumVGPRsForWavesPerEU: 40
; Occupancy: 16
; WaveLimiterHint : 0
; COMPUTE_PGM_RSRC2:SCRATCH_EN: 0
; COMPUTE_PGM_RSRC2:USER_SGPR: 6
; COMPUTE_PGM_RSRC2:TRAP_HANDLER: 0
; COMPUTE_PGM_RSRC2:TGID_X_EN: 1
; COMPUTE_PGM_RSRC2:TGID_Y_EN: 0
; COMPUTE_PGM_RSRC2:TGID_Z_EN: 0
; COMPUTE_PGM_RSRC2:TIDIG_COMP_CNT: 1
	.section	.text._ZN12_GLOBAL__N_120softmax_warp_forwardIN3c104HalfES2_fLi8ELb0ELb0ELi64EEEvPT0_PKT_iiiPKbib,"axG",@progbits,_ZN12_GLOBAL__N_120softmax_warp_forwardIN3c104HalfES2_fLi8ELb0ELb0ELi64EEEvPT0_PKT_iiiPKbib,comdat
	.globl	_ZN12_GLOBAL__N_120softmax_warp_forwardIN3c104HalfES2_fLi8ELb0ELb0ELi64EEEvPT0_PKT_iiiPKbib ; -- Begin function _ZN12_GLOBAL__N_120softmax_warp_forwardIN3c104HalfES2_fLi8ELb0ELb0ELi64EEEvPT0_PKT_iiiPKbib
	.p2align	8
	.type	_ZN12_GLOBAL__N_120softmax_warp_forwardIN3c104HalfES2_fLi8ELb0ELb0ELi64EEEvPT0_PKT_iiiPKbib,@function
_ZN12_GLOBAL__N_120softmax_warp_forwardIN3c104HalfES2_fLi8ELb0ELb0ELi64EEEvPT0_PKT_iiiPKbib: ; @_ZN12_GLOBAL__N_120softmax_warp_forwardIN3c104HalfES2_fLi8ELb0ELb0ELi64EEEvPT0_PKT_iiiPKbib
; %bb.0:
	s_clause 0x1
	s_load_dword s0, s[4:5], 0x3c
	s_load_dwordx8 s[8:15], s[4:5], 0x0
	v_mov_b32_e32 v6, 0xff800000
	v_mov_b32_e32 v8, 0xff800000
	s_waitcnt lgkmcnt(0)
	s_lshr_b32 s0, s0, 16
	v_cmp_gt_i32_e32 vcc_lo, s14, v0
	v_mad_u64_u32 v[1:2], null, s6, s0, v[1:2]
	v_mad_u64_u32 v[2:3], null, v1, s13, v[0:1]
	v_sub_nc_u32_e32 v5, s12, v1
	v_cmp_lt_i32_e64 s3, 0, v5
	v_ashrrev_i32_e32 v3, 31, v2
	s_and_b32 s1, s3, vcc_lo
	v_lshlrev_b64 v[1:2], 1, v[2:3]
	v_add_co_u32 v3, s0, s10, v1
	v_add_co_ci_u32_e64 v4, null, s11, v2, s0
	s_and_saveexec_b32 s0, s1
	s_cbranch_execz .LBB422_2
; %bb.1:
	global_load_ushort v7, v[3:4], off
	s_waitcnt vmcnt(0)
	v_cvt_f32_f16_e32 v8, v7
.LBB422_2:
	s_or_b32 exec_lo, exec_lo, s0
	v_add_nc_u32_e32 v7, 64, v0
	v_cmp_gt_i32_e64 s2, s14, v7
	s_and_b32 s1, s3, s2
	s_and_saveexec_b32 s0, s1
	s_cbranch_execz .LBB422_4
; %bb.3:
	global_load_ushort v6, v[3:4], off offset:128
	s_waitcnt vmcnt(0)
	v_cvt_f32_f16_e32 v6, v6
.LBB422_4:
	s_or_b32 exec_lo, exec_lo, s0
	v_add_nc_u32_e32 v7, 0x80, v0
	v_mov_b32_e32 v9, 0xff800000
	v_cmp_gt_i32_e64 s1, s14, v7
	v_mov_b32_e32 v7, 0xff800000
	s_and_b32 s4, s3, s1
	s_and_saveexec_b32 s0, s4
	s_cbranch_execz .LBB422_6
; %bb.5:
	global_load_ushort v9, v[3:4], off offset:256
	s_waitcnt vmcnt(0)
	v_cvt_f32_f16_e32 v9, v9
.LBB422_6:
	s_or_b32 exec_lo, exec_lo, s0
	v_add_nc_u32_e32 v0, 0xc0, v0
	v_cmp_gt_i32_e64 s0, s14, v0
	s_and_b32 s4, s3, s0
	s_and_saveexec_b32 s3, s4
	s_cbranch_execz .LBB422_8
; %bb.7:
	global_load_ushort v0, v[3:4], off offset:384
	s_waitcnt vmcnt(0)
	v_cvt_f32_f16_e32 v7, v0
.LBB422_8:
	s_or_b32 exec_lo, exec_lo, s3
	v_cmp_gt_f32_e64 s3, v8, v6
	v_mbcnt_lo_u32_b32 v0, -1, 0
	s_mov_b32 s4, exec_lo
	v_cndmask_b32_e64 v3, v6, v8, s3
	v_or_b32_e32 v4, 32, v0
	v_xor_b32_e32 v11, 16, v0
	v_xor_b32_e32 v12, 8, v0
	;; [unrolled: 1-line block ×3, first 2 shown]
	v_cmp_gt_f32_e64 s3, v3, v9
	v_xor_b32_e32 v14, 2, v0
	v_xor_b32_e32 v15, 1, v0
	v_cndmask_b32_e64 v3, v9, v3, s3
	v_cmp_gt_i32_e64 s3, 64, v4
	v_cndmask_b32_e64 v4, v0, v4, s3
	v_cmp_gt_f32_e64 s3, v3, v7
	v_lshlrev_b32_e32 v4, 2, v4
	v_cndmask_b32_e64 v3, v7, v3, s3
	v_cmp_gt_i32_e64 s3, 64, v11
	ds_bpermute_b32 v10, v4, v3
	v_cndmask_b32_e64 v11, v0, v11, s3
	v_lshlrev_b32_e32 v11, 2, v11
	s_waitcnt lgkmcnt(0)
	v_cmp_lt_f32_e64 s3, v3, v10
	v_cndmask_b32_e64 v3, v3, v10, s3
	v_cmp_gt_i32_e64 s3, 64, v12
	ds_bpermute_b32 v10, v11, v3
	v_cndmask_b32_e64 v12, v0, v12, s3
	v_lshlrev_b32_e32 v12, 2, v12
	s_waitcnt lgkmcnt(0)
	v_cmp_lt_f32_e64 s3, v3, v10
	;; [unrolled: 7-line block ×5, first 2 shown]
	v_cndmask_b32_e64 v0, v3, v10, s3
	ds_bpermute_b32 v3, v15, v0
	s_waitcnt lgkmcnt(0)
	v_cmp_lt_f32_e64 s3, v0, v3
	v_cndmask_b32_e64 v0, v0, v3, s3
	v_sub_f32_e32 v3, v8, v0
	v_sub_f32_e32 v6, v6, v0
	;; [unrolled: 1-line block ×4, first 2 shown]
	v_mul_f32_e32 v0, 0x3fb8aa3b, v3
	v_mul_f32_e32 v7, 0x3fb8aa3b, v6
	;; [unrolled: 1-line block ×4, first 2 shown]
	v_cmp_ngt_f32_e64 s3, 0xc2ce8ed0, v3
	v_fma_f32 v17, 0x3fb8aa3b, v3, -v0
	v_rndne_f32_e32 v18, v0
	v_fma_f32 v19, 0x3fb8aa3b, v6, -v7
	v_rndne_f32_e32 v20, v7
	v_fma_f32 v21, 0x3fb8aa3b, v8, -v10
	v_fmac_f32_e32 v17, 0x32a5705f, v3
	v_sub_f32_e32 v0, v0, v18
	v_rndne_f32_e32 v22, v10
	v_fmac_f32_e32 v19, 0x32a5705f, v6
	v_sub_f32_e32 v7, v7, v20
	v_fmac_f32_e32 v21, 0x32a5705f, v8
	v_add_f32_e32 v0, v0, v17
	v_sub_f32_e32 v10, v10, v22
	v_cvt_i32_f32_e32 v18, v18
	v_add_f32_e32 v7, v7, v19
	v_cvt_i32_f32_e32 v19, v20
	v_exp_f32_e32 v0, v0
	v_add_f32_e32 v10, v10, v21
	v_fma_f32 v23, 0x3fb8aa3b, v9, -v16
	v_exp_f32_e32 v7, v7
	v_rndne_f32_e32 v17, v16
	v_cvt_i32_f32_e32 v20, v22
	v_exp_f32_e32 v10, v10
	v_fmac_f32_e32 v23, 0x32a5705f, v9
	v_sub_f32_e32 v16, v16, v17
	v_ldexp_f32 v0, v0, v18
	v_cvt_i32_f32_e32 v17, v17
	v_ldexp_f32 v7, v7, v19
	v_add_f32_e32 v16, v16, v23
	v_cndmask_b32_e64 v0, 0, v0, s3
	v_cmp_ngt_f32_e64 s3, 0xc2ce8ed0, v6
	v_ldexp_f32 v10, v10, v20
	v_exp_f32_e32 v16, v16
	v_cndmask_b32_e64 v7, 0, v7, s3
	v_cmp_ngt_f32_e64 s3, 0xc2ce8ed0, v8
	v_cndmask_b32_e64 v10, 0, v10, s3
	v_cmp_nlt_f32_e64 s3, 0x42b17218, v3
	v_ldexp_f32 v3, v16, v17
	v_cndmask_b32_e64 v0, 0x7f800000, v0, s3
	v_cmp_nlt_f32_e64 s3, 0x42b17218, v6
	v_cndmask_b32_e64 v7, 0x7f800000, v7, s3
	v_cmp_nlt_f32_e64 s3, 0x42b17218, v8
	v_add_f32_e32 v8, v0, v7
	v_cndmask_b32_e64 v6, 0x7f800000, v10, s3
	v_cmp_ngt_f32_e64 s3, 0xc2ce8ed0, v9
	v_add_f32_e32 v8, v8, v6
	v_cndmask_b32_e64 v3, 0, v3, s3
	v_cmp_nlt_f32_e64 s3, 0x42b17218, v9
	v_cndmask_b32_e64 v3, 0x7f800000, v3, s3
	v_add_f32_e32 v8, v8, v3
	ds_bpermute_b32 v4, v4, v8
	s_waitcnt lgkmcnt(0)
	v_add_f32_e32 v4, v8, v4
	ds_bpermute_b32 v8, v11, v4
	s_waitcnt lgkmcnt(0)
	;; [unrolled: 3-line block ×5, first 2 shown]
	v_add_f32_e32 v4, v4, v8
	ds_bpermute_b32 v8, v15, v4
	v_cmpx_lt_i32_e32 0, v5
	s_cbranch_execz .LBB422_22
; %bb.9:
	s_and_b32 exec_lo, exec_lo, vcc_lo
	s_cbranch_execz .LBB422_22
; %bb.10:
	s_waitcnt lgkmcnt(0)
	v_add_f32_e32 v4, v4, v8
	v_mov_b32_e32 v5, 0x7e00
	v_cmp_neq_f32_e64 s3, 0, v4
	s_and_saveexec_b32 s4, s3
	s_cbranch_execz .LBB422_12
; %bb.11:
	v_div_scale_f32 v5, null, v4, v4, v0
	v_rcp_f32_e32 v8, v5
	v_fma_f32 v9, -v5, v8, 1.0
	v_fmac_f32_e32 v8, v9, v8
	v_div_scale_f32 v9, vcc_lo, v0, v4, v0
	v_mul_f32_e32 v10, v9, v8
	v_fma_f32 v11, -v5, v10, v9
	v_fmac_f32_e32 v10, v11, v8
	v_fma_f32 v5, -v5, v10, v9
	v_div_fmas_f32 v5, v5, v8, v10
	v_div_fixup_f32 v0, v5, v4, v0
	v_cvt_f16_f32_e32 v5, v0
.LBB422_12:
	s_or_b32 exec_lo, exec_lo, s4
	v_add_co_u32 v0, vcc_lo, s8, v1
	v_add_co_ci_u32_e64 v1, null, s9, v2, vcc_lo
	global_store_short v[0:1], v5, off
	s_and_b32 exec_lo, exec_lo, s2
	s_cbranch_execz .LBB422_22
; %bb.13:
	v_mov_b32_e32 v2, 0x7e00
	s_and_saveexec_b32 s2, s3
	s_cbranch_execz .LBB422_15
; %bb.14:
	v_div_scale_f32 v2, null, v4, v4, v7
	v_rcp_f32_e32 v5, v2
	v_fma_f32 v8, -v2, v5, 1.0
	v_fmac_f32_e32 v5, v8, v5
	v_div_scale_f32 v8, vcc_lo, v7, v4, v7
	v_mul_f32_e32 v9, v8, v5
	v_fma_f32 v10, -v2, v9, v8
	v_fmac_f32_e32 v9, v10, v5
	v_fma_f32 v2, -v2, v9, v8
	v_div_fmas_f32 v2, v2, v5, v9
	v_div_fixup_f32 v2, v2, v4, v7
	v_cvt_f16_f32_e32 v2, v2
.LBB422_15:
	s_or_b32 exec_lo, exec_lo, s2
	global_store_short v[0:1], v2, off offset:128
	s_and_b32 exec_lo, exec_lo, s1
	s_cbranch_execz .LBB422_22
; %bb.16:
	v_mov_b32_e32 v2, 0x7e00
	s_and_saveexec_b32 s1, s3
	s_cbranch_execz .LBB422_18
; %bb.17:
	v_div_scale_f32 v2, null, v4, v4, v6
	v_rcp_f32_e32 v5, v2
	v_fma_f32 v7, -v2, v5, 1.0
	v_fmac_f32_e32 v5, v7, v5
	v_div_scale_f32 v7, vcc_lo, v6, v4, v6
	v_mul_f32_e32 v8, v7, v5
	v_fma_f32 v9, -v2, v8, v7
	v_fmac_f32_e32 v8, v9, v5
	v_fma_f32 v2, -v2, v8, v7
	v_div_fmas_f32 v2, v2, v5, v8
	v_div_fixup_f32 v2, v2, v4, v6
	v_cvt_f16_f32_e32 v2, v2
.LBB422_18:
	s_or_b32 exec_lo, exec_lo, s1
	global_store_short v[0:1], v2, off offset:256
	;; [unrolled: 22-line block ×3, first 2 shown]
.LBB422_22:
	s_endpgm
	.section	.rodata,"a",@progbits
	.p2align	6, 0x0
	.amdhsa_kernel _ZN12_GLOBAL__N_120softmax_warp_forwardIN3c104HalfES2_fLi8ELb0ELb0ELi64EEEvPT0_PKT_iiiPKbib
		.amdhsa_group_segment_fixed_size 0
		.amdhsa_private_segment_fixed_size 0
		.amdhsa_kernarg_size 304
		.amdhsa_user_sgpr_count 6
		.amdhsa_user_sgpr_private_segment_buffer 1
		.amdhsa_user_sgpr_dispatch_ptr 0
		.amdhsa_user_sgpr_queue_ptr 0
		.amdhsa_user_sgpr_kernarg_segment_ptr 1
		.amdhsa_user_sgpr_dispatch_id 0
		.amdhsa_user_sgpr_flat_scratch_init 0
		.amdhsa_user_sgpr_private_segment_size 0
		.amdhsa_wavefront_size32 1
		.amdhsa_uses_dynamic_stack 0
		.amdhsa_system_sgpr_private_segment_wavefront_offset 0
		.amdhsa_system_sgpr_workgroup_id_x 1
		.amdhsa_system_sgpr_workgroup_id_y 0
		.amdhsa_system_sgpr_workgroup_id_z 0
		.amdhsa_system_sgpr_workgroup_info 0
		.amdhsa_system_vgpr_workitem_id 1
		.amdhsa_next_free_vgpr 24
		.amdhsa_next_free_sgpr 16
		.amdhsa_reserve_vcc 1
		.amdhsa_reserve_flat_scratch 0
		.amdhsa_float_round_mode_32 0
		.amdhsa_float_round_mode_16_64 0
		.amdhsa_float_denorm_mode_32 3
		.amdhsa_float_denorm_mode_16_64 3
		.amdhsa_dx10_clamp 1
		.amdhsa_ieee_mode 1
		.amdhsa_fp16_overflow 0
		.amdhsa_workgroup_processor_mode 1
		.amdhsa_memory_ordered 1
		.amdhsa_forward_progress 1
		.amdhsa_shared_vgpr_count 0
		.amdhsa_exception_fp_ieee_invalid_op 0
		.amdhsa_exception_fp_denorm_src 0
		.amdhsa_exception_fp_ieee_div_zero 0
		.amdhsa_exception_fp_ieee_overflow 0
		.amdhsa_exception_fp_ieee_underflow 0
		.amdhsa_exception_fp_ieee_inexact 0
		.amdhsa_exception_int_div_zero 0
	.end_amdhsa_kernel
	.section	.text._ZN12_GLOBAL__N_120softmax_warp_forwardIN3c104HalfES2_fLi8ELb0ELb0ELi64EEEvPT0_PKT_iiiPKbib,"axG",@progbits,_ZN12_GLOBAL__N_120softmax_warp_forwardIN3c104HalfES2_fLi8ELb0ELb0ELi64EEEvPT0_PKT_iiiPKbib,comdat
.Lfunc_end422:
	.size	_ZN12_GLOBAL__N_120softmax_warp_forwardIN3c104HalfES2_fLi8ELb0ELb0ELi64EEEvPT0_PKT_iiiPKbib, .Lfunc_end422-_ZN12_GLOBAL__N_120softmax_warp_forwardIN3c104HalfES2_fLi8ELb0ELb0ELi64EEEvPT0_PKT_iiiPKbib
                                        ; -- End function
	.set _ZN12_GLOBAL__N_120softmax_warp_forwardIN3c104HalfES2_fLi8ELb0ELb0ELi64EEEvPT0_PKT_iiiPKbib.num_vgpr, 24
	.set _ZN12_GLOBAL__N_120softmax_warp_forwardIN3c104HalfES2_fLi8ELb0ELb0ELi64EEEvPT0_PKT_iiiPKbib.num_agpr, 0
	.set _ZN12_GLOBAL__N_120softmax_warp_forwardIN3c104HalfES2_fLi8ELb0ELb0ELi64EEEvPT0_PKT_iiiPKbib.numbered_sgpr, 16
	.set _ZN12_GLOBAL__N_120softmax_warp_forwardIN3c104HalfES2_fLi8ELb0ELb0ELi64EEEvPT0_PKT_iiiPKbib.num_named_barrier, 0
	.set _ZN12_GLOBAL__N_120softmax_warp_forwardIN3c104HalfES2_fLi8ELb0ELb0ELi64EEEvPT0_PKT_iiiPKbib.private_seg_size, 0
	.set _ZN12_GLOBAL__N_120softmax_warp_forwardIN3c104HalfES2_fLi8ELb0ELb0ELi64EEEvPT0_PKT_iiiPKbib.uses_vcc, 1
	.set _ZN12_GLOBAL__N_120softmax_warp_forwardIN3c104HalfES2_fLi8ELb0ELb0ELi64EEEvPT0_PKT_iiiPKbib.uses_flat_scratch, 0
	.set _ZN12_GLOBAL__N_120softmax_warp_forwardIN3c104HalfES2_fLi8ELb0ELb0ELi64EEEvPT0_PKT_iiiPKbib.has_dyn_sized_stack, 0
	.set _ZN12_GLOBAL__N_120softmax_warp_forwardIN3c104HalfES2_fLi8ELb0ELb0ELi64EEEvPT0_PKT_iiiPKbib.has_recursion, 0
	.set _ZN12_GLOBAL__N_120softmax_warp_forwardIN3c104HalfES2_fLi8ELb0ELb0ELi64EEEvPT0_PKT_iiiPKbib.has_indirect_call, 0
	.section	.AMDGPU.csdata,"",@progbits
; Kernel info:
; codeLenInByte = 1672
; TotalNumSgprs: 18
; NumVgprs: 24
; ScratchSize: 0
; MemoryBound: 0
; FloatMode: 240
; IeeeMode: 1
; LDSByteSize: 0 bytes/workgroup (compile time only)
; SGPRBlocks: 0
; VGPRBlocks: 2
; NumSGPRsForWavesPerEU: 18
; NumVGPRsForWavesPerEU: 24
; Occupancy: 16
; WaveLimiterHint : 0
; COMPUTE_PGM_RSRC2:SCRATCH_EN: 0
; COMPUTE_PGM_RSRC2:USER_SGPR: 6
; COMPUTE_PGM_RSRC2:TRAP_HANDLER: 0
; COMPUTE_PGM_RSRC2:TGID_X_EN: 1
; COMPUTE_PGM_RSRC2:TGID_Y_EN: 0
; COMPUTE_PGM_RSRC2:TGID_Z_EN: 0
; COMPUTE_PGM_RSRC2:TIDIG_COMP_CNT: 1
	.section	.text._ZN12_GLOBAL__N_120softmax_warp_forwardIN3c104HalfES2_fLi8ELb0ELb0ELi32EEEvPT0_PKT_iiiPKbib,"axG",@progbits,_ZN12_GLOBAL__N_120softmax_warp_forwardIN3c104HalfES2_fLi8ELb0ELb0ELi32EEEvPT0_PKT_iiiPKbib,comdat
	.globl	_ZN12_GLOBAL__N_120softmax_warp_forwardIN3c104HalfES2_fLi8ELb0ELb0ELi32EEEvPT0_PKT_iiiPKbib ; -- Begin function _ZN12_GLOBAL__N_120softmax_warp_forwardIN3c104HalfES2_fLi8ELb0ELb0ELi32EEEvPT0_PKT_iiiPKbib
	.p2align	8
	.type	_ZN12_GLOBAL__N_120softmax_warp_forwardIN3c104HalfES2_fLi8ELb0ELb0ELi32EEEvPT0_PKT_iiiPKbib,@function
_ZN12_GLOBAL__N_120softmax_warp_forwardIN3c104HalfES2_fLi8ELb0ELb0ELi32EEEvPT0_PKT_iiiPKbib: ; @_ZN12_GLOBAL__N_120softmax_warp_forwardIN3c104HalfES2_fLi8ELb0ELb0ELi32EEEvPT0_PKT_iiiPKbib
; %bb.0:
	s_clause 0x1
	s_load_dword s0, s[4:5], 0x3c
	s_load_dwordx8 s[8:15], s[4:5], 0x0
	v_mov_b32_e32 v6, 0xff800000
	v_mov_b32_e32 v10, 0xff800000
	s_waitcnt lgkmcnt(0)
	s_lshr_b32 s0, s0, 16
	v_cmp_gt_i32_e32 vcc_lo, s14, v0
	v_mad_u64_u32 v[1:2], null, s6, s0, v[1:2]
	v_mad_u64_u32 v[2:3], null, v1, s13, v[0:1]
	v_sub_nc_u32_e32 v5, s12, v1
	v_cmp_lt_i32_e64 s7, 0, v5
	v_ashrrev_i32_e32 v3, 31, v2
	s_and_b32 s1, s7, vcc_lo
	v_lshlrev_b64 v[1:2], 1, v[2:3]
	v_add_co_u32 v3, s0, s10, v1
	v_add_co_ci_u32_e64 v4, null, s11, v2, s0
	s_and_saveexec_b32 s0, s1
	s_cbranch_execz .LBB423_2
; %bb.1:
	global_load_ushort v7, v[3:4], off
	s_waitcnt vmcnt(0)
	v_cvt_f32_f16_e32 v10, v7
.LBB423_2:
	s_or_b32 exec_lo, exec_lo, s0
	v_add_nc_u32_e32 v7, 32, v0
	v_cmp_gt_i32_e64 s6, s14, v7
	s_and_b32 s1, s7, s6
	s_and_saveexec_b32 s0, s1
	s_cbranch_execz .LBB423_4
; %bb.3:
	global_load_ushort v6, v[3:4], off offset:64
	s_waitcnt vmcnt(0)
	v_cvt_f32_f16_e32 v6, v6
.LBB423_4:
	s_or_b32 exec_lo, exec_lo, s0
	v_add_nc_u32_e32 v7, 64, v0
	v_mov_b32_e32 v11, 0xff800000
	v_cmp_gt_i32_e64 s5, s14, v7
	v_mov_b32_e32 v7, 0xff800000
	s_and_b32 s1, s7, s5
	s_and_saveexec_b32 s0, s1
	s_cbranch_execz .LBB423_6
; %bb.5:
	global_load_ushort v8, v[3:4], off offset:128
	s_waitcnt vmcnt(0)
	v_cvt_f32_f16_e32 v11, v8
.LBB423_6:
	s_or_b32 exec_lo, exec_lo, s0
	v_add_nc_u32_e32 v8, 0x60, v0
	v_cmp_gt_i32_e64 s4, s14, v8
	s_and_b32 s1, s7, s4
	s_and_saveexec_b32 s0, s1
	s_cbranch_execz .LBB423_8
; %bb.7:
	global_load_ushort v7, v[3:4], off offset:192
	s_waitcnt vmcnt(0)
	v_cvt_f32_f16_e32 v7, v7
.LBB423_8:
	s_or_b32 exec_lo, exec_lo, s0
	v_add_nc_u32_e32 v8, 0x80, v0
	v_mov_b32_e32 v12, 0xff800000
	v_cmp_gt_i32_e64 s3, s14, v8
	v_mov_b32_e32 v8, 0xff800000
	s_and_b32 s1, s7, s3
	s_and_saveexec_b32 s0, s1
	s_cbranch_execz .LBB423_10
; %bb.9:
	global_load_ushort v9, v[3:4], off offset:256
	s_waitcnt vmcnt(0)
	v_cvt_f32_f16_e32 v12, v9
.LBB423_10:
	;; [unrolled: 24-line block ×3, first 2 shown]
	s_or_b32 exec_lo, exec_lo, s0
	v_add_nc_u32_e32 v0, 0xe0, v0
	v_cmp_gt_i32_e64 s0, s14, v0
	s_and_b32 s10, s7, s0
	s_and_saveexec_b32 s7, s10
	s_cbranch_execz .LBB423_16
; %bb.15:
	global_load_ushort v0, v[3:4], off offset:448
	s_waitcnt vmcnt(0)
	v_cvt_f32_f16_e32 v9, v0
.LBB423_16:
	s_or_b32 exec_lo, exec_lo, s7
	v_cmp_gt_f32_e64 s7, v10, v6
	v_mbcnt_lo_u32_b32 v3, -1, 0
	s_mov_b32 s10, exec_lo
	v_cndmask_b32_e64 v0, v6, v10, s7
	v_xor_b32_e32 v4, 16, v3
	v_xor_b32_e32 v16, 4, v3
	;; [unrolled: 1-line block ×4, first 2 shown]
	v_cmp_gt_f32_e64 s7, v0, v11
	v_cndmask_b32_e64 v0, v11, v0, s7
	v_cmp_gt_f32_e64 s7, v0, v7
	v_cndmask_b32_e64 v0, v7, v0, s7
	;; [unrolled: 2-line block ×4, first 2 shown]
	v_cmp_gt_i32_e64 s7, 32, v4
	v_cndmask_b32_e64 v4, v3, v4, s7
	v_cmp_gt_f32_e64 s7, v0, v13
	v_cndmask_b32_e64 v14, v13, v0, s7
	v_lshlrev_b32_e32 v0, 2, v4
	v_xor_b32_e32 v4, 8, v3
	v_cmp_gt_f32_e64 s7, v14, v9
	v_cndmask_b32_e64 v14, v9, v14, s7
	v_cmp_gt_i32_e64 s7, 32, v4
	ds_bpermute_b32 v15, v0, v14
	v_cndmask_b32_e64 v4, v3, v4, s7
	v_lshlrev_b32_e32 v4, 2, v4
	s_waitcnt lgkmcnt(0)
	v_cmp_lt_f32_e64 s7, v14, v15
	v_cndmask_b32_e64 v14, v14, v15, s7
	v_cmp_gt_i32_e64 s7, 32, v16
	ds_bpermute_b32 v15, v4, v14
	v_cndmask_b32_e64 v16, v3, v16, s7
	v_lshlrev_b32_e32 v16, 2, v16
	s_waitcnt lgkmcnt(0)
	v_cmp_lt_f32_e64 s7, v14, v15
	;; [unrolled: 7-line block ×4, first 2 shown]
	v_cndmask_b32_e64 v3, v14, v15, s7
	ds_bpermute_b32 v14, v18, v3
	s_waitcnt lgkmcnt(0)
	v_cmp_lt_f32_e64 s7, v3, v14
	v_cndmask_b32_e64 v3, v3, v14, s7
	v_sub_f32_e32 v10, v10, v3
	v_sub_f32_e32 v6, v6, v3
	;; [unrolled: 1-line block ×5, first 2 shown]
	v_mul_f32_e32 v8, 0x3fb8aa3b, v10
	v_sub_f32_e32 v15, v12, v3
	v_sub_f32_e32 v13, v13, v3
	;; [unrolled: 1-line block ×3, first 2 shown]
	v_mul_f32_e32 v9, 0x3fb8aa3b, v6
	v_fma_f32 v24, 0x3fb8aa3b, v10, -v8
	v_rndne_f32_e32 v25, v8
	v_mul_f32_e32 v11, 0x3fb8aa3b, v14
	v_mul_f32_e32 v22, 0x3fb8aa3b, v13
	v_fma_f32 v26, 0x3fb8aa3b, v6, -v9
	v_rndne_f32_e32 v27, v9
	v_fmac_f32_e32 v24, 0x32a5705f, v10
	v_sub_f32_e32 v8, v8, v25
	v_fma_f32 v28, 0x3fb8aa3b, v14, -v11
	v_rndne_f32_e32 v29, v11
	v_fmac_f32_e32 v26, 0x32a5705f, v6
	v_sub_f32_e32 v9, v9, v27
	v_add_f32_e32 v8, v8, v24
	v_mul_f32_e32 v12, 0x3fb8aa3b, v7
	v_fma_f32 v36, 0x3fb8aa3b, v13, -v22
	v_rndne_f32_e32 v37, v22
	v_fmac_f32_e32 v28, 0x32a5705f, v14
	v_sub_f32_e32 v11, v11, v29
	v_add_f32_e32 v9, v9, v26
	v_exp_f32_e32 v8, v8
	v_fma_f32 v30, 0x3fb8aa3b, v7, -v12
	v_rndne_f32_e32 v31, v12
	v_cvt_i32_f32_e32 v25, v25
	v_fmac_f32_e32 v36, 0x32a5705f, v13
	v_sub_f32_e32 v22, v22, v37
	v_add_f32_e32 v11, v11, v28
	v_exp_f32_e32 v9, v9
	v_cvt_i32_f32_e32 v27, v27
	v_fmac_f32_e32 v30, 0x32a5705f, v7
	v_sub_f32_e32 v12, v12, v31
	v_add_f32_e32 v22, v22, v36
	v_exp_f32_e32 v11, v11
	v_ldexp_f32 v8, v8, v25
	v_cmp_ngt_f32_e64 s7, 0xc2ce8ed0, v10
	v_mul_f32_e32 v20, 0x3fb8aa3b, v15
	v_cvt_i32_f32_e32 v29, v29
	v_add_f32_e32 v12, v12, v30
	v_exp_f32_e32 v22, v22
	v_ldexp_f32 v9, v9, v27
	v_cndmask_b32_e64 v8, 0, v8, s7
	v_cmp_ngt_f32_e64 s7, 0xc2ce8ed0, v6
	v_fma_f32 v32, 0x3fb8aa3b, v15, -v20
	v_rndne_f32_e32 v33, v20
	v_exp_f32_e32 v12, v12
	v_cvt_i32_f32_e32 v24, v37
	v_ldexp_f32 v11, v11, v29
	v_cndmask_b32_e64 v9, 0, v9, s7
	v_cmp_ngt_f32_e64 s7, 0xc2ce8ed0, v14
	v_mul_f32_e32 v21, 0x3fb8aa3b, v19
	v_cvt_i32_f32_e32 v31, v31
	v_fmac_f32_e32 v32, 0x32a5705f, v15
	v_sub_f32_e32 v20, v20, v33
	v_ldexp_f32 v22, v22, v24
	v_cndmask_b32_e64 v24, 0, v11, s7
	v_cmp_nlt_f32_e64 s7, 0x42b17218, v10
	v_fma_f32 v34, 0x3fb8aa3b, v19, -v21
	v_rndne_f32_e32 v35, v21
	v_add_f32_e32 v20, v20, v32
	v_ldexp_f32 v25, v12, v31
	v_cndmask_b32_e64 v12, 0x7f800000, v8, s7
	v_cmp_nlt_f32_e64 s7, 0x42b17218, v6
	v_fmac_f32_e32 v34, 0x32a5705f, v19
	v_sub_f32_e32 v21, v21, v35
	v_exp_f32_e32 v20, v20
	v_cvt_i32_f32_e32 v33, v33
	v_cndmask_b32_e64 v11, 0x7f800000, v9, s7
	v_cmp_ngt_f32_e64 s7, 0xc2ce8ed0, v7
	v_add_f32_e32 v21, v21, v34
	v_mul_f32_e32 v23, 0x3fb8aa3b, v3
	v_cvt_i32_f32_e32 v35, v35
	v_add_f32_e32 v8, v12, v11
	v_cndmask_b32_e64 v6, 0, v25, s7
	v_cmp_nlt_f32_e64 s7, 0x42b17218, v14
	v_exp_f32_e32 v21, v21
	v_ldexp_f32 v20, v20, v33
	v_fma_f32 v38, 0x3fb8aa3b, v3, -v23
	v_rndne_f32_e32 v39, v23
	v_cndmask_b32_e64 v10, 0x7f800000, v24, s7
	v_cmp_ngt_f32_e64 s7, 0xc2ce8ed0, v15
	v_fmac_f32_e32 v38, 0x32a5705f, v3
	v_sub_f32_e32 v23, v23, v39
	v_cvt_i32_f32_e32 v26, v39
	v_cndmask_b32_e64 v14, 0, v20, s7
	v_cmp_nlt_f32_e64 s7, 0x42b17218, v7
	v_ldexp_f32 v21, v21, v35
	v_add_f32_e32 v23, v23, v38
	v_cndmask_b32_e64 v9, 0x7f800000, v6, s7
	v_cmp_ngt_f32_e64 s7, 0xc2ce8ed0, v19
	v_add_f32_e32 v6, v8, v10
	v_exp_f32_e32 v23, v23
	v_cndmask_b32_e64 v7, 0, v21, s7
	v_cmp_nlt_f32_e64 s7, 0x42b17218, v15
	v_add_f32_e32 v6, v6, v9
	v_cndmask_b32_e64 v8, 0x7f800000, v14, s7
	v_cmp_ngt_f32_e64 s7, 0xc2ce8ed0, v13
	v_add_f32_e32 v15, v6, v8
	v_cndmask_b32_e64 v14, 0, v22, s7
	v_cmp_nlt_f32_e64 s7, 0x42b17218, v19
	v_ldexp_f32 v19, v23, v26
	v_cndmask_b32_e64 v7, 0x7f800000, v7, s7
	v_cmp_nlt_f32_e64 s7, 0x42b17218, v13
	v_add_f32_e32 v13, v15, v7
	v_cndmask_b32_e64 v6, 0x7f800000, v14, s7
	v_cmp_ngt_f32_e64 s7, 0xc2ce8ed0, v3
	v_add_f32_e32 v13, v13, v6
	v_cndmask_b32_e64 v14, 0, v19, s7
	v_cmp_nlt_f32_e64 s7, 0x42b17218, v3
	v_cndmask_b32_e64 v3, 0x7f800000, v14, s7
	v_add_f32_e32 v13, v13, v3
	ds_bpermute_b32 v0, v0, v13
	s_waitcnt lgkmcnt(0)
	v_add_f32_e32 v0, v13, v0
	ds_bpermute_b32 v4, v4, v0
	s_waitcnt lgkmcnt(0)
	;; [unrolled: 3-line block ×4, first 2 shown]
	v_add_f32_e32 v0, v0, v4
	ds_bpermute_b32 v4, v18, v0
	v_cmpx_lt_i32_e32 0, v5
	s_cbranch_execz .LBB423_42
; %bb.17:
	s_and_b32 exec_lo, exec_lo, vcc_lo
	s_cbranch_execz .LBB423_42
; %bb.18:
	s_waitcnt lgkmcnt(0)
	v_add_f32_e32 v4, v0, v4
	v_mov_b32_e32 v5, 0x7e00
	v_cmp_neq_f32_e64 s7, 0, v4
	s_and_saveexec_b32 s10, s7
	s_cbranch_execz .LBB423_20
; %bb.19:
	v_div_scale_f32 v0, null, v4, v4, v12
	v_rcp_f32_e32 v5, v0
	v_fma_f32 v13, -v0, v5, 1.0
	v_fmac_f32_e32 v5, v13, v5
	v_div_scale_f32 v13, vcc_lo, v12, v4, v12
	v_mul_f32_e32 v14, v13, v5
	v_fma_f32 v15, -v0, v14, v13
	v_fmac_f32_e32 v14, v15, v5
	v_fma_f32 v0, -v0, v14, v13
	v_div_fmas_f32 v0, v0, v5, v14
	v_div_fixup_f32 v0, v0, v4, v12
	v_cvt_f16_f32_e32 v5, v0
.LBB423_20:
	s_or_b32 exec_lo, exec_lo, s10
	v_add_co_u32 v0, vcc_lo, s8, v1
	v_add_co_ci_u32_e64 v1, null, s9, v2, vcc_lo
	global_store_short v[0:1], v5, off
	s_and_b32 exec_lo, exec_lo, s6
	s_cbranch_execz .LBB423_42
; %bb.21:
	v_mov_b32_e32 v2, 0x7e00
	s_and_saveexec_b32 s6, s7
	s_cbranch_execz .LBB423_23
; %bb.22:
	v_div_scale_f32 v2, null, v4, v4, v11
	v_rcp_f32_e32 v5, v2
	v_fma_f32 v12, -v2, v5, 1.0
	v_fmac_f32_e32 v5, v12, v5
	v_div_scale_f32 v12, vcc_lo, v11, v4, v11
	v_mul_f32_e32 v13, v12, v5
	v_fma_f32 v14, -v2, v13, v12
	v_fmac_f32_e32 v13, v14, v5
	v_fma_f32 v2, -v2, v13, v12
	v_div_fmas_f32 v2, v2, v5, v13
	v_div_fixup_f32 v2, v2, v4, v11
	v_cvt_f16_f32_e32 v2, v2
.LBB423_23:
	s_or_b32 exec_lo, exec_lo, s6
	global_store_short v[0:1], v2, off offset:64
	s_and_b32 exec_lo, exec_lo, s5
	s_cbranch_execz .LBB423_42
; %bb.24:
	v_mov_b32_e32 v2, 0x7e00
	s_and_saveexec_b32 s5, s7
	s_cbranch_execz .LBB423_26
; %bb.25:
	v_div_scale_f32 v2, null, v4, v4, v10
	v_rcp_f32_e32 v5, v2
	v_fma_f32 v11, -v2, v5, 1.0
	v_fmac_f32_e32 v5, v11, v5
	v_div_scale_f32 v11, vcc_lo, v10, v4, v10
	v_mul_f32_e32 v12, v11, v5
	v_fma_f32 v13, -v2, v12, v11
	v_fmac_f32_e32 v12, v13, v5
	v_fma_f32 v2, -v2, v12, v11
	v_div_fmas_f32 v2, v2, v5, v12
	v_div_fixup_f32 v2, v2, v4, v10
	v_cvt_f16_f32_e32 v2, v2
.LBB423_26:
	s_or_b32 exec_lo, exec_lo, s5
	global_store_short v[0:1], v2, off offset:128
	;; [unrolled: 22-line block ×7, first 2 shown]
.LBB423_42:
	s_endpgm
	.section	.rodata,"a",@progbits
	.p2align	6, 0x0
	.amdhsa_kernel _ZN12_GLOBAL__N_120softmax_warp_forwardIN3c104HalfES2_fLi8ELb0ELb0ELi32EEEvPT0_PKT_iiiPKbib
		.amdhsa_group_segment_fixed_size 0
		.amdhsa_private_segment_fixed_size 0
		.amdhsa_kernarg_size 304
		.amdhsa_user_sgpr_count 6
		.amdhsa_user_sgpr_private_segment_buffer 1
		.amdhsa_user_sgpr_dispatch_ptr 0
		.amdhsa_user_sgpr_queue_ptr 0
		.amdhsa_user_sgpr_kernarg_segment_ptr 1
		.amdhsa_user_sgpr_dispatch_id 0
		.amdhsa_user_sgpr_flat_scratch_init 0
		.amdhsa_user_sgpr_private_segment_size 0
		.amdhsa_wavefront_size32 1
		.amdhsa_uses_dynamic_stack 0
		.amdhsa_system_sgpr_private_segment_wavefront_offset 0
		.amdhsa_system_sgpr_workgroup_id_x 1
		.amdhsa_system_sgpr_workgroup_id_y 0
		.amdhsa_system_sgpr_workgroup_id_z 0
		.amdhsa_system_sgpr_workgroup_info 0
		.amdhsa_system_vgpr_workitem_id 1
		.amdhsa_next_free_vgpr 40
		.amdhsa_next_free_sgpr 16
		.amdhsa_reserve_vcc 1
		.amdhsa_reserve_flat_scratch 0
		.amdhsa_float_round_mode_32 0
		.amdhsa_float_round_mode_16_64 0
		.amdhsa_float_denorm_mode_32 3
		.amdhsa_float_denorm_mode_16_64 3
		.amdhsa_dx10_clamp 1
		.amdhsa_ieee_mode 1
		.amdhsa_fp16_overflow 0
		.amdhsa_workgroup_processor_mode 1
		.amdhsa_memory_ordered 1
		.amdhsa_forward_progress 1
		.amdhsa_shared_vgpr_count 0
		.amdhsa_exception_fp_ieee_invalid_op 0
		.amdhsa_exception_fp_denorm_src 0
		.amdhsa_exception_fp_ieee_div_zero 0
		.amdhsa_exception_fp_ieee_overflow 0
		.amdhsa_exception_fp_ieee_underflow 0
		.amdhsa_exception_fp_ieee_inexact 0
		.amdhsa_exception_int_div_zero 0
	.end_amdhsa_kernel
	.section	.text._ZN12_GLOBAL__N_120softmax_warp_forwardIN3c104HalfES2_fLi8ELb0ELb0ELi32EEEvPT0_PKT_iiiPKbib,"axG",@progbits,_ZN12_GLOBAL__N_120softmax_warp_forwardIN3c104HalfES2_fLi8ELb0ELb0ELi32EEEvPT0_PKT_iiiPKbib,comdat
.Lfunc_end423:
	.size	_ZN12_GLOBAL__N_120softmax_warp_forwardIN3c104HalfES2_fLi8ELb0ELb0ELi32EEEvPT0_PKT_iiiPKbib, .Lfunc_end423-_ZN12_GLOBAL__N_120softmax_warp_forwardIN3c104HalfES2_fLi8ELb0ELb0ELi32EEEvPT0_PKT_iiiPKbib
                                        ; -- End function
	.set _ZN12_GLOBAL__N_120softmax_warp_forwardIN3c104HalfES2_fLi8ELb0ELb0ELi32EEEvPT0_PKT_iiiPKbib.num_vgpr, 40
	.set _ZN12_GLOBAL__N_120softmax_warp_forwardIN3c104HalfES2_fLi8ELb0ELb0ELi32EEEvPT0_PKT_iiiPKbib.num_agpr, 0
	.set _ZN12_GLOBAL__N_120softmax_warp_forwardIN3c104HalfES2_fLi8ELb0ELb0ELi32EEEvPT0_PKT_iiiPKbib.numbered_sgpr, 16
	.set _ZN12_GLOBAL__N_120softmax_warp_forwardIN3c104HalfES2_fLi8ELb0ELb0ELi32EEEvPT0_PKT_iiiPKbib.num_named_barrier, 0
	.set _ZN12_GLOBAL__N_120softmax_warp_forwardIN3c104HalfES2_fLi8ELb0ELb0ELi32EEEvPT0_PKT_iiiPKbib.private_seg_size, 0
	.set _ZN12_GLOBAL__N_120softmax_warp_forwardIN3c104HalfES2_fLi8ELb0ELb0ELi32EEEvPT0_PKT_iiiPKbib.uses_vcc, 1
	.set _ZN12_GLOBAL__N_120softmax_warp_forwardIN3c104HalfES2_fLi8ELb0ELb0ELi32EEEvPT0_PKT_iiiPKbib.uses_flat_scratch, 0
	.set _ZN12_GLOBAL__N_120softmax_warp_forwardIN3c104HalfES2_fLi8ELb0ELb0ELi32EEEvPT0_PKT_iiiPKbib.has_dyn_sized_stack, 0
	.set _ZN12_GLOBAL__N_120softmax_warp_forwardIN3c104HalfES2_fLi8ELb0ELb0ELi32EEEvPT0_PKT_iiiPKbib.has_recursion, 0
	.set _ZN12_GLOBAL__N_120softmax_warp_forwardIN3c104HalfES2_fLi8ELb0ELb0ELi32EEEvPT0_PKT_iiiPKbib.has_indirect_call, 0
	.section	.AMDGPU.csdata,"",@progbits
; Kernel info:
; codeLenInByte = 2768
; TotalNumSgprs: 18
; NumVgprs: 40
; ScratchSize: 0
; MemoryBound: 0
; FloatMode: 240
; IeeeMode: 1
; LDSByteSize: 0 bytes/workgroup (compile time only)
; SGPRBlocks: 0
; VGPRBlocks: 4
; NumSGPRsForWavesPerEU: 18
; NumVGPRsForWavesPerEU: 40
; Occupancy: 16
; WaveLimiterHint : 0
; COMPUTE_PGM_RSRC2:SCRATCH_EN: 0
; COMPUTE_PGM_RSRC2:USER_SGPR: 6
; COMPUTE_PGM_RSRC2:TRAP_HANDLER: 0
; COMPUTE_PGM_RSRC2:TGID_X_EN: 1
; COMPUTE_PGM_RSRC2:TGID_Y_EN: 0
; COMPUTE_PGM_RSRC2:TGID_Z_EN: 0
; COMPUTE_PGM_RSRC2:TIDIG_COMP_CNT: 1
	.section	.text._ZN12_GLOBAL__N_120softmax_warp_forwardIN3c104HalfES2_fLi9ELb0ELb0ELi64EEEvPT0_PKT_iiiPKbib,"axG",@progbits,_ZN12_GLOBAL__N_120softmax_warp_forwardIN3c104HalfES2_fLi9ELb0ELb0ELi64EEEvPT0_PKT_iiiPKbib,comdat
	.globl	_ZN12_GLOBAL__N_120softmax_warp_forwardIN3c104HalfES2_fLi9ELb0ELb0ELi64EEEvPT0_PKT_iiiPKbib ; -- Begin function _ZN12_GLOBAL__N_120softmax_warp_forwardIN3c104HalfES2_fLi9ELb0ELb0ELi64EEEvPT0_PKT_iiiPKbib
	.p2align	8
	.type	_ZN12_GLOBAL__N_120softmax_warp_forwardIN3c104HalfES2_fLi9ELb0ELb0ELi64EEEvPT0_PKT_iiiPKbib,@function
_ZN12_GLOBAL__N_120softmax_warp_forwardIN3c104HalfES2_fLi9ELb0ELb0ELi64EEEvPT0_PKT_iiiPKbib: ; @_ZN12_GLOBAL__N_120softmax_warp_forwardIN3c104HalfES2_fLi9ELb0ELb0ELi64EEEvPT0_PKT_iiiPKbib
; %bb.0:
	s_clause 0x1
	s_load_dword s0, s[4:5], 0x3c
	s_load_dwordx8 s[8:15], s[4:5], 0x0
	v_mov_b32_e32 v6, 0xff800000
	v_mov_b32_e32 v11, 0xff800000
	s_waitcnt lgkmcnt(0)
	s_lshr_b32 s0, s0, 16
	v_cmp_gt_i32_e32 vcc_lo, s14, v0
	v_mad_u64_u32 v[1:2], null, s6, s0, v[1:2]
	v_mad_u64_u32 v[2:3], null, v1, s13, v[0:1]
	v_sub_nc_u32_e32 v5, s12, v1
	v_cmp_lt_i32_e64 s7, 0, v5
	v_ashrrev_i32_e32 v3, 31, v2
	s_and_b32 s1, s7, vcc_lo
	v_lshlrev_b64 v[1:2], 1, v[2:3]
	v_add_co_u32 v3, s0, s10, v1
	v_add_co_ci_u32_e64 v4, null, s11, v2, s0
	s_and_saveexec_b32 s0, s1
	s_cbranch_execz .LBB424_2
; %bb.1:
	global_load_ushort v7, v[3:4], off
	s_waitcnt vmcnt(0)
	v_cvt_f32_f16_e32 v11, v7
.LBB424_2:
	s_or_b32 exec_lo, exec_lo, s0
	v_add_nc_u32_e32 v7, 64, v0
	v_cmp_gt_i32_e64 s6, s14, v7
	s_and_b32 s1, s7, s6
	s_and_saveexec_b32 s0, s1
	s_cbranch_execz .LBB424_4
; %bb.3:
	global_load_ushort v6, v[3:4], off offset:128
	s_waitcnt vmcnt(0)
	v_cvt_f32_f16_e32 v6, v6
.LBB424_4:
	s_or_b32 exec_lo, exec_lo, s0
	v_add_nc_u32_e32 v7, 0x80, v0
	v_mov_b32_e32 v8, 0xff800000
	v_mov_b32_e32 v12, 0xff800000
	v_cmp_gt_i32_e64 s5, s14, v7
	s_and_b32 s1, s7, s5
	s_and_saveexec_b32 s0, s1
	s_cbranch_execz .LBB424_6
; %bb.5:
	global_load_ushort v7, v[3:4], off offset:256
	s_waitcnt vmcnt(0)
	v_cvt_f32_f16_e32 v12, v7
.LBB424_6:
	s_or_b32 exec_lo, exec_lo, s0
	v_add_nc_u32_e32 v7, 0xc0, v0
	v_cmp_gt_i32_e64 s4, s14, v7
	s_and_b32 s1, s7, s4
	s_and_saveexec_b32 s0, s1
	s_cbranch_execz .LBB424_8
; %bb.7:
	global_load_ushort v7, v[3:4], off offset:384
	s_waitcnt vmcnt(0)
	v_cvt_f32_f16_e32 v8, v7
.LBB424_8:
	s_or_b32 exec_lo, exec_lo, s0
	v_add_nc_u32_e32 v7, 0x100, v0
	v_mov_b32_e32 v9, 0xff800000
	v_mov_b32_e32 v13, 0xff800000
	v_cmp_gt_i32_e64 s3, s14, v7
	s_and_b32 s1, s7, s3
	s_and_saveexec_b32 s0, s1
	s_cbranch_execz .LBB424_10
; %bb.9:
	global_load_ushort v7, v[3:4], off offset:512
	s_waitcnt vmcnt(0)
	v_cvt_f32_f16_e32 v13, v7
.LBB424_10:
	;; [unrolled: 24-line block ×3, first 2 shown]
	s_or_b32 exec_lo, exec_lo, s0
	v_add_nc_u32_e32 v0, 0x1c0, v0
	v_cmp_gt_i32_e64 s0, s14, v0
	s_and_b32 s10, s7, s0
	s_and_saveexec_b32 s7, s10
	s_cbranch_execz .LBB424_16
; %bb.15:
	global_load_ushort v0, v[3:4], off offset:896
	s_waitcnt vmcnt(0)
	v_cvt_f32_f16_e32 v10, v0
.LBB424_16:
	s_or_b32 exec_lo, exec_lo, s7
	v_cmp_gt_f32_e64 s7, v11, v6
	v_mbcnt_lo_u32_b32 v3, -1, 0
	s_mov_b32 s10, exec_lo
	v_cndmask_b32_e64 v0, v6, v11, s7
	v_or_b32_e32 v4, 32, v3
	v_xor_b32_e32 v17, 4, v3
	v_xor_b32_e32 v18, 2, v3
	;; [unrolled: 1-line block ×3, first 2 shown]
	v_cmp_gt_f32_e64 s7, v0, v12
	v_cndmask_b32_e64 v0, v12, v0, s7
	v_cmp_gt_f32_e64 s7, v0, v8
	v_cndmask_b32_e64 v0, v8, v0, s7
	;; [unrolled: 2-line block ×4, first 2 shown]
	v_cmp_gt_i32_e64 s7, 64, v4
	v_cndmask_b32_e64 v4, v3, v4, s7
	v_cmp_gt_f32_e64 s7, v0, v14
	v_cndmask_b32_e64 v7, v14, v0, s7
	v_lshlrev_b32_e32 v0, 2, v4
	v_xor_b32_e32 v4, 16, v3
	v_cmp_gt_f32_e64 s7, v7, v10
	v_cndmask_b32_e64 v7, v10, v7, s7
	v_cmp_gt_i32_e64 s7, 64, v4
	ds_bpermute_b32 v15, v0, v7
	v_cndmask_b32_e64 v4, v3, v4, s7
	v_lshlrev_b32_e32 v4, 2, v4
	s_waitcnt lgkmcnt(0)
	v_cmp_lt_f32_e64 s7, v7, v15
	v_cndmask_b32_e64 v15, v7, v15, s7
	v_xor_b32_e32 v7, 8, v3
	ds_bpermute_b32 v16, v4, v15
	v_cmp_gt_i32_e64 s7, 64, v7
	v_cndmask_b32_e64 v7, v3, v7, s7
	v_lshlrev_b32_e32 v7, 2, v7
	s_waitcnt lgkmcnt(0)
	v_cmp_lt_f32_e64 s7, v15, v16
	v_cndmask_b32_e64 v15, v15, v16, s7
	v_cmp_gt_i32_e64 s7, 64, v17
	ds_bpermute_b32 v16, v7, v15
	v_cndmask_b32_e64 v17, v3, v17, s7
	v_lshlrev_b32_e32 v17, 2, v17
	s_waitcnt lgkmcnt(0)
	v_cmp_lt_f32_e64 s7, v15, v16
	v_cndmask_b32_e64 v15, v15, v16, s7
	v_cmp_gt_i32_e64 s7, 64, v18
	ds_bpermute_b32 v16, v17, v15
	;; [unrolled: 7-line block ×3, first 2 shown]
	v_cndmask_b32_e64 v3, v3, v19, s7
	v_lshlrev_b32_e32 v19, 2, v3
	s_waitcnt lgkmcnt(0)
	v_cmp_lt_f32_e64 s7, v15, v16
	v_cndmask_b32_e64 v3, v15, v16, s7
	ds_bpermute_b32 v15, v19, v3
	s_waitcnt lgkmcnt(0)
	v_cmp_lt_f32_e64 s7, v3, v15
	v_cndmask_b32_e64 v3, v3, v15, s7
	v_sub_f32_e32 v11, v11, v3
	v_sub_f32_e32 v6, v6, v3
	;; [unrolled: 1-line block ×5, first 2 shown]
	v_mul_f32_e32 v9, 0x3fb8aa3b, v11
	v_sub_f32_e32 v16, v13, v3
	v_sub_f32_e32 v14, v14, v3
	;; [unrolled: 1-line block ×3, first 2 shown]
	v_mul_f32_e32 v10, 0x3fb8aa3b, v6
	v_fma_f32 v25, 0x3fb8aa3b, v11, -v9
	v_rndne_f32_e32 v26, v9
	v_mul_f32_e32 v12, 0x3fb8aa3b, v15
	v_mul_f32_e32 v23, 0x3fb8aa3b, v14
	v_fma_f32 v27, 0x3fb8aa3b, v6, -v10
	v_rndne_f32_e32 v28, v10
	v_fmac_f32_e32 v25, 0x32a5705f, v11
	v_sub_f32_e32 v9, v9, v26
	v_fma_f32 v29, 0x3fb8aa3b, v15, -v12
	v_rndne_f32_e32 v30, v12
	v_fmac_f32_e32 v27, 0x32a5705f, v6
	v_sub_f32_e32 v10, v10, v28
	v_add_f32_e32 v9, v9, v25
	v_mul_f32_e32 v13, 0x3fb8aa3b, v8
	v_fma_f32 v37, 0x3fb8aa3b, v14, -v23
	v_rndne_f32_e32 v38, v23
	v_fmac_f32_e32 v29, 0x32a5705f, v15
	v_sub_f32_e32 v12, v12, v30
	v_add_f32_e32 v10, v10, v27
	v_exp_f32_e32 v9, v9
	v_fma_f32 v31, 0x3fb8aa3b, v8, -v13
	v_rndne_f32_e32 v32, v13
	v_cvt_i32_f32_e32 v26, v26
	v_fmac_f32_e32 v37, 0x32a5705f, v14
	v_sub_f32_e32 v23, v23, v38
	v_add_f32_e32 v12, v12, v29
	v_exp_f32_e32 v10, v10
	v_cvt_i32_f32_e32 v28, v28
	v_fmac_f32_e32 v31, 0x32a5705f, v8
	v_sub_f32_e32 v13, v13, v32
	v_add_f32_e32 v23, v23, v37
	v_exp_f32_e32 v12, v12
	v_ldexp_f32 v9, v9, v26
	v_cmp_ngt_f32_e64 s7, 0xc2ce8ed0, v11
	v_mul_f32_e32 v21, 0x3fb8aa3b, v16
	v_cvt_i32_f32_e32 v30, v30
	v_add_f32_e32 v13, v13, v31
	v_exp_f32_e32 v23, v23
	v_ldexp_f32 v10, v10, v28
	v_cndmask_b32_e64 v9, 0, v9, s7
	v_cmp_ngt_f32_e64 s7, 0xc2ce8ed0, v6
	v_fma_f32 v33, 0x3fb8aa3b, v16, -v21
	v_rndne_f32_e32 v34, v21
	v_exp_f32_e32 v13, v13
	v_cvt_i32_f32_e32 v25, v38
	v_ldexp_f32 v12, v12, v30
	v_cndmask_b32_e64 v10, 0, v10, s7
	v_cmp_ngt_f32_e64 s7, 0xc2ce8ed0, v15
	v_mul_f32_e32 v22, 0x3fb8aa3b, v20
	v_cvt_i32_f32_e32 v32, v32
	v_fmac_f32_e32 v33, 0x32a5705f, v16
	v_sub_f32_e32 v21, v21, v34
	v_ldexp_f32 v23, v23, v25
	v_cndmask_b32_e64 v25, 0, v12, s7
	v_cmp_nlt_f32_e64 s7, 0x42b17218, v11
	v_fma_f32 v35, 0x3fb8aa3b, v20, -v22
	v_rndne_f32_e32 v36, v22
	v_add_f32_e32 v21, v21, v33
	v_ldexp_f32 v26, v13, v32
	v_cndmask_b32_e64 v13, 0x7f800000, v9, s7
	v_cmp_nlt_f32_e64 s7, 0x42b17218, v6
	v_fmac_f32_e32 v35, 0x32a5705f, v20
	v_sub_f32_e32 v22, v22, v36
	v_exp_f32_e32 v21, v21
	v_cvt_i32_f32_e32 v34, v34
	v_cndmask_b32_e64 v12, 0x7f800000, v10, s7
	v_cmp_ngt_f32_e64 s7, 0xc2ce8ed0, v8
	v_add_f32_e32 v22, v22, v35
	v_mul_f32_e32 v24, 0x3fb8aa3b, v3
	v_cvt_i32_f32_e32 v36, v36
	v_add_f32_e32 v9, v13, v12
	v_cndmask_b32_e64 v6, 0, v26, s7
	v_cmp_nlt_f32_e64 s7, 0x42b17218, v15
	v_exp_f32_e32 v22, v22
	v_ldexp_f32 v21, v21, v34
	v_fma_f32 v39, 0x3fb8aa3b, v3, -v24
	v_rndne_f32_e32 v40, v24
	v_cndmask_b32_e64 v11, 0x7f800000, v25, s7
	v_cmp_ngt_f32_e64 s7, 0xc2ce8ed0, v16
	v_fmac_f32_e32 v39, 0x32a5705f, v3
	v_sub_f32_e32 v24, v24, v40
	v_cvt_i32_f32_e32 v27, v40
	v_cndmask_b32_e64 v15, 0, v21, s7
	v_cmp_nlt_f32_e64 s7, 0x42b17218, v8
	v_ldexp_f32 v22, v22, v36
	v_add_f32_e32 v24, v24, v39
	v_cndmask_b32_e64 v10, 0x7f800000, v6, s7
	v_cmp_ngt_f32_e64 s7, 0xc2ce8ed0, v20
	v_add_f32_e32 v6, v9, v11
	v_exp_f32_e32 v24, v24
	v_cndmask_b32_e64 v8, 0, v22, s7
	v_cmp_nlt_f32_e64 s7, 0x42b17218, v16
	v_add_f32_e32 v6, v6, v10
	v_cndmask_b32_e64 v9, 0x7f800000, v15, s7
	v_cmp_ngt_f32_e64 s7, 0xc2ce8ed0, v14
	v_add_f32_e32 v16, v6, v9
	v_cndmask_b32_e64 v15, 0, v23, s7
	v_cmp_nlt_f32_e64 s7, 0x42b17218, v20
	v_ldexp_f32 v20, v24, v27
	v_cndmask_b32_e64 v8, 0x7f800000, v8, s7
	v_cmp_nlt_f32_e64 s7, 0x42b17218, v14
	v_add_f32_e32 v14, v16, v8
	v_cndmask_b32_e64 v6, 0x7f800000, v15, s7
	v_cmp_ngt_f32_e64 s7, 0xc2ce8ed0, v3
	v_add_f32_e32 v14, v14, v6
	v_cndmask_b32_e64 v15, 0, v20, s7
	v_cmp_nlt_f32_e64 s7, 0x42b17218, v3
	v_cndmask_b32_e64 v3, 0x7f800000, v15, s7
	v_add_f32_e32 v14, v14, v3
	ds_bpermute_b32 v0, v0, v14
	s_waitcnt lgkmcnt(0)
	v_add_f32_e32 v0, v14, v0
	ds_bpermute_b32 v4, v4, v0
	s_waitcnt lgkmcnt(0)
	;; [unrolled: 3-line block ×5, first 2 shown]
	v_add_f32_e32 v0, v0, v4
	ds_bpermute_b32 v4, v19, v0
	v_cmpx_lt_i32_e32 0, v5
	s_cbranch_execz .LBB424_42
; %bb.17:
	s_and_b32 exec_lo, exec_lo, vcc_lo
	s_cbranch_execz .LBB424_42
; %bb.18:
	s_waitcnt lgkmcnt(0)
	v_add_f32_e32 v4, v0, v4
	v_mov_b32_e32 v5, 0x7e00
	v_cmp_neq_f32_e64 s7, 0, v4
	s_and_saveexec_b32 s10, s7
	s_cbranch_execz .LBB424_20
; %bb.19:
	v_div_scale_f32 v0, null, v4, v4, v13
	v_rcp_f32_e32 v5, v0
	v_fma_f32 v7, -v0, v5, 1.0
	v_fmac_f32_e32 v5, v7, v5
	v_div_scale_f32 v7, vcc_lo, v13, v4, v13
	v_mul_f32_e32 v14, v7, v5
	v_fma_f32 v15, -v0, v14, v7
	v_fmac_f32_e32 v14, v15, v5
	v_fma_f32 v0, -v0, v14, v7
	v_div_fmas_f32 v0, v0, v5, v14
	v_div_fixup_f32 v0, v0, v4, v13
	v_cvt_f16_f32_e32 v5, v0
.LBB424_20:
	s_or_b32 exec_lo, exec_lo, s10
	v_add_co_u32 v0, vcc_lo, s8, v1
	v_add_co_ci_u32_e64 v1, null, s9, v2, vcc_lo
	global_store_short v[0:1], v5, off
	s_and_b32 exec_lo, exec_lo, s6
	s_cbranch_execz .LBB424_42
; %bb.21:
	v_mov_b32_e32 v2, 0x7e00
	s_and_saveexec_b32 s6, s7
	s_cbranch_execz .LBB424_23
; %bb.22:
	v_div_scale_f32 v2, null, v4, v4, v12
	v_rcp_f32_e32 v5, v2
	v_fma_f32 v7, -v2, v5, 1.0
	v_fmac_f32_e32 v5, v7, v5
	v_div_scale_f32 v7, vcc_lo, v12, v4, v12
	v_mul_f32_e32 v13, v7, v5
	v_fma_f32 v14, -v2, v13, v7
	v_fmac_f32_e32 v13, v14, v5
	v_fma_f32 v2, -v2, v13, v7
	v_div_fmas_f32 v2, v2, v5, v13
	v_div_fixup_f32 v2, v2, v4, v12
	v_cvt_f16_f32_e32 v2, v2
.LBB424_23:
	s_or_b32 exec_lo, exec_lo, s6
	global_store_short v[0:1], v2, off offset:128
	s_and_b32 exec_lo, exec_lo, s5
	s_cbranch_execz .LBB424_42
; %bb.24:
	v_mov_b32_e32 v2, 0x7e00
	s_and_saveexec_b32 s5, s7
	s_cbranch_execz .LBB424_26
; %bb.25:
	v_div_scale_f32 v2, null, v4, v4, v11
	v_rcp_f32_e32 v5, v2
	v_fma_f32 v7, -v2, v5, 1.0
	v_fmac_f32_e32 v5, v7, v5
	v_div_scale_f32 v7, vcc_lo, v11, v4, v11
	v_mul_f32_e32 v12, v7, v5
	v_fma_f32 v13, -v2, v12, v7
	v_fmac_f32_e32 v12, v13, v5
	v_fma_f32 v2, -v2, v12, v7
	v_div_fmas_f32 v2, v2, v5, v12
	v_div_fixup_f32 v2, v2, v4, v11
	v_cvt_f16_f32_e32 v2, v2
.LBB424_26:
	s_or_b32 exec_lo, exec_lo, s5
	global_store_short v[0:1], v2, off offset:256
	;; [unrolled: 22-line block ×7, first 2 shown]
.LBB424_42:
	s_endpgm
	.section	.rodata,"a",@progbits
	.p2align	6, 0x0
	.amdhsa_kernel _ZN12_GLOBAL__N_120softmax_warp_forwardIN3c104HalfES2_fLi9ELb0ELb0ELi64EEEvPT0_PKT_iiiPKbib
		.amdhsa_group_segment_fixed_size 0
		.amdhsa_private_segment_fixed_size 0
		.amdhsa_kernarg_size 304
		.amdhsa_user_sgpr_count 6
		.amdhsa_user_sgpr_private_segment_buffer 1
		.amdhsa_user_sgpr_dispatch_ptr 0
		.amdhsa_user_sgpr_queue_ptr 0
		.amdhsa_user_sgpr_kernarg_segment_ptr 1
		.amdhsa_user_sgpr_dispatch_id 0
		.amdhsa_user_sgpr_flat_scratch_init 0
		.amdhsa_user_sgpr_private_segment_size 0
		.amdhsa_wavefront_size32 1
		.amdhsa_uses_dynamic_stack 0
		.amdhsa_system_sgpr_private_segment_wavefront_offset 0
		.amdhsa_system_sgpr_workgroup_id_x 1
		.amdhsa_system_sgpr_workgroup_id_y 0
		.amdhsa_system_sgpr_workgroup_id_z 0
		.amdhsa_system_sgpr_workgroup_info 0
		.amdhsa_system_vgpr_workitem_id 1
		.amdhsa_next_free_vgpr 41
		.amdhsa_next_free_sgpr 16
		.amdhsa_reserve_vcc 1
		.amdhsa_reserve_flat_scratch 0
		.amdhsa_float_round_mode_32 0
		.amdhsa_float_round_mode_16_64 0
		.amdhsa_float_denorm_mode_32 3
		.amdhsa_float_denorm_mode_16_64 3
		.amdhsa_dx10_clamp 1
		.amdhsa_ieee_mode 1
		.amdhsa_fp16_overflow 0
		.amdhsa_workgroup_processor_mode 1
		.amdhsa_memory_ordered 1
		.amdhsa_forward_progress 1
		.amdhsa_shared_vgpr_count 0
		.amdhsa_exception_fp_ieee_invalid_op 0
		.amdhsa_exception_fp_denorm_src 0
		.amdhsa_exception_fp_ieee_div_zero 0
		.amdhsa_exception_fp_ieee_overflow 0
		.amdhsa_exception_fp_ieee_underflow 0
		.amdhsa_exception_fp_ieee_inexact 0
		.amdhsa_exception_int_div_zero 0
	.end_amdhsa_kernel
	.section	.text._ZN12_GLOBAL__N_120softmax_warp_forwardIN3c104HalfES2_fLi9ELb0ELb0ELi64EEEvPT0_PKT_iiiPKbib,"axG",@progbits,_ZN12_GLOBAL__N_120softmax_warp_forwardIN3c104HalfES2_fLi9ELb0ELb0ELi64EEEvPT0_PKT_iiiPKbib,comdat
.Lfunc_end424:
	.size	_ZN12_GLOBAL__N_120softmax_warp_forwardIN3c104HalfES2_fLi9ELb0ELb0ELi64EEEvPT0_PKT_iiiPKbib, .Lfunc_end424-_ZN12_GLOBAL__N_120softmax_warp_forwardIN3c104HalfES2_fLi9ELb0ELb0ELi64EEEvPT0_PKT_iiiPKbib
                                        ; -- End function
	.set _ZN12_GLOBAL__N_120softmax_warp_forwardIN3c104HalfES2_fLi9ELb0ELb0ELi64EEEvPT0_PKT_iiiPKbib.num_vgpr, 41
	.set _ZN12_GLOBAL__N_120softmax_warp_forwardIN3c104HalfES2_fLi9ELb0ELb0ELi64EEEvPT0_PKT_iiiPKbib.num_agpr, 0
	.set _ZN12_GLOBAL__N_120softmax_warp_forwardIN3c104HalfES2_fLi9ELb0ELb0ELi64EEEvPT0_PKT_iiiPKbib.numbered_sgpr, 16
	.set _ZN12_GLOBAL__N_120softmax_warp_forwardIN3c104HalfES2_fLi9ELb0ELb0ELi64EEEvPT0_PKT_iiiPKbib.num_named_barrier, 0
	.set _ZN12_GLOBAL__N_120softmax_warp_forwardIN3c104HalfES2_fLi9ELb0ELb0ELi64EEEvPT0_PKT_iiiPKbib.private_seg_size, 0
	.set _ZN12_GLOBAL__N_120softmax_warp_forwardIN3c104HalfES2_fLi9ELb0ELb0ELi64EEEvPT0_PKT_iiiPKbib.uses_vcc, 1
	.set _ZN12_GLOBAL__N_120softmax_warp_forwardIN3c104HalfES2_fLi9ELb0ELb0ELi64EEEvPT0_PKT_iiiPKbib.uses_flat_scratch, 0
	.set _ZN12_GLOBAL__N_120softmax_warp_forwardIN3c104HalfES2_fLi9ELb0ELb0ELi64EEEvPT0_PKT_iiiPKbib.has_dyn_sized_stack, 0
	.set _ZN12_GLOBAL__N_120softmax_warp_forwardIN3c104HalfES2_fLi9ELb0ELb0ELi64EEEvPT0_PKT_iiiPKbib.has_recursion, 0
	.set _ZN12_GLOBAL__N_120softmax_warp_forwardIN3c104HalfES2_fLi9ELb0ELb0ELi64EEEvPT0_PKT_iiiPKbib.has_indirect_call, 0
	.section	.AMDGPU.csdata,"",@progbits
; Kernel info:
; codeLenInByte = 2840
; TotalNumSgprs: 18
; NumVgprs: 41
; ScratchSize: 0
; MemoryBound: 0
; FloatMode: 240
; IeeeMode: 1
; LDSByteSize: 0 bytes/workgroup (compile time only)
; SGPRBlocks: 0
; VGPRBlocks: 5
; NumSGPRsForWavesPerEU: 18
; NumVGPRsForWavesPerEU: 41
; Occupancy: 16
; WaveLimiterHint : 0
; COMPUTE_PGM_RSRC2:SCRATCH_EN: 0
; COMPUTE_PGM_RSRC2:USER_SGPR: 6
; COMPUTE_PGM_RSRC2:TRAP_HANDLER: 0
; COMPUTE_PGM_RSRC2:TGID_X_EN: 1
; COMPUTE_PGM_RSRC2:TGID_Y_EN: 0
; COMPUTE_PGM_RSRC2:TGID_Z_EN: 0
; COMPUTE_PGM_RSRC2:TIDIG_COMP_CNT: 1
	.section	.text._ZN12_GLOBAL__N_120softmax_warp_forwardIN3c104HalfES2_fLi9ELb0ELb0ELi32EEEvPT0_PKT_iiiPKbib,"axG",@progbits,_ZN12_GLOBAL__N_120softmax_warp_forwardIN3c104HalfES2_fLi9ELb0ELb0ELi32EEEvPT0_PKT_iiiPKbib,comdat
	.globl	_ZN12_GLOBAL__N_120softmax_warp_forwardIN3c104HalfES2_fLi9ELb0ELb0ELi32EEEvPT0_PKT_iiiPKbib ; -- Begin function _ZN12_GLOBAL__N_120softmax_warp_forwardIN3c104HalfES2_fLi9ELb0ELb0ELi32EEEvPT0_PKT_iiiPKbib
	.p2align	8
	.type	_ZN12_GLOBAL__N_120softmax_warp_forwardIN3c104HalfES2_fLi9ELb0ELb0ELi32EEEvPT0_PKT_iiiPKbib,@function
_ZN12_GLOBAL__N_120softmax_warp_forwardIN3c104HalfES2_fLi9ELb0ELb0ELi32EEEvPT0_PKT_iiiPKbib: ; @_ZN12_GLOBAL__N_120softmax_warp_forwardIN3c104HalfES2_fLi9ELb0ELb0ELi32EEEvPT0_PKT_iiiPKbib
; %bb.0:
	s_clause 0x1
	s_load_dword s0, s[4:5], 0x3c
	s_load_dwordx8 s[16:23], s[4:5], 0x0
	v_mov_b32_e32 v6, 0xff800000
	v_mov_b32_e32 v7, 0xff800000
	s_waitcnt lgkmcnt(0)
	s_lshr_b32 s0, s0, 16
	v_cmp_gt_i32_e32 vcc_lo, s22, v0
	v_mad_u64_u32 v[1:2], null, s6, s0, v[1:2]
	v_mad_u64_u32 v[2:3], null, v1, s21, v[0:1]
	v_sub_nc_u32_e32 v5, s20, v1
	v_cmp_lt_i32_e64 s15, 0, v5
	v_ashrrev_i32_e32 v3, 31, v2
	s_and_b32 s1, s15, vcc_lo
	v_lshlrev_b64 v[1:2], 1, v[2:3]
	v_add_co_u32 v3, s0, s18, v1
	v_add_co_ci_u32_e64 v4, null, s19, v2, s0
	s_and_saveexec_b32 s0, s1
	s_cbranch_execz .LBB425_2
; %bb.1:
	global_load_ushort v7, v[3:4], off
	s_waitcnt vmcnt(0)
	v_cvt_f32_f16_e32 v7, v7
.LBB425_2:
	s_or_b32 exec_lo, exec_lo, s0
	v_add_nc_u32_e32 v8, 32, v0
	v_cmp_gt_i32_e64 s14, s22, v8
	s_and_b32 s1, s15, s14
	s_and_saveexec_b32 s0, s1
	s_cbranch_execz .LBB425_4
; %bb.3:
	global_load_ushort v6, v[3:4], off offset:64
	s_waitcnt vmcnt(0)
	v_cvt_f32_f16_e32 v6, v6
.LBB425_4:
	s_or_b32 exec_lo, exec_lo, s0
	v_add_nc_u32_e32 v8, 64, v0
	v_mov_b32_e32 v10, 0xff800000
	v_mov_b32_e32 v18, 0xff800000
	v_cmp_gt_i32_e64 s13, s22, v8
	s_and_b32 s1, s15, s13
	s_and_saveexec_b32 s0, s1
	s_cbranch_execz .LBB425_6
; %bb.5:
	global_load_ushort v8, v[3:4], off offset:128
	s_waitcnt vmcnt(0)
	v_cvt_f32_f16_e32 v18, v8
.LBB425_6:
	s_or_b32 exec_lo, exec_lo, s0
	v_add_nc_u32_e32 v8, 0x60, v0
	v_cmp_gt_i32_e64 s12, s22, v8
	s_and_b32 s1, s15, s12
	s_and_saveexec_b32 s0, s1
	s_cbranch_execz .LBB425_8
; %bb.7:
	global_load_ushort v8, v[3:4], off offset:192
	s_waitcnt vmcnt(0)
	v_cvt_f32_f16_e32 v10, v8
.LBB425_8:
	s_or_b32 exec_lo, exec_lo, s0
	v_add_nc_u32_e32 v8, 0x80, v0
	v_mov_b32_e32 v12, 0xff800000
	v_mov_b32_e32 v19, 0xff800000
	v_cmp_gt_i32_e64 s11, s22, v8
	s_and_b32 s1, s15, s11
	s_and_saveexec_b32 s0, s1
	s_cbranch_execz .LBB425_10
; %bb.9:
	global_load_ushort v8, v[3:4], off offset:256
	s_waitcnt vmcnt(0)
	v_cvt_f32_f16_e32 v19, v8
.LBB425_10:
	;; [unrolled: 24-line block ×7, first 2 shown]
	s_or_b32 exec_lo, exec_lo, s0
	v_add_nc_u32_e32 v0, 0x1e0, v0
	v_cmp_gt_i32_e64 s0, s22, v0
	s_and_b32 s18, s15, s0
	s_and_saveexec_b32 s15, s18
	s_cbranch_execz .LBB425_32
; %bb.31:
	global_load_ushort v0, v[3:4], off offset:960
	s_waitcnt vmcnt(0)
	v_cvt_f32_f16_e32 v17, v0
.LBB425_32:
	s_or_b32 exec_lo, exec_lo, s15
	v_cmp_gt_f32_e64 s15, v7, v6
	v_mbcnt_lo_u32_b32 v3, -1, 0
	s_mov_b32 s18, exec_lo
	v_cndmask_b32_e64 v0, v6, v7, s15
	v_xor_b32_e32 v4, 16, v3
	v_cmp_gt_f32_e64 s15, v0, v18
	v_cndmask_b32_e64 v0, v18, v0, s15
	v_cmp_gt_f32_e64 s15, v0, v10
	v_cndmask_b32_e64 v0, v10, v0, s15
	;; [unrolled: 2-line block ×12, first 2 shown]
	v_cmp_gt_i32_e64 s15, 32, v4
	v_cndmask_b32_e64 v4, v3, v4, s15
	v_cmp_gt_f32_e64 s15, v0, v24
	v_cndmask_b32_e64 v8, v24, v0, s15
	v_lshlrev_b32_e32 v0, 2, v4
	v_xor_b32_e32 v4, 8, v3
	v_cmp_gt_f32_e64 s15, v8, v17
	v_cndmask_b32_e64 v8, v17, v8, s15
	v_cmp_gt_i32_e64 s15, 32, v4
	ds_bpermute_b32 v9, v0, v8
	v_cndmask_b32_e64 v4, v3, v4, s15
	v_lshlrev_b32_e32 v4, 2, v4
	s_waitcnt lgkmcnt(0)
	v_cmp_lt_f32_e64 s15, v8, v9
	v_cndmask_b32_e64 v9, v8, v9, s15
	v_xor_b32_e32 v8, 4, v3
	ds_bpermute_b32 v11, v4, v9
	v_cmp_gt_i32_e64 s15, 32, v8
	v_cndmask_b32_e64 v8, v3, v8, s15
	v_lshlrev_b32_e32 v8, 2, v8
	s_waitcnt lgkmcnt(0)
	v_cmp_lt_f32_e64 s15, v9, v11
	v_cndmask_b32_e64 v11, v9, v11, s15
	v_xor_b32_e32 v9, 2, v3
	ds_bpermute_b32 v25, v8, v11
	v_cmp_gt_i32_e64 s15, 32, v9
	;; [unrolled: 8-line block ×3, first 2 shown]
	v_cndmask_b32_e64 v3, v3, v11, s15
	v_lshlrev_b32_e32 v11, 2, v3
	s_waitcnt lgkmcnt(0)
	v_cmp_lt_f32_e64 s15, v25, v26
	v_cndmask_b32_e64 v3, v25, v26, s15
	ds_bpermute_b32 v25, v11, v3
	s_waitcnt lgkmcnt(0)
	v_cmp_lt_f32_e64 s15, v3, v25
	v_cndmask_b32_e64 v25, v3, v25, s15
	v_sub_f32_e32 v3, v7, v25
	v_sub_f32_e32 v6, v6, v25
	;; [unrolled: 1-line block ×8, first 2 shown]
	v_mul_f32_e32 v15, 0x3fb8aa3b, v3
	v_sub_f32_e32 v29, v16, v25
	v_mul_f32_e32 v16, 0x3fb8aa3b, v6
	v_sub_f32_e32 v31, v17, v25
	v_mul_f32_e32 v17, 0x3fb8aa3b, v7
	v_fma_f32 v40, 0x3fb8aa3b, v3, -v15
	v_rndne_f32_e32 v41, v15
	v_fma_f32 v42, 0x3fb8aa3b, v6, -v16
	v_rndne_f32_e32 v43, v16
	v_sub_f32_e32 v13, v13, v25
	v_fmac_f32_e32 v40, 0x32a5705f, v3
	v_sub_f32_e32 v15, v15, v41
	v_fma_f32 v44, 0x3fb8aa3b, v7, -v17
	v_rndne_f32_e32 v45, v17
	v_fmac_f32_e32 v42, 0x32a5705f, v6
	v_sub_f32_e32 v16, v16, v43
	v_add_f32_e32 v15, v15, v40
	v_sub_f32_e32 v10, v10, v25
	v_mul_f32_e32 v28, 0x3fb8aa3b, v13
	v_fmac_f32_e32 v44, 0x32a5705f, v7
	v_sub_f32_e32 v17, v17, v45
	v_add_f32_e32 v16, v16, v42
	v_exp_f32_e32 v15, v15
	v_sub_f32_e32 v30, v24, v25
	v_mul_f32_e32 v24, 0x3fb8aa3b, v10
	v_mul_f32_e32 v27, 0x3fb8aa3b, v19
	v_fma_f32 v54, 0x3fb8aa3b, v13, -v28
	v_rndne_f32_e32 v55, v28
	v_add_f32_e32 v17, v17, v44
	v_cvt_i32_f32_e32 v41, v41
	v_exp_f32_e32 v16, v16
	v_sub_f32_e32 v12, v12, v25
	v_fma_f32 v46, 0x3fb8aa3b, v10, -v24
	v_rndne_f32_e32 v47, v24
	v_fma_f32 v52, 0x3fb8aa3b, v19, -v27
	v_rndne_f32_e32 v53, v27
	v_fmac_f32_e32 v54, 0x32a5705f, v13
	v_sub_f32_e32 v28, v28, v55
	v_cvt_i32_f32_e32 v43, v43
	v_exp_f32_e32 v17, v17
	v_ldexp_f32 v15, v15, v41
	v_cmp_ngt_f32_e64 s15, 0xc2ce8ed0, v3
	v_sub_f32_e32 v14, v14, v25
	v_sub_f32_e32 v23, v23, v25
	v_mul_f32_e32 v25, 0x3fb8aa3b, v18
	v_mul_f32_e32 v26, 0x3fb8aa3b, v12
	v_fmac_f32_e32 v46, 0x32a5705f, v10
	v_sub_f32_e32 v24, v24, v47
	v_fmac_f32_e32 v52, 0x32a5705f, v19
	v_sub_f32_e32 v27, v27, v53
	v_add_f32_e32 v28, v28, v54
	v_cvt_i32_f32_e32 v45, v45
	v_ldexp_f32 v16, v16, v43
	v_cndmask_b32_e64 v15, 0, v15, s15
	v_cmp_ngt_f32_e64 s15, 0xc2ce8ed0, v6
	v_fma_f32 v48, 0x3fb8aa3b, v18, -v25
	v_rndne_f32_e32 v49, v25
	v_fma_f32 v50, 0x3fb8aa3b, v12, -v26
	v_rndne_f32_e32 v51, v26
	v_add_f32_e32 v24, v24, v46
	v_add_f32_e32 v27, v27, v52
	v_exp_f32_e32 v28, v28
	v_ldexp_f32 v17, v17, v45
	v_cndmask_b32_e64 v16, 0, v16, s15
	v_cmp_ngt_f32_e64 s15, 0xc2ce8ed0, v7
	v_fmac_f32_e32 v48, 0x32a5705f, v18
	v_sub_f32_e32 v25, v25, v49
	v_fmac_f32_e32 v50, 0x32a5705f, v12
	v_sub_f32_e32 v26, v26, v51
	v_cvt_i32_f32_e32 v55, v55
	v_exp_f32_e32 v24, v24
	v_exp_f32_e32 v27, v27
	v_cndmask_b32_e64 v17, 0, v17, s15
	v_cmp_nlt_f32_e64 s15, 0x42b17218, v3
	v_mul_f32_e32 v35, 0x3fb8aa3b, v22
	v_add_f32_e32 v25, v25, v48
	v_add_f32_e32 v26, v26, v50
	v_cvt_i32_f32_e32 v47, v47
	v_cvt_i32_f32_e32 v53, v53
	v_ldexp_f32 v43, v28, v55
	v_cndmask_b32_e64 v28, 0x7f800000, v15, s15
	v_cmp_nlt_f32_e64 s15, 0x42b17218, v6
	v_fma_f32 v40, 0x3fb8aa3b, v22, -v35
	v_rndne_f32_e32 v42, v35
	v_exp_f32_e32 v25, v25
	v_exp_f32_e32 v26, v26
	v_ldexp_f32 v24, v24, v47
	v_ldexp_f32 v41, v27, v53
	v_cndmask_b32_e64 v27, 0x7f800000, v16, s15
	v_cmp_ngt_f32_e64 s15, 0xc2ce8ed0, v10
	v_cvt_i32_f32_e32 v49, v49
	v_cvt_i32_f32_e32 v51, v51
	v_fmac_f32_e32 v40, 0x32a5705f, v22
	v_sub_f32_e32 v35, v35, v42
	v_cndmask_b32_e64 v3, 0, v24, s15
	v_cmp_nlt_f32_e64 s15, 0x42b17218, v7
	v_ldexp_f32 v25, v25, v49
	v_mul_f32_e32 v32, 0x3fb8aa3b, v20
	v_add_f32_e32 v35, v35, v40
	v_ldexp_f32 v40, v26, v51
	v_cndmask_b32_e64 v26, 0x7f800000, v17, s15
	v_cmp_ngt_f32_e64 s15, 0xc2ce8ed0, v18
	v_add_f32_e32 v6, v28, v27
	v_fma_f32 v56, 0x3fb8aa3b, v20, -v32
	v_rndne_f32_e32 v57, v32
	v_mul_f32_e32 v33, 0x3fb8aa3b, v14
	v_cndmask_b32_e64 v7, 0, v25, s15
	v_cmp_nlt_f32_e64 s15, 0x42b17218, v10
	v_fmac_f32_e32 v56, 0x32a5705f, v20
	v_sub_f32_e32 v32, v32, v57
	v_fma_f32 v58, 0x3fb8aa3b, v14, -v33
	v_rndne_f32_e32 v59, v33
	v_cndmask_b32_e64 v25, 0x7f800000, v3, s15
	v_cmp_ngt_f32_e64 s15, 0xc2ce8ed0, v12
	v_add_f32_e32 v3, v6, v26
	v_add_f32_e32 v32, v32, v56
	v_mul_f32_e32 v34, 0x3fb8aa3b, v21
	v_fmac_f32_e32 v58, 0x32a5705f, v14
	v_cndmask_b32_e64 v6, 0, v40, s15
	v_cmp_nlt_f32_e64 s15, 0x42b17218, v18
	v_sub_f32_e32 v33, v33, v59
	v_exp_f32_e32 v32, v32
	v_fma_f32 v60, 0x3fb8aa3b, v21, -v34
	v_rndne_f32_e32 v61, v34
	v_cndmask_b32_e64 v24, 0x7f800000, v7, s15
	v_cmp_ngt_f32_e64 s15, 0xc2ce8ed0, v19
	v_add_f32_e32 v33, v33, v58
	v_cvt_i32_f32_e32 v57, v57
	v_fmac_f32_e32 v60, 0x32a5705f, v21
	v_sub_f32_e32 v34, v34, v61
	v_cndmask_b32_e64 v7, 0, v41, s15
	v_cmp_nlt_f32_e64 s15, 0x42b17218, v12
	v_exp_f32_e32 v33, v33
	v_ldexp_f32 v32, v32, v57
	v_cvt_i32_f32_e32 v59, v59
	v_add_f32_e32 v34, v34, v60
	v_cndmask_b32_e64 v18, 0x7f800000, v6, s15
	v_cmp_ngt_f32_e64 s15, 0xc2ce8ed0, v13
	v_mul_f32_e32 v36, 0x3fb8aa3b, v23
	v_cvt_i32_f32_e32 v61, v61
	v_exp_f32_e32 v34, v34
	v_mul_f32_e32 v37, 0x3fb8aa3b, v29
	v_cndmask_b32_e64 v6, 0, v43, s15
	v_cmp_nlt_f32_e64 s15, 0x42b17218, v19
	v_ldexp_f32 v33, v33, v59
	v_fma_f32 v44, 0x3fb8aa3b, v23, -v36
	v_rndne_f32_e32 v46, v36
	v_exp_f32_e32 v35, v35
	v_cndmask_b32_e64 v17, 0x7f800000, v7, s15
	v_cmp_ngt_f32_e64 s15, 0xc2ce8ed0, v20
	v_fmac_f32_e32 v44, 0x32a5705f, v23
	v_sub_f32_e32 v36, v36, v46
	v_ldexp_f32 v34, v34, v61
	v_fma_f32 v48, 0x3fb8aa3b, v29, -v37
	v_cndmask_b32_e64 v7, 0, v32, s15
	v_cmp_nlt_f32_e64 s15, 0x42b17218, v13
	v_rndne_f32_e32 v50, v37
	v_cvt_i32_f32_e32 v42, v42
	v_add_f32_e32 v36, v36, v44
	v_mul_f32_e32 v38, 0x3fb8aa3b, v30
	v_cndmask_b32_e64 v16, 0x7f800000, v6, s15
	v_cmp_ngt_f32_e64 s15, 0xc2ce8ed0, v14
	v_fmac_f32_e32 v48, 0x32a5705f, v29
	v_sub_f32_e32 v37, v37, v50
	v_exp_f32_e32 v36, v36
	v_ldexp_f32 v35, v35, v42
	v_cndmask_b32_e64 v6, 0, v33, s15
	v_cmp_nlt_f32_e64 s15, 0x42b17218, v20
	v_add_f32_e32 v3, v3, v25
	v_fma_f32 v52, 0x3fb8aa3b, v30, -v38
	v_rndne_f32_e32 v54, v38
	v_cvt_i32_f32_e32 v46, v46
	v_cndmask_b32_e64 v15, 0x7f800000, v7, s15
	v_cmp_ngt_f32_e64 s15, 0xc2ce8ed0, v21
	v_add_f32_e32 v37, v37, v48
	v_add_f32_e32 v3, v3, v24
	v_fmac_f32_e32 v52, 0x32a5705f, v30
	v_sub_f32_e32 v38, v38, v54
	v_cndmask_b32_e64 v7, 0, v34, s15
	v_cmp_nlt_f32_e64 s15, 0x42b17218, v14
	v_exp_f32_e32 v37, v37
	v_ldexp_f32 v36, v36, v46
	v_add_f32_e32 v3, v3, v18
	v_mul_f32_e32 v39, 0x3fb8aa3b, v31
	v_cndmask_b32_e64 v14, 0x7f800000, v6, s15
	v_cmp_ngt_f32_e64 s15, 0xc2ce8ed0, v22
	v_cvt_i32_f32_e32 v50, v50
	v_add_f32_e32 v38, v38, v52
	v_add_f32_e32 v3, v3, v17
	v_fma_f32 v56, 0x3fb8aa3b, v31, -v39
	v_cndmask_b32_e64 v6, 0, v35, s15
	v_cmp_nlt_f32_e64 s15, 0x42b17218, v21
	v_rndne_f32_e32 v58, v39
	v_exp_f32_e32 v38, v38
	v_ldexp_f32 v37, v37, v50
	v_add_f32_e32 v3, v3, v16
	v_cndmask_b32_e64 v13, 0x7f800000, v7, s15
	v_cmp_ngt_f32_e64 s15, 0xc2ce8ed0, v23
	v_cvt_i32_f32_e32 v54, v54
	v_fmac_f32_e32 v56, 0x32a5705f, v31
	v_sub_f32_e32 v39, v39, v58
	v_add_f32_e32 v3, v3, v15
	v_cndmask_b32_e64 v7, 0, v36, s15
	v_cmp_nlt_f32_e64 s15, 0x42b17218, v22
	v_ldexp_f32 v38, v38, v54
	v_add_f32_e32 v39, v39, v56
	v_add_f32_e32 v3, v3, v14
	v_cvt_i32_f32_e32 v58, v58
	v_cndmask_b32_e64 v12, 0x7f800000, v6, s15
	v_cmp_ngt_f32_e64 s15, 0xc2ce8ed0, v29
	v_exp_f32_e32 v39, v39
	v_add_f32_e32 v3, v3, v13
	v_cndmask_b32_e64 v6, 0, v37, s15
	v_cmp_nlt_f32_e64 s15, 0x42b17218, v23
	v_add_f32_e32 v3, v3, v12
	v_cndmask_b32_e64 v10, 0x7f800000, v7, s15
	v_cmp_ngt_f32_e64 s15, 0xc2ce8ed0, v30
	v_ldexp_f32 v20, v39, v58
	v_add_f32_e32 v3, v3, v10
	v_cndmask_b32_e64 v19, 0, v38, s15
	v_cmp_nlt_f32_e64 s15, 0x42b17218, v29
	v_cndmask_b32_e64 v7, 0x7f800000, v6, s15
	v_cmp_nlt_f32_e64 s15, 0x42b17218, v30
	v_add_f32_e32 v3, v3, v7
	v_cndmask_b32_e64 v6, 0x7f800000, v19, s15
	v_cmp_ngt_f32_e64 s15, 0xc2ce8ed0, v31
	v_cndmask_b32_e64 v19, 0, v20, s15
	v_cmp_nlt_f32_e64 s15, 0x42b17218, v31
	v_add_f32_e32 v20, v3, v6
	v_cndmask_b32_e64 v3, 0x7f800000, v19, s15
	v_add_f32_e32 v19, v20, v3
	ds_bpermute_b32 v0, v0, v19
	s_waitcnt lgkmcnt(0)
	v_add_f32_e32 v0, v19, v0
	ds_bpermute_b32 v4, v4, v0
	s_waitcnt lgkmcnt(0)
	;; [unrolled: 3-line block ×4, first 2 shown]
	v_add_f32_e32 v0, v0, v4
	ds_bpermute_b32 v4, v11, v0
	v_cmpx_lt_i32_e32 0, v5
	s_cbranch_execz .LBB425_82
; %bb.33:
	s_and_b32 exec_lo, exec_lo, vcc_lo
	s_cbranch_execz .LBB425_82
; %bb.34:
	s_waitcnt lgkmcnt(0)
	v_add_f32_e32 v4, v0, v4
	v_mov_b32_e32 v5, 0x7e00
	v_cmp_neq_f32_e64 s15, 0, v4
	s_and_saveexec_b32 s18, s15
	s_cbranch_execz .LBB425_36
; %bb.35:
	v_div_scale_f32 v0, null, v4, v4, v28
	v_rcp_f32_e32 v5, v0
	v_fma_f32 v8, -v0, v5, 1.0
	v_fmac_f32_e32 v5, v8, v5
	v_div_scale_f32 v8, vcc_lo, v28, v4, v28
	v_mul_f32_e32 v9, v8, v5
	v_fma_f32 v11, -v0, v9, v8
	v_fmac_f32_e32 v9, v11, v5
	v_fma_f32 v0, -v0, v9, v8
	v_div_fmas_f32 v0, v0, v5, v9
	v_div_fixup_f32 v0, v0, v4, v28
	v_cvt_f16_f32_e32 v5, v0
.LBB425_36:
	s_or_b32 exec_lo, exec_lo, s18
	v_add_co_u32 v0, vcc_lo, s16, v1
	v_add_co_ci_u32_e64 v1, null, s17, v2, vcc_lo
	global_store_short v[0:1], v5, off
	s_and_b32 exec_lo, exec_lo, s14
	s_cbranch_execz .LBB425_82
; %bb.37:
	v_mov_b32_e32 v2, 0x7e00
	s_and_saveexec_b32 s14, s15
	s_cbranch_execz .LBB425_39
; %bb.38:
	v_div_scale_f32 v2, null, v4, v4, v27
	v_rcp_f32_e32 v5, v2
	v_fma_f32 v8, -v2, v5, 1.0
	v_fmac_f32_e32 v5, v8, v5
	v_div_scale_f32 v8, vcc_lo, v27, v4, v27
	v_mul_f32_e32 v9, v8, v5
	v_fma_f32 v11, -v2, v9, v8
	v_fmac_f32_e32 v9, v11, v5
	v_fma_f32 v2, -v2, v9, v8
	v_div_fmas_f32 v2, v2, v5, v9
	v_div_fixup_f32 v2, v2, v4, v27
	v_cvt_f16_f32_e32 v2, v2
.LBB425_39:
	s_or_b32 exec_lo, exec_lo, s14
	global_store_short v[0:1], v2, off offset:64
	s_and_b32 exec_lo, exec_lo, s13
	s_cbranch_execz .LBB425_82
; %bb.40:
	v_mov_b32_e32 v2, 0x7e00
	s_and_saveexec_b32 s13, s15
	s_cbranch_execz .LBB425_42
; %bb.41:
	v_div_scale_f32 v2, null, v4, v4, v26
	v_rcp_f32_e32 v5, v2
	v_fma_f32 v8, -v2, v5, 1.0
	v_fmac_f32_e32 v5, v8, v5
	v_div_scale_f32 v8, vcc_lo, v26, v4, v26
	v_mul_f32_e32 v9, v8, v5
	v_fma_f32 v11, -v2, v9, v8
	v_fmac_f32_e32 v9, v11, v5
	v_fma_f32 v2, -v2, v9, v8
	v_div_fmas_f32 v2, v2, v5, v9
	v_div_fixup_f32 v2, v2, v4, v26
	v_cvt_f16_f32_e32 v2, v2
.LBB425_42:
	s_or_b32 exec_lo, exec_lo, s13
	global_store_short v[0:1], v2, off offset:128
	;; [unrolled: 22-line block ×15, first 2 shown]
.LBB425_82:
	s_endpgm
	.section	.rodata,"a",@progbits
	.p2align	6, 0x0
	.amdhsa_kernel _ZN12_GLOBAL__N_120softmax_warp_forwardIN3c104HalfES2_fLi9ELb0ELb0ELi32EEEvPT0_PKT_iiiPKbib
		.amdhsa_group_segment_fixed_size 0
		.amdhsa_private_segment_fixed_size 0
		.amdhsa_kernarg_size 304
		.amdhsa_user_sgpr_count 6
		.amdhsa_user_sgpr_private_segment_buffer 1
		.amdhsa_user_sgpr_dispatch_ptr 0
		.amdhsa_user_sgpr_queue_ptr 0
		.amdhsa_user_sgpr_kernarg_segment_ptr 1
		.amdhsa_user_sgpr_dispatch_id 0
		.amdhsa_user_sgpr_flat_scratch_init 0
		.amdhsa_user_sgpr_private_segment_size 0
		.amdhsa_wavefront_size32 1
		.amdhsa_uses_dynamic_stack 0
		.amdhsa_system_sgpr_private_segment_wavefront_offset 0
		.amdhsa_system_sgpr_workgroup_id_x 1
		.amdhsa_system_sgpr_workgroup_id_y 0
		.amdhsa_system_sgpr_workgroup_id_z 0
		.amdhsa_system_sgpr_workgroup_info 0
		.amdhsa_system_vgpr_workitem_id 1
		.amdhsa_next_free_vgpr 62
		.amdhsa_next_free_sgpr 24
		.amdhsa_reserve_vcc 1
		.amdhsa_reserve_flat_scratch 0
		.amdhsa_float_round_mode_32 0
		.amdhsa_float_round_mode_16_64 0
		.amdhsa_float_denorm_mode_32 3
		.amdhsa_float_denorm_mode_16_64 3
		.amdhsa_dx10_clamp 1
		.amdhsa_ieee_mode 1
		.amdhsa_fp16_overflow 0
		.amdhsa_workgroup_processor_mode 1
		.amdhsa_memory_ordered 1
		.amdhsa_forward_progress 1
		.amdhsa_shared_vgpr_count 0
		.amdhsa_exception_fp_ieee_invalid_op 0
		.amdhsa_exception_fp_denorm_src 0
		.amdhsa_exception_fp_ieee_div_zero 0
		.amdhsa_exception_fp_ieee_overflow 0
		.amdhsa_exception_fp_ieee_underflow 0
		.amdhsa_exception_fp_ieee_inexact 0
		.amdhsa_exception_int_div_zero 0
	.end_amdhsa_kernel
	.section	.text._ZN12_GLOBAL__N_120softmax_warp_forwardIN3c104HalfES2_fLi9ELb0ELb0ELi32EEEvPT0_PKT_iiiPKbib,"axG",@progbits,_ZN12_GLOBAL__N_120softmax_warp_forwardIN3c104HalfES2_fLi9ELb0ELb0ELi32EEEvPT0_PKT_iiiPKbib,comdat
.Lfunc_end425:
	.size	_ZN12_GLOBAL__N_120softmax_warp_forwardIN3c104HalfES2_fLi9ELb0ELb0ELi32EEEvPT0_PKT_iiiPKbib, .Lfunc_end425-_ZN12_GLOBAL__N_120softmax_warp_forwardIN3c104HalfES2_fLi9ELb0ELb0ELi32EEEvPT0_PKT_iiiPKbib
                                        ; -- End function
	.set _ZN12_GLOBAL__N_120softmax_warp_forwardIN3c104HalfES2_fLi9ELb0ELb0ELi32EEEvPT0_PKT_iiiPKbib.num_vgpr, 62
	.set _ZN12_GLOBAL__N_120softmax_warp_forwardIN3c104HalfES2_fLi9ELb0ELb0ELi32EEEvPT0_PKT_iiiPKbib.num_agpr, 0
	.set _ZN12_GLOBAL__N_120softmax_warp_forwardIN3c104HalfES2_fLi9ELb0ELb0ELi32EEEvPT0_PKT_iiiPKbib.numbered_sgpr, 24
	.set _ZN12_GLOBAL__N_120softmax_warp_forwardIN3c104HalfES2_fLi9ELb0ELb0ELi32EEEvPT0_PKT_iiiPKbib.num_named_barrier, 0
	.set _ZN12_GLOBAL__N_120softmax_warp_forwardIN3c104HalfES2_fLi9ELb0ELb0ELi32EEEvPT0_PKT_iiiPKbib.private_seg_size, 0
	.set _ZN12_GLOBAL__N_120softmax_warp_forwardIN3c104HalfES2_fLi9ELb0ELb0ELi32EEEvPT0_PKT_iiiPKbib.uses_vcc, 1
	.set _ZN12_GLOBAL__N_120softmax_warp_forwardIN3c104HalfES2_fLi9ELb0ELb0ELi32EEEvPT0_PKT_iiiPKbib.uses_flat_scratch, 0
	.set _ZN12_GLOBAL__N_120softmax_warp_forwardIN3c104HalfES2_fLi9ELb0ELb0ELi32EEEvPT0_PKT_iiiPKbib.has_dyn_sized_stack, 0
	.set _ZN12_GLOBAL__N_120softmax_warp_forwardIN3c104HalfES2_fLi9ELb0ELb0ELi32EEEvPT0_PKT_iiiPKbib.has_recursion, 0
	.set _ZN12_GLOBAL__N_120softmax_warp_forwardIN3c104HalfES2_fLi9ELb0ELb0ELi32EEEvPT0_PKT_iiiPKbib.has_indirect_call, 0
	.section	.AMDGPU.csdata,"",@progbits
; Kernel info:
; codeLenInByte = 5104
; TotalNumSgprs: 26
; NumVgprs: 62
; ScratchSize: 0
; MemoryBound: 0
; FloatMode: 240
; IeeeMode: 1
; LDSByteSize: 0 bytes/workgroup (compile time only)
; SGPRBlocks: 0
; VGPRBlocks: 7
; NumSGPRsForWavesPerEU: 26
; NumVGPRsForWavesPerEU: 62
; Occupancy: 16
; WaveLimiterHint : 0
; COMPUTE_PGM_RSRC2:SCRATCH_EN: 0
; COMPUTE_PGM_RSRC2:USER_SGPR: 6
; COMPUTE_PGM_RSRC2:TRAP_HANDLER: 0
; COMPUTE_PGM_RSRC2:TGID_X_EN: 1
; COMPUTE_PGM_RSRC2:TGID_Y_EN: 0
; COMPUTE_PGM_RSRC2:TGID_Z_EN: 0
; COMPUTE_PGM_RSRC2:TIDIG_COMP_CNT: 1
	.section	.text._ZN12_GLOBAL__N_120softmax_warp_forwardIN3c104HalfES2_fLi10ELb0ELb0ELi64EEEvPT0_PKT_iiiPKbib,"axG",@progbits,_ZN12_GLOBAL__N_120softmax_warp_forwardIN3c104HalfES2_fLi10ELb0ELb0ELi64EEEvPT0_PKT_iiiPKbib,comdat
	.globl	_ZN12_GLOBAL__N_120softmax_warp_forwardIN3c104HalfES2_fLi10ELb0ELb0ELi64EEEvPT0_PKT_iiiPKbib ; -- Begin function _ZN12_GLOBAL__N_120softmax_warp_forwardIN3c104HalfES2_fLi10ELb0ELb0ELi64EEEvPT0_PKT_iiiPKbib
	.p2align	8
	.type	_ZN12_GLOBAL__N_120softmax_warp_forwardIN3c104HalfES2_fLi10ELb0ELb0ELi64EEEvPT0_PKT_iiiPKbib,@function
_ZN12_GLOBAL__N_120softmax_warp_forwardIN3c104HalfES2_fLi10ELb0ELb0ELi64EEEvPT0_PKT_iiiPKbib: ; @_ZN12_GLOBAL__N_120softmax_warp_forwardIN3c104HalfES2_fLi10ELb0ELb0ELi64EEEvPT0_PKT_iiiPKbib
; %bb.0:
	s_clause 0x1
	s_load_dword s0, s[4:5], 0x3c
	s_load_dwordx8 s[16:23], s[4:5], 0x0
	v_mov_b32_e32 v6, 0xff800000
	v_mov_b32_e32 v13, 0xff800000
	s_waitcnt lgkmcnt(0)
	s_lshr_b32 s0, s0, 16
	v_cmp_gt_i32_e32 vcc_lo, s22, v0
	v_mad_u64_u32 v[1:2], null, s6, s0, v[1:2]
	v_mad_u64_u32 v[2:3], null, v1, s21, v[0:1]
	v_sub_nc_u32_e32 v5, s20, v1
	v_cmp_lt_i32_e64 s15, 0, v5
	v_ashrrev_i32_e32 v3, 31, v2
	s_and_b32 s1, s15, vcc_lo
	v_lshlrev_b64 v[1:2], 1, v[2:3]
	v_add_co_u32 v3, s0, s18, v1
	v_add_co_ci_u32_e64 v4, null, s19, v2, s0
	s_and_saveexec_b32 s0, s1
	s_cbranch_execz .LBB426_2
; %bb.1:
	global_load_ushort v7, v[3:4], off
	s_waitcnt vmcnt(0)
	v_cvt_f32_f16_e32 v13, v7
.LBB426_2:
	s_or_b32 exec_lo, exec_lo, s0
	v_add_nc_u32_e32 v7, 64, v0
	v_cmp_gt_i32_e64 s14, s22, v7
	s_and_b32 s1, s15, s14
	s_and_saveexec_b32 s0, s1
	s_cbranch_execz .LBB426_4
; %bb.3:
	global_load_ushort v6, v[3:4], off offset:128
	s_waitcnt vmcnt(0)
	v_cvt_f32_f16_e32 v6, v6
.LBB426_4:
	s_or_b32 exec_lo, exec_lo, s0
	v_add_nc_u32_e32 v7, 0x80, v0
	v_mov_b32_e32 v19, 0xff800000
	v_cmp_gt_i32_e64 s13, s22, v7
	v_mov_b32_e32 v7, 0xff800000
	s_and_b32 s1, s15, s13
	s_and_saveexec_b32 s0, s1
	s_cbranch_execz .LBB426_6
; %bb.5:
	global_load_ushort v8, v[3:4], off offset:256
	s_waitcnt vmcnt(0)
	v_cvt_f32_f16_e32 v19, v8
.LBB426_6:
	s_or_b32 exec_lo, exec_lo, s0
	v_add_nc_u32_e32 v8, 0xc0, v0
	v_cmp_gt_i32_e64 s12, s22, v8
	s_and_b32 s1, s15, s12
	s_and_saveexec_b32 s0, s1
	s_cbranch_execz .LBB426_8
; %bb.7:
	global_load_ushort v7, v[3:4], off offset:384
	s_waitcnt vmcnt(0)
	v_cvt_f32_f16_e32 v7, v7
.LBB426_8:
	s_or_b32 exec_lo, exec_lo, s0
	v_add_nc_u32_e32 v8, 0x100, v0
	v_mov_b32_e32 v11, 0xff800000
	v_mov_b32_e32 v20, 0xff800000
	v_cmp_gt_i32_e64 s11, s22, v8
	s_and_b32 s1, s15, s11
	s_and_saveexec_b32 s0, s1
	s_cbranch_execz .LBB426_10
; %bb.9:
	global_load_ushort v8, v[3:4], off offset:512
	s_waitcnt vmcnt(0)
	v_cvt_f32_f16_e32 v20, v8
.LBB426_10:
	s_or_b32 exec_lo, exec_lo, s0
	v_add_nc_u32_e32 v8, 0x140, v0
	v_cmp_gt_i32_e64 s10, s22, v8
	s_and_b32 s1, s15, s10
	s_and_saveexec_b32 s0, s1
	s_cbranch_execz .LBB426_12
; %bb.11:
	global_load_ushort v8, v[3:4], off offset:640
	s_waitcnt vmcnt(0)
	v_cvt_f32_f16_e32 v11, v8
.LBB426_12:
	s_or_b32 exec_lo, exec_lo, s0
	v_add_nc_u32_e32 v8, 0x180, v0
	v_mov_b32_e32 v14, 0xff800000
	v_mov_b32_e32 v21, 0xff800000
	v_cmp_gt_i32_e64 s9, s22, v8
	;; [unrolled: 24-line block ×6, first 2 shown]
	s_and_b32 s18, s15, s1
	s_and_saveexec_b32 s0, s18
	s_cbranch_execz .LBB426_30
; %bb.29:
	global_load_ushort v8, v[3:4], off offset:1792
	s_waitcnt vmcnt(0)
	v_cvt_f32_f16_e32 v25, v8
.LBB426_30:
	s_or_b32 exec_lo, exec_lo, s0
	v_add_nc_u32_e32 v0, 0x3c0, v0
	v_cmp_gt_i32_e64 s0, s22, v0
	s_and_b32 s18, s15, s0
	s_and_saveexec_b32 s15, s18
	s_cbranch_execz .LBB426_32
; %bb.31:
	global_load_ushort v0, v[3:4], off offset:1920
	s_waitcnt vmcnt(0)
	v_cvt_f32_f16_e32 v18, v0
.LBB426_32:
	s_or_b32 exec_lo, exec_lo, s15
	v_cmp_gt_f32_e64 s15, v13, v6
	v_mbcnt_lo_u32_b32 v3, -1, 0
	s_mov_b32 s18, exec_lo
	v_cndmask_b32_e64 v0, v6, v13, s15
	v_or_b32_e32 v4, 32, v3
	v_cmp_gt_f32_e64 s15, v0, v19
	v_cndmask_b32_e64 v0, v19, v0, s15
	v_cmp_gt_f32_e64 s15, v0, v7
	v_cndmask_b32_e64 v0, v7, v0, s15
	;; [unrolled: 2-line block ×12, first 2 shown]
	v_cmp_gt_i32_e64 s15, 64, v4
	v_cndmask_b32_e64 v4, v3, v4, s15
	v_cmp_gt_f32_e64 s15, v0, v25
	v_cndmask_b32_e64 v8, v25, v0, s15
	v_lshlrev_b32_e32 v0, 2, v4
	v_xor_b32_e32 v4, 16, v3
	v_cmp_gt_f32_e64 s15, v8, v18
	v_cndmask_b32_e64 v8, v18, v8, s15
	v_cmp_gt_i32_e64 s15, 64, v4
	ds_bpermute_b32 v9, v0, v8
	v_cndmask_b32_e64 v4, v3, v4, s15
	v_lshlrev_b32_e32 v4, 2, v4
	s_waitcnt lgkmcnt(0)
	v_cmp_lt_f32_e64 s15, v8, v9
	v_cndmask_b32_e64 v9, v8, v9, s15
	v_xor_b32_e32 v8, 8, v3
	ds_bpermute_b32 v10, v4, v9
	v_cmp_gt_i32_e64 s15, 64, v8
	v_cndmask_b32_e64 v8, v3, v8, s15
	v_lshlrev_b32_e32 v8, 2, v8
	s_waitcnt lgkmcnt(0)
	v_cmp_lt_f32_e64 s15, v9, v10
	v_cndmask_b32_e64 v10, v9, v10, s15
	v_xor_b32_e32 v9, 4, v3
	ds_bpermute_b32 v12, v8, v10
	v_cmp_gt_i32_e64 s15, 64, v9
	;; [unrolled: 8-line block ×4, first 2 shown]
	v_cndmask_b32_e64 v3, v3, v12, s15
	v_lshlrev_b32_e32 v12, 2, v3
	s_waitcnt lgkmcnt(0)
	v_cmp_lt_f32_e64 s15, v26, v27
	v_cndmask_b32_e64 v3, v26, v27, s15
	ds_bpermute_b32 v26, v12, v3
	s_waitcnt lgkmcnt(0)
	v_cmp_lt_f32_e64 s15, v3, v26
	v_cndmask_b32_e64 v26, v3, v26, s15
	v_sub_f32_e32 v3, v13, v26
	v_sub_f32_e32 v6, v6, v26
	;; [unrolled: 1-line block ×8, first 2 shown]
	v_mul_f32_e32 v16, 0x3fb8aa3b, v3
	v_sub_f32_e32 v30, v17, v26
	v_mul_f32_e32 v17, 0x3fb8aa3b, v6
	v_sub_f32_e32 v32, v18, v26
	v_mul_f32_e32 v18, 0x3fb8aa3b, v13
	v_fma_f32 v41, 0x3fb8aa3b, v3, -v16
	v_rndne_f32_e32 v42, v16
	v_fma_f32 v43, 0x3fb8aa3b, v6, -v17
	v_rndne_f32_e32 v44, v17
	v_sub_f32_e32 v14, v14, v26
	v_fmac_f32_e32 v41, 0x32a5705f, v3
	v_sub_f32_e32 v16, v16, v42
	v_fma_f32 v45, 0x3fb8aa3b, v13, -v18
	v_rndne_f32_e32 v46, v18
	v_fmac_f32_e32 v43, 0x32a5705f, v6
	v_sub_f32_e32 v17, v17, v44
	v_add_f32_e32 v16, v16, v41
	v_sub_f32_e32 v7, v7, v26
	v_mul_f32_e32 v29, 0x3fb8aa3b, v14
	v_fmac_f32_e32 v45, 0x32a5705f, v13
	v_add_f32_e32 v17, v17, v43
	v_sub_f32_e32 v18, v18, v46
	v_exp_f32_e32 v16, v16
	v_sub_f32_e32 v31, v25, v26
	v_mul_f32_e32 v25, 0x3fb8aa3b, v7
	v_mul_f32_e32 v28, 0x3fb8aa3b, v20
	v_fma_f32 v55, 0x3fb8aa3b, v14, -v29
	v_rndne_f32_e32 v56, v29
	v_add_f32_e32 v18, v18, v45
	v_cvt_i32_f32_e32 v42, v42
	v_exp_f32_e32 v17, v17
	v_sub_f32_e32 v11, v11, v26
	v_fma_f32 v47, 0x3fb8aa3b, v7, -v25
	v_rndne_f32_e32 v48, v25
	v_fma_f32 v53, 0x3fb8aa3b, v20, -v28
	v_rndne_f32_e32 v54, v28
	v_fmac_f32_e32 v55, 0x32a5705f, v14
	v_sub_f32_e32 v29, v29, v56
	v_cvt_i32_f32_e32 v44, v44
	v_exp_f32_e32 v18, v18
	v_ldexp_f32 v16, v16, v42
	v_cmp_ngt_f32_e64 s15, 0xc2ce8ed0, v3
	v_sub_f32_e32 v15, v15, v26
	v_sub_f32_e32 v24, v24, v26
	v_mul_f32_e32 v26, 0x3fb8aa3b, v19
	v_mul_f32_e32 v27, 0x3fb8aa3b, v11
	v_fmac_f32_e32 v47, 0x32a5705f, v7
	v_sub_f32_e32 v25, v25, v48
	v_fmac_f32_e32 v53, 0x32a5705f, v20
	v_sub_f32_e32 v28, v28, v54
	v_add_f32_e32 v29, v29, v55
	v_cvt_i32_f32_e32 v46, v46
	v_ldexp_f32 v17, v17, v44
	v_cndmask_b32_e64 v16, 0, v16, s15
	v_cmp_ngt_f32_e64 s15, 0xc2ce8ed0, v6
	v_mul_f32_e32 v36, 0x3fb8aa3b, v23
	v_fma_f32 v49, 0x3fb8aa3b, v19, -v26
	v_rndne_f32_e32 v50, v26
	v_fma_f32 v51, 0x3fb8aa3b, v11, -v27
	v_rndne_f32_e32 v52, v27
	v_add_f32_e32 v25, v25, v47
	v_add_f32_e32 v28, v28, v53
	v_exp_f32_e32 v29, v29
	v_ldexp_f32 v18, v18, v46
	v_cndmask_b32_e64 v17, 0, v17, s15
	v_cmp_ngt_f32_e64 s15, 0xc2ce8ed0, v13
	v_fma_f32 v43, 0x3fb8aa3b, v23, -v36
	v_fmac_f32_e32 v49, 0x32a5705f, v19
	v_sub_f32_e32 v26, v26, v50
	v_rndne_f32_e32 v45, v36
	v_fmac_f32_e32 v51, 0x32a5705f, v11
	v_sub_f32_e32 v27, v27, v52
	v_cvt_i32_f32_e32 v56, v56
	v_exp_f32_e32 v25, v25
	v_exp_f32_e32 v28, v28
	v_cndmask_b32_e64 v18, 0, v18, s15
	v_cmp_nlt_f32_e64 s15, 0x42b17218, v3
	v_add_f32_e32 v26, v26, v49
	v_add_f32_e32 v27, v27, v51
	v_cvt_i32_f32_e32 v48, v48
	v_cvt_i32_f32_e32 v54, v54
	v_fmac_f32_e32 v43, 0x32a5705f, v23
	v_sub_f32_e32 v36, v36, v45
	v_ldexp_f32 v44, v29, v56
	v_cndmask_b32_e64 v29, 0x7f800000, v16, s15
	v_cmp_nlt_f32_e64 s15, 0x42b17218, v6
	v_exp_f32_e32 v26, v26
	v_add_f32_e32 v36, v36, v43
	v_exp_f32_e32 v27, v27
	v_ldexp_f32 v25, v25, v48
	v_ldexp_f32 v43, v28, v54
	v_cndmask_b32_e64 v28, 0x7f800000, v17, s15
	v_cmp_ngt_f32_e64 s15, 0xc2ce8ed0, v7
	v_cvt_i32_f32_e32 v50, v50
	v_cvt_i32_f32_e32 v52, v52
	v_mul_f32_e32 v33, 0x3fb8aa3b, v21
	v_add_f32_e32 v6, v29, v28
	v_cndmask_b32_e64 v3, 0, v25, s15
	v_cmp_nlt_f32_e64 s15, 0x42b17218, v13
	v_ldexp_f32 v26, v26, v50
	v_ldexp_f32 v42, v27, v52
	v_fma_f32 v57, 0x3fb8aa3b, v21, -v33
	v_rndne_f32_e32 v58, v33
	v_cndmask_b32_e64 v27, 0x7f800000, v18, s15
	v_cmp_ngt_f32_e64 s15, 0xc2ce8ed0, v19
	v_mul_f32_e32 v34, 0x3fb8aa3b, v15
	v_fmac_f32_e32 v57, 0x32a5705f, v21
	v_sub_f32_e32 v33, v33, v58
	v_mul_f32_e32 v35, 0x3fb8aa3b, v22
	v_cndmask_b32_e64 v13, 0, v26, s15
	v_cmp_nlt_f32_e64 s15, 0x42b17218, v7
	v_fma_f32 v59, 0x3fb8aa3b, v15, -v34
	v_rndne_f32_e32 v60, v34
	v_add_f32_e32 v33, v33, v57
	v_fma_f32 v61, 0x3fb8aa3b, v22, -v35
	v_cndmask_b32_e64 v26, 0x7f800000, v3, s15
	v_cmp_ngt_f32_e64 s15, 0xc2ce8ed0, v11
	v_add_f32_e32 v3, v6, v27
	v_fmac_f32_e32 v59, 0x32a5705f, v15
	v_sub_f32_e32 v34, v34, v60
	v_exp_f32_e32 v33, v33
	v_cndmask_b32_e64 v6, 0, v42, s15
	v_cmp_nlt_f32_e64 s15, 0x42b17218, v19
	v_rndne_f32_e32 v41, v35
	v_add_f32_e32 v34, v34, v59
	v_cvt_i32_f32_e32 v58, v58
	v_fmac_f32_e32 v61, 0x32a5705f, v22
	v_cndmask_b32_e64 v25, 0x7f800000, v13, s15
	v_cmp_ngt_f32_e64 s15, 0xc2ce8ed0, v20
	v_sub_f32_e32 v35, v35, v41
	v_exp_f32_e32 v34, v34
	v_ldexp_f32 v33, v33, v58
	v_cvt_i32_f32_e32 v60, v60
	v_cndmask_b32_e64 v7, 0, v43, s15
	v_cmp_nlt_f32_e64 s15, 0x42b17218, v11
	v_add_f32_e32 v35, v35, v61
	v_mul_f32_e32 v37, 0x3fb8aa3b, v24
	v_cvt_i32_f32_e32 v41, v41
	v_mul_f32_e32 v38, 0x3fb8aa3b, v30
	v_cndmask_b32_e64 v19, 0x7f800000, v6, s15
	v_cmp_ngt_f32_e64 s15, 0xc2ce8ed0, v14
	v_exp_f32_e32 v35, v35
	v_ldexp_f32 v34, v34, v60
	v_fma_f32 v47, 0x3fb8aa3b, v24, -v37
	v_rndne_f32_e32 v49, v37
	v_cndmask_b32_e64 v6, 0, v44, s15
	v_cmp_nlt_f32_e64 s15, 0x42b17218, v20
	v_exp_f32_e32 v36, v36
	v_fmac_f32_e32 v47, 0x32a5705f, v24
	v_sub_f32_e32 v37, v37, v49
	v_fma_f32 v51, 0x3fb8aa3b, v30, -v38
	v_cndmask_b32_e64 v18, 0x7f800000, v7, s15
	v_cmp_ngt_f32_e64 s15, 0xc2ce8ed0, v21
	v_ldexp_f32 v35, v35, v41
	v_rndne_f32_e32 v53, v38
	v_cvt_i32_f32_e32 v45, v45
	v_add_f32_e32 v37, v37, v47
	v_cndmask_b32_e64 v7, 0, v33, s15
	v_cmp_nlt_f32_e64 s15, 0x42b17218, v14
	v_mul_f32_e32 v39, 0x3fb8aa3b, v31
	v_fmac_f32_e32 v51, 0x32a5705f, v30
	v_sub_f32_e32 v38, v38, v53
	v_exp_f32_e32 v37, v37
	v_cndmask_b32_e64 v17, 0x7f800000, v6, s15
	v_cmp_ngt_f32_e64 s15, 0xc2ce8ed0, v15
	v_ldexp_f32 v36, v36, v45
	v_add_f32_e32 v3, v3, v26
	v_fma_f32 v55, 0x3fb8aa3b, v31, -v39
	v_rndne_f32_e32 v57, v39
	v_cndmask_b32_e64 v6, 0, v34, s15
	v_cmp_nlt_f32_e64 s15, 0x42b17218, v21
	v_cvt_i32_f32_e32 v49, v49
	v_add_f32_e32 v38, v38, v51
	v_add_f32_e32 v3, v3, v25
	v_fmac_f32_e32 v55, 0x32a5705f, v31
	v_cndmask_b32_e64 v16, 0x7f800000, v7, s15
	v_cmp_ngt_f32_e64 s15, 0xc2ce8ed0, v22
	v_sub_f32_e32 v39, v39, v57
	v_exp_f32_e32 v38, v38
	v_ldexp_f32 v37, v37, v49
	v_add_f32_e32 v3, v3, v19
	v_cndmask_b32_e64 v7, 0, v35, s15
	v_cmp_nlt_f32_e64 s15, 0x42b17218, v15
	v_mul_f32_e32 v40, 0x3fb8aa3b, v32
	v_cvt_i32_f32_e32 v53, v53
	v_add_f32_e32 v39, v39, v55
	v_add_f32_e32 v3, v3, v18
	v_cndmask_b32_e64 v15, 0x7f800000, v6, s15
	v_cmp_ngt_f32_e64 s15, 0xc2ce8ed0, v23
	v_fma_f32 v59, 0x3fb8aa3b, v32, -v40
	v_rndne_f32_e32 v61, v40
	v_exp_f32_e32 v39, v39
	v_ldexp_f32 v38, v38, v53
	v_cndmask_b32_e64 v6, 0, v36, s15
	v_cmp_nlt_f32_e64 s15, 0x42b17218, v22
	v_add_f32_e32 v3, v3, v17
	v_cvt_i32_f32_e32 v57, v57
	v_fmac_f32_e32 v59, 0x32a5705f, v32
	v_sub_f32_e32 v40, v40, v61
	v_cndmask_b32_e64 v14, 0x7f800000, v7, s15
	v_cmp_ngt_f32_e64 s15, 0xc2ce8ed0, v24
	v_add_f32_e32 v3, v3, v16
	v_ldexp_f32 v39, v39, v57
	v_add_f32_e32 v40, v40, v59
	v_cvt_i32_f32_e32 v61, v61
	v_cndmask_b32_e64 v7, 0, v37, s15
	v_cmp_nlt_f32_e64 s15, 0x42b17218, v23
	v_add_f32_e32 v3, v3, v15
	v_exp_f32_e32 v40, v40
	v_cndmask_b32_e64 v13, 0x7f800000, v6, s15
	v_cmp_ngt_f32_e64 s15, 0xc2ce8ed0, v30
	v_add_f32_e32 v3, v3, v14
	v_cndmask_b32_e64 v6, 0, v38, s15
	v_cmp_nlt_f32_e64 s15, 0x42b17218, v24
	v_add_f32_e32 v3, v3, v13
	v_ldexp_f32 v21, v40, v61
	v_cndmask_b32_e64 v11, 0x7f800000, v7, s15
	v_cmp_ngt_f32_e64 s15, 0xc2ce8ed0, v31
	v_add_f32_e32 v3, v3, v11
	v_cndmask_b32_e64 v20, 0, v39, s15
	v_cmp_nlt_f32_e64 s15, 0x42b17218, v30
	v_cndmask_b32_e64 v7, 0x7f800000, v6, s15
	v_cmp_nlt_f32_e64 s15, 0x42b17218, v31
	v_add_f32_e32 v3, v3, v7
	v_cndmask_b32_e64 v6, 0x7f800000, v20, s15
	v_cmp_ngt_f32_e64 s15, 0xc2ce8ed0, v32
	v_cndmask_b32_e64 v20, 0, v21, s15
	v_cmp_nlt_f32_e64 s15, 0x42b17218, v32
	v_add_f32_e32 v21, v3, v6
	v_cndmask_b32_e64 v3, 0x7f800000, v20, s15
	v_add_f32_e32 v20, v21, v3
	ds_bpermute_b32 v0, v0, v20
	s_waitcnt lgkmcnt(0)
	v_add_f32_e32 v0, v20, v0
	ds_bpermute_b32 v4, v4, v0
	s_waitcnt lgkmcnt(0)
	;; [unrolled: 3-line block ×5, first 2 shown]
	v_add_f32_e32 v0, v0, v4
	ds_bpermute_b32 v4, v12, v0
	v_cmpx_lt_i32_e32 0, v5
	s_cbranch_execz .LBB426_82
; %bb.33:
	s_and_b32 exec_lo, exec_lo, vcc_lo
	s_cbranch_execz .LBB426_82
; %bb.34:
	s_waitcnt lgkmcnt(0)
	v_add_f32_e32 v4, v0, v4
	v_mov_b32_e32 v5, 0x7e00
	v_cmp_neq_f32_e64 s15, 0, v4
	s_and_saveexec_b32 s18, s15
	s_cbranch_execz .LBB426_36
; %bb.35:
	v_div_scale_f32 v0, null, v4, v4, v29
	v_rcp_f32_e32 v5, v0
	v_fma_f32 v8, -v0, v5, 1.0
	v_fmac_f32_e32 v5, v8, v5
	v_div_scale_f32 v8, vcc_lo, v29, v4, v29
	v_mul_f32_e32 v9, v8, v5
	v_fma_f32 v10, -v0, v9, v8
	v_fmac_f32_e32 v9, v10, v5
	v_fma_f32 v0, -v0, v9, v8
	v_div_fmas_f32 v0, v0, v5, v9
	v_div_fixup_f32 v0, v0, v4, v29
	v_cvt_f16_f32_e32 v5, v0
.LBB426_36:
	s_or_b32 exec_lo, exec_lo, s18
	v_add_co_u32 v0, vcc_lo, s16, v1
	v_add_co_ci_u32_e64 v1, null, s17, v2, vcc_lo
	global_store_short v[0:1], v5, off
	s_and_b32 exec_lo, exec_lo, s14
	s_cbranch_execz .LBB426_82
; %bb.37:
	v_mov_b32_e32 v2, 0x7e00
	s_and_saveexec_b32 s14, s15
	s_cbranch_execz .LBB426_39
; %bb.38:
	v_div_scale_f32 v2, null, v4, v4, v28
	v_rcp_f32_e32 v5, v2
	v_fma_f32 v8, -v2, v5, 1.0
	v_fmac_f32_e32 v5, v8, v5
	v_div_scale_f32 v8, vcc_lo, v28, v4, v28
	v_mul_f32_e32 v9, v8, v5
	v_fma_f32 v10, -v2, v9, v8
	v_fmac_f32_e32 v9, v10, v5
	v_fma_f32 v2, -v2, v9, v8
	v_div_fmas_f32 v2, v2, v5, v9
	v_div_fixup_f32 v2, v2, v4, v28
	v_cvt_f16_f32_e32 v2, v2
.LBB426_39:
	s_or_b32 exec_lo, exec_lo, s14
	global_store_short v[0:1], v2, off offset:128
	s_and_b32 exec_lo, exec_lo, s13
	s_cbranch_execz .LBB426_82
; %bb.40:
	v_mov_b32_e32 v2, 0x7e00
	s_and_saveexec_b32 s13, s15
	s_cbranch_execz .LBB426_42
; %bb.41:
	v_div_scale_f32 v2, null, v4, v4, v27
	v_rcp_f32_e32 v5, v2
	v_fma_f32 v8, -v2, v5, 1.0
	v_fmac_f32_e32 v5, v8, v5
	v_div_scale_f32 v8, vcc_lo, v27, v4, v27
	v_mul_f32_e32 v9, v8, v5
	v_fma_f32 v10, -v2, v9, v8
	v_fmac_f32_e32 v9, v10, v5
	v_fma_f32 v2, -v2, v9, v8
	v_div_fmas_f32 v2, v2, v5, v9
	v_div_fixup_f32 v2, v2, v4, v27
	v_cvt_f16_f32_e32 v2, v2
.LBB426_42:
	s_or_b32 exec_lo, exec_lo, s13
	global_store_short v[0:1], v2, off offset:256
	s_and_b32 exec_lo, exec_lo, s12
	s_cbranch_execz .LBB426_82
; %bb.43:
	v_mov_b32_e32 v2, 0x7e00
	s_and_saveexec_b32 s12, s15
	s_cbranch_execz .LBB426_45
; %bb.44:
	v_div_scale_f32 v2, null, v4, v4, v26
	v_rcp_f32_e32 v5, v2
	v_fma_f32 v8, -v2, v5, 1.0
	v_fmac_f32_e32 v5, v8, v5
	v_div_scale_f32 v8, vcc_lo, v26, v4, v26
	v_mul_f32_e32 v9, v8, v5
	v_fma_f32 v10, -v2, v9, v8
	v_fmac_f32_e32 v9, v10, v5
	v_fma_f32 v2, -v2, v9, v8
	v_div_fmas_f32 v2, v2, v5, v9
	v_div_fixup_f32 v2, v2, v4, v26
	v_cvt_f16_f32_e32 v2, v2
.LBB426_45:
	s_or_b32 exec_lo, exec_lo, s12
	global_store_short v[0:1], v2, off offset:384
	s_and_b32 exec_lo, exec_lo, s11
	s_cbranch_execz .LBB426_82
; %bb.46:
	v_mov_b32_e32 v2, 0x7e00
	s_and_saveexec_b32 s11, s15
	s_cbranch_execz .LBB426_48
; %bb.47:
	v_div_scale_f32 v2, null, v4, v4, v25
	v_rcp_f32_e32 v5, v2
	v_fma_f32 v8, -v2, v5, 1.0
	v_fmac_f32_e32 v5, v8, v5
	v_div_scale_f32 v8, vcc_lo, v25, v4, v25
	v_mul_f32_e32 v9, v8, v5
	v_fma_f32 v10, -v2, v9, v8
	v_fmac_f32_e32 v9, v10, v5
	v_fma_f32 v2, -v2, v9, v8
	v_div_fmas_f32 v2, v2, v5, v9
	v_div_fixup_f32 v2, v2, v4, v25
	v_cvt_f16_f32_e32 v2, v2
.LBB426_48:
	s_or_b32 exec_lo, exec_lo, s11
	global_store_short v[0:1], v2, off offset:512
	s_and_b32 exec_lo, exec_lo, s10
	s_cbranch_execz .LBB426_82
; %bb.49:
	v_mov_b32_e32 v2, 0x7e00
	s_and_saveexec_b32 s10, s15
	s_cbranch_execz .LBB426_51
; %bb.50:
	v_div_scale_f32 v2, null, v4, v4, v19
	v_rcp_f32_e32 v5, v2
	v_fma_f32 v8, -v2, v5, 1.0
	v_fmac_f32_e32 v5, v8, v5
	v_div_scale_f32 v8, vcc_lo, v19, v4, v19
	v_mul_f32_e32 v9, v8, v5
	v_fma_f32 v10, -v2, v9, v8
	v_fmac_f32_e32 v9, v10, v5
	v_fma_f32 v2, -v2, v9, v8
	v_div_fmas_f32 v2, v2, v5, v9
	v_div_fixup_f32 v2, v2, v4, v19
	v_cvt_f16_f32_e32 v2, v2
.LBB426_51:
	s_or_b32 exec_lo, exec_lo, s10
	global_store_short v[0:1], v2, off offset:640
	s_and_b32 exec_lo, exec_lo, s9
	s_cbranch_execz .LBB426_82
; %bb.52:
	v_mov_b32_e32 v2, 0x7e00
	s_and_saveexec_b32 s9, s15
	s_cbranch_execz .LBB426_54
; %bb.53:
	v_div_scale_f32 v2, null, v4, v4, v18
	v_rcp_f32_e32 v5, v2
	v_fma_f32 v8, -v2, v5, 1.0
	v_fmac_f32_e32 v5, v8, v5
	v_div_scale_f32 v8, vcc_lo, v18, v4, v18
	v_mul_f32_e32 v9, v8, v5
	v_fma_f32 v10, -v2, v9, v8
	v_fmac_f32_e32 v9, v10, v5
	v_fma_f32 v2, -v2, v9, v8
	v_div_fmas_f32 v2, v2, v5, v9
	v_div_fixup_f32 v2, v2, v4, v18
	v_cvt_f16_f32_e32 v2, v2
.LBB426_54:
	s_or_b32 exec_lo, exec_lo, s9
	global_store_short v[0:1], v2, off offset:768
	s_and_b32 exec_lo, exec_lo, s8
	s_cbranch_execz .LBB426_82
; %bb.55:
	v_mov_b32_e32 v2, 0x7e00
	s_and_saveexec_b32 s8, s15
	s_cbranch_execz .LBB426_57
; %bb.56:
	v_div_scale_f32 v2, null, v4, v4, v17
	v_rcp_f32_e32 v5, v2
	v_fma_f32 v8, -v2, v5, 1.0
	v_fmac_f32_e32 v5, v8, v5
	v_div_scale_f32 v8, vcc_lo, v17, v4, v17
	v_mul_f32_e32 v9, v8, v5
	v_fma_f32 v10, -v2, v9, v8
	v_fmac_f32_e32 v9, v10, v5
	v_fma_f32 v2, -v2, v9, v8
	v_div_fmas_f32 v2, v2, v5, v9
	v_div_fixup_f32 v2, v2, v4, v17
	v_cvt_f16_f32_e32 v2, v2
.LBB426_57:
	s_or_b32 exec_lo, exec_lo, s8
	global_store_short v[0:1], v2, off offset:896
	s_and_b32 exec_lo, exec_lo, s7
	s_cbranch_execz .LBB426_82
; %bb.58:
	v_mov_b32_e32 v2, 0x7e00
	s_and_saveexec_b32 s7, s15
	s_cbranch_execz .LBB426_60
; %bb.59:
	v_div_scale_f32 v2, null, v4, v4, v16
	v_rcp_f32_e32 v5, v2
	v_fma_f32 v8, -v2, v5, 1.0
	v_fmac_f32_e32 v5, v8, v5
	v_div_scale_f32 v8, vcc_lo, v16, v4, v16
	v_mul_f32_e32 v9, v8, v5
	v_fma_f32 v10, -v2, v9, v8
	v_fmac_f32_e32 v9, v10, v5
	v_fma_f32 v2, -v2, v9, v8
	v_div_fmas_f32 v2, v2, v5, v9
	v_div_fixup_f32 v2, v2, v4, v16
	v_cvt_f16_f32_e32 v2, v2
.LBB426_60:
	s_or_b32 exec_lo, exec_lo, s7
	global_store_short v[0:1], v2, off offset:1024
	s_and_b32 exec_lo, exec_lo, s6
	s_cbranch_execz .LBB426_82
; %bb.61:
	v_mov_b32_e32 v2, 0x7e00
	s_and_saveexec_b32 s6, s15
	s_cbranch_execz .LBB426_63
; %bb.62:
	v_div_scale_f32 v2, null, v4, v4, v15
	v_rcp_f32_e32 v5, v2
	v_fma_f32 v8, -v2, v5, 1.0
	v_fmac_f32_e32 v5, v8, v5
	v_div_scale_f32 v8, vcc_lo, v15, v4, v15
	v_mul_f32_e32 v9, v8, v5
	v_fma_f32 v10, -v2, v9, v8
	v_fmac_f32_e32 v9, v10, v5
	v_fma_f32 v2, -v2, v9, v8
	v_div_fmas_f32 v2, v2, v5, v9
	v_div_fixup_f32 v2, v2, v4, v15
	v_cvt_f16_f32_e32 v2, v2
.LBB426_63:
	s_or_b32 exec_lo, exec_lo, s6
	global_store_short v[0:1], v2, off offset:1152
	s_and_b32 exec_lo, exec_lo, s5
	s_cbranch_execz .LBB426_82
; %bb.64:
	v_mov_b32_e32 v2, 0x7e00
	s_and_saveexec_b32 s5, s15
	s_cbranch_execz .LBB426_66
; %bb.65:
	v_div_scale_f32 v2, null, v4, v4, v14
	v_rcp_f32_e32 v5, v2
	v_fma_f32 v8, -v2, v5, 1.0
	v_fmac_f32_e32 v5, v8, v5
	v_div_scale_f32 v8, vcc_lo, v14, v4, v14
	v_mul_f32_e32 v9, v8, v5
	v_fma_f32 v10, -v2, v9, v8
	v_fmac_f32_e32 v9, v10, v5
	v_fma_f32 v2, -v2, v9, v8
	v_div_fmas_f32 v2, v2, v5, v9
	v_div_fixup_f32 v2, v2, v4, v14
	v_cvt_f16_f32_e32 v2, v2
.LBB426_66:
	s_or_b32 exec_lo, exec_lo, s5
	global_store_short v[0:1], v2, off offset:1280
	s_and_b32 exec_lo, exec_lo, s4
	s_cbranch_execz .LBB426_82
; %bb.67:
	v_mov_b32_e32 v2, 0x7e00
	s_and_saveexec_b32 s4, s15
	s_cbranch_execz .LBB426_69
; %bb.68:
	v_div_scale_f32 v2, null, v4, v4, v13
	v_rcp_f32_e32 v5, v2
	v_fma_f32 v8, -v2, v5, 1.0
	v_fmac_f32_e32 v5, v8, v5
	v_div_scale_f32 v8, vcc_lo, v13, v4, v13
	v_mul_f32_e32 v9, v8, v5
	v_fma_f32 v10, -v2, v9, v8
	v_fmac_f32_e32 v9, v10, v5
	v_fma_f32 v2, -v2, v9, v8
	v_div_fmas_f32 v2, v2, v5, v9
	v_div_fixup_f32 v2, v2, v4, v13
	v_cvt_f16_f32_e32 v2, v2
.LBB426_69:
	s_or_b32 exec_lo, exec_lo, s4
	global_store_short v[0:1], v2, off offset:1408
	s_and_b32 exec_lo, exec_lo, s3
	s_cbranch_execz .LBB426_82
; %bb.70:
	v_mov_b32_e32 v2, 0x7e00
	s_and_saveexec_b32 s3, s15
	s_cbranch_execz .LBB426_72
; %bb.71:
	v_div_scale_f32 v2, null, v4, v4, v11
	v_rcp_f32_e32 v5, v2
	v_fma_f32 v8, -v2, v5, 1.0
	v_fmac_f32_e32 v5, v8, v5
	v_div_scale_f32 v8, vcc_lo, v11, v4, v11
	v_mul_f32_e32 v9, v8, v5
	v_fma_f32 v10, -v2, v9, v8
	v_fmac_f32_e32 v9, v10, v5
	v_fma_f32 v2, -v2, v9, v8
	v_div_fmas_f32 v2, v2, v5, v9
	v_div_fixup_f32 v2, v2, v4, v11
	v_cvt_f16_f32_e32 v2, v2
.LBB426_72:
	s_or_b32 exec_lo, exec_lo, s3
	global_store_short v[0:1], v2, off offset:1536
	s_and_b32 exec_lo, exec_lo, s2
	s_cbranch_execz .LBB426_82
; %bb.73:
	v_mov_b32_e32 v2, 0x7e00
	s_and_saveexec_b32 s2, s15
	s_cbranch_execz .LBB426_75
; %bb.74:
	v_div_scale_f32 v2, null, v4, v4, v7
	v_rcp_f32_e32 v5, v2
	v_fma_f32 v8, -v2, v5, 1.0
	v_fmac_f32_e32 v5, v8, v5
	v_div_scale_f32 v8, vcc_lo, v7, v4, v7
	v_mul_f32_e32 v9, v8, v5
	v_fma_f32 v10, -v2, v9, v8
	v_fmac_f32_e32 v9, v10, v5
	v_fma_f32 v2, -v2, v9, v8
	v_div_fmas_f32 v2, v2, v5, v9
	v_div_fixup_f32 v2, v2, v4, v7
	v_cvt_f16_f32_e32 v2, v2
.LBB426_75:
	s_or_b32 exec_lo, exec_lo, s2
	global_store_short v[0:1], v2, off offset:1664
	s_and_b32 exec_lo, exec_lo, s1
	s_cbranch_execz .LBB426_82
; %bb.76:
	v_mov_b32_e32 v2, 0x7e00
	s_and_saveexec_b32 s1, s15
	s_cbranch_execz .LBB426_78
; %bb.77:
	v_div_scale_f32 v2, null, v4, v4, v6
	v_rcp_f32_e32 v5, v2
	v_fma_f32 v7, -v2, v5, 1.0
	v_fmac_f32_e32 v5, v7, v5
	v_div_scale_f32 v7, vcc_lo, v6, v4, v6
	v_mul_f32_e32 v8, v7, v5
	v_fma_f32 v9, -v2, v8, v7
	v_fmac_f32_e32 v8, v9, v5
	v_fma_f32 v2, -v2, v8, v7
	v_div_fmas_f32 v2, v2, v5, v8
	v_div_fixup_f32 v2, v2, v4, v6
	v_cvt_f16_f32_e32 v2, v2
.LBB426_78:
	s_or_b32 exec_lo, exec_lo, s1
	global_store_short v[0:1], v2, off offset:1792
	s_and_b32 exec_lo, exec_lo, s0
	s_cbranch_execz .LBB426_82
; %bb.79:
	v_mov_b32_e32 v2, 0x7e00
	s_and_saveexec_b32 s0, s15
	s_cbranch_execz .LBB426_81
; %bb.80:
	v_div_scale_f32 v2, null, v4, v4, v3
	v_rcp_f32_e32 v5, v2
	v_fma_f32 v6, -v2, v5, 1.0
	v_fmac_f32_e32 v5, v6, v5
	v_div_scale_f32 v6, vcc_lo, v3, v4, v3
	v_mul_f32_e32 v7, v6, v5
	v_fma_f32 v8, -v2, v7, v6
	v_fmac_f32_e32 v7, v8, v5
	v_fma_f32 v2, -v2, v7, v6
	v_div_fmas_f32 v2, v2, v5, v7
	v_div_fixup_f32 v2, v2, v4, v3
	v_cvt_f16_f32_e32 v2, v2
.LBB426_81:
	s_or_b32 exec_lo, exec_lo, s0
	global_store_short v[0:1], v2, off offset:1920
.LBB426_82:
	s_endpgm
	.section	.rodata,"a",@progbits
	.p2align	6, 0x0
	.amdhsa_kernel _ZN12_GLOBAL__N_120softmax_warp_forwardIN3c104HalfES2_fLi10ELb0ELb0ELi64EEEvPT0_PKT_iiiPKbib
		.amdhsa_group_segment_fixed_size 0
		.amdhsa_private_segment_fixed_size 0
		.amdhsa_kernarg_size 304
		.amdhsa_user_sgpr_count 6
		.amdhsa_user_sgpr_private_segment_buffer 1
		.amdhsa_user_sgpr_dispatch_ptr 0
		.amdhsa_user_sgpr_queue_ptr 0
		.amdhsa_user_sgpr_kernarg_segment_ptr 1
		.amdhsa_user_sgpr_dispatch_id 0
		.amdhsa_user_sgpr_flat_scratch_init 0
		.amdhsa_user_sgpr_private_segment_size 0
		.amdhsa_wavefront_size32 1
		.amdhsa_uses_dynamic_stack 0
		.amdhsa_system_sgpr_private_segment_wavefront_offset 0
		.amdhsa_system_sgpr_workgroup_id_x 1
		.amdhsa_system_sgpr_workgroup_id_y 0
		.amdhsa_system_sgpr_workgroup_id_z 0
		.amdhsa_system_sgpr_workgroup_info 0
		.amdhsa_system_vgpr_workitem_id 1
		.amdhsa_next_free_vgpr 62
		.amdhsa_next_free_sgpr 24
		.amdhsa_reserve_vcc 1
		.amdhsa_reserve_flat_scratch 0
		.amdhsa_float_round_mode_32 0
		.amdhsa_float_round_mode_16_64 0
		.amdhsa_float_denorm_mode_32 3
		.amdhsa_float_denorm_mode_16_64 3
		.amdhsa_dx10_clamp 1
		.amdhsa_ieee_mode 1
		.amdhsa_fp16_overflow 0
		.amdhsa_workgroup_processor_mode 1
		.amdhsa_memory_ordered 1
		.amdhsa_forward_progress 1
		.amdhsa_shared_vgpr_count 0
		.amdhsa_exception_fp_ieee_invalid_op 0
		.amdhsa_exception_fp_denorm_src 0
		.amdhsa_exception_fp_ieee_div_zero 0
		.amdhsa_exception_fp_ieee_overflow 0
		.amdhsa_exception_fp_ieee_underflow 0
		.amdhsa_exception_fp_ieee_inexact 0
		.amdhsa_exception_int_div_zero 0
	.end_amdhsa_kernel
	.section	.text._ZN12_GLOBAL__N_120softmax_warp_forwardIN3c104HalfES2_fLi10ELb0ELb0ELi64EEEvPT0_PKT_iiiPKbib,"axG",@progbits,_ZN12_GLOBAL__N_120softmax_warp_forwardIN3c104HalfES2_fLi10ELb0ELb0ELi64EEEvPT0_PKT_iiiPKbib,comdat
.Lfunc_end426:
	.size	_ZN12_GLOBAL__N_120softmax_warp_forwardIN3c104HalfES2_fLi10ELb0ELb0ELi64EEEvPT0_PKT_iiiPKbib, .Lfunc_end426-_ZN12_GLOBAL__N_120softmax_warp_forwardIN3c104HalfES2_fLi10ELb0ELb0ELi64EEEvPT0_PKT_iiiPKbib
                                        ; -- End function
	.set _ZN12_GLOBAL__N_120softmax_warp_forwardIN3c104HalfES2_fLi10ELb0ELb0ELi64EEEvPT0_PKT_iiiPKbib.num_vgpr, 62
	.set _ZN12_GLOBAL__N_120softmax_warp_forwardIN3c104HalfES2_fLi10ELb0ELb0ELi64EEEvPT0_PKT_iiiPKbib.num_agpr, 0
	.set _ZN12_GLOBAL__N_120softmax_warp_forwardIN3c104HalfES2_fLi10ELb0ELb0ELi64EEEvPT0_PKT_iiiPKbib.numbered_sgpr, 24
	.set _ZN12_GLOBAL__N_120softmax_warp_forwardIN3c104HalfES2_fLi10ELb0ELb0ELi64EEEvPT0_PKT_iiiPKbib.num_named_barrier, 0
	.set _ZN12_GLOBAL__N_120softmax_warp_forwardIN3c104HalfES2_fLi10ELb0ELb0ELi64EEEvPT0_PKT_iiiPKbib.private_seg_size, 0
	.set _ZN12_GLOBAL__N_120softmax_warp_forwardIN3c104HalfES2_fLi10ELb0ELb0ELi64EEEvPT0_PKT_iiiPKbib.uses_vcc, 1
	.set _ZN12_GLOBAL__N_120softmax_warp_forwardIN3c104HalfES2_fLi10ELb0ELb0ELi64EEEvPT0_PKT_iiiPKbib.uses_flat_scratch, 0
	.set _ZN12_GLOBAL__N_120softmax_warp_forwardIN3c104HalfES2_fLi10ELb0ELb0ELi64EEEvPT0_PKT_iiiPKbib.has_dyn_sized_stack, 0
	.set _ZN12_GLOBAL__N_120softmax_warp_forwardIN3c104HalfES2_fLi10ELb0ELb0ELi64EEEvPT0_PKT_iiiPKbib.has_recursion, 0
	.set _ZN12_GLOBAL__N_120softmax_warp_forwardIN3c104HalfES2_fLi10ELb0ELb0ELi64EEEvPT0_PKT_iiiPKbib.has_indirect_call, 0
	.section	.AMDGPU.csdata,"",@progbits
; Kernel info:
; codeLenInByte = 5176
; TotalNumSgprs: 26
; NumVgprs: 62
; ScratchSize: 0
; MemoryBound: 0
; FloatMode: 240
; IeeeMode: 1
; LDSByteSize: 0 bytes/workgroup (compile time only)
; SGPRBlocks: 0
; VGPRBlocks: 7
; NumSGPRsForWavesPerEU: 26
; NumVGPRsForWavesPerEU: 62
; Occupancy: 16
; WaveLimiterHint : 0
; COMPUTE_PGM_RSRC2:SCRATCH_EN: 0
; COMPUTE_PGM_RSRC2:USER_SGPR: 6
; COMPUTE_PGM_RSRC2:TRAP_HANDLER: 0
; COMPUTE_PGM_RSRC2:TGID_X_EN: 1
; COMPUTE_PGM_RSRC2:TGID_Y_EN: 0
; COMPUTE_PGM_RSRC2:TGID_Z_EN: 0
; COMPUTE_PGM_RSRC2:TIDIG_COMP_CNT: 1
	.section	.text._ZN12_GLOBAL__N_120softmax_warp_forwardIN3c104HalfES2_fLi10ELb0ELb0ELi32EEEvPT0_PKT_iiiPKbib,"axG",@progbits,_ZN12_GLOBAL__N_120softmax_warp_forwardIN3c104HalfES2_fLi10ELb0ELb0ELi32EEEvPT0_PKT_iiiPKbib,comdat
	.globl	_ZN12_GLOBAL__N_120softmax_warp_forwardIN3c104HalfES2_fLi10ELb0ELb0ELi32EEEvPT0_PKT_iiiPKbib ; -- Begin function _ZN12_GLOBAL__N_120softmax_warp_forwardIN3c104HalfES2_fLi10ELb0ELb0ELi32EEEvPT0_PKT_iiiPKbib
	.p2align	8
	.type	_ZN12_GLOBAL__N_120softmax_warp_forwardIN3c104HalfES2_fLi10ELb0ELb0ELi32EEEvPT0_PKT_iiiPKbib,@function
_ZN12_GLOBAL__N_120softmax_warp_forwardIN3c104HalfES2_fLi10ELb0ELb0ELi32EEEvPT0_PKT_iiiPKbib: ; @_ZN12_GLOBAL__N_120softmax_warp_forwardIN3c104HalfES2_fLi10ELb0ELb0ELi32EEEvPT0_PKT_iiiPKbib
; %bb.0:
	s_clause 0x1
	s_load_dword s0, s[4:5], 0x3c
	s_load_dwordx8 s[36:43], s[4:5], 0x0
	v_mov_b32_e32 v22, 0xff800000
	v_mov_b32_e32 v25, 0xff800000
	s_waitcnt lgkmcnt(0)
	s_lshr_b32 s0, s0, 16
	v_cmp_gt_i32_e32 vcc_lo, s42, v0
	v_mad_u64_u32 v[1:2], null, s6, s0, v[1:2]
	v_mad_u64_u32 v[2:3], null, v1, s41, v[0:1]
	v_sub_nc_u32_e32 v5, s40, v1
	v_cmp_lt_i32_e64 s31, 0, v5
	v_ashrrev_i32_e32 v3, 31, v2
	s_and_b32 s1, s31, vcc_lo
	v_lshlrev_b64 v[1:2], 1, v[2:3]
	v_add_co_u32 v3, s0, s38, v1
	v_add_co_ci_u32_e64 v4, null, s39, v2, s0
	s_and_saveexec_b32 s0, s1
	s_cbranch_execz .LBB427_2
; %bb.1:
	global_load_ushort v6, v[3:4], off
	s_waitcnt vmcnt(0)
	v_cvt_f32_f16_e32 v25, v6
.LBB427_2:
	s_or_b32 exec_lo, exec_lo, s0
	v_add_nc_u32_e32 v6, 32, v0
	v_cmp_gt_i32_e64 s30, s42, v6
	s_and_b32 s1, s31, s30
	s_and_saveexec_b32 s0, s1
	s_cbranch_execz .LBB427_4
; %bb.3:
	global_load_ushort v6, v[3:4], off offset:64
	s_waitcnt vmcnt(0)
	v_cvt_f32_f16_e32 v22, v6
.LBB427_4:
	s_or_b32 exec_lo, exec_lo, s0
	v_add_nc_u32_e32 v6, 64, v0
	v_mov_b32_e32 v19, 0xff800000
	v_mov_b32_e32 v23, 0xff800000
	v_cmp_gt_i32_e64 s29, s42, v6
	s_and_b32 s1, s31, s29
	s_and_saveexec_b32 s0, s1
	s_cbranch_execz .LBB427_6
; %bb.5:
	global_load_ushort v6, v[3:4], off offset:128
	s_waitcnt vmcnt(0)
	v_cvt_f32_f16_e32 v23, v6
.LBB427_6:
	s_or_b32 exec_lo, exec_lo, s0
	v_add_nc_u32_e32 v6, 0x60, v0
	v_cmp_gt_i32_e64 s28, s42, v6
	s_and_b32 s1, s31, s28
	s_and_saveexec_b32 s0, s1
	s_cbranch_execz .LBB427_8
; %bb.7:
	global_load_ushort v6, v[3:4], off offset:192
	s_waitcnt vmcnt(0)
	v_cvt_f32_f16_e32 v19, v6
.LBB427_8:
	s_or_b32 exec_lo, exec_lo, s0
	v_add_nc_u32_e32 v6, 0x80, v0
	v_mov_b32_e32 v16, 0xff800000
	v_mov_b32_e32 v20, 0xff800000
	v_cmp_gt_i32_e64 s27, s42, v6
	s_and_b32 s1, s31, s27
	s_and_saveexec_b32 s0, s1
	s_cbranch_execz .LBB427_10
; %bb.9:
	global_load_ushort v6, v[3:4], off offset:256
	s_waitcnt vmcnt(0)
	v_cvt_f32_f16_e32 v20, v6
.LBB427_10:
	;; [unrolled: 24-line block ×7, first 2 shown]
	s_or_b32 exec_lo, exec_lo, s0
	v_add_nc_u32_e32 v6, 0x1e0, v0
	v_cmp_gt_i32_e64 s16, s42, v6
	s_and_b32 s1, s31, s16
	s_and_saveexec_b32 s0, s1
	s_cbranch_execz .LBB427_32
; %bb.31:
	global_load_ushort v6, v[3:4], off offset:960
	s_waitcnt vmcnt(0)
	v_cvt_f32_f16_e32 v7, v6
.LBB427_32:
	s_or_b32 exec_lo, exec_lo, s0
	v_add_nc_u32_e32 v6, 0x200, v0
	v_mov_b32_e32 v9, 0xff800000
	v_cmp_gt_i32_e64 s15, s42, v6
	v_mov_b32_e32 v6, 0xff800000
	s_and_b32 s1, s31, s15
	s_and_saveexec_b32 s0, s1
	s_cbranch_execz .LBB427_34
; %bb.33:
	global_load_ushort v8, v[3:4], off offset:1024
	s_waitcnt vmcnt(0)
	v_cvt_f32_f16_e32 v9, v8
.LBB427_34:
	s_or_b32 exec_lo, exec_lo, s0
	v_add_nc_u32_e32 v8, 0x220, v0
	v_cmp_gt_i32_e64 s14, s42, v8
	s_and_b32 s1, s31, s14
	s_and_saveexec_b32 s0, s1
	s_cbranch_execz .LBB427_36
; %bb.35:
	global_load_ushort v6, v[3:4], off offset:1088
	s_waitcnt vmcnt(0)
	v_cvt_f32_f16_e32 v6, v6
.LBB427_36:
	s_or_b32 exec_lo, exec_lo, s0
	v_add_nc_u32_e32 v8, 0x240, v0
	v_mov_b32_e32 v40, 0xff800000
	v_mov_b32_e32 v43, 0xff800000
	v_cmp_gt_i32_e64 s13, s42, v8
	s_and_b32 s1, s31, s13
	s_and_saveexec_b32 s0, s1
	s_cbranch_execz .LBB427_38
; %bb.37:
	global_load_ushort v8, v[3:4], off offset:1152
	s_waitcnt vmcnt(0)
	v_cvt_f32_f16_e32 v43, v8
.LBB427_38:
	s_or_b32 exec_lo, exec_lo, s0
	v_add_nc_u32_e32 v8, 0x260, v0
	v_cmp_gt_i32_e64 s12, s42, v8
	s_and_b32 s1, s31, s12
	s_and_saveexec_b32 s0, s1
	s_cbranch_execz .LBB427_40
; %bb.39:
	global_load_ushort v8, v[3:4], off offset:1216
	s_waitcnt vmcnt(0)
	v_cvt_f32_f16_e32 v40, v8
.LBB427_40:
	s_or_b32 exec_lo, exec_lo, s0
	v_add_nc_u32_e32 v8, 0x280, v0
	v_mov_b32_e32 v10, 0xff800000
	v_mov_b32_e32 v42, 0xff800000
	v_cmp_gt_i32_e64 s11, s42, v8
	;; [unrolled: 24-line block ×6, first 2 shown]
	s_and_b32 s1, s31, s3
	s_and_saveexec_b32 s0, s1
	s_cbranch_execz .LBB427_58
; %bb.57:
	global_load_ushort v8, v[3:4], off offset:1792
	s_waitcnt vmcnt(0)
	v_cvt_f32_f16_e32 v27, v8
.LBB427_58:
	s_or_b32 exec_lo, exec_lo, s0
	v_add_nc_u32_e32 v8, 0x3a0, v0
	v_cmp_gt_i32_e64 s2, s42, v8
	s_and_b32 s1, s31, s2
	s_and_saveexec_b32 s0, s1
	s_cbranch_execz .LBB427_60
; %bb.59:
	global_load_ushort v8, v[3:4], off offset:1856
	s_waitcnt vmcnt(0)
	v_cvt_f32_f16_e32 v14, v8
.LBB427_60:
	s_or_b32 exec_lo, exec_lo, s0
	v_add_nc_u32_e32 v8, 0x3c0, v0
	v_mov_b32_e32 v15, 0xff800000
	v_cmp_gt_i32_e64 s1, s42, v8
	v_mov_b32_e32 v8, 0xff800000
	s_and_b32 s33, s31, s1
	s_and_saveexec_b32 s0, s33
	s_cbranch_execz .LBB427_62
; %bb.61:
	global_load_ushort v15, v[3:4], off offset:1920
	s_waitcnt vmcnt(0)
	v_cvt_f32_f16_e32 v15, v15
.LBB427_62:
	s_or_b32 exec_lo, exec_lo, s0
	v_add_nc_u32_e32 v0, 0x3e0, v0
	v_cmp_gt_i32_e64 s0, s42, v0
	s_and_b32 s33, s31, s0
	s_and_saveexec_b32 s31, s33
	s_cbranch_execz .LBB427_64
; %bb.63:
	global_load_ushort v0, v[3:4], off offset:1984
	s_waitcnt vmcnt(0)
	v_cvt_f32_f16_e32 v8, v0
.LBB427_64:
	s_or_b32 exec_lo, exec_lo, s31
	v_cmp_gt_f32_e64 s31, v25, v22
	v_mbcnt_lo_u32_b32 v4, -1, 0
	s_mov_b32 s33, exec_lo
	v_cndmask_b32_e64 v0, v22, v25, s31
	v_cmp_gt_f32_e64 s31, v0, v23
	v_cndmask_b32_e64 v0, v23, v0, s31
	v_cmp_gt_f32_e64 s31, v0, v19
	;; [unrolled: 2-line block ×30, first 2 shown]
	v_cndmask_b32_e64 v3, v8, v0, s31
	v_xor_b32_e32 v0, 16, v4
	v_cmp_gt_i32_e64 s31, 32, v0
	v_cndmask_b32_e64 v0, v4, v0, s31
	v_lshlrev_b32_e32 v0, 2, v0
	ds_bpermute_b32 v26, v0, v3
	s_waitcnt lgkmcnt(0)
	v_cmp_lt_f32_e64 s31, v3, v26
	v_cndmask_b32_e64 v3, v3, v26, s31
	v_xor_b32_e32 v26, 8, v4
	v_cmp_gt_i32_e64 s31, 32, v26
	v_cndmask_b32_e64 v26, v4, v26, s31
	v_lshlrev_b32_e32 v26, 2, v26
	ds_bpermute_b32 v29, v26, v3
	s_waitcnt lgkmcnt(0)
	v_cmp_lt_f32_e64 s31, v3, v29
	;; [unrolled: 8-line block ×5, first 2 shown]
	v_cndmask_b32_e64 v41, v3, v4, s31
	v_sub_f32_e32 v3, v25, v41
	v_sub_f32_e32 v10, v10, v41
	;; [unrolled: 1-line block ×5, first 2 shown]
	v_mul_f32_e32 v4, 0x3fb8aa3b, v3
	v_cmp_ngt_f32_e64 s31, 0xc2ce8ed0, v3
	v_sub_f32_e32 v37, v37, v41
	v_sub_f32_e32 v36, v36, v41
	;; [unrolled: 1-line block ×3, first 2 shown]
	v_fma_f32 v25, 0x3fb8aa3b, v3, -v4
	v_rndne_f32_e32 v29, v4
	v_sub_f32_e32 v27, v27, v41
	v_sub_f32_e32 v14, v14, v41
	;; [unrolled: 1-line block ×3, first 2 shown]
	v_fmac_f32_e32 v25, 0x32a5705f, v3
	v_sub_f32_e32 v4, v4, v29
	v_add_f32_e32 v4, v4, v25
	v_cvt_i32_f32_e32 v25, v29
	v_exp_f32_e32 v4, v4
	v_ldexp_f32 v4, v4, v25
	v_cndmask_b32_e64 v4, 0, v4, s31
	v_cmp_nlt_f32_e64 s31, 0x42b17218, v3
	v_sub_f32_e32 v3, v22, v41
	v_cndmask_b32_e64 v29, 0x7f800000, v4, s31
	v_mul_f32_e32 v4, 0x3fb8aa3b, v3
	v_cmp_ngt_f32_e64 s31, 0xc2ce8ed0, v3
	v_fma_f32 v22, 0x3fb8aa3b, v3, -v4
	v_rndne_f32_e32 v25, v4
	v_fmac_f32_e32 v22, 0x32a5705f, v3
	v_sub_f32_e32 v4, v4, v25
	v_add_f32_e32 v4, v4, v22
	v_cvt_i32_f32_e32 v22, v25
	v_exp_f32_e32 v4, v4
	v_ldexp_f32 v4, v4, v22
	v_cndmask_b32_e64 v4, 0, v4, s31
	v_cmp_nlt_f32_e64 s31, 0x42b17218, v3
	v_cndmask_b32_e64 v25, 0x7f800000, v4, s31
	v_sub_f32_e32 v4, v23, v41
	v_add_f32_e32 v3, v29, v25
	v_mul_f32_e32 v22, 0x3fb8aa3b, v4
	v_cmp_ngt_f32_e64 s31, 0xc2ce8ed0, v4
	v_fma_f32 v23, 0x3fb8aa3b, v4, -v22
	v_rndne_f32_e32 v44, v22
	v_fmac_f32_e32 v23, 0x32a5705f, v4
	v_sub_f32_e32 v22, v22, v44
	v_add_f32_e32 v22, v22, v23
	v_cvt_i32_f32_e32 v23, v44
	v_exp_f32_e32 v22, v22
	v_ldexp_f32 v22, v22, v23
	v_cndmask_b32_e64 v22, 0, v22, s31
	v_cmp_nlt_f32_e64 s31, 0x42b17218, v4
	v_sub_f32_e32 v4, v19, v41
	v_cndmask_b32_e64 v23, 0x7f800000, v22, s31
	v_mul_f32_e32 v19, 0x3fb8aa3b, v4
	v_cmp_ngt_f32_e64 s31, 0xc2ce8ed0, v4
	v_add_f32_e32 v3, v3, v23
	v_fma_f32 v22, 0x3fb8aa3b, v4, -v19
	v_rndne_f32_e32 v44, v19
	v_fmac_f32_e32 v22, 0x32a5705f, v4
	v_sub_f32_e32 v19, v19, v44
	v_add_f32_e32 v19, v19, v22
	v_cvt_i32_f32_e32 v22, v44
	v_exp_f32_e32 v19, v19
	v_ldexp_f32 v19, v19, v22
	v_cndmask_b32_e64 v19, 0, v19, s31
	v_cmp_nlt_f32_e64 s31, 0x42b17218, v4
	v_sub_f32_e32 v4, v20, v41
	v_cndmask_b32_e64 v22, 0x7f800000, v19, s31
	v_mul_f32_e32 v19, 0x3fb8aa3b, v4
	v_cmp_ngt_f32_e64 s31, 0xc2ce8ed0, v4
	v_add_f32_e32 v3, v3, v22
	;; [unrolled: 15-line block ×17, first 2 shown]
	v_fma_f32 v43, 0x3fb8aa3b, v4, -v40
	v_rndne_f32_e32 v44, v40
	v_fmac_f32_e32 v43, 0x32a5705f, v4
	v_sub_f32_e32 v40, v40, v44
	v_add_f32_e32 v40, v40, v43
	v_cvt_i32_f32_e32 v43, v44
	v_exp_f32_e32 v40, v40
	v_ldexp_f32 v40, v40, v43
	v_cndmask_b32_e64 v40, 0, v40, s31
	v_cmp_nlt_f32_e64 s31, 0x42b17218, v4
	v_cndmask_b32_e64 v4, 0x7f800000, v40, s31
	v_add_f32_e32 v40, v3, v4
	v_sub_f32_e32 v3, v42, v41
	v_mul_f32_e32 v42, 0x3fb8aa3b, v3
	v_cmp_ngt_f32_e64 s31, 0xc2ce8ed0, v3
	v_fma_f32 v43, 0x3fb8aa3b, v3, -v42
	v_rndne_f32_e32 v44, v42
	v_fmac_f32_e32 v43, 0x32a5705f, v3
	v_sub_f32_e32 v42, v42, v44
	v_add_f32_e32 v42, v42, v43
	v_cvt_i32_f32_e32 v43, v44
	v_exp_f32_e32 v42, v42
	v_ldexp_f32 v42, v42, v43
	v_cndmask_b32_e64 v42, 0, v42, s31
	v_cmp_nlt_f32_e64 s31, 0x42b17218, v3
	v_cndmask_b32_e64 v3, 0x7f800000, v42, s31
	v_mul_f32_e32 v42, 0x3fb8aa3b, v10
	v_cmp_ngt_f32_e64 s31, 0xc2ce8ed0, v10
	v_add_f32_e32 v40, v40, v3
	v_fma_f32 v43, 0x3fb8aa3b, v10, -v42
	v_rndne_f32_e32 v44, v42
	v_fmac_f32_e32 v43, 0x32a5705f, v10
	v_sub_f32_e32 v42, v42, v44
	v_add_f32_e32 v42, v42, v43
	v_cvt_i32_f32_e32 v43, v44
	v_exp_f32_e32 v42, v42
	v_ldexp_f32 v42, v42, v43
	v_cndmask_b32_e64 v42, 0, v42, s31
	v_cmp_nlt_f32_e64 s31, 0x42b17218, v10
	v_cndmask_b32_e64 v10, 0x7f800000, v42, s31
	v_mul_f32_e32 v42, 0x3fb8aa3b, v38
	v_cmp_ngt_f32_e64 s31, 0xc2ce8ed0, v38
	v_add_f32_e32 v40, v40, v10
	;; [unrolled: 14-line block ×6, first 2 shown]
	v_fma_f32 v43, 0x3fb8aa3b, v36, -v42
	v_rndne_f32_e32 v44, v42
	v_fmac_f32_e32 v43, 0x32a5705f, v36
	v_sub_f32_e32 v42, v42, v44
	v_add_f32_e32 v42, v42, v43
	v_cvt_i32_f32_e32 v43, v44
	v_exp_f32_e32 v42, v42
	v_ldexp_f32 v42, v42, v43
	v_cndmask_b32_e64 v42, 0, v42, s31
	v_cmp_nlt_f32_e64 s31, 0x42b17218, v36
	v_cndmask_b32_e64 v36, 0x7f800000, v42, s31
	v_cmp_ngt_f32_e64 s31, 0xc2ce8ed0, v31
	v_add_f32_e32 v42, v40, v36
	v_mul_f32_e32 v40, 0x3fb8aa3b, v31
	v_fma_f32 v43, 0x3fb8aa3b, v31, -v40
	v_rndne_f32_e32 v44, v40
	v_fmac_f32_e32 v43, 0x32a5705f, v31
	v_sub_f32_e32 v40, v40, v44
	v_add_f32_e32 v40, v40, v43
	v_cvt_i32_f32_e32 v43, v44
	v_exp_f32_e32 v40, v40
	v_ldexp_f32 v40, v40, v43
	v_cndmask_b32_e64 v40, 0, v40, s31
	v_cmp_nlt_f32_e64 s31, 0x42b17218, v31
	v_mul_f32_e32 v31, 0x3fb8aa3b, v27
	v_cndmask_b32_e64 v40, 0x7f800000, v40, s31
	v_fma_f32 v43, 0x3fb8aa3b, v27, -v31
	v_rndne_f32_e32 v44, v31
	v_cmp_ngt_f32_e64 s31, 0xc2ce8ed0, v27
	v_add_f32_e32 v42, v42, v40
	v_fmac_f32_e32 v43, 0x32a5705f, v27
	v_sub_f32_e32 v31, v31, v44
	v_add_f32_e32 v31, v31, v43
	v_cvt_i32_f32_e32 v43, v44
	v_exp_f32_e32 v31, v31
	v_ldexp_f32 v31, v31, v43
	v_cndmask_b32_e64 v31, 0, v31, s31
	v_cmp_nlt_f32_e64 s31, 0x42b17218, v27
	v_mul_f32_e32 v27, 0x3fb8aa3b, v14
	v_cndmask_b32_e64 v31, 0x7f800000, v31, s31
	v_fma_f32 v43, 0x3fb8aa3b, v14, -v27
	v_rndne_f32_e32 v44, v27
	v_cmp_ngt_f32_e64 s31, 0xc2ce8ed0, v14
	v_add_f32_e32 v42, v42, v31
	v_fmac_f32_e32 v43, 0x32a5705f, v14
	v_sub_f32_e32 v27, v27, v44
	v_add_f32_e32 v27, v27, v43
	v_cvt_i32_f32_e32 v43, v44
	v_exp_f32_e32 v27, v27
	v_ldexp_f32 v27, v27, v43
	v_cndmask_b32_e64 v27, 0, v27, s31
	v_cmp_nlt_f32_e64 s31, 0x42b17218, v14
	v_sub_f32_e32 v14, v15, v41
	v_mul_f32_e32 v41, 0x3fb8aa3b, v8
	v_cndmask_b32_e64 v27, 0x7f800000, v27, s31
	v_mul_f32_e32 v15, 0x3fb8aa3b, v14
	v_cmp_ngt_f32_e64 s31, 0xc2ce8ed0, v14
	v_add_f32_e32 v42, v42, v27
	v_fma_f32 v43, 0x3fb8aa3b, v14, -v15
	v_rndne_f32_e32 v44, v15
	v_fmac_f32_e32 v43, 0x32a5705f, v14
	v_sub_f32_e32 v15, v15, v44
	v_add_f32_e32 v15, v15, v43
	v_cvt_i32_f32_e32 v43, v44
	v_exp_f32_e32 v15, v15
	v_ldexp_f32 v15, v15, v43
	v_rndne_f32_e32 v43, v41
	v_cndmask_b32_e64 v15, 0, v15, s31
	v_cmp_nlt_f32_e64 s31, 0x42b17218, v14
	v_cndmask_b32_e64 v14, 0x7f800000, v15, s31
	v_cmp_ngt_f32_e64 s31, 0xc2ce8ed0, v8
	v_add_f32_e32 v15, v42, v14
	v_fma_f32 v42, 0x3fb8aa3b, v8, -v41
	v_sub_f32_e32 v41, v41, v43
	v_fmac_f32_e32 v42, 0x32a5705f, v8
	v_add_f32_e32 v41, v41, v42
	v_cvt_i32_f32_e32 v42, v43
	v_exp_f32_e32 v41, v41
	v_ldexp_f32 v41, v41, v42
	v_cndmask_b32_e64 v41, 0, v41, s31
	v_cmp_nlt_f32_e64 s31, 0x42b17218, v8
	v_cndmask_b32_e64 v8, 0x7f800000, v41, s31
	v_add_f32_e32 v15, v15, v8
	ds_bpermute_b32 v0, v0, v15
	s_waitcnt lgkmcnt(0)
	v_add_f32_e32 v0, v15, v0
	ds_bpermute_b32 v15, v26, v0
	s_waitcnt lgkmcnt(0)
	;; [unrolled: 3-line block ×4, first 2 shown]
	v_add_f32_e32 v0, v0, v15
	ds_bpermute_b32 v15, v34, v0
	v_cmpx_lt_i32_e32 0, v5
	s_cbranch_execz .LBB427_162
; %bb.65:
	s_and_b32 exec_lo, exec_lo, vcc_lo
	s_cbranch_execz .LBB427_162
; %bb.66:
	s_waitcnt lgkmcnt(0)
	v_add_f32_e32 v5, v0, v15
	v_mov_b32_e32 v15, 0x7e00
	v_cmp_neq_f32_e64 s31, 0, v5
	s_and_saveexec_b32 s33, s31
	s_cbranch_execz .LBB427_68
; %bb.67:
	v_div_scale_f32 v0, null, v5, v5, v29
	v_rcp_f32_e32 v15, v0
	v_fma_f32 v26, -v0, v15, 1.0
	v_fmac_f32_e32 v15, v26, v15
	v_div_scale_f32 v26, vcc_lo, v29, v5, v29
	v_mul_f32_e32 v30, v26, v15
	v_fma_f32 v33, -v0, v30, v26
	v_fmac_f32_e32 v30, v33, v15
	v_fma_f32 v0, -v0, v30, v26
	v_div_fmas_f32 v0, v0, v15, v30
	v_div_fixup_f32 v0, v0, v5, v29
	v_cvt_f16_f32_e32 v15, v0
.LBB427_68:
	s_or_b32 exec_lo, exec_lo, s33
	v_add_co_u32 v0, vcc_lo, s36, v1
	v_add_co_ci_u32_e64 v1, null, s37, v2, vcc_lo
	global_store_short v[0:1], v15, off
	s_and_b32 exec_lo, exec_lo, s30
	s_cbranch_execz .LBB427_162
; %bb.69:
	v_mov_b32_e32 v2, 0x7e00
	s_and_saveexec_b32 s30, s31
	s_cbranch_execz .LBB427_71
; %bb.70:
	v_div_scale_f32 v2, null, v5, v5, v25
	v_rcp_f32_e32 v15, v2
	v_fma_f32 v26, -v2, v15, 1.0
	v_fmac_f32_e32 v15, v26, v15
	v_div_scale_f32 v26, vcc_lo, v25, v5, v25
	v_mul_f32_e32 v29, v26, v15
	v_fma_f32 v30, -v2, v29, v26
	v_fmac_f32_e32 v29, v30, v15
	v_fma_f32 v2, -v2, v29, v26
	v_div_fmas_f32 v2, v2, v15, v29
	v_div_fixup_f32 v2, v2, v5, v25
	v_cvt_f16_f32_e32 v2, v2
.LBB427_71:
	s_or_b32 exec_lo, exec_lo, s30
	global_store_short v[0:1], v2, off offset:64
	s_and_b32 exec_lo, exec_lo, s29
	s_cbranch_execz .LBB427_162
; %bb.72:
	v_mov_b32_e32 v2, 0x7e00
	s_and_saveexec_b32 s29, s31
	s_cbranch_execz .LBB427_74
; %bb.73:
	v_div_scale_f32 v2, null, v5, v5, v23
	v_rcp_f32_e32 v15, v2
	v_fma_f32 v25, -v2, v15, 1.0
	v_fmac_f32_e32 v15, v25, v15
	v_div_scale_f32 v25, vcc_lo, v23, v5, v23
	v_mul_f32_e32 v26, v25, v15
	v_fma_f32 v29, -v2, v26, v25
	v_fmac_f32_e32 v26, v29, v15
	v_fma_f32 v2, -v2, v26, v25
	v_div_fmas_f32 v2, v2, v15, v26
	v_div_fixup_f32 v2, v2, v5, v23
	v_cvt_f16_f32_e32 v2, v2
.LBB427_74:
	s_or_b32 exec_lo, exec_lo, s29
	global_store_short v[0:1], v2, off offset:128
	;; [unrolled: 22-line block ×31, first 2 shown]
.LBB427_162:
	s_endpgm
	.section	.rodata,"a",@progbits
	.p2align	6, 0x0
	.amdhsa_kernel _ZN12_GLOBAL__N_120softmax_warp_forwardIN3c104HalfES2_fLi10ELb0ELb0ELi32EEEvPT0_PKT_iiiPKbib
		.amdhsa_group_segment_fixed_size 0
		.amdhsa_private_segment_fixed_size 0
		.amdhsa_kernarg_size 304
		.amdhsa_user_sgpr_count 6
		.amdhsa_user_sgpr_private_segment_buffer 1
		.amdhsa_user_sgpr_dispatch_ptr 0
		.amdhsa_user_sgpr_queue_ptr 0
		.amdhsa_user_sgpr_kernarg_segment_ptr 1
		.amdhsa_user_sgpr_dispatch_id 0
		.amdhsa_user_sgpr_flat_scratch_init 0
		.amdhsa_user_sgpr_private_segment_size 0
		.amdhsa_wavefront_size32 1
		.amdhsa_uses_dynamic_stack 0
		.amdhsa_system_sgpr_private_segment_wavefront_offset 0
		.amdhsa_system_sgpr_workgroup_id_x 1
		.amdhsa_system_sgpr_workgroup_id_y 0
		.amdhsa_system_sgpr_workgroup_id_z 0
		.amdhsa_system_sgpr_workgroup_info 0
		.amdhsa_system_vgpr_workitem_id 1
		.amdhsa_next_free_vgpr 45
		.amdhsa_next_free_sgpr 44
		.amdhsa_reserve_vcc 1
		.amdhsa_reserve_flat_scratch 0
		.amdhsa_float_round_mode_32 0
		.amdhsa_float_round_mode_16_64 0
		.amdhsa_float_denorm_mode_32 3
		.amdhsa_float_denorm_mode_16_64 3
		.amdhsa_dx10_clamp 1
		.amdhsa_ieee_mode 1
		.amdhsa_fp16_overflow 0
		.amdhsa_workgroup_processor_mode 1
		.amdhsa_memory_ordered 1
		.amdhsa_forward_progress 1
		.amdhsa_shared_vgpr_count 0
		.amdhsa_exception_fp_ieee_invalid_op 0
		.amdhsa_exception_fp_denorm_src 0
		.amdhsa_exception_fp_ieee_div_zero 0
		.amdhsa_exception_fp_ieee_overflow 0
		.amdhsa_exception_fp_ieee_underflow 0
		.amdhsa_exception_fp_ieee_inexact 0
		.amdhsa_exception_int_div_zero 0
	.end_amdhsa_kernel
	.section	.text._ZN12_GLOBAL__N_120softmax_warp_forwardIN3c104HalfES2_fLi10ELb0ELb0ELi32EEEvPT0_PKT_iiiPKbib,"axG",@progbits,_ZN12_GLOBAL__N_120softmax_warp_forwardIN3c104HalfES2_fLi10ELb0ELb0ELi32EEEvPT0_PKT_iiiPKbib,comdat
.Lfunc_end427:
	.size	_ZN12_GLOBAL__N_120softmax_warp_forwardIN3c104HalfES2_fLi10ELb0ELb0ELi32EEEvPT0_PKT_iiiPKbib, .Lfunc_end427-_ZN12_GLOBAL__N_120softmax_warp_forwardIN3c104HalfES2_fLi10ELb0ELb0ELi32EEEvPT0_PKT_iiiPKbib
                                        ; -- End function
	.set _ZN12_GLOBAL__N_120softmax_warp_forwardIN3c104HalfES2_fLi10ELb0ELb0ELi32EEEvPT0_PKT_iiiPKbib.num_vgpr, 45
	.set _ZN12_GLOBAL__N_120softmax_warp_forwardIN3c104HalfES2_fLi10ELb0ELb0ELi32EEEvPT0_PKT_iiiPKbib.num_agpr, 0
	.set _ZN12_GLOBAL__N_120softmax_warp_forwardIN3c104HalfES2_fLi10ELb0ELb0ELi32EEEvPT0_PKT_iiiPKbib.numbered_sgpr, 44
	.set _ZN12_GLOBAL__N_120softmax_warp_forwardIN3c104HalfES2_fLi10ELb0ELb0ELi32EEEvPT0_PKT_iiiPKbib.num_named_barrier, 0
	.set _ZN12_GLOBAL__N_120softmax_warp_forwardIN3c104HalfES2_fLi10ELb0ELb0ELi32EEEvPT0_PKT_iiiPKbib.private_seg_size, 0
	.set _ZN12_GLOBAL__N_120softmax_warp_forwardIN3c104HalfES2_fLi10ELb0ELb0ELi32EEEvPT0_PKT_iiiPKbib.uses_vcc, 1
	.set _ZN12_GLOBAL__N_120softmax_warp_forwardIN3c104HalfES2_fLi10ELb0ELb0ELi32EEEvPT0_PKT_iiiPKbib.uses_flat_scratch, 0
	.set _ZN12_GLOBAL__N_120softmax_warp_forwardIN3c104HalfES2_fLi10ELb0ELb0ELi32EEEvPT0_PKT_iiiPKbib.has_dyn_sized_stack, 0
	.set _ZN12_GLOBAL__N_120softmax_warp_forwardIN3c104HalfES2_fLi10ELb0ELb0ELi32EEEvPT0_PKT_iiiPKbib.has_recursion, 0
	.set _ZN12_GLOBAL__N_120softmax_warp_forwardIN3c104HalfES2_fLi10ELb0ELb0ELi32EEEvPT0_PKT_iiiPKbib.has_indirect_call, 0
	.section	.AMDGPU.csdata,"",@progbits
; Kernel info:
; codeLenInByte = 9776
; TotalNumSgprs: 46
; NumVgprs: 45
; ScratchSize: 0
; MemoryBound: 0
; FloatMode: 240
; IeeeMode: 1
; LDSByteSize: 0 bytes/workgroup (compile time only)
; SGPRBlocks: 0
; VGPRBlocks: 5
; NumSGPRsForWavesPerEU: 46
; NumVGPRsForWavesPerEU: 45
; Occupancy: 16
; WaveLimiterHint : 0
; COMPUTE_PGM_RSRC2:SCRATCH_EN: 0
; COMPUTE_PGM_RSRC2:USER_SGPR: 6
; COMPUTE_PGM_RSRC2:TRAP_HANDLER: 0
; COMPUTE_PGM_RSRC2:TGID_X_EN: 1
; COMPUTE_PGM_RSRC2:TGID_Y_EN: 0
; COMPUTE_PGM_RSRC2:TGID_Z_EN: 0
; COMPUTE_PGM_RSRC2:TIDIG_COMP_CNT: 1
	.section	.text._ZN12_GLOBAL__N_120softmax_warp_forwardIN3c104HalfES2_fLi11ELb0ELb0ELi64EEEvPT0_PKT_iiiPKbib,"axG",@progbits,_ZN12_GLOBAL__N_120softmax_warp_forwardIN3c104HalfES2_fLi11ELb0ELb0ELi64EEEvPT0_PKT_iiiPKbib,comdat
	.globl	_ZN12_GLOBAL__N_120softmax_warp_forwardIN3c104HalfES2_fLi11ELb0ELb0ELi64EEEvPT0_PKT_iiiPKbib ; -- Begin function _ZN12_GLOBAL__N_120softmax_warp_forwardIN3c104HalfES2_fLi11ELb0ELb0ELi64EEEvPT0_PKT_iiiPKbib
	.p2align	8
	.type	_ZN12_GLOBAL__N_120softmax_warp_forwardIN3c104HalfES2_fLi11ELb0ELb0ELi64EEEvPT0_PKT_iiiPKbib,@function
_ZN12_GLOBAL__N_120softmax_warp_forwardIN3c104HalfES2_fLi11ELb0ELb0ELi64EEEvPT0_PKT_iiiPKbib: ; @_ZN12_GLOBAL__N_120softmax_warp_forwardIN3c104HalfES2_fLi11ELb0ELb0ELi64EEEvPT0_PKT_iiiPKbib
; %bb.0:
	s_clause 0x1
	s_load_dword s0, s[4:5], 0x3c
	s_load_dwordx8 s[36:43], s[4:5], 0x0
	v_mov_b32_e32 v26, 0xff800000
	v_mov_b32_e32 v30, 0xff800000
	s_waitcnt lgkmcnt(0)
	s_lshr_b32 s0, s0, 16
	v_cmp_gt_i32_e32 vcc_lo, s42, v0
	v_mad_u64_u32 v[1:2], null, s6, s0, v[1:2]
	v_mad_u64_u32 v[2:3], null, v1, s41, v[0:1]
	v_sub_nc_u32_e32 v5, s40, v1
	v_cmp_lt_i32_e64 s31, 0, v5
	v_ashrrev_i32_e32 v3, 31, v2
	s_and_b32 s1, s31, vcc_lo
	v_lshlrev_b64 v[1:2], 1, v[2:3]
	v_add_co_u32 v3, s0, s38, v1
	v_add_co_ci_u32_e64 v4, null, s39, v2, s0
	s_and_saveexec_b32 s0, s1
	s_cbranch_execz .LBB428_2
; %bb.1:
	global_load_ushort v6, v[3:4], off
	s_waitcnt vmcnt(0)
	v_cvt_f32_f16_e32 v30, v6
.LBB428_2:
	s_or_b32 exec_lo, exec_lo, s0
	v_add_nc_u32_e32 v6, 64, v0
	v_cmp_gt_i32_e64 s30, s42, v6
	s_and_b32 s1, s31, s30
	s_and_saveexec_b32 s0, s1
	s_cbranch_execz .LBB428_4
; %bb.3:
	global_load_ushort v6, v[3:4], off offset:128
	s_waitcnt vmcnt(0)
	v_cvt_f32_f16_e32 v26, v6
.LBB428_4:
	s_or_b32 exec_lo, exec_lo, s0
	v_add_nc_u32_e32 v6, 0x80, v0
	v_mov_b32_e32 v21, 0xff800000
	v_mov_b32_e32 v28, 0xff800000
	v_cmp_gt_i32_e64 s29, s42, v6
	s_and_b32 s1, s31, s29
	s_and_saveexec_b32 s0, s1
	s_cbranch_execz .LBB428_6
; %bb.5:
	global_load_ushort v6, v[3:4], off offset:256
	s_waitcnt vmcnt(0)
	v_cvt_f32_f16_e32 v28, v6
.LBB428_6:
	s_or_b32 exec_lo, exec_lo, s0
	v_add_nc_u32_e32 v6, 0xc0, v0
	v_cmp_gt_i32_e64 s28, s42, v6
	s_and_b32 s1, s31, s28
	s_and_saveexec_b32 s0, s1
	s_cbranch_execz .LBB428_8
; %bb.7:
	global_load_ushort v6, v[3:4], off offset:384
	s_waitcnt vmcnt(0)
	v_cvt_f32_f16_e32 v21, v6
.LBB428_8:
	s_or_b32 exec_lo, exec_lo, s0
	v_add_nc_u32_e32 v6, 0x100, v0
	v_mov_b32_e32 v19, 0xff800000
	v_mov_b32_e32 v23, 0xff800000
	v_cmp_gt_i32_e64 s27, s42, v6
	s_and_b32 s1, s31, s27
	s_and_saveexec_b32 s0, s1
	s_cbranch_execz .LBB428_10
; %bb.9:
	global_load_ushort v6, v[3:4], off offset:512
	s_waitcnt vmcnt(0)
	v_cvt_f32_f16_e32 v23, v6
.LBB428_10:
	;; [unrolled: 24-line block ×7, first 2 shown]
	s_or_b32 exec_lo, exec_lo, s0
	v_add_nc_u32_e32 v6, 0x3c0, v0
	v_cmp_gt_i32_e64 s16, s42, v6
	s_and_b32 s1, s31, s16
	s_and_saveexec_b32 s0, s1
	s_cbranch_execz .LBB428_32
; %bb.31:
	global_load_ushort v6, v[3:4], off offset:1920
	s_waitcnt vmcnt(0)
	v_cvt_f32_f16_e32 v8, v6
.LBB428_32:
	s_or_b32 exec_lo, exec_lo, s0
	v_or_b32_e32 v6, 0x400, v0
	v_mov_b32_e32 v7, 0xff800000
	v_mov_b32_e32 v12, 0xff800000
	v_cmp_gt_i32_e64 s15, s42, v6
	s_and_b32 s0, s31, s15
	s_and_saveexec_b32 s1, s0
	s_cbranch_execz .LBB428_34
; %bb.33:
	v_add_co_u32 v10, s0, 0x800, v3
	v_add_co_ci_u32_e64 v11, null, 0, v4, s0
	global_load_ushort v6, v[10:11], off
	s_waitcnt vmcnt(0)
	v_cvt_f32_f16_e32 v12, v6
.LBB428_34:
	s_or_b32 exec_lo, exec_lo, s1
	v_add_nc_u32_e32 v6, 0x440, v0
	v_cmp_gt_i32_e64 s14, s42, v6
	s_and_b32 s0, s31, s14
	s_and_saveexec_b32 s1, s0
	s_cbranch_execz .LBB428_36
; %bb.35:
	v_add_co_u32 v6, s0, 0x800, v3
	v_add_co_ci_u32_e64 v7, null, 0, v4, s0
	global_load_ushort v6, v[6:7], off offset:128
	s_waitcnt vmcnt(0)
	v_cvt_f32_f16_e32 v7, v6
.LBB428_36:
	s_or_b32 exec_lo, exec_lo, s1
	v_add_nc_u32_e32 v6, 0x480, v0
	v_mov_b32_e32 v45, 0xff800000
	v_cmp_gt_i32_e64 s13, s42, v6
	v_mov_b32_e32 v6, 0xff800000
	s_and_b32 s0, s31, s13
	s_and_saveexec_b32 s1, s0
	s_cbranch_execz .LBB428_38
; %bb.37:
	v_add_co_u32 v10, s0, 0x800, v3
	v_add_co_ci_u32_e64 v11, null, 0, v4, s0
	global_load_ushort v10, v[10:11], off offset:256
	s_waitcnt vmcnt(0)
	v_cvt_f32_f16_e32 v45, v10
.LBB428_38:
	s_or_b32 exec_lo, exec_lo, s1
	v_add_nc_u32_e32 v10, 0x4c0, v0
	v_cmp_gt_i32_e64 s12, s42, v10
	s_and_b32 s0, s31, s12
	s_and_saveexec_b32 s1, s0
	s_cbranch_execz .LBB428_40
; %bb.39:
	v_add_co_u32 v10, s0, 0x800, v3
	v_add_co_ci_u32_e64 v11, null, 0, v4, s0
	global_load_ushort v6, v[10:11], off offset:384
	s_waitcnt vmcnt(0)
	v_cvt_f32_f16_e32 v6, v6
.LBB428_40:
	s_or_b32 exec_lo, exec_lo, s1
	v_add_nc_u32_e32 v10, 0x500, v0
	v_mov_b32_e32 v39, 0xff800000
	v_mov_b32_e32 v44, 0xff800000
	v_cmp_gt_i32_e64 s11, s42, v10
	s_and_b32 s0, s31, s11
	s_and_saveexec_b32 s1, s0
	s_cbranch_execz .LBB428_42
; %bb.41:
	v_add_co_u32 v10, s0, 0x800, v3
	v_add_co_ci_u32_e64 v11, null, 0, v4, s0
	global_load_ushort v10, v[10:11], off offset:512
	s_waitcnt vmcnt(0)
	v_cvt_f32_f16_e32 v44, v10
.LBB428_42:
	s_or_b32 exec_lo, exec_lo, s1
	v_add_nc_u32_e32 v10, 0x540, v0
	v_cmp_gt_i32_e64 s10, s42, v10
	s_and_b32 s0, s31, s10
	s_and_saveexec_b32 s1, s0
	s_cbranch_execz .LBB428_44
; %bb.43:
	v_add_co_u32 v10, s0, 0x800, v3
	v_add_co_ci_u32_e64 v11, null, 0, v4, s0
	global_load_ushort v10, v[10:11], off offset:640
	s_waitcnt vmcnt(0)
	v_cvt_f32_f16_e32 v39, v10
.LBB428_44:
	s_or_b32 exec_lo, exec_lo, s1
	v_add_nc_u32_e32 v10, 0x580, v0
	v_mov_b32_e32 v43, 0xff800000
	v_cmp_gt_i32_e64 s9, s42, v10
	v_mov_b32_e32 v10, 0xff800000
	s_and_b32 s0, s31, s9
	s_and_saveexec_b32 s1, s0
	s_cbranch_execz .LBB428_46
; %bb.45:
	v_add_co_u32 v33, s0, 0x800, v3
	v_add_co_ci_u32_e64 v34, null, 0, v4, s0
	global_load_ushort v11, v[33:34], off offset:768
	s_waitcnt vmcnt(0)
	v_cvt_f32_f16_e32 v43, v11
.LBB428_46:
	s_or_b32 exec_lo, exec_lo, s1
	v_add_nc_u32_e32 v11, 0x5c0, v0
	v_cmp_gt_i32_e64 s8, s42, v11
	s_and_b32 s0, s31, s8
	s_and_saveexec_b32 s1, s0
	s_cbranch_execz .LBB428_48
; %bb.47:
	v_add_co_u32 v10, s0, 0x800, v3
	v_add_co_ci_u32_e64 v11, null, 0, v4, s0
	global_load_ushort v10, v[10:11], off offset:896
	s_waitcnt vmcnt(0)
	v_cvt_f32_f16_e32 v10, v10
.LBB428_48:
	s_or_b32 exec_lo, exec_lo, s1
	v_add_nc_u32_e32 v11, 0x600, v0
	v_mov_b32_e32 v37, 0xff800000
	v_mov_b32_e32 v36, 0xff800000
	v_cmp_gt_i32_e64 s7, s42, v11
	s_and_b32 s0, s31, s7
	s_and_saveexec_b32 s1, s0
	s_cbranch_execz .LBB428_50
; %bb.49:
	v_add_co_u32 v33, s0, 0x800, v3
	v_add_co_ci_u32_e64 v34, null, 0, v4, s0
	global_load_ushort v11, v[33:34], off offset:1024
	s_waitcnt vmcnt(0)
	v_cvt_f32_f16_e32 v36, v11
.LBB428_50:
	s_or_b32 exec_lo, exec_lo, s1
	v_add_nc_u32_e32 v11, 0x640, v0
	v_cmp_gt_i32_e64 s6, s42, v11
	s_and_b32 s0, s31, s6
	s_and_saveexec_b32 s1, s0
	s_cbranch_execz .LBB428_52
; %bb.51:
	v_add_co_u32 v33, s0, 0x800, v3
	v_add_co_ci_u32_e64 v34, null, 0, v4, s0
	global_load_ushort v11, v[33:34], off offset:1152
	s_waitcnt vmcnt(0)
	v_cvt_f32_f16_e32 v37, v11
.LBB428_52:
	s_or_b32 exec_lo, exec_lo, s1
	v_add_nc_u32_e32 v11, 0x680, v0
	v_mov_b32_e32 v24, 0xff800000
	v_mov_b32_e32 v40, 0xff800000
	v_cmp_gt_i32_e64 s5, s42, v11
	;; [unrolled: 28-line block ×3, first 2 shown]
	s_and_b32 s0, s31, s3
	s_and_saveexec_b32 s1, s0
	s_cbranch_execz .LBB428_58
; %bb.57:
	v_add_co_u32 v33, s0, 0x800, v3
	v_add_co_ci_u32_e64 v34, null, 0, v4, s0
	global_load_ushort v11, v[33:34], off offset:1536
	s_waitcnt vmcnt(0)
	v_cvt_f32_f16_e32 v22, v11
.LBB428_58:
	s_or_b32 exec_lo, exec_lo, s1
	v_add_nc_u32_e32 v11, 0x740, v0
	v_cmp_gt_i32_e64 s2, s42, v11
	s_and_b32 s0, s31, s2
	s_and_saveexec_b32 s1, s0
	s_cbranch_execz .LBB428_60
; %bb.59:
	v_add_co_u32 v33, s0, 0x800, v3
	v_add_co_ci_u32_e64 v34, null, 0, v4, s0
	global_load_ushort v11, v[33:34], off offset:1664
	s_waitcnt vmcnt(0)
	v_cvt_f32_f16_e32 v14, v11
.LBB428_60:
	s_or_b32 exec_lo, exec_lo, s1
	v_add_nc_u32_e32 v11, 0x780, v0
	v_mov_b32_e32 v16, 0xff800000
	v_cmp_gt_i32_e64 s1, s42, v11
	v_mov_b32_e32 v11, 0xff800000
	s_and_b32 s0, s31, s1
	s_and_saveexec_b32 s33, s0
	s_cbranch_execz .LBB428_62
; %bb.61:
	v_add_co_u32 v33, s0, 0x800, v3
	v_add_co_ci_u32_e64 v34, null, 0, v4, s0
	global_load_ushort v16, v[33:34], off offset:1792
	s_waitcnt vmcnt(0)
	v_cvt_f32_f16_e32 v16, v16
.LBB428_62:
	s_or_b32 exec_lo, exec_lo, s33
	v_add_nc_u32_e32 v0, 0x7c0, v0
	v_cmp_gt_i32_e64 s0, s42, v0
	s_and_b32 s31, s31, s0
	s_and_saveexec_b32 s33, s31
	s_cbranch_execz .LBB428_64
; %bb.63:
	v_add_co_u32 v3, s31, 0x800, v3
	v_add_co_ci_u32_e64 v4, null, 0, v4, s31
	global_load_ushort v0, v[3:4], off offset:1920
	s_waitcnt vmcnt(0)
	v_cvt_f32_f16_e32 v11, v0
.LBB428_64:
	s_or_b32 exec_lo, exec_lo, s33
	v_cmp_gt_f32_e64 s31, v30, v26
	v_mbcnt_lo_u32_b32 v4, -1, 0
	s_mov_b32 s33, exec_lo
	v_cndmask_b32_e64 v0, v26, v30, s31
	v_cmp_gt_f32_e64 s31, v0, v28
	v_cndmask_b32_e64 v0, v28, v0, s31
	v_cmp_gt_f32_e64 s31, v0, v21
	;; [unrolled: 2-line block ×30, first 2 shown]
	v_cndmask_b32_e64 v3, v11, v0, s31
	v_or_b32_e32 v0, 32, v4
	v_cmp_gt_i32_e64 s31, 64, v0
	v_cndmask_b32_e64 v0, v4, v0, s31
	v_lshlrev_b32_e32 v0, 2, v0
	ds_bpermute_b32 v27, v0, v3
	s_waitcnt lgkmcnt(0)
	v_cmp_lt_f32_e64 s31, v3, v27
	v_cndmask_b32_e64 v3, v3, v27, s31
	v_xor_b32_e32 v27, 16, v4
	v_cmp_gt_i32_e64 s31, 64, v27
	v_cndmask_b32_e64 v27, v4, v27, s31
	v_lshlrev_b32_e32 v27, 2, v27
	ds_bpermute_b32 v31, v27, v3
	s_waitcnt lgkmcnt(0)
	v_cmp_lt_f32_e64 s31, v3, v31
	v_cndmask_b32_e64 v3, v3, v31, s31
	v_xor_b32_e32 v31, 8, v4
	;; [unrolled: 8-line block ×5, first 2 shown]
	v_cmp_gt_i32_e64 s31, 64, v33
	v_cndmask_b32_e64 v4, v4, v33, s31
	v_lshlrev_b32_e32 v41, 2, v4
	ds_bpermute_b32 v4, v41, v3
	s_waitcnt lgkmcnt(0)
	v_cmp_lt_f32_e64 s31, v3, v4
	v_cndmask_b32_e64 v42, v3, v4, s31
	v_sub_f32_e32 v3, v30, v42
	v_sub_f32_e32 v10, v10, v42
	;; [unrolled: 1-line block ×5, first 2 shown]
	v_mul_f32_e32 v4, 0x3fb8aa3b, v3
	v_cmp_ngt_f32_e64 s31, 0xc2ce8ed0, v3
	v_sub_f32_e32 v22, v22, v42
	v_sub_f32_e32 v14, v14, v42
	;; [unrolled: 1-line block ×3, first 2 shown]
	v_fma_f32 v30, 0x3fb8aa3b, v3, -v4
	v_rndne_f32_e32 v33, v4
	v_fmac_f32_e32 v30, 0x32a5705f, v3
	v_sub_f32_e32 v4, v4, v33
	v_add_f32_e32 v4, v4, v30
	v_cvt_i32_f32_e32 v30, v33
	v_exp_f32_e32 v4, v4
	v_ldexp_f32 v4, v4, v30
	v_cndmask_b32_e64 v4, 0, v4, s31
	v_cmp_nlt_f32_e64 s31, 0x42b17218, v3
	v_sub_f32_e32 v3, v26, v42
	v_cndmask_b32_e64 v33, 0x7f800000, v4, s31
	v_mul_f32_e32 v4, 0x3fb8aa3b, v3
	v_cmp_ngt_f32_e64 s31, 0xc2ce8ed0, v3
	v_fma_f32 v26, 0x3fb8aa3b, v3, -v4
	v_rndne_f32_e32 v30, v4
	v_fmac_f32_e32 v26, 0x32a5705f, v3
	v_sub_f32_e32 v4, v4, v30
	v_add_f32_e32 v4, v4, v26
	v_cvt_i32_f32_e32 v26, v30
	v_exp_f32_e32 v4, v4
	v_ldexp_f32 v4, v4, v26
	v_cndmask_b32_e64 v4, 0, v4, s31
	v_cmp_nlt_f32_e64 s31, 0x42b17218, v3
	v_cndmask_b32_e64 v30, 0x7f800000, v4, s31
	v_sub_f32_e32 v4, v28, v42
	v_add_f32_e32 v3, v33, v30
	v_mul_f32_e32 v26, 0x3fb8aa3b, v4
	v_cmp_ngt_f32_e64 s31, 0xc2ce8ed0, v4
	v_fma_f32 v28, 0x3fb8aa3b, v4, -v26
	v_rndne_f32_e32 v35, v26
	v_fmac_f32_e32 v28, 0x32a5705f, v4
	v_sub_f32_e32 v26, v26, v35
	v_add_f32_e32 v26, v26, v28
	v_cvt_i32_f32_e32 v28, v35
	v_exp_f32_e32 v26, v26
	v_ldexp_f32 v26, v26, v28
	v_cndmask_b32_e64 v26, 0, v26, s31
	v_cmp_nlt_f32_e64 s31, 0x42b17218, v4
	v_sub_f32_e32 v4, v21, v42
	v_cndmask_b32_e64 v28, 0x7f800000, v26, s31
	v_mul_f32_e32 v21, 0x3fb8aa3b, v4
	v_cmp_ngt_f32_e64 s31, 0xc2ce8ed0, v4
	v_add_f32_e32 v3, v3, v28
	v_fma_f32 v26, 0x3fb8aa3b, v4, -v21
	v_rndne_f32_e32 v35, v21
	v_fmac_f32_e32 v26, 0x32a5705f, v4
	v_sub_f32_e32 v21, v21, v35
	v_add_f32_e32 v21, v21, v26
	v_cvt_i32_f32_e32 v26, v35
	v_exp_f32_e32 v21, v21
	v_ldexp_f32 v21, v21, v26
	v_cndmask_b32_e64 v21, 0, v21, s31
	v_cmp_nlt_f32_e64 s31, 0x42b17218, v4
	v_sub_f32_e32 v4, v23, v42
	v_cndmask_b32_e64 v26, 0x7f800000, v21, s31
	v_mul_f32_e32 v21, 0x3fb8aa3b, v4
	v_cmp_ngt_f32_e64 s31, 0xc2ce8ed0, v4
	v_add_f32_e32 v3, v3, v26
	;; [unrolled: 15-line block ×19, first 2 shown]
	v_fma_f32 v44, 0x3fb8aa3b, v4, -v39
	v_rndne_f32_e32 v45, v39
	v_fmac_f32_e32 v44, 0x32a5705f, v4
	v_sub_f32_e32 v39, v39, v45
	v_add_f32_e32 v39, v39, v44
	v_cvt_i32_f32_e32 v44, v45
	v_exp_f32_e32 v39, v39
	v_ldexp_f32 v39, v39, v44
	v_cndmask_b32_e64 v39, 0, v39, s31
	v_cmp_nlt_f32_e64 s31, 0x42b17218, v4
	v_cndmask_b32_e64 v4, 0x7f800000, v39, s31
	v_add_f32_e32 v39, v3, v4
	v_sub_f32_e32 v3, v43, v42
	v_mul_f32_e32 v43, 0x3fb8aa3b, v3
	v_cmp_ngt_f32_e64 s31, 0xc2ce8ed0, v3
	v_fma_f32 v44, 0x3fb8aa3b, v3, -v43
	v_rndne_f32_e32 v45, v43
	v_fmac_f32_e32 v44, 0x32a5705f, v3
	v_sub_f32_e32 v43, v43, v45
	v_add_f32_e32 v43, v43, v44
	v_cvt_i32_f32_e32 v44, v45
	v_exp_f32_e32 v43, v43
	v_ldexp_f32 v43, v43, v44
	v_cndmask_b32_e64 v43, 0, v43, s31
	v_cmp_nlt_f32_e64 s31, 0x42b17218, v3
	v_cndmask_b32_e64 v3, 0x7f800000, v43, s31
	v_mul_f32_e32 v43, 0x3fb8aa3b, v10
	v_cmp_ngt_f32_e64 s31, 0xc2ce8ed0, v10
	v_add_f32_e32 v39, v39, v3
	v_fma_f32 v44, 0x3fb8aa3b, v10, -v43
	v_rndne_f32_e32 v45, v43
	v_fmac_f32_e32 v44, 0x32a5705f, v10
	v_sub_f32_e32 v43, v43, v45
	v_add_f32_e32 v43, v43, v44
	v_cvt_i32_f32_e32 v44, v45
	v_exp_f32_e32 v43, v43
	v_ldexp_f32 v43, v43, v44
	v_cndmask_b32_e64 v43, 0, v43, s31
	v_cmp_nlt_f32_e64 s31, 0x42b17218, v10
	v_cndmask_b32_e64 v10, 0x7f800000, v43, s31
	v_mul_f32_e32 v43, 0x3fb8aa3b, v36
	v_cmp_ngt_f32_e64 s31, 0xc2ce8ed0, v36
	v_add_f32_e32 v39, v39, v10
	v_fma_f32 v44, 0x3fb8aa3b, v36, -v43
	v_rndne_f32_e32 v45, v43
	v_fmac_f32_e32 v44, 0x32a5705f, v36
	v_sub_f32_e32 v43, v43, v45
	v_add_f32_e32 v43, v43, v44
	v_cvt_i32_f32_e32 v44, v45
	v_exp_f32_e32 v43, v43
	v_ldexp_f32 v43, v43, v44
	v_cndmask_b32_e64 v43, 0, v43, s31
	v_cmp_nlt_f32_e64 s31, 0x42b17218, v36
	v_cndmask_b32_e64 v36, 0x7f800000, v43, s31
	v_cmp_ngt_f32_e64 s31, 0xc2ce8ed0, v37
	v_add_f32_e32 v43, v39, v36
	v_mul_f32_e32 v39, 0x3fb8aa3b, v37
	v_fma_f32 v44, 0x3fb8aa3b, v37, -v39
	v_rndne_f32_e32 v45, v39
	v_fmac_f32_e32 v44, 0x32a5705f, v37
	v_sub_f32_e32 v39, v39, v45
	v_add_f32_e32 v39, v39, v44
	v_cvt_i32_f32_e32 v44, v45
	v_exp_f32_e32 v39, v39
	v_ldexp_f32 v39, v39, v44
	v_cndmask_b32_e64 v39, 0, v39, s31
	v_cmp_nlt_f32_e64 s31, 0x42b17218, v37
	v_sub_f32_e32 v37, v40, v42
	v_cndmask_b32_e64 v39, 0x7f800000, v39, s31
	v_mul_f32_e32 v40, 0x3fb8aa3b, v37
	v_cmp_ngt_f32_e64 s31, 0xc2ce8ed0, v37
	v_add_f32_e32 v43, v43, v39
	v_fma_f32 v44, 0x3fb8aa3b, v37, -v40
	v_rndne_f32_e32 v45, v40
	v_fmac_f32_e32 v44, 0x32a5705f, v37
	v_sub_f32_e32 v40, v40, v45
	v_add_f32_e32 v40, v40, v44
	v_cvt_i32_f32_e32 v44, v45
	v_exp_f32_e32 v40, v40
	v_ldexp_f32 v40, v40, v44
	v_cndmask_b32_e64 v40, 0, v40, s31
	v_cmp_nlt_f32_e64 s31, 0x42b17218, v37
	v_cndmask_b32_e64 v37, 0x7f800000, v40, s31
	v_mul_f32_e32 v40, 0x3fb8aa3b, v24
	v_cmp_ngt_f32_e64 s31, 0xc2ce8ed0, v24
	v_add_f32_e32 v43, v43, v37
	v_fma_f32 v44, 0x3fb8aa3b, v24, -v40
	v_rndne_f32_e32 v45, v40
	v_fmac_f32_e32 v44, 0x32a5705f, v24
	v_sub_f32_e32 v40, v40, v45
	v_add_f32_e32 v40, v40, v44
	v_cvt_i32_f32_e32 v44, v45
	v_exp_f32_e32 v40, v40
	v_ldexp_f32 v40, v40, v44
	v_cndmask_b32_e64 v40, 0, v40, s31
	v_cmp_nlt_f32_e64 s31, 0x42b17218, v24
	v_mul_f32_e32 v24, 0x3fb8aa3b, v22
	v_cndmask_b32_e64 v40, 0x7f800000, v40, s31
	v_fma_f32 v44, 0x3fb8aa3b, v22, -v24
	v_rndne_f32_e32 v45, v24
	v_cmp_ngt_f32_e64 s31, 0xc2ce8ed0, v22
	v_add_f32_e32 v43, v43, v40
	v_fmac_f32_e32 v44, 0x32a5705f, v22
	v_sub_f32_e32 v24, v24, v45
	v_add_f32_e32 v24, v24, v44
	v_cvt_i32_f32_e32 v44, v45
	v_exp_f32_e32 v24, v24
	v_ldexp_f32 v24, v24, v44
	v_cndmask_b32_e64 v24, 0, v24, s31
	v_cmp_nlt_f32_e64 s31, 0x42b17218, v22
	v_mul_f32_e32 v22, 0x3fb8aa3b, v14
	v_cndmask_b32_e64 v24, 0x7f800000, v24, s31
	v_fma_f32 v44, 0x3fb8aa3b, v14, -v22
	v_rndne_f32_e32 v45, v22
	v_cmp_ngt_f32_e64 s31, 0xc2ce8ed0, v14
	v_add_f32_e32 v43, v43, v24
	v_fmac_f32_e32 v44, 0x32a5705f, v14
	v_sub_f32_e32 v22, v22, v45
	v_add_f32_e32 v22, v22, v44
	v_cvt_i32_f32_e32 v44, v45
	v_exp_f32_e32 v22, v22
	v_ldexp_f32 v22, v22, v44
	v_cndmask_b32_e64 v22, 0, v22, s31
	v_cmp_nlt_f32_e64 s31, 0x42b17218, v14
	v_sub_f32_e32 v14, v16, v42
	v_mul_f32_e32 v42, 0x3fb8aa3b, v11
	v_cndmask_b32_e64 v22, 0x7f800000, v22, s31
	v_mul_f32_e32 v16, 0x3fb8aa3b, v14
	v_cmp_ngt_f32_e64 s31, 0xc2ce8ed0, v14
	v_add_f32_e32 v43, v43, v22
	v_fma_f32 v44, 0x3fb8aa3b, v14, -v16
	v_rndne_f32_e32 v45, v16
	v_fmac_f32_e32 v44, 0x32a5705f, v14
	v_sub_f32_e32 v16, v16, v45
	v_add_f32_e32 v16, v16, v44
	v_cvt_i32_f32_e32 v44, v45
	v_exp_f32_e32 v16, v16
	v_ldexp_f32 v16, v16, v44
	v_rndne_f32_e32 v44, v42
	v_cndmask_b32_e64 v16, 0, v16, s31
	v_cmp_nlt_f32_e64 s31, 0x42b17218, v14
	v_cndmask_b32_e64 v14, 0x7f800000, v16, s31
	v_cmp_ngt_f32_e64 s31, 0xc2ce8ed0, v11
	v_add_f32_e32 v16, v43, v14
	v_fma_f32 v43, 0x3fb8aa3b, v11, -v42
	v_sub_f32_e32 v42, v42, v44
	v_fmac_f32_e32 v43, 0x32a5705f, v11
	v_add_f32_e32 v42, v42, v43
	v_cvt_i32_f32_e32 v43, v44
	v_exp_f32_e32 v42, v42
	v_ldexp_f32 v42, v42, v43
	v_cndmask_b32_e64 v42, 0, v42, s31
	v_cmp_nlt_f32_e64 s31, 0x42b17218, v11
	v_cndmask_b32_e64 v11, 0x7f800000, v42, s31
	v_add_f32_e32 v16, v16, v11
	ds_bpermute_b32 v0, v0, v16
	s_waitcnt lgkmcnt(0)
	v_add_f32_e32 v0, v16, v0
	ds_bpermute_b32 v16, v27, v0
	s_waitcnt lgkmcnt(0)
	v_add_f32_e32 v0, v0, v16
	ds_bpermute_b32 v16, v31, v0
	s_waitcnt lgkmcnt(0)
	v_add_f32_e32 v0, v0, v16
	ds_bpermute_b32 v16, v34, v0
	s_waitcnt lgkmcnt(0)
	v_add_f32_e32 v0, v0, v16
	ds_bpermute_b32 v16, v38, v0
	s_waitcnt lgkmcnt(0)
	v_add_f32_e32 v0, v0, v16
	ds_bpermute_b32 v16, v41, v0
	v_cmpx_lt_i32_e32 0, v5
	s_cbranch_execz .LBB428_162
; %bb.65:
	s_and_b32 exec_lo, exec_lo, vcc_lo
	s_cbranch_execz .LBB428_162
; %bb.66:
	s_waitcnt lgkmcnt(0)
	v_add_f32_e32 v5, v0, v16
	v_mov_b32_e32 v16, 0x7e00
	v_cmp_neq_f32_e64 s31, 0, v5
	s_and_saveexec_b32 s33, s31
	s_cbranch_execz .LBB428_68
; %bb.67:
	v_div_scale_f32 v0, null, v5, v5, v33
	v_rcp_f32_e32 v16, v0
	v_fma_f32 v27, -v0, v16, 1.0
	v_fmac_f32_e32 v16, v27, v16
	v_div_scale_f32 v27, vcc_lo, v33, v5, v33
	v_mul_f32_e32 v31, v27, v16
	v_fma_f32 v34, -v0, v31, v27
	v_fmac_f32_e32 v31, v34, v16
	v_fma_f32 v0, -v0, v31, v27
	v_div_fmas_f32 v0, v0, v16, v31
	v_div_fixup_f32 v0, v0, v5, v33
	v_cvt_f16_f32_e32 v16, v0
.LBB428_68:
	s_or_b32 exec_lo, exec_lo, s33
	v_add_co_u32 v0, vcc_lo, s36, v1
	v_add_co_ci_u32_e64 v1, null, s37, v2, vcc_lo
	global_store_short v[0:1], v16, off
	s_and_b32 exec_lo, exec_lo, s30
	s_cbranch_execz .LBB428_162
; %bb.69:
	v_mov_b32_e32 v2, 0x7e00
	s_and_saveexec_b32 s30, s31
	s_cbranch_execz .LBB428_71
; %bb.70:
	v_div_scale_f32 v2, null, v5, v5, v30
	v_rcp_f32_e32 v16, v2
	v_fma_f32 v27, -v2, v16, 1.0
	v_fmac_f32_e32 v16, v27, v16
	v_div_scale_f32 v27, vcc_lo, v30, v5, v30
	v_mul_f32_e32 v31, v27, v16
	v_fma_f32 v33, -v2, v31, v27
	v_fmac_f32_e32 v31, v33, v16
	v_fma_f32 v2, -v2, v31, v27
	v_div_fmas_f32 v2, v2, v16, v31
	v_div_fixup_f32 v2, v2, v5, v30
	v_cvt_f16_f32_e32 v2, v2
.LBB428_71:
	s_or_b32 exec_lo, exec_lo, s30
	global_store_short v[0:1], v2, off offset:128
	s_and_b32 exec_lo, exec_lo, s29
	s_cbranch_execz .LBB428_162
; %bb.72:
	v_mov_b32_e32 v2, 0x7e00
	s_and_saveexec_b32 s29, s31
	s_cbranch_execz .LBB428_74
; %bb.73:
	v_div_scale_f32 v2, null, v5, v5, v28
	v_rcp_f32_e32 v16, v2
	v_fma_f32 v27, -v2, v16, 1.0
	v_fmac_f32_e32 v16, v27, v16
	v_div_scale_f32 v27, vcc_lo, v28, v5, v28
	v_mul_f32_e32 v30, v27, v16
	v_fma_f32 v31, -v2, v30, v27
	v_fmac_f32_e32 v30, v31, v16
	v_fma_f32 v2, -v2, v30, v27
	v_div_fmas_f32 v2, v2, v16, v30
	v_div_fixup_f32 v2, v2, v5, v28
	v_cvt_f16_f32_e32 v2, v2
.LBB428_74:
	s_or_b32 exec_lo, exec_lo, s29
	global_store_short v[0:1], v2, off offset:256
	;; [unrolled: 22-line block ×15, first 2 shown]
	s_and_b32 exec_lo, exec_lo, s15
	s_cbranch_execz .LBB428_162
; %bb.114:
	v_mov_b32_e32 v2, 0x7e00
	s_and_saveexec_b32 s15, s31
	s_cbranch_execz .LBB428_116
; %bb.115:
	v_div_scale_f32 v2, null, v5, v5, v12
	v_rcp_f32_e32 v13, v2
	v_fma_f32 v15, -v2, v13, 1.0
	v_fmac_f32_e32 v13, v15, v13
	v_div_scale_f32 v15, vcc_lo, v12, v5, v12
	v_mul_f32_e32 v16, v15, v13
	v_fma_f32 v17, -v2, v16, v15
	v_fmac_f32_e32 v16, v17, v13
	v_fma_f32 v2, -v2, v16, v15
	v_div_fmas_f32 v2, v2, v13, v16
	v_div_fixup_f32 v2, v2, v5, v12
	v_cvt_f16_f32_e32 v2, v2
.LBB428_116:
	s_or_b32 exec_lo, exec_lo, s15
	v_add_co_u32 v0, vcc_lo, 0x800, v0
	v_add_co_ci_u32_e64 v1, null, 0, v1, vcc_lo
	global_store_short v[0:1], v2, off
	s_and_b32 exec_lo, exec_lo, s14
	s_cbranch_execz .LBB428_162
; %bb.117:
	v_mov_b32_e32 v2, 0x7e00
	s_and_saveexec_b32 s14, s31
	s_cbranch_execz .LBB428_119
; %bb.118:
	v_div_scale_f32 v2, null, v5, v5, v9
	v_rcp_f32_e32 v12, v2
	v_fma_f32 v13, -v2, v12, 1.0
	v_fmac_f32_e32 v12, v13, v12
	v_div_scale_f32 v13, vcc_lo, v9, v5, v9
	v_mul_f32_e32 v15, v13, v12
	v_fma_f32 v16, -v2, v15, v13
	v_fmac_f32_e32 v15, v16, v12
	v_fma_f32 v2, -v2, v15, v13
	v_div_fmas_f32 v2, v2, v12, v15
	v_div_fixup_f32 v2, v2, v5, v9
	v_cvt_f16_f32_e32 v2, v2
.LBB428_119:
	s_or_b32 exec_lo, exec_lo, s14
	global_store_short v[0:1], v2, off offset:128
	s_and_b32 exec_lo, exec_lo, s13
	s_cbranch_execz .LBB428_162
; %bb.120:
	v_mov_b32_e32 v2, 0x7e00
	s_and_saveexec_b32 s13, s31
	s_cbranch_execz .LBB428_122
; %bb.121:
	v_div_scale_f32 v2, null, v5, v5, v8
	v_rcp_f32_e32 v9, v2
	v_fma_f32 v12, -v2, v9, 1.0
	v_fmac_f32_e32 v9, v12, v9
	v_div_scale_f32 v12, vcc_lo, v8, v5, v8
	v_mul_f32_e32 v13, v12, v9
	v_fma_f32 v15, -v2, v13, v12
	v_fmac_f32_e32 v13, v15, v9
	v_fma_f32 v2, -v2, v13, v12
	v_div_fmas_f32 v2, v2, v9, v13
	v_div_fixup_f32 v2, v2, v5, v8
	v_cvt_f16_f32_e32 v2, v2
.LBB428_122:
	s_or_b32 exec_lo, exec_lo, s13
	global_store_short v[0:1], v2, off offset:256
	;; [unrolled: 22-line block ×15, first 2 shown]
.LBB428_162:
	s_endpgm
	.section	.rodata,"a",@progbits
	.p2align	6, 0x0
	.amdhsa_kernel _ZN12_GLOBAL__N_120softmax_warp_forwardIN3c104HalfES2_fLi11ELb0ELb0ELi64EEEvPT0_PKT_iiiPKbib
		.amdhsa_group_segment_fixed_size 0
		.amdhsa_private_segment_fixed_size 0
		.amdhsa_kernarg_size 304
		.amdhsa_user_sgpr_count 6
		.amdhsa_user_sgpr_private_segment_buffer 1
		.amdhsa_user_sgpr_dispatch_ptr 0
		.amdhsa_user_sgpr_queue_ptr 0
		.amdhsa_user_sgpr_kernarg_segment_ptr 1
		.amdhsa_user_sgpr_dispatch_id 0
		.amdhsa_user_sgpr_flat_scratch_init 0
		.amdhsa_user_sgpr_private_segment_size 0
		.amdhsa_wavefront_size32 1
		.amdhsa_uses_dynamic_stack 0
		.amdhsa_system_sgpr_private_segment_wavefront_offset 0
		.amdhsa_system_sgpr_workgroup_id_x 1
		.amdhsa_system_sgpr_workgroup_id_y 0
		.amdhsa_system_sgpr_workgroup_id_z 0
		.amdhsa_system_sgpr_workgroup_info 0
		.amdhsa_system_vgpr_workitem_id 1
		.amdhsa_next_free_vgpr 46
		.amdhsa_next_free_sgpr 44
		.amdhsa_reserve_vcc 1
		.amdhsa_reserve_flat_scratch 0
		.amdhsa_float_round_mode_32 0
		.amdhsa_float_round_mode_16_64 0
		.amdhsa_float_denorm_mode_32 3
		.amdhsa_float_denorm_mode_16_64 3
		.amdhsa_dx10_clamp 1
		.amdhsa_ieee_mode 1
		.amdhsa_fp16_overflow 0
		.amdhsa_workgroup_processor_mode 1
		.amdhsa_memory_ordered 1
		.amdhsa_forward_progress 1
		.amdhsa_shared_vgpr_count 0
		.amdhsa_exception_fp_ieee_invalid_op 0
		.amdhsa_exception_fp_denorm_src 0
		.amdhsa_exception_fp_ieee_div_zero 0
		.amdhsa_exception_fp_ieee_overflow 0
		.amdhsa_exception_fp_ieee_underflow 0
		.amdhsa_exception_fp_ieee_inexact 0
		.amdhsa_exception_int_div_zero 0
	.end_amdhsa_kernel
	.section	.text._ZN12_GLOBAL__N_120softmax_warp_forwardIN3c104HalfES2_fLi11ELb0ELb0ELi64EEEvPT0_PKT_iiiPKbib,"axG",@progbits,_ZN12_GLOBAL__N_120softmax_warp_forwardIN3c104HalfES2_fLi11ELb0ELb0ELi64EEEvPT0_PKT_iiiPKbib,comdat
.Lfunc_end428:
	.size	_ZN12_GLOBAL__N_120softmax_warp_forwardIN3c104HalfES2_fLi11ELb0ELb0ELi64EEEvPT0_PKT_iiiPKbib, .Lfunc_end428-_ZN12_GLOBAL__N_120softmax_warp_forwardIN3c104HalfES2_fLi11ELb0ELb0ELi64EEEvPT0_PKT_iiiPKbib
                                        ; -- End function
	.set _ZN12_GLOBAL__N_120softmax_warp_forwardIN3c104HalfES2_fLi11ELb0ELb0ELi64EEEvPT0_PKT_iiiPKbib.num_vgpr, 46
	.set _ZN12_GLOBAL__N_120softmax_warp_forwardIN3c104HalfES2_fLi11ELb0ELb0ELi64EEEvPT0_PKT_iiiPKbib.num_agpr, 0
	.set _ZN12_GLOBAL__N_120softmax_warp_forwardIN3c104HalfES2_fLi11ELb0ELb0ELi64EEEvPT0_PKT_iiiPKbib.numbered_sgpr, 44
	.set _ZN12_GLOBAL__N_120softmax_warp_forwardIN3c104HalfES2_fLi11ELb0ELb0ELi64EEEvPT0_PKT_iiiPKbib.num_named_barrier, 0
	.set _ZN12_GLOBAL__N_120softmax_warp_forwardIN3c104HalfES2_fLi11ELb0ELb0ELi64EEEvPT0_PKT_iiiPKbib.private_seg_size, 0
	.set _ZN12_GLOBAL__N_120softmax_warp_forwardIN3c104HalfES2_fLi11ELb0ELb0ELi64EEEvPT0_PKT_iiiPKbib.uses_vcc, 1
	.set _ZN12_GLOBAL__N_120softmax_warp_forwardIN3c104HalfES2_fLi11ELb0ELb0ELi64EEEvPT0_PKT_iiiPKbib.uses_flat_scratch, 0
	.set _ZN12_GLOBAL__N_120softmax_warp_forwardIN3c104HalfES2_fLi11ELb0ELb0ELi64EEEvPT0_PKT_iiiPKbib.has_dyn_sized_stack, 0
	.set _ZN12_GLOBAL__N_120softmax_warp_forwardIN3c104HalfES2_fLi11ELb0ELb0ELi64EEEvPT0_PKT_iiiPKbib.has_recursion, 0
	.set _ZN12_GLOBAL__N_120softmax_warp_forwardIN3c104HalfES2_fLi11ELb0ELb0ELi64EEEvPT0_PKT_iiiPKbib.has_indirect_call, 0
	.section	.AMDGPU.csdata,"",@progbits
; Kernel info:
; codeLenInByte = 10188
; TotalNumSgprs: 46
; NumVgprs: 46
; ScratchSize: 0
; MemoryBound: 0
; FloatMode: 240
; IeeeMode: 1
; LDSByteSize: 0 bytes/workgroup (compile time only)
; SGPRBlocks: 0
; VGPRBlocks: 5
; NumSGPRsForWavesPerEU: 46
; NumVGPRsForWavesPerEU: 46
; Occupancy: 16
; WaveLimiterHint : 0
; COMPUTE_PGM_RSRC2:SCRATCH_EN: 0
; COMPUTE_PGM_RSRC2:USER_SGPR: 6
; COMPUTE_PGM_RSRC2:TRAP_HANDLER: 0
; COMPUTE_PGM_RSRC2:TGID_X_EN: 1
; COMPUTE_PGM_RSRC2:TGID_Y_EN: 0
; COMPUTE_PGM_RSRC2:TGID_Z_EN: 0
; COMPUTE_PGM_RSRC2:TIDIG_COMP_CNT: 1
	.section	.text._ZN12_GLOBAL__N_120softmax_warp_forwardIN3c104HalfES2_fLi11ELb0ELb0ELi32EEEvPT0_PKT_iiiPKbib,"axG",@progbits,_ZN12_GLOBAL__N_120softmax_warp_forwardIN3c104HalfES2_fLi11ELb0ELb0ELi32EEEvPT0_PKT_iiiPKbib,comdat
	.globl	_ZN12_GLOBAL__N_120softmax_warp_forwardIN3c104HalfES2_fLi11ELb0ELb0ELi32EEEvPT0_PKT_iiiPKbib ; -- Begin function _ZN12_GLOBAL__N_120softmax_warp_forwardIN3c104HalfES2_fLi11ELb0ELb0ELi32EEEvPT0_PKT_iiiPKbib
	.p2align	8
	.type	_ZN12_GLOBAL__N_120softmax_warp_forwardIN3c104HalfES2_fLi11ELb0ELb0ELi32EEEvPT0_PKT_iiiPKbib,@function
_ZN12_GLOBAL__N_120softmax_warp_forwardIN3c104HalfES2_fLi11ELb0ELb0ELi32EEEvPT0_PKT_iiiPKbib: ; @_ZN12_GLOBAL__N_120softmax_warp_forwardIN3c104HalfES2_fLi11ELb0ELb0ELi32EEEvPT0_PKT_iiiPKbib
; %bb.0:
	s_clause 0x1
	s_load_dword s0, s[4:5], 0x3c
	s_load_dwordx8 s[68:75], s[4:5], 0x0
	v_mov_b32_e32 v16, 0xff800000
	v_mov_b32_e32 v14, 0xff800000
	s_waitcnt lgkmcnt(0)
	s_lshr_b32 s0, s0, 16
	v_cmp_gt_i32_e32 vcc_lo, s74, v0
	v_mad_u64_u32 v[1:2], null, s6, s0, v[1:2]
	v_mad_u64_u32 v[2:3], null, v1, s73, v[0:1]
	v_sub_nc_u32_e32 v5, s72, v1
	v_cmp_lt_i32_e64 s64, 0, v5
	v_ashrrev_i32_e32 v3, 31, v2
	s_and_b32 s1, s64, vcc_lo
	v_lshlrev_b64 v[1:2], 1, v[2:3]
	v_add_co_u32 v3, s0, s70, v1
	v_add_co_ci_u32_e64 v4, null, s71, v2, s0
	s_and_saveexec_b32 s0, s1
	s_cbranch_execz .LBB429_2
; %bb.1:
	global_load_ushort v6, v[3:4], off
	s_waitcnt vmcnt(0)
	v_cvt_f32_f16_e32 v14, v6
.LBB429_2:
	s_or_b32 exec_lo, exec_lo, s0
	v_add_nc_u32_e32 v6, 32, v0
	v_cmp_gt_i32_e64 s63, s74, v6
	s_and_b32 s1, s64, s63
	s_and_saveexec_b32 s0, s1
	s_cbranch_execz .LBB429_4
; %bb.3:
	global_load_ushort v6, v[3:4], off offset:64
	s_waitcnt vmcnt(0)
	v_cvt_f32_f16_e32 v16, v6
.LBB429_4:
	s_or_b32 exec_lo, exec_lo, s0
	v_add_nc_u32_e32 v6, 64, v0
	v_mov_b32_e32 v19, 0xff800000
	v_mov_b32_e32 v18, 0xff800000
	v_cmp_gt_i32_e64 s62, s74, v6
	s_and_b32 s1, s64, s62
	s_and_saveexec_b32 s0, s1
	s_cbranch_execz .LBB429_6
; %bb.5:
	global_load_ushort v6, v[3:4], off offset:128
	s_waitcnt vmcnt(0)
	v_cvt_f32_f16_e32 v18, v6
.LBB429_6:
	s_or_b32 exec_lo, exec_lo, s0
	v_add_nc_u32_e32 v6, 0x60, v0
	v_cmp_gt_i32_e64 s61, s74, v6
	s_and_b32 s1, s64, s61
	s_and_saveexec_b32 s0, s1
	s_cbranch_execz .LBB429_8
; %bb.7:
	global_load_ushort v6, v[3:4], off offset:192
	s_waitcnt vmcnt(0)
	v_cvt_f32_f16_e32 v19, v6
.LBB429_8:
	s_or_b32 exec_lo, exec_lo, s0
	v_add_nc_u32_e32 v6, 0x80, v0
	v_mov_b32_e32 v21, 0xff800000
	v_mov_b32_e32 v20, 0xff800000
	v_cmp_gt_i32_e64 s60, s74, v6
	s_and_b32 s1, s64, s60
	s_and_saveexec_b32 s0, s1
	s_cbranch_execz .LBB429_10
; %bb.9:
	global_load_ushort v6, v[3:4], off offset:256
	s_waitcnt vmcnt(0)
	v_cvt_f32_f16_e32 v20, v6
.LBB429_10:
	;; [unrolled: 24-line block ×15, first 2 shown]
	s_or_b32 exec_lo, exec_lo, s0
	v_add_nc_u32_e32 v6, 0x3e0, v0
	v_cmp_gt_i32_e64 s33, s74, v6
	s_and_b32 s1, s64, s33
	s_and_saveexec_b32 s0, s1
	s_cbranch_execz .LBB429_64
; %bb.63:
	global_load_ushort v6, v[3:4], off offset:1984
	s_waitcnt vmcnt(0)
	v_cvt_f32_f16_e32 v64, v6
.LBB429_64:
	s_or_b32 exec_lo, exec_lo, s0
	v_or_b32_e32 v6, 0x400, v0
	v_mov_b32_e32 v66, 0xff800000
	v_mov_b32_e32 v63, 0xff800000
	v_cmp_gt_i32_e64 s31, s74, v6
	s_and_b32 s0, s64, s31
	s_and_saveexec_b32 s1, s0
	s_cbranch_execz .LBB429_66
; %bb.65:
	v_add_co_u32 v6, s0, 0x800, v3
	v_add_co_ci_u32_e64 v7, null, 0, v4, s0
	global_load_ushort v6, v[6:7], off
	s_waitcnt vmcnt(0)
	v_cvt_f32_f16_e32 v63, v6
.LBB429_66:
	s_or_b32 exec_lo, exec_lo, s1
	v_add_nc_u32_e32 v6, 0x420, v0
	v_cmp_gt_i32_e64 s30, s74, v6
	s_and_b32 s0, s64, s30
	s_and_saveexec_b32 s1, s0
	s_cbranch_execz .LBB429_68
; %bb.67:
	v_add_co_u32 v6, s0, 0x800, v3
	v_add_co_ci_u32_e64 v7, null, 0, v4, s0
	global_load_ushort v6, v[6:7], off offset:64
	s_waitcnt vmcnt(0)
	v_cvt_f32_f16_e32 v66, v6
.LBB429_68:
	s_or_b32 exec_lo, exec_lo, s1
	v_add_nc_u32_e32 v6, 0x440, v0
	v_mov_b32_e32 v70, 0xff800000
	v_mov_b32_e32 v65, 0xff800000
	v_cmp_gt_i32_e64 s29, s74, v6
	s_and_b32 s0, s64, s29
	s_and_saveexec_b32 s1, s0
	s_cbranch_execz .LBB429_70
; %bb.69:
	v_add_co_u32 v6, s0, 0x800, v3
	v_add_co_ci_u32_e64 v7, null, 0, v4, s0
	global_load_ushort v6, v[6:7], off offset:128
	s_waitcnt vmcnt(0)
	v_cvt_f32_f16_e32 v65, v6
.LBB429_70:
	s_or_b32 exec_lo, exec_lo, s1
	v_add_nc_u32_e32 v6, 0x460, v0
	v_cmp_gt_i32_e64 s28, s74, v6
	s_and_b32 s0, s64, s28
	s_and_saveexec_b32 s1, s0
	s_cbranch_execz .LBB429_72
; %bb.71:
	v_add_co_u32 v6, s0, 0x800, v3
	v_add_co_ci_u32_e64 v7, null, 0, v4, s0
	global_load_ushort v6, v[6:7], off offset:192
	s_waitcnt vmcnt(0)
	v_cvt_f32_f16_e32 v70, v6
.LBB429_72:
	s_or_b32 exec_lo, exec_lo, s1
	v_add_nc_u32_e32 v6, 0x480, v0
	v_mov_b32_e32 v72, 0xff800000
	v_mov_b32_e32 v69, 0xff800000
	v_cmp_gt_i32_e64 s27, s74, v6
	s_and_b32 s0, s64, s27
	s_and_saveexec_b32 s1, s0
	s_cbranch_execz .LBB429_74
; %bb.73:
	v_add_co_u32 v6, s0, 0x800, v3
	v_add_co_ci_u32_e64 v7, null, 0, v4, s0
	global_load_ushort v6, v[6:7], off offset:256
	s_waitcnt vmcnt(0)
	v_cvt_f32_f16_e32 v69, v6
.LBB429_74:
	;; [unrolled: 28-line block ×15, first 2 shown]
	s_or_b32 exec_lo, exec_lo, s65
	v_add_nc_u32_e32 v0, 0x7e0, v0
	v_cmp_gt_i32_e64 s0, s74, v0
	s_and_b32 s64, s64, s0
	s_and_saveexec_b32 s65, s64
	s_cbranch_execz .LBB429_128
; %bb.127:
	v_add_co_u32 v3, s64, 0x800, v3
	v_add_co_ci_u32_e64 v4, null, 0, v4, s64
	global_load_ushort v0, v[3:4], off offset:1984
	s_waitcnt vmcnt(0)
	v_cvt_f32_f16_e32 v7, v0
.LBB429_128:
	s_or_b32 exec_lo, exec_lo, s65
	v_cmp_gt_f32_e64 s64, v14, v16
	v_mbcnt_lo_u32_b32 v17, -1, 0
	s_mov_b32 s65, exec_lo
	v_cndmask_b32_e64 v0, v16, v14, s64
	v_cmp_gt_f32_e64 s64, v0, v18
	v_cndmask_b32_e64 v0, v18, v0, s64
	v_cmp_gt_f32_e64 s64, v0, v19
	;; [unrolled: 2-line block ×62, first 2 shown]
	v_cndmask_b32_e64 v3, v7, v0, s64
	v_xor_b32_e32 v0, 16, v17
	v_cmp_gt_i32_e64 s64, 32, v0
	v_cndmask_b32_e64 v0, v17, v0, s64
	v_lshlrev_b32_e32 v0, 2, v0
	ds_bpermute_b32 v4, v0, v3
	s_waitcnt lgkmcnt(0)
	v_cmp_lt_f32_e64 s64, v3, v4
	v_cndmask_b32_e64 v4, v3, v4, s64
	v_xor_b32_e32 v3, 8, v17
	v_cmp_gt_i32_e64 s64, 32, v3
	v_cndmask_b32_e64 v3, v17, v3, s64
	v_lshlrev_b32_e32 v3, 2, v3
	ds_bpermute_b32 v6, v3, v4
	s_waitcnt lgkmcnt(0)
	v_cmp_lt_f32_e64 s64, v4, v6
	;; [unrolled: 8-line block ×5, first 2 shown]
	v_cndmask_b32_e64 v53, v53, v73, s64
	v_sub_f32_e32 v14, v14, v53
	v_sub_f32_e32 v16, v16, v53
	;; [unrolled: 1-line block ×5, first 2 shown]
	v_mul_f32_e32 v73, 0x3fb8aa3b, v14
	v_cmp_ngt_f32_e64 s64, 0xc2ce8ed0, v14
	v_sub_f32_e32 v21, v21, v53
	v_sub_f32_e32 v22, v22, v53
	v_sub_f32_e32 v23, v23, v53
	v_fma_f32 v74, 0x3fb8aa3b, v14, -v73
	v_rndne_f32_e32 v75, v73
	v_sub_f32_e32 v24, v24, v53
	v_sub_f32_e32 v25, v25, v53
	;; [unrolled: 1-line block ×3, first 2 shown]
	v_fmac_f32_e32 v74, 0x32a5705f, v14
	v_sub_f32_e32 v73, v73, v75
	v_sub_f32_e32 v27, v27, v53
	;; [unrolled: 1-line block ×5, first 2 shown]
	v_add_f32_e32 v73, v73, v74
	v_cvt_i32_f32_e32 v74, v75
	v_sub_f32_e32 v32, v32, v53
	v_sub_f32_e32 v33, v33, v53
	;; [unrolled: 1-line block ×3, first 2 shown]
	v_exp_f32_e32 v73, v73
	v_sub_f32_e32 v35, v35, v53
	v_sub_f32_e32 v38, v38, v53
	;; [unrolled: 1-line block ×9, first 2 shown]
	v_ldexp_f32 v73, v73, v74
	v_sub_f32_e32 v58, v58, v53
	v_sub_f32_e32 v56, v56, v53
	;; [unrolled: 1-line block ×4, first 2 shown]
	v_cndmask_b32_e64 v73, 0, v73, s64
	v_cmp_nlt_f32_e64 s64, 0x42b17218, v14
	v_sub_f32_e32 v64, v64, v53
	v_sub_f32_e32 v63, v63, v53
	;; [unrolled: 1-line block ×4, first 2 shown]
	v_cndmask_b32_e64 v14, 0x7f800000, v73, s64
	v_mul_f32_e32 v73, 0x3fb8aa3b, v16
	v_cmp_ngt_f32_e64 s64, 0xc2ce8ed0, v16
	v_sub_f32_e32 v70, v70, v53
	v_sub_f32_e32 v69, v69, v53
	;; [unrolled: 1-line block ×3, first 2 shown]
	v_fma_f32 v74, 0x3fb8aa3b, v16, -v73
	v_rndne_f32_e32 v75, v73
	v_sub_f32_e32 v71, v71, v53
	v_sub_f32_e32 v68, v68, v53
	;; [unrolled: 1-line block ×3, first 2 shown]
	v_fmac_f32_e32 v74, 0x32a5705f, v16
	v_sub_f32_e32 v73, v73, v75
	v_sub_f32_e32 v62, v62, v53
	;; [unrolled: 1-line block ×5, first 2 shown]
	v_add_f32_e32 v73, v73, v74
	v_cvt_i32_f32_e32 v74, v75
	v_sub_f32_e32 v51, v51, v53
	v_sub_f32_e32 v50, v50, v53
	;; [unrolled: 1-line block ×3, first 2 shown]
	v_exp_f32_e32 v73, v73
	v_sub_f32_e32 v48, v48, v53
	v_sub_f32_e32 v47, v47, v53
	;; [unrolled: 1-line block ×9, first 2 shown]
	v_ldexp_f32 v73, v73, v74
	v_mul_f32_e32 v74, 0x3fb8aa3b, v18
	v_sub_f32_e32 v13, v13, v53
	v_sub_f32_e32 v12, v12, v53
	;; [unrolled: 1-line block ×3, first 2 shown]
	v_cndmask_b32_e64 v73, 0, v73, s64
	v_fma_f32 v75, 0x3fb8aa3b, v18, -v74
	v_rndne_f32_e32 v76, v74
	v_cmp_nlt_f32_e64 s64, 0x42b17218, v16
	v_sub_f32_e32 v10, v10, v53
	v_sub_f32_e32 v9, v9, v53
	v_fmac_f32_e32 v75, 0x32a5705f, v18
	v_sub_f32_e32 v74, v74, v76
	v_cndmask_b32_e64 v16, 0x7f800000, v73, s64
	v_cmp_ngt_f32_e64 s64, 0xc2ce8ed0, v18
	v_sub_f32_e32 v8, v8, v53
	v_sub_f32_e32 v7, v7, v53
	v_add_f32_e32 v74, v74, v75
	v_cvt_i32_f32_e32 v75, v76
	v_add_f32_e32 v73, v14, v16
	v_mul_f32_e32 v53, 0x3fb8aa3b, v7
	v_exp_f32_e32 v74, v74
	v_ldexp_f32 v74, v74, v75
	v_cndmask_b32_e64 v74, 0, v74, s64
	v_cmp_nlt_f32_e64 s64, 0x42b17218, v18
	v_cndmask_b32_e64 v18, 0x7f800000, v74, s64
	v_mul_f32_e32 v74, 0x3fb8aa3b, v19
	v_cmp_ngt_f32_e64 s64, 0xc2ce8ed0, v19
	v_add_f32_e32 v73, v73, v18
	v_fma_f32 v75, 0x3fb8aa3b, v19, -v74
	v_rndne_f32_e32 v76, v74
	v_fmac_f32_e32 v75, 0x32a5705f, v19
	v_sub_f32_e32 v74, v74, v76
	v_add_f32_e32 v74, v74, v75
	v_cvt_i32_f32_e32 v75, v76
	v_exp_f32_e32 v74, v74
	v_ldexp_f32 v74, v74, v75
	v_cndmask_b32_e64 v74, 0, v74, s64
	v_cmp_nlt_f32_e64 s64, 0x42b17218, v19
	v_cndmask_b32_e64 v19, 0x7f800000, v74, s64
	v_mul_f32_e32 v74, 0x3fb8aa3b, v20
	v_cmp_ngt_f32_e64 s64, 0xc2ce8ed0, v20
	v_add_f32_e32 v73, v73, v19
	v_fma_f32 v75, 0x3fb8aa3b, v20, -v74
	v_rndne_f32_e32 v76, v74
	v_fmac_f32_e32 v75, 0x32a5705f, v20
	v_sub_f32_e32 v74, v74, v76
	v_add_f32_e32 v74, v74, v75
	v_cvt_i32_f32_e32 v75, v76
	v_exp_f32_e32 v74, v74
	v_ldexp_f32 v74, v74, v75
	v_cndmask_b32_e64 v74, 0, v74, s64
	v_cmp_nlt_f32_e64 s64, 0x42b17218, v20
	v_cndmask_b32_e64 v20, 0x7f800000, v74, s64
	v_mul_f32_e32 v74, 0x3fb8aa3b, v21
	v_cmp_ngt_f32_e64 s64, 0xc2ce8ed0, v21
	v_add_f32_e32 v73, v73, v20
	v_fma_f32 v75, 0x3fb8aa3b, v21, -v74
	v_rndne_f32_e32 v76, v74
	v_fmac_f32_e32 v75, 0x32a5705f, v21
	v_sub_f32_e32 v74, v74, v76
	v_add_f32_e32 v74, v74, v75
	v_cvt_i32_f32_e32 v75, v76
	v_exp_f32_e32 v74, v74
	v_ldexp_f32 v74, v74, v75
	v_cndmask_b32_e64 v74, 0, v74, s64
	v_cmp_nlt_f32_e64 s64, 0x42b17218, v21
	v_cndmask_b32_e64 v21, 0x7f800000, v74, s64
	v_mul_f32_e32 v74, 0x3fb8aa3b, v22
	v_cmp_ngt_f32_e64 s64, 0xc2ce8ed0, v22
	v_add_f32_e32 v73, v73, v21
	v_fma_f32 v75, 0x3fb8aa3b, v22, -v74
	v_rndne_f32_e32 v76, v74
	v_fmac_f32_e32 v75, 0x32a5705f, v22
	v_sub_f32_e32 v74, v74, v76
	v_add_f32_e32 v74, v74, v75
	v_cvt_i32_f32_e32 v75, v76
	v_exp_f32_e32 v74, v74
	v_ldexp_f32 v74, v74, v75
	v_cndmask_b32_e64 v74, 0, v74, s64
	v_cmp_nlt_f32_e64 s64, 0x42b17218, v22
	v_cndmask_b32_e64 v22, 0x7f800000, v74, s64
	v_mul_f32_e32 v74, 0x3fb8aa3b, v23
	v_cmp_ngt_f32_e64 s64, 0xc2ce8ed0, v23
	v_add_f32_e32 v73, v73, v22
	v_fma_f32 v75, 0x3fb8aa3b, v23, -v74
	v_rndne_f32_e32 v76, v74
	v_fmac_f32_e32 v75, 0x32a5705f, v23
	v_sub_f32_e32 v74, v74, v76
	v_add_f32_e32 v74, v74, v75
	v_cvt_i32_f32_e32 v75, v76
	v_exp_f32_e32 v74, v74
	v_ldexp_f32 v74, v74, v75
	v_cndmask_b32_e64 v74, 0, v74, s64
	v_cmp_nlt_f32_e64 s64, 0x42b17218, v23
	v_cndmask_b32_e64 v23, 0x7f800000, v74, s64
	v_mul_f32_e32 v74, 0x3fb8aa3b, v24
	v_cmp_ngt_f32_e64 s64, 0xc2ce8ed0, v24
	v_add_f32_e32 v73, v73, v23
	v_fma_f32 v75, 0x3fb8aa3b, v24, -v74
	v_rndne_f32_e32 v76, v74
	v_fmac_f32_e32 v75, 0x32a5705f, v24
	v_sub_f32_e32 v74, v74, v76
	v_add_f32_e32 v74, v74, v75
	v_cvt_i32_f32_e32 v75, v76
	v_exp_f32_e32 v74, v74
	v_ldexp_f32 v74, v74, v75
	v_cndmask_b32_e64 v74, 0, v74, s64
	v_cmp_nlt_f32_e64 s64, 0x42b17218, v24
	v_cndmask_b32_e64 v24, 0x7f800000, v74, s64
	v_mul_f32_e32 v74, 0x3fb8aa3b, v25
	v_cmp_ngt_f32_e64 s64, 0xc2ce8ed0, v25
	v_add_f32_e32 v73, v73, v24
	v_fma_f32 v75, 0x3fb8aa3b, v25, -v74
	v_rndne_f32_e32 v76, v74
	v_fmac_f32_e32 v75, 0x32a5705f, v25
	v_sub_f32_e32 v74, v74, v76
	v_add_f32_e32 v74, v74, v75
	v_cvt_i32_f32_e32 v75, v76
	v_exp_f32_e32 v74, v74
	v_ldexp_f32 v74, v74, v75
	v_cndmask_b32_e64 v74, 0, v74, s64
	v_cmp_nlt_f32_e64 s64, 0x42b17218, v25
	v_cndmask_b32_e64 v25, 0x7f800000, v74, s64
	v_mul_f32_e32 v74, 0x3fb8aa3b, v26
	v_cmp_ngt_f32_e64 s64, 0xc2ce8ed0, v26
	v_add_f32_e32 v73, v73, v25
	v_fma_f32 v75, 0x3fb8aa3b, v26, -v74
	v_rndne_f32_e32 v76, v74
	v_fmac_f32_e32 v75, 0x32a5705f, v26
	v_sub_f32_e32 v74, v74, v76
	v_add_f32_e32 v74, v74, v75
	v_cvt_i32_f32_e32 v75, v76
	v_exp_f32_e32 v74, v74
	v_ldexp_f32 v74, v74, v75
	v_cndmask_b32_e64 v74, 0, v74, s64
	v_cmp_nlt_f32_e64 s64, 0x42b17218, v26
	v_cndmask_b32_e64 v26, 0x7f800000, v74, s64
	v_mul_f32_e32 v74, 0x3fb8aa3b, v27
	v_cmp_ngt_f32_e64 s64, 0xc2ce8ed0, v27
	v_add_f32_e32 v73, v73, v26
	v_fma_f32 v75, 0x3fb8aa3b, v27, -v74
	v_rndne_f32_e32 v76, v74
	v_fmac_f32_e32 v75, 0x32a5705f, v27
	v_sub_f32_e32 v74, v74, v76
	v_add_f32_e32 v74, v74, v75
	v_cvt_i32_f32_e32 v75, v76
	v_exp_f32_e32 v74, v74
	v_ldexp_f32 v74, v74, v75
	v_cndmask_b32_e64 v74, 0, v74, s64
	v_cmp_nlt_f32_e64 s64, 0x42b17218, v27
	v_cndmask_b32_e64 v27, 0x7f800000, v74, s64
	v_mul_f32_e32 v74, 0x3fb8aa3b, v28
	v_cmp_ngt_f32_e64 s64, 0xc2ce8ed0, v28
	v_add_f32_e32 v73, v73, v27
	v_fma_f32 v75, 0x3fb8aa3b, v28, -v74
	v_rndne_f32_e32 v76, v74
	v_fmac_f32_e32 v75, 0x32a5705f, v28
	v_sub_f32_e32 v74, v74, v76
	v_add_f32_e32 v74, v74, v75
	v_cvt_i32_f32_e32 v75, v76
	v_exp_f32_e32 v74, v74
	v_ldexp_f32 v74, v74, v75
	v_cndmask_b32_e64 v74, 0, v74, s64
	v_cmp_nlt_f32_e64 s64, 0x42b17218, v28
	v_cndmask_b32_e64 v28, 0x7f800000, v74, s64
	v_mul_f32_e32 v74, 0x3fb8aa3b, v29
	v_cmp_ngt_f32_e64 s64, 0xc2ce8ed0, v29
	v_add_f32_e32 v73, v73, v28
	v_fma_f32 v75, 0x3fb8aa3b, v29, -v74
	v_rndne_f32_e32 v76, v74
	v_fmac_f32_e32 v75, 0x32a5705f, v29
	v_sub_f32_e32 v74, v74, v76
	v_add_f32_e32 v74, v74, v75
	v_cvt_i32_f32_e32 v75, v76
	v_exp_f32_e32 v74, v74
	v_ldexp_f32 v74, v74, v75
	v_cndmask_b32_e64 v74, 0, v74, s64
	v_cmp_nlt_f32_e64 s64, 0x42b17218, v29
	v_cndmask_b32_e64 v29, 0x7f800000, v74, s64
	v_mul_f32_e32 v74, 0x3fb8aa3b, v31
	v_cmp_ngt_f32_e64 s64, 0xc2ce8ed0, v31
	v_add_f32_e32 v73, v73, v29
	v_fma_f32 v75, 0x3fb8aa3b, v31, -v74
	v_rndne_f32_e32 v76, v74
	v_fmac_f32_e32 v75, 0x32a5705f, v31
	v_sub_f32_e32 v74, v74, v76
	v_add_f32_e32 v74, v74, v75
	v_cvt_i32_f32_e32 v75, v76
	v_exp_f32_e32 v74, v74
	v_ldexp_f32 v74, v74, v75
	v_cndmask_b32_e64 v74, 0, v74, s64
	v_cmp_nlt_f32_e64 s64, 0x42b17218, v31
	v_cndmask_b32_e64 v31, 0x7f800000, v74, s64
	v_mul_f32_e32 v74, 0x3fb8aa3b, v32
	v_cmp_ngt_f32_e64 s64, 0xc2ce8ed0, v32
	v_add_f32_e32 v73, v73, v31
	v_fma_f32 v75, 0x3fb8aa3b, v32, -v74
	v_rndne_f32_e32 v76, v74
	v_fmac_f32_e32 v75, 0x32a5705f, v32
	v_sub_f32_e32 v74, v74, v76
	v_add_f32_e32 v74, v74, v75
	v_cvt_i32_f32_e32 v75, v76
	v_exp_f32_e32 v74, v74
	v_ldexp_f32 v74, v74, v75
	v_cndmask_b32_e64 v74, 0, v74, s64
	v_cmp_nlt_f32_e64 s64, 0x42b17218, v32
	v_cndmask_b32_e64 v32, 0x7f800000, v74, s64
	v_mul_f32_e32 v74, 0x3fb8aa3b, v33
	v_cmp_ngt_f32_e64 s64, 0xc2ce8ed0, v33
	v_add_f32_e32 v73, v73, v32
	v_fma_f32 v75, 0x3fb8aa3b, v33, -v74
	v_rndne_f32_e32 v76, v74
	v_fmac_f32_e32 v75, 0x32a5705f, v33
	v_sub_f32_e32 v74, v74, v76
	v_add_f32_e32 v74, v74, v75
	v_cvt_i32_f32_e32 v75, v76
	v_exp_f32_e32 v74, v74
	v_ldexp_f32 v74, v74, v75
	v_cndmask_b32_e64 v74, 0, v74, s64
	v_cmp_nlt_f32_e64 s64, 0x42b17218, v33
	v_cndmask_b32_e64 v33, 0x7f800000, v74, s64
	v_mul_f32_e32 v74, 0x3fb8aa3b, v34
	v_cmp_ngt_f32_e64 s64, 0xc2ce8ed0, v34
	v_add_f32_e32 v73, v73, v33
	v_fma_f32 v75, 0x3fb8aa3b, v34, -v74
	v_rndne_f32_e32 v76, v74
	v_fmac_f32_e32 v75, 0x32a5705f, v34
	v_sub_f32_e32 v74, v74, v76
	v_add_f32_e32 v74, v74, v75
	v_cvt_i32_f32_e32 v75, v76
	v_exp_f32_e32 v74, v74
	v_ldexp_f32 v74, v74, v75
	v_cndmask_b32_e64 v74, 0, v74, s64
	v_cmp_nlt_f32_e64 s64, 0x42b17218, v34
	v_cndmask_b32_e64 v34, 0x7f800000, v74, s64
	v_mul_f32_e32 v74, 0x3fb8aa3b, v35
	v_cmp_ngt_f32_e64 s64, 0xc2ce8ed0, v35
	v_add_f32_e32 v73, v73, v34
	v_fma_f32 v75, 0x3fb8aa3b, v35, -v74
	v_rndne_f32_e32 v76, v74
	v_fmac_f32_e32 v75, 0x32a5705f, v35
	v_sub_f32_e32 v74, v74, v76
	v_add_f32_e32 v74, v74, v75
	v_cvt_i32_f32_e32 v75, v76
	v_exp_f32_e32 v74, v74
	v_ldexp_f32 v74, v74, v75
	v_cndmask_b32_e64 v74, 0, v74, s64
	v_cmp_nlt_f32_e64 s64, 0x42b17218, v35
	v_cndmask_b32_e64 v35, 0x7f800000, v74, s64
	v_mul_f32_e32 v74, 0x3fb8aa3b, v38
	v_cmp_ngt_f32_e64 s64, 0xc2ce8ed0, v38
	v_add_f32_e32 v73, v73, v35
	v_fma_f32 v75, 0x3fb8aa3b, v38, -v74
	v_rndne_f32_e32 v76, v74
	v_fmac_f32_e32 v75, 0x32a5705f, v38
	v_sub_f32_e32 v74, v74, v76
	v_add_f32_e32 v74, v74, v75
	v_cvt_i32_f32_e32 v75, v76
	v_exp_f32_e32 v74, v74
	v_ldexp_f32 v74, v74, v75
	v_cndmask_b32_e64 v74, 0, v74, s64
	v_cmp_nlt_f32_e64 s64, 0x42b17218, v38
	v_cndmask_b32_e64 v38, 0x7f800000, v74, s64
	v_mul_f32_e32 v74, 0x3fb8aa3b, v39
	v_cmp_ngt_f32_e64 s64, 0xc2ce8ed0, v39
	v_add_f32_e32 v73, v73, v38
	v_fma_f32 v75, 0x3fb8aa3b, v39, -v74
	v_rndne_f32_e32 v76, v74
	v_fmac_f32_e32 v75, 0x32a5705f, v39
	v_sub_f32_e32 v74, v74, v76
	v_add_f32_e32 v74, v74, v75
	v_cvt_i32_f32_e32 v75, v76
	v_exp_f32_e32 v74, v74
	v_ldexp_f32 v74, v74, v75
	v_cndmask_b32_e64 v74, 0, v74, s64
	v_cmp_nlt_f32_e64 s64, 0x42b17218, v39
	v_cndmask_b32_e64 v39, 0x7f800000, v74, s64
	v_mul_f32_e32 v74, 0x3fb8aa3b, v40
	v_cmp_ngt_f32_e64 s64, 0xc2ce8ed0, v40
	v_add_f32_e32 v73, v73, v39
	v_fma_f32 v75, 0x3fb8aa3b, v40, -v74
	v_rndne_f32_e32 v76, v74
	v_fmac_f32_e32 v75, 0x32a5705f, v40
	v_sub_f32_e32 v74, v74, v76
	v_add_f32_e32 v74, v74, v75
	v_cvt_i32_f32_e32 v75, v76
	v_exp_f32_e32 v74, v74
	v_ldexp_f32 v74, v74, v75
	v_cndmask_b32_e64 v74, 0, v74, s64
	v_cmp_nlt_f32_e64 s64, 0x42b17218, v40
	v_cndmask_b32_e64 v40, 0x7f800000, v74, s64
	v_mul_f32_e32 v74, 0x3fb8aa3b, v41
	v_cmp_ngt_f32_e64 s64, 0xc2ce8ed0, v41
	v_add_f32_e32 v73, v73, v40
	v_fma_f32 v75, 0x3fb8aa3b, v41, -v74
	v_rndne_f32_e32 v76, v74
	v_fmac_f32_e32 v75, 0x32a5705f, v41
	v_sub_f32_e32 v74, v74, v76
	v_add_f32_e32 v74, v74, v75
	v_cvt_i32_f32_e32 v75, v76
	v_exp_f32_e32 v74, v74
	v_ldexp_f32 v74, v74, v75
	v_cndmask_b32_e64 v74, 0, v74, s64
	v_cmp_nlt_f32_e64 s64, 0x42b17218, v41
	v_cndmask_b32_e64 v41, 0x7f800000, v74, s64
	v_mul_f32_e32 v74, 0x3fb8aa3b, v43
	v_cmp_ngt_f32_e64 s64, 0xc2ce8ed0, v43
	v_add_f32_e32 v73, v73, v41
	v_fma_f32 v75, 0x3fb8aa3b, v43, -v74
	v_rndne_f32_e32 v76, v74
	v_fmac_f32_e32 v75, 0x32a5705f, v43
	v_sub_f32_e32 v74, v74, v76
	v_add_f32_e32 v74, v74, v75
	v_cvt_i32_f32_e32 v75, v76
	v_exp_f32_e32 v74, v74
	v_ldexp_f32 v74, v74, v75
	v_cndmask_b32_e64 v74, 0, v74, s64
	v_cmp_nlt_f32_e64 s64, 0x42b17218, v43
	v_cndmask_b32_e64 v43, 0x7f800000, v74, s64
	v_mul_f32_e32 v74, 0x3fb8aa3b, v45
	v_cmp_ngt_f32_e64 s64, 0xc2ce8ed0, v45
	v_add_f32_e32 v73, v73, v43
	v_fma_f32 v75, 0x3fb8aa3b, v45, -v74
	v_rndne_f32_e32 v76, v74
	v_fmac_f32_e32 v75, 0x32a5705f, v45
	v_sub_f32_e32 v74, v74, v76
	v_add_f32_e32 v74, v74, v75
	v_cvt_i32_f32_e32 v75, v76
	v_exp_f32_e32 v74, v74
	v_ldexp_f32 v74, v74, v75
	v_cndmask_b32_e64 v74, 0, v74, s64
	v_cmp_nlt_f32_e64 s64, 0x42b17218, v45
	v_cndmask_b32_e64 v45, 0x7f800000, v74, s64
	v_mul_f32_e32 v74, 0x3fb8aa3b, v55
	v_cmp_ngt_f32_e64 s64, 0xc2ce8ed0, v55
	v_add_f32_e32 v73, v73, v45
	v_fma_f32 v75, 0x3fb8aa3b, v55, -v74
	v_rndne_f32_e32 v76, v74
	v_fmac_f32_e32 v75, 0x32a5705f, v55
	v_sub_f32_e32 v74, v74, v76
	v_add_f32_e32 v74, v74, v75
	v_cvt_i32_f32_e32 v75, v76
	v_exp_f32_e32 v74, v74
	v_ldexp_f32 v74, v74, v75
	v_cndmask_b32_e64 v74, 0, v74, s64
	v_cmp_nlt_f32_e64 s64, 0x42b17218, v55
	v_cndmask_b32_e64 v55, 0x7f800000, v74, s64
	v_mul_f32_e32 v74, 0x3fb8aa3b, v54
	v_cmp_ngt_f32_e64 s64, 0xc2ce8ed0, v54
	v_add_f32_e32 v73, v73, v55
	v_fma_f32 v75, 0x3fb8aa3b, v54, -v74
	v_rndne_f32_e32 v76, v74
	v_fmac_f32_e32 v75, 0x32a5705f, v54
	v_sub_f32_e32 v74, v74, v76
	v_add_f32_e32 v74, v74, v75
	v_cvt_i32_f32_e32 v75, v76
	v_exp_f32_e32 v74, v74
	v_ldexp_f32 v74, v74, v75
	v_cndmask_b32_e64 v74, 0, v74, s64
	v_cmp_nlt_f32_e64 s64, 0x42b17218, v54
	v_cndmask_b32_e64 v54, 0x7f800000, v74, s64
	v_mul_f32_e32 v74, 0x3fb8aa3b, v58
	v_cmp_ngt_f32_e64 s64, 0xc2ce8ed0, v58
	v_add_f32_e32 v73, v73, v54
	v_fma_f32 v75, 0x3fb8aa3b, v58, -v74
	v_rndne_f32_e32 v76, v74
	v_fmac_f32_e32 v75, 0x32a5705f, v58
	v_sub_f32_e32 v74, v74, v76
	v_add_f32_e32 v74, v74, v75
	v_cvt_i32_f32_e32 v75, v76
	v_exp_f32_e32 v74, v74
	v_ldexp_f32 v74, v74, v75
	v_cndmask_b32_e64 v74, 0, v74, s64
	v_cmp_nlt_f32_e64 s64, 0x42b17218, v58
	v_cndmask_b32_e64 v58, 0x7f800000, v74, s64
	v_mul_f32_e32 v74, 0x3fb8aa3b, v56
	v_cmp_ngt_f32_e64 s64, 0xc2ce8ed0, v56
	v_add_f32_e32 v73, v73, v58
	v_fma_f32 v75, 0x3fb8aa3b, v56, -v74
	v_rndne_f32_e32 v76, v74
	v_fmac_f32_e32 v75, 0x32a5705f, v56
	v_sub_f32_e32 v74, v74, v76
	v_add_f32_e32 v74, v74, v75
	v_cvt_i32_f32_e32 v75, v76
	v_exp_f32_e32 v74, v74
	v_ldexp_f32 v74, v74, v75
	v_cndmask_b32_e64 v74, 0, v74, s64
	v_cmp_nlt_f32_e64 s64, 0x42b17218, v56
	v_cndmask_b32_e64 v56, 0x7f800000, v74, s64
	v_mul_f32_e32 v74, 0x3fb8aa3b, v60
	v_cmp_ngt_f32_e64 s64, 0xc2ce8ed0, v60
	v_add_f32_e32 v73, v73, v56
	v_fma_f32 v75, 0x3fb8aa3b, v60, -v74
	v_rndne_f32_e32 v76, v74
	v_fmac_f32_e32 v75, 0x32a5705f, v60
	v_sub_f32_e32 v74, v74, v76
	v_add_f32_e32 v74, v74, v75
	v_cvt_i32_f32_e32 v75, v76
	v_exp_f32_e32 v74, v74
	v_ldexp_f32 v74, v74, v75
	v_cndmask_b32_e64 v74, 0, v74, s64
	v_cmp_nlt_f32_e64 s64, 0x42b17218, v60
	v_cndmask_b32_e64 v60, 0x7f800000, v74, s64
	v_mul_f32_e32 v74, 0x3fb8aa3b, v59
	v_cmp_ngt_f32_e64 s64, 0xc2ce8ed0, v59
	v_add_f32_e32 v73, v73, v60
	v_fma_f32 v75, 0x3fb8aa3b, v59, -v74
	v_rndne_f32_e32 v76, v74
	v_fmac_f32_e32 v75, 0x32a5705f, v59
	v_sub_f32_e32 v74, v74, v76
	v_add_f32_e32 v74, v74, v75
	v_cvt_i32_f32_e32 v75, v76
	v_exp_f32_e32 v74, v74
	v_ldexp_f32 v74, v74, v75
	v_cndmask_b32_e64 v74, 0, v74, s64
	v_cmp_nlt_f32_e64 s64, 0x42b17218, v59
	v_cndmask_b32_e64 v59, 0x7f800000, v74, s64
	v_mul_f32_e32 v74, 0x3fb8aa3b, v64
	v_cmp_ngt_f32_e64 s64, 0xc2ce8ed0, v64
	v_add_f32_e32 v73, v73, v59
	v_fma_f32 v75, 0x3fb8aa3b, v64, -v74
	v_rndne_f32_e32 v76, v74
	v_fmac_f32_e32 v75, 0x32a5705f, v64
	v_sub_f32_e32 v74, v74, v76
	v_add_f32_e32 v74, v74, v75
	v_cvt_i32_f32_e32 v75, v76
	v_exp_f32_e32 v74, v74
	v_ldexp_f32 v74, v74, v75
	v_cndmask_b32_e64 v74, 0, v74, s64
	v_cmp_nlt_f32_e64 s64, 0x42b17218, v64
	v_cndmask_b32_e64 v64, 0x7f800000, v74, s64
	v_mul_f32_e32 v74, 0x3fb8aa3b, v63
	v_cmp_ngt_f32_e64 s64, 0xc2ce8ed0, v63
	v_add_f32_e32 v73, v73, v64
	v_fma_f32 v75, 0x3fb8aa3b, v63, -v74
	v_rndne_f32_e32 v76, v74
	v_fmac_f32_e32 v75, 0x32a5705f, v63
	v_sub_f32_e32 v74, v74, v76
	v_add_f32_e32 v74, v74, v75
	v_cvt_i32_f32_e32 v75, v76
	v_exp_f32_e32 v74, v74
	v_ldexp_f32 v74, v74, v75
	v_cndmask_b32_e64 v74, 0, v74, s64
	v_cmp_nlt_f32_e64 s64, 0x42b17218, v63
	v_cndmask_b32_e64 v63, 0x7f800000, v74, s64
	v_mul_f32_e32 v74, 0x3fb8aa3b, v66
	v_cmp_ngt_f32_e64 s64, 0xc2ce8ed0, v66
	v_add_f32_e32 v73, v73, v63
	v_fma_f32 v75, 0x3fb8aa3b, v66, -v74
	v_rndne_f32_e32 v76, v74
	v_fmac_f32_e32 v75, 0x32a5705f, v66
	v_sub_f32_e32 v74, v74, v76
	v_add_f32_e32 v74, v74, v75
	v_cvt_i32_f32_e32 v75, v76
	v_exp_f32_e32 v74, v74
	v_ldexp_f32 v74, v74, v75
	v_cndmask_b32_e64 v74, 0, v74, s64
	v_cmp_nlt_f32_e64 s64, 0x42b17218, v66
	v_cndmask_b32_e64 v66, 0x7f800000, v74, s64
	v_mul_f32_e32 v74, 0x3fb8aa3b, v65
	v_cmp_ngt_f32_e64 s64, 0xc2ce8ed0, v65
	v_add_f32_e32 v73, v73, v66
	v_fma_f32 v75, 0x3fb8aa3b, v65, -v74
	v_rndne_f32_e32 v76, v74
	v_fmac_f32_e32 v75, 0x32a5705f, v65
	v_sub_f32_e32 v74, v74, v76
	v_add_f32_e32 v74, v74, v75
	v_cvt_i32_f32_e32 v75, v76
	v_exp_f32_e32 v74, v74
	v_ldexp_f32 v74, v74, v75
	v_cndmask_b32_e64 v74, 0, v74, s64
	v_cmp_nlt_f32_e64 s64, 0x42b17218, v65
	v_cndmask_b32_e64 v65, 0x7f800000, v74, s64
	v_mul_f32_e32 v74, 0x3fb8aa3b, v70
	v_cmp_ngt_f32_e64 s64, 0xc2ce8ed0, v70
	v_add_f32_e32 v73, v73, v65
	v_fma_f32 v75, 0x3fb8aa3b, v70, -v74
	v_rndne_f32_e32 v76, v74
	v_fmac_f32_e32 v75, 0x32a5705f, v70
	v_sub_f32_e32 v74, v74, v76
	v_add_f32_e32 v74, v74, v75
	v_cvt_i32_f32_e32 v75, v76
	v_exp_f32_e32 v74, v74
	v_ldexp_f32 v74, v74, v75
	v_cndmask_b32_e64 v74, 0, v74, s64
	v_cmp_nlt_f32_e64 s64, 0x42b17218, v70
	v_cndmask_b32_e64 v70, 0x7f800000, v74, s64
	v_mul_f32_e32 v74, 0x3fb8aa3b, v69
	v_cmp_ngt_f32_e64 s64, 0xc2ce8ed0, v69
	v_add_f32_e32 v73, v73, v70
	v_fma_f32 v75, 0x3fb8aa3b, v69, -v74
	v_rndne_f32_e32 v76, v74
	v_fmac_f32_e32 v75, 0x32a5705f, v69
	v_sub_f32_e32 v74, v74, v76
	v_add_f32_e32 v74, v74, v75
	v_cvt_i32_f32_e32 v75, v76
	v_exp_f32_e32 v74, v74
	v_ldexp_f32 v74, v74, v75
	v_cndmask_b32_e64 v74, 0, v74, s64
	v_cmp_nlt_f32_e64 s64, 0x42b17218, v69
	v_cndmask_b32_e64 v69, 0x7f800000, v74, s64
	v_mul_f32_e32 v74, 0x3fb8aa3b, v72
	v_cmp_ngt_f32_e64 s64, 0xc2ce8ed0, v72
	v_add_f32_e32 v73, v73, v69
	v_fma_f32 v75, 0x3fb8aa3b, v72, -v74
	v_rndne_f32_e32 v76, v74
	v_fmac_f32_e32 v75, 0x32a5705f, v72
	v_sub_f32_e32 v74, v74, v76
	v_add_f32_e32 v74, v74, v75
	v_cvt_i32_f32_e32 v75, v76
	v_exp_f32_e32 v74, v74
	v_ldexp_f32 v74, v74, v75
	v_cndmask_b32_e64 v74, 0, v74, s64
	v_cmp_nlt_f32_e64 s64, 0x42b17218, v72
	v_cndmask_b32_e64 v72, 0x7f800000, v74, s64
	v_mul_f32_e32 v74, 0x3fb8aa3b, v71
	v_cmp_ngt_f32_e64 s64, 0xc2ce8ed0, v71
	v_add_f32_e32 v73, v73, v72
	v_fma_f32 v75, 0x3fb8aa3b, v71, -v74
	v_rndne_f32_e32 v76, v74
	v_fmac_f32_e32 v75, 0x32a5705f, v71
	v_sub_f32_e32 v74, v74, v76
	v_add_f32_e32 v74, v74, v75
	v_cvt_i32_f32_e32 v75, v76
	v_exp_f32_e32 v74, v74
	v_ldexp_f32 v74, v74, v75
	v_cndmask_b32_e64 v74, 0, v74, s64
	v_cmp_nlt_f32_e64 s64, 0x42b17218, v71
	v_cndmask_b32_e64 v71, 0x7f800000, v74, s64
	v_mul_f32_e32 v74, 0x3fb8aa3b, v68
	v_cmp_ngt_f32_e64 s64, 0xc2ce8ed0, v68
	v_add_f32_e32 v73, v73, v71
	v_fma_f32 v75, 0x3fb8aa3b, v68, -v74
	v_rndne_f32_e32 v76, v74
	v_fmac_f32_e32 v75, 0x32a5705f, v68
	v_sub_f32_e32 v74, v74, v76
	v_add_f32_e32 v74, v74, v75
	v_cvt_i32_f32_e32 v75, v76
	v_exp_f32_e32 v74, v74
	v_ldexp_f32 v74, v74, v75
	v_cndmask_b32_e64 v74, 0, v74, s64
	v_cmp_nlt_f32_e64 s64, 0x42b17218, v68
	v_cndmask_b32_e64 v68, 0x7f800000, v74, s64
	v_mul_f32_e32 v74, 0x3fb8aa3b, v67
	v_cmp_ngt_f32_e64 s64, 0xc2ce8ed0, v67
	v_add_f32_e32 v73, v73, v68
	v_fma_f32 v75, 0x3fb8aa3b, v67, -v74
	v_rndne_f32_e32 v76, v74
	v_fmac_f32_e32 v75, 0x32a5705f, v67
	v_sub_f32_e32 v74, v74, v76
	v_add_f32_e32 v74, v74, v75
	v_cvt_i32_f32_e32 v75, v76
	v_exp_f32_e32 v74, v74
	v_ldexp_f32 v74, v74, v75
	v_cndmask_b32_e64 v74, 0, v74, s64
	v_cmp_nlt_f32_e64 s64, 0x42b17218, v67
	v_cndmask_b32_e64 v67, 0x7f800000, v74, s64
	v_mul_f32_e32 v74, 0x3fb8aa3b, v62
	v_cmp_ngt_f32_e64 s64, 0xc2ce8ed0, v62
	v_add_f32_e32 v73, v73, v67
	v_fma_f32 v75, 0x3fb8aa3b, v62, -v74
	v_rndne_f32_e32 v76, v74
	v_fmac_f32_e32 v75, 0x32a5705f, v62
	v_sub_f32_e32 v74, v74, v76
	v_add_f32_e32 v74, v74, v75
	v_cvt_i32_f32_e32 v75, v76
	v_exp_f32_e32 v74, v74
	v_ldexp_f32 v74, v74, v75
	v_cndmask_b32_e64 v74, 0, v74, s64
	v_cmp_nlt_f32_e64 s64, 0x42b17218, v62
	v_cndmask_b32_e64 v62, 0x7f800000, v74, s64
	v_mul_f32_e32 v74, 0x3fb8aa3b, v61
	v_cmp_ngt_f32_e64 s64, 0xc2ce8ed0, v61
	v_add_f32_e32 v73, v73, v62
	v_fma_f32 v75, 0x3fb8aa3b, v61, -v74
	v_rndne_f32_e32 v76, v74
	v_fmac_f32_e32 v75, 0x32a5705f, v61
	v_sub_f32_e32 v74, v74, v76
	v_add_f32_e32 v74, v74, v75
	v_cvt_i32_f32_e32 v75, v76
	v_exp_f32_e32 v74, v74
	v_ldexp_f32 v74, v74, v75
	v_cndmask_b32_e64 v74, 0, v74, s64
	v_cmp_nlt_f32_e64 s64, 0x42b17218, v61
	v_cndmask_b32_e64 v61, 0x7f800000, v74, s64
	v_mul_f32_e32 v74, 0x3fb8aa3b, v57
	v_cmp_ngt_f32_e64 s64, 0xc2ce8ed0, v57
	v_add_f32_e32 v73, v73, v61
	v_fma_f32 v75, 0x3fb8aa3b, v57, -v74
	v_rndne_f32_e32 v76, v74
	v_fmac_f32_e32 v75, 0x32a5705f, v57
	v_sub_f32_e32 v74, v74, v76
	v_add_f32_e32 v74, v74, v75
	v_cvt_i32_f32_e32 v75, v76
	v_exp_f32_e32 v74, v74
	v_ldexp_f32 v74, v74, v75
	v_cndmask_b32_e64 v74, 0, v74, s64
	v_cmp_nlt_f32_e64 s64, 0x42b17218, v57
	v_cndmask_b32_e64 v57, 0x7f800000, v74, s64
	v_mul_f32_e32 v74, 0x3fb8aa3b, v52
	v_cmp_ngt_f32_e64 s64, 0xc2ce8ed0, v52
	v_add_f32_e32 v73, v73, v57
	v_fma_f32 v75, 0x3fb8aa3b, v52, -v74
	v_rndne_f32_e32 v76, v74
	v_fmac_f32_e32 v75, 0x32a5705f, v52
	v_sub_f32_e32 v74, v74, v76
	v_add_f32_e32 v74, v74, v75
	v_cvt_i32_f32_e32 v75, v76
	v_exp_f32_e32 v74, v74
	v_ldexp_f32 v74, v74, v75
	v_cndmask_b32_e64 v74, 0, v74, s64
	v_cmp_nlt_f32_e64 s64, 0x42b17218, v52
	v_cndmask_b32_e64 v52, 0x7f800000, v74, s64
	v_mul_f32_e32 v74, 0x3fb8aa3b, v51
	v_cmp_ngt_f32_e64 s64, 0xc2ce8ed0, v51
	v_add_f32_e32 v73, v73, v52
	v_fma_f32 v75, 0x3fb8aa3b, v51, -v74
	v_rndne_f32_e32 v76, v74
	v_fmac_f32_e32 v75, 0x32a5705f, v51
	v_sub_f32_e32 v74, v74, v76
	v_add_f32_e32 v74, v74, v75
	v_cvt_i32_f32_e32 v75, v76
	v_exp_f32_e32 v74, v74
	v_ldexp_f32 v74, v74, v75
	v_cndmask_b32_e64 v74, 0, v74, s64
	v_cmp_nlt_f32_e64 s64, 0x42b17218, v51
	v_cndmask_b32_e64 v51, 0x7f800000, v74, s64
	v_mul_f32_e32 v74, 0x3fb8aa3b, v50
	v_cmp_ngt_f32_e64 s64, 0xc2ce8ed0, v50
	v_add_f32_e32 v73, v73, v51
	v_fma_f32 v75, 0x3fb8aa3b, v50, -v74
	v_rndne_f32_e32 v76, v74
	v_fmac_f32_e32 v75, 0x32a5705f, v50
	v_sub_f32_e32 v74, v74, v76
	v_add_f32_e32 v74, v74, v75
	v_cvt_i32_f32_e32 v75, v76
	v_exp_f32_e32 v74, v74
	v_ldexp_f32 v74, v74, v75
	v_cndmask_b32_e64 v74, 0, v74, s64
	v_cmp_nlt_f32_e64 s64, 0x42b17218, v50
	v_cndmask_b32_e64 v50, 0x7f800000, v74, s64
	v_mul_f32_e32 v74, 0x3fb8aa3b, v49
	v_cmp_ngt_f32_e64 s64, 0xc2ce8ed0, v49
	v_add_f32_e32 v73, v73, v50
	v_fma_f32 v75, 0x3fb8aa3b, v49, -v74
	v_rndne_f32_e32 v76, v74
	v_fmac_f32_e32 v75, 0x32a5705f, v49
	v_sub_f32_e32 v74, v74, v76
	v_add_f32_e32 v74, v74, v75
	v_cvt_i32_f32_e32 v75, v76
	v_exp_f32_e32 v74, v74
	v_ldexp_f32 v74, v74, v75
	v_cndmask_b32_e64 v74, 0, v74, s64
	v_cmp_nlt_f32_e64 s64, 0x42b17218, v49
	v_cndmask_b32_e64 v49, 0x7f800000, v74, s64
	v_mul_f32_e32 v74, 0x3fb8aa3b, v48
	v_cmp_ngt_f32_e64 s64, 0xc2ce8ed0, v48
	v_add_f32_e32 v73, v73, v49
	v_fma_f32 v75, 0x3fb8aa3b, v48, -v74
	v_rndne_f32_e32 v76, v74
	v_fmac_f32_e32 v75, 0x32a5705f, v48
	v_sub_f32_e32 v74, v74, v76
	v_add_f32_e32 v74, v74, v75
	v_cvt_i32_f32_e32 v75, v76
	v_exp_f32_e32 v74, v74
	v_ldexp_f32 v74, v74, v75
	v_cndmask_b32_e64 v74, 0, v74, s64
	v_cmp_nlt_f32_e64 s64, 0x42b17218, v48
	v_cndmask_b32_e64 v48, 0x7f800000, v74, s64
	v_mul_f32_e32 v74, 0x3fb8aa3b, v47
	v_cmp_ngt_f32_e64 s64, 0xc2ce8ed0, v47
	v_add_f32_e32 v73, v73, v48
	v_fma_f32 v75, 0x3fb8aa3b, v47, -v74
	v_rndne_f32_e32 v76, v74
	v_fmac_f32_e32 v75, 0x32a5705f, v47
	v_sub_f32_e32 v74, v74, v76
	v_add_f32_e32 v74, v74, v75
	v_cvt_i32_f32_e32 v75, v76
	v_exp_f32_e32 v74, v74
	v_ldexp_f32 v74, v74, v75
	v_cndmask_b32_e64 v74, 0, v74, s64
	v_cmp_nlt_f32_e64 s64, 0x42b17218, v47
	v_cndmask_b32_e64 v47, 0x7f800000, v74, s64
	v_mul_f32_e32 v74, 0x3fb8aa3b, v46
	v_cmp_ngt_f32_e64 s64, 0xc2ce8ed0, v46
	v_add_f32_e32 v73, v73, v47
	v_fma_f32 v75, 0x3fb8aa3b, v46, -v74
	v_rndne_f32_e32 v76, v74
	v_fmac_f32_e32 v75, 0x32a5705f, v46
	v_sub_f32_e32 v74, v74, v76
	v_add_f32_e32 v74, v74, v75
	v_cvt_i32_f32_e32 v75, v76
	v_exp_f32_e32 v74, v74
	v_ldexp_f32 v74, v74, v75
	v_cndmask_b32_e64 v74, 0, v74, s64
	v_cmp_nlt_f32_e64 s64, 0x42b17218, v46
	v_cndmask_b32_e64 v46, 0x7f800000, v74, s64
	v_mul_f32_e32 v74, 0x3fb8aa3b, v44
	v_cmp_ngt_f32_e64 s64, 0xc2ce8ed0, v44
	v_add_f32_e32 v73, v73, v46
	v_fma_f32 v75, 0x3fb8aa3b, v44, -v74
	v_rndne_f32_e32 v76, v74
	v_fmac_f32_e32 v75, 0x32a5705f, v44
	v_sub_f32_e32 v74, v74, v76
	v_add_f32_e32 v74, v74, v75
	v_cvt_i32_f32_e32 v75, v76
	v_exp_f32_e32 v74, v74
	v_ldexp_f32 v74, v74, v75
	v_cndmask_b32_e64 v74, 0, v74, s64
	v_cmp_nlt_f32_e64 s64, 0x42b17218, v44
	v_cndmask_b32_e64 v44, 0x7f800000, v74, s64
	v_mul_f32_e32 v74, 0x3fb8aa3b, v42
	v_cmp_ngt_f32_e64 s64, 0xc2ce8ed0, v42
	v_add_f32_e32 v73, v73, v44
	v_fma_f32 v75, 0x3fb8aa3b, v42, -v74
	v_rndne_f32_e32 v76, v74
	v_fmac_f32_e32 v75, 0x32a5705f, v42
	v_sub_f32_e32 v74, v74, v76
	v_add_f32_e32 v74, v74, v75
	v_cvt_i32_f32_e32 v75, v76
	v_exp_f32_e32 v74, v74
	v_ldexp_f32 v74, v74, v75
	v_cndmask_b32_e64 v74, 0, v74, s64
	v_cmp_nlt_f32_e64 s64, 0x42b17218, v42
	v_cndmask_b32_e64 v42, 0x7f800000, v74, s64
	v_mul_f32_e32 v74, 0x3fb8aa3b, v37
	v_cmp_ngt_f32_e64 s64, 0xc2ce8ed0, v37
	v_add_f32_e32 v73, v73, v42
	v_fma_f32 v75, 0x3fb8aa3b, v37, -v74
	v_rndne_f32_e32 v76, v74
	v_fmac_f32_e32 v75, 0x32a5705f, v37
	v_sub_f32_e32 v74, v74, v76
	v_add_f32_e32 v74, v74, v75
	v_cvt_i32_f32_e32 v75, v76
	v_exp_f32_e32 v74, v74
	v_ldexp_f32 v74, v74, v75
	v_cndmask_b32_e64 v74, 0, v74, s64
	v_cmp_nlt_f32_e64 s64, 0x42b17218, v37
	v_cndmask_b32_e64 v37, 0x7f800000, v74, s64
	v_mul_f32_e32 v74, 0x3fb8aa3b, v36
	v_cmp_ngt_f32_e64 s64, 0xc2ce8ed0, v36
	v_add_f32_e32 v73, v73, v37
	v_fma_f32 v75, 0x3fb8aa3b, v36, -v74
	v_rndne_f32_e32 v76, v74
	v_fmac_f32_e32 v75, 0x32a5705f, v36
	v_sub_f32_e32 v74, v74, v76
	v_add_f32_e32 v74, v74, v75
	v_cvt_i32_f32_e32 v75, v76
	v_exp_f32_e32 v74, v74
	v_ldexp_f32 v74, v74, v75
	v_cndmask_b32_e64 v74, 0, v74, s64
	v_cmp_nlt_f32_e64 s64, 0x42b17218, v36
	v_cndmask_b32_e64 v36, 0x7f800000, v74, s64
	v_mul_f32_e32 v74, 0x3fb8aa3b, v30
	v_cmp_ngt_f32_e64 s64, 0xc2ce8ed0, v30
	v_add_f32_e32 v73, v73, v36
	v_fma_f32 v75, 0x3fb8aa3b, v30, -v74
	v_rndne_f32_e32 v76, v74
	v_fmac_f32_e32 v75, 0x32a5705f, v30
	v_sub_f32_e32 v74, v74, v76
	v_add_f32_e32 v74, v74, v75
	v_cvt_i32_f32_e32 v75, v76
	v_exp_f32_e32 v74, v74
	v_ldexp_f32 v74, v74, v75
	v_cndmask_b32_e64 v74, 0, v74, s64
	v_cmp_nlt_f32_e64 s64, 0x42b17218, v30
	v_cndmask_b32_e64 v30, 0x7f800000, v74, s64
	v_mul_f32_e32 v74, 0x3fb8aa3b, v15
	v_cmp_ngt_f32_e64 s64, 0xc2ce8ed0, v15
	v_add_f32_e32 v73, v73, v30
	v_fma_f32 v75, 0x3fb8aa3b, v15, -v74
	v_rndne_f32_e32 v76, v74
	v_fmac_f32_e32 v75, 0x32a5705f, v15
	v_sub_f32_e32 v74, v74, v76
	v_add_f32_e32 v74, v74, v75
	v_cvt_i32_f32_e32 v75, v76
	v_exp_f32_e32 v74, v74
	v_ldexp_f32 v74, v74, v75
	v_cndmask_b32_e64 v74, 0, v74, s64
	v_cmp_nlt_f32_e64 s64, 0x42b17218, v15
	v_cndmask_b32_e64 v15, 0x7f800000, v74, s64
	v_mul_f32_e32 v74, 0x3fb8aa3b, v13
	v_cmp_ngt_f32_e64 s64, 0xc2ce8ed0, v13
	v_add_f32_e32 v73, v73, v15
	v_fma_f32 v75, 0x3fb8aa3b, v13, -v74
	v_rndne_f32_e32 v76, v74
	v_fmac_f32_e32 v75, 0x32a5705f, v13
	v_sub_f32_e32 v74, v74, v76
	v_add_f32_e32 v74, v74, v75
	v_cvt_i32_f32_e32 v75, v76
	v_exp_f32_e32 v74, v74
	v_ldexp_f32 v74, v74, v75
	v_cndmask_b32_e64 v74, 0, v74, s64
	v_cmp_nlt_f32_e64 s64, 0x42b17218, v13
	v_cndmask_b32_e64 v13, 0x7f800000, v74, s64
	v_mul_f32_e32 v74, 0x3fb8aa3b, v12
	v_cmp_ngt_f32_e64 s64, 0xc2ce8ed0, v12
	v_add_f32_e32 v73, v73, v13
	v_fma_f32 v75, 0x3fb8aa3b, v12, -v74
	v_rndne_f32_e32 v76, v74
	v_fmac_f32_e32 v75, 0x32a5705f, v12
	v_sub_f32_e32 v74, v74, v76
	v_add_f32_e32 v74, v74, v75
	v_cvt_i32_f32_e32 v75, v76
	v_exp_f32_e32 v74, v74
	v_ldexp_f32 v74, v74, v75
	v_cndmask_b32_e64 v74, 0, v74, s64
	v_cmp_nlt_f32_e64 s64, 0x42b17218, v12
	v_cndmask_b32_e64 v12, 0x7f800000, v74, s64
	v_mul_f32_e32 v74, 0x3fb8aa3b, v11
	v_cmp_ngt_f32_e64 s64, 0xc2ce8ed0, v11
	v_add_f32_e32 v73, v73, v12
	v_fma_f32 v75, 0x3fb8aa3b, v11, -v74
	v_rndne_f32_e32 v76, v74
	v_fmac_f32_e32 v75, 0x32a5705f, v11
	v_sub_f32_e32 v74, v74, v76
	v_add_f32_e32 v74, v74, v75
	v_cvt_i32_f32_e32 v75, v76
	v_exp_f32_e32 v74, v74
	v_ldexp_f32 v74, v74, v75
	v_cndmask_b32_e64 v74, 0, v74, s64
	v_cmp_nlt_f32_e64 s64, 0x42b17218, v11
	v_cndmask_b32_e64 v11, 0x7f800000, v74, s64
	v_mul_f32_e32 v74, 0x3fb8aa3b, v10
	v_cmp_ngt_f32_e64 s64, 0xc2ce8ed0, v10
	v_add_f32_e32 v73, v73, v11
	v_fma_f32 v75, 0x3fb8aa3b, v10, -v74
	v_rndne_f32_e32 v76, v74
	v_fmac_f32_e32 v75, 0x32a5705f, v10
	v_sub_f32_e32 v74, v74, v76
	v_add_f32_e32 v74, v74, v75
	v_cvt_i32_f32_e32 v75, v76
	v_exp_f32_e32 v74, v74
	v_ldexp_f32 v74, v74, v75
	v_cndmask_b32_e64 v74, 0, v74, s64
	v_cmp_nlt_f32_e64 s64, 0x42b17218, v10
	v_cndmask_b32_e64 v10, 0x7f800000, v74, s64
	v_mul_f32_e32 v74, 0x3fb8aa3b, v9
	v_cmp_ngt_f32_e64 s64, 0xc2ce8ed0, v9
	v_add_f32_e32 v73, v73, v10
	v_fma_f32 v75, 0x3fb8aa3b, v9, -v74
	v_rndne_f32_e32 v76, v74
	v_fmac_f32_e32 v75, 0x32a5705f, v9
	v_sub_f32_e32 v74, v74, v76
	v_add_f32_e32 v74, v74, v75
	v_cvt_i32_f32_e32 v75, v76
	v_exp_f32_e32 v74, v74
	v_ldexp_f32 v74, v74, v75
	v_cndmask_b32_e64 v74, 0, v74, s64
	v_cmp_nlt_f32_e64 s64, 0x42b17218, v9
	v_cndmask_b32_e64 v9, 0x7f800000, v74, s64
	v_mul_f32_e32 v74, 0x3fb8aa3b, v8
	v_cmp_ngt_f32_e64 s64, 0xc2ce8ed0, v8
	v_add_f32_e32 v73, v73, v9
	v_fma_f32 v75, 0x3fb8aa3b, v8, -v74
	v_rndne_f32_e32 v76, v74
	v_fmac_f32_e32 v75, 0x32a5705f, v8
	v_sub_f32_e32 v74, v74, v76
	v_add_f32_e32 v74, v74, v75
	v_cvt_i32_f32_e32 v75, v76
	v_exp_f32_e32 v74, v74
	v_ldexp_f32 v74, v74, v75
	v_rndne_f32_e32 v75, v53
	v_cndmask_b32_e64 v74, 0, v74, s64
	v_cmp_nlt_f32_e64 s64, 0x42b17218, v8
	v_cndmask_b32_e64 v8, 0x7f800000, v74, s64
	v_fma_f32 v74, 0x3fb8aa3b, v7, -v53
	v_sub_f32_e32 v53, v53, v75
	v_cmp_ngt_f32_e64 s64, 0xc2ce8ed0, v7
	v_add_f32_e32 v73, v73, v8
	v_fmac_f32_e32 v74, 0x32a5705f, v7
	v_add_f32_e32 v53, v53, v74
	v_cvt_i32_f32_e32 v74, v75
	v_exp_f32_e32 v53, v53
	v_ldexp_f32 v53, v53, v74
	v_cndmask_b32_e64 v53, 0, v53, s64
	v_cmp_nlt_f32_e64 s64, 0x42b17218, v7
	v_cndmask_b32_e64 v7, 0x7f800000, v53, s64
	v_add_f32_e32 v53, v73, v7
	ds_bpermute_b32 v0, v0, v53
	s_waitcnt lgkmcnt(0)
	v_add_f32_e32 v0, v53, v0
	ds_bpermute_b32 v3, v3, v0
	s_waitcnt lgkmcnt(0)
	;; [unrolled: 3-line block ×4, first 2 shown]
	v_add_f32_e32 v0, v0, v3
	ds_bpermute_b32 v3, v17, v0
	v_cmpx_lt_i32_e32 0, v5
	s_cbranch_execz .LBB429_322
; %bb.129:
	s_and_b32 exec_lo, exec_lo, vcc_lo
	s_cbranch_execz .LBB429_322
; %bb.130:
	s_waitcnt lgkmcnt(0)
	v_add_f32_e32 v3, v0, v3
	v_mov_b32_e32 v4, 0x7e00
	v_cmp_neq_f32_e64 s64, 0, v3
	s_and_saveexec_b32 s65, s64
	s_cbranch_execz .LBB429_132
; %bb.131:
	v_div_scale_f32 v0, null, v3, v3, v14
	v_rcp_f32_e32 v4, v0
	v_fma_f32 v5, -v0, v4, 1.0
	v_fmac_f32_e32 v4, v5, v4
	v_div_scale_f32 v5, vcc_lo, v14, v3, v14
	v_mul_f32_e32 v6, v5, v4
	v_fma_f32 v17, -v0, v6, v5
	v_fmac_f32_e32 v6, v17, v4
	v_fma_f32 v0, -v0, v6, v5
	v_div_fmas_f32 v0, v0, v4, v6
	v_div_fixup_f32 v0, v0, v3, v14
	v_cvt_f16_f32_e32 v4, v0
.LBB429_132:
	s_or_b32 exec_lo, exec_lo, s65
	v_add_co_u32 v0, vcc_lo, s68, v1
	v_add_co_ci_u32_e64 v1, null, s69, v2, vcc_lo
	global_store_short v[0:1], v4, off
	s_and_b32 exec_lo, exec_lo, s63
	s_cbranch_execz .LBB429_322
; %bb.133:
	v_mov_b32_e32 v2, 0x7e00
	s_and_saveexec_b32 s63, s64
	s_cbranch_execz .LBB429_135
; %bb.134:
	v_div_scale_f32 v2, null, v3, v3, v16
	v_rcp_f32_e32 v4, v2
	v_fma_f32 v5, -v2, v4, 1.0
	v_fmac_f32_e32 v4, v5, v4
	v_div_scale_f32 v5, vcc_lo, v16, v3, v16
	v_mul_f32_e32 v6, v5, v4
	v_fma_f32 v14, -v2, v6, v5
	v_fmac_f32_e32 v6, v14, v4
	v_fma_f32 v2, -v2, v6, v5
	v_div_fmas_f32 v2, v2, v4, v6
	v_div_fixup_f32 v2, v2, v3, v16
	v_cvt_f16_f32_e32 v2, v2
.LBB429_135:
	s_or_b32 exec_lo, exec_lo, s63
	global_store_short v[0:1], v2, off offset:64
	s_and_b32 exec_lo, exec_lo, s62
	s_cbranch_execz .LBB429_322
; %bb.136:
	v_mov_b32_e32 v2, 0x7e00
	s_and_saveexec_b32 s62, s64
	s_cbranch_execz .LBB429_138
; %bb.137:
	v_div_scale_f32 v2, null, v3, v3, v18
	v_rcp_f32_e32 v4, v2
	v_fma_f32 v5, -v2, v4, 1.0
	v_fmac_f32_e32 v4, v5, v4
	v_div_scale_f32 v5, vcc_lo, v18, v3, v18
	v_mul_f32_e32 v6, v5, v4
	v_fma_f32 v14, -v2, v6, v5
	v_fmac_f32_e32 v6, v14, v4
	v_fma_f32 v2, -v2, v6, v5
	v_div_fmas_f32 v2, v2, v4, v6
	v_div_fixup_f32 v2, v2, v3, v18
	v_cvt_f16_f32_e32 v2, v2
.LBB429_138:
	s_or_b32 exec_lo, exec_lo, s62
	global_store_short v[0:1], v2, off offset:128
	;; [unrolled: 22-line block ×31, first 2 shown]
	s_and_b32 exec_lo, exec_lo, s31
	s_cbranch_execz .LBB429_322
; %bb.226:
	v_mov_b32_e32 v2, 0x7e00
	s_and_saveexec_b32 s31, s64
	s_cbranch_execz .LBB429_228
; %bb.227:
	v_div_scale_f32 v2, null, v3, v3, v63
	v_rcp_f32_e32 v4, v2
	v_fma_f32 v5, -v2, v4, 1.0
	v_fmac_f32_e32 v4, v5, v4
	v_div_scale_f32 v5, vcc_lo, v63, v3, v63
	v_mul_f32_e32 v6, v5, v4
	v_fma_f32 v14, -v2, v6, v5
	v_fmac_f32_e32 v6, v14, v4
	v_fma_f32 v2, -v2, v6, v5
	v_div_fmas_f32 v2, v2, v4, v6
	v_div_fixup_f32 v2, v2, v3, v63
	v_cvt_f16_f32_e32 v2, v2
.LBB429_228:
	s_or_b32 exec_lo, exec_lo, s31
	v_add_co_u32 v0, vcc_lo, 0x800, v0
	v_add_co_ci_u32_e64 v1, null, 0, v1, vcc_lo
	global_store_short v[0:1], v2, off
	s_and_b32 exec_lo, exec_lo, s30
	s_cbranch_execz .LBB429_322
; %bb.229:
	v_mov_b32_e32 v2, 0x7e00
	s_and_saveexec_b32 s30, s64
	s_cbranch_execz .LBB429_231
; %bb.230:
	v_div_scale_f32 v2, null, v3, v3, v66
	v_rcp_f32_e32 v4, v2
	v_fma_f32 v5, -v2, v4, 1.0
	v_fmac_f32_e32 v4, v5, v4
	v_div_scale_f32 v5, vcc_lo, v66, v3, v66
	v_mul_f32_e32 v6, v5, v4
	v_fma_f32 v14, -v2, v6, v5
	v_fmac_f32_e32 v6, v14, v4
	v_fma_f32 v2, -v2, v6, v5
	v_div_fmas_f32 v2, v2, v4, v6
	v_div_fixup_f32 v2, v2, v3, v66
	v_cvt_f16_f32_e32 v2, v2
.LBB429_231:
	s_or_b32 exec_lo, exec_lo, s30
	global_store_short v[0:1], v2, off offset:64
	s_and_b32 exec_lo, exec_lo, s29
	s_cbranch_execz .LBB429_322
; %bb.232:
	v_mov_b32_e32 v2, 0x7e00
	s_and_saveexec_b32 s29, s64
	s_cbranch_execz .LBB429_234
; %bb.233:
	v_div_scale_f32 v2, null, v3, v3, v65
	v_rcp_f32_e32 v4, v2
	v_fma_f32 v5, -v2, v4, 1.0
	v_fmac_f32_e32 v4, v5, v4
	v_div_scale_f32 v5, vcc_lo, v65, v3, v65
	v_mul_f32_e32 v6, v5, v4
	v_fma_f32 v14, -v2, v6, v5
	v_fmac_f32_e32 v6, v14, v4
	v_fma_f32 v2, -v2, v6, v5
	v_div_fmas_f32 v2, v2, v4, v6
	v_div_fixup_f32 v2, v2, v3, v65
	v_cvt_f16_f32_e32 v2, v2
.LBB429_234:
	s_or_b32 exec_lo, exec_lo, s29
	global_store_short v[0:1], v2, off offset:128
	;; [unrolled: 22-line block ×31, first 2 shown]
.LBB429_322:
	s_endpgm
	.section	.rodata,"a",@progbits
	.p2align	6, 0x0
	.amdhsa_kernel _ZN12_GLOBAL__N_120softmax_warp_forwardIN3c104HalfES2_fLi11ELb0ELb0ELi32EEEvPT0_PKT_iiiPKbib
		.amdhsa_group_segment_fixed_size 0
		.amdhsa_private_segment_fixed_size 0
		.amdhsa_kernarg_size 304
		.amdhsa_user_sgpr_count 6
		.amdhsa_user_sgpr_private_segment_buffer 1
		.amdhsa_user_sgpr_dispatch_ptr 0
		.amdhsa_user_sgpr_queue_ptr 0
		.amdhsa_user_sgpr_kernarg_segment_ptr 1
		.amdhsa_user_sgpr_dispatch_id 0
		.amdhsa_user_sgpr_flat_scratch_init 0
		.amdhsa_user_sgpr_private_segment_size 0
		.amdhsa_wavefront_size32 1
		.amdhsa_uses_dynamic_stack 0
		.amdhsa_system_sgpr_private_segment_wavefront_offset 0
		.amdhsa_system_sgpr_workgroup_id_x 1
		.amdhsa_system_sgpr_workgroup_id_y 0
		.amdhsa_system_sgpr_workgroup_id_z 0
		.amdhsa_system_sgpr_workgroup_info 0
		.amdhsa_system_vgpr_workitem_id 1
		.amdhsa_next_free_vgpr 77
		.amdhsa_next_free_sgpr 76
		.amdhsa_reserve_vcc 1
		.amdhsa_reserve_flat_scratch 0
		.amdhsa_float_round_mode_32 0
		.amdhsa_float_round_mode_16_64 0
		.amdhsa_float_denorm_mode_32 3
		.amdhsa_float_denorm_mode_16_64 3
		.amdhsa_dx10_clamp 1
		.amdhsa_ieee_mode 1
		.amdhsa_fp16_overflow 0
		.amdhsa_workgroup_processor_mode 1
		.amdhsa_memory_ordered 1
		.amdhsa_forward_progress 1
		.amdhsa_shared_vgpr_count 0
		.amdhsa_exception_fp_ieee_invalid_op 0
		.amdhsa_exception_fp_denorm_src 0
		.amdhsa_exception_fp_ieee_div_zero 0
		.amdhsa_exception_fp_ieee_overflow 0
		.amdhsa_exception_fp_ieee_underflow 0
		.amdhsa_exception_fp_ieee_inexact 0
		.amdhsa_exception_int_div_zero 0
	.end_amdhsa_kernel
	.section	.text._ZN12_GLOBAL__N_120softmax_warp_forwardIN3c104HalfES2_fLi11ELb0ELb0ELi32EEEvPT0_PKT_iiiPKbib,"axG",@progbits,_ZN12_GLOBAL__N_120softmax_warp_forwardIN3c104HalfES2_fLi11ELb0ELb0ELi32EEEvPT0_PKT_iiiPKbib,comdat
.Lfunc_end429:
	.size	_ZN12_GLOBAL__N_120softmax_warp_forwardIN3c104HalfES2_fLi11ELb0ELb0ELi32EEEvPT0_PKT_iiiPKbib, .Lfunc_end429-_ZN12_GLOBAL__N_120softmax_warp_forwardIN3c104HalfES2_fLi11ELb0ELb0ELi32EEEvPT0_PKT_iiiPKbib
                                        ; -- End function
	.set _ZN12_GLOBAL__N_120softmax_warp_forwardIN3c104HalfES2_fLi11ELb0ELb0ELi32EEEvPT0_PKT_iiiPKbib.num_vgpr, 77
	.set _ZN12_GLOBAL__N_120softmax_warp_forwardIN3c104HalfES2_fLi11ELb0ELb0ELi32EEEvPT0_PKT_iiiPKbib.num_agpr, 0
	.set _ZN12_GLOBAL__N_120softmax_warp_forwardIN3c104HalfES2_fLi11ELb0ELb0ELi32EEEvPT0_PKT_iiiPKbib.numbered_sgpr, 76
	.set _ZN12_GLOBAL__N_120softmax_warp_forwardIN3c104HalfES2_fLi11ELb0ELb0ELi32EEEvPT0_PKT_iiiPKbib.num_named_barrier, 0
	.set _ZN12_GLOBAL__N_120softmax_warp_forwardIN3c104HalfES2_fLi11ELb0ELb0ELi32EEEvPT0_PKT_iiiPKbib.private_seg_size, 0
	.set _ZN12_GLOBAL__N_120softmax_warp_forwardIN3c104HalfES2_fLi11ELb0ELb0ELi32EEEvPT0_PKT_iiiPKbib.uses_vcc, 1
	.set _ZN12_GLOBAL__N_120softmax_warp_forwardIN3c104HalfES2_fLi11ELb0ELb0ELi32EEEvPT0_PKT_iiiPKbib.uses_flat_scratch, 0
	.set _ZN12_GLOBAL__N_120softmax_warp_forwardIN3c104HalfES2_fLi11ELb0ELb0ELi32EEEvPT0_PKT_iiiPKbib.has_dyn_sized_stack, 0
	.set _ZN12_GLOBAL__N_120softmax_warp_forwardIN3c104HalfES2_fLi11ELb0ELb0ELi32EEEvPT0_PKT_iiiPKbib.has_recursion, 0
	.set _ZN12_GLOBAL__N_120softmax_warp_forwardIN3c104HalfES2_fLi11ELb0ELb0ELi32EEEvPT0_PKT_iiiPKbib.has_indirect_call, 0
	.section	.AMDGPU.csdata,"",@progbits
; Kernel info:
; codeLenInByte = 19780
; TotalNumSgprs: 78
; NumVgprs: 77
; ScratchSize: 0
; MemoryBound: 0
; FloatMode: 240
; IeeeMode: 1
; LDSByteSize: 0 bytes/workgroup (compile time only)
; SGPRBlocks: 0
; VGPRBlocks: 9
; NumSGPRsForWavesPerEU: 78
; NumVGPRsForWavesPerEU: 77
; Occupancy: 12
; WaveLimiterHint : 0
; COMPUTE_PGM_RSRC2:SCRATCH_EN: 0
; COMPUTE_PGM_RSRC2:USER_SGPR: 6
; COMPUTE_PGM_RSRC2:TRAP_HANDLER: 0
; COMPUTE_PGM_RSRC2:TGID_X_EN: 1
; COMPUTE_PGM_RSRC2:TGID_Y_EN: 0
; COMPUTE_PGM_RSRC2:TGID_Z_EN: 0
; COMPUTE_PGM_RSRC2:TIDIG_COMP_CNT: 1
	.section	.text._ZN2at6native12_GLOBAL__N_123cunn_SoftMaxForwardGmemILi8EN3c104HalfEfS4_NS1_29SoftMaxForwardWithMulEpilogueElEEvPT2_PKT0_T4_,"axG",@progbits,_ZN2at6native12_GLOBAL__N_123cunn_SoftMaxForwardGmemILi8EN3c104HalfEfS4_NS1_29SoftMaxForwardWithMulEpilogueElEEvPT2_PKT0_T4_,comdat
	.globl	_ZN2at6native12_GLOBAL__N_123cunn_SoftMaxForwardGmemILi8EN3c104HalfEfS4_NS1_29SoftMaxForwardWithMulEpilogueElEEvPT2_PKT0_T4_ ; -- Begin function _ZN2at6native12_GLOBAL__N_123cunn_SoftMaxForwardGmemILi8EN3c104HalfEfS4_NS1_29SoftMaxForwardWithMulEpilogueElEEvPT2_PKT0_T4_
	.p2align	8
	.type	_ZN2at6native12_GLOBAL__N_123cunn_SoftMaxForwardGmemILi8EN3c104HalfEfS4_NS1_29SoftMaxForwardWithMulEpilogueElEEvPT2_PKT0_T4_,@function
_ZN2at6native12_GLOBAL__N_123cunn_SoftMaxForwardGmemILi8EN3c104HalfEfS4_NS1_29SoftMaxForwardWithMulEpilogueElEEvPT2_PKT0_T4_: ; @_ZN2at6native12_GLOBAL__N_123cunn_SoftMaxForwardGmemILi8EN3c104HalfEfS4_NS1_29SoftMaxForwardWithMulEpilogueElEEvPT2_PKT0_T4_
; %bb.0:
	s_clause 0x1
	s_load_dwordx2 s[12:13], s[4:5], 0x10
	s_load_dwordx4 s[8:11], s[4:5], 0x0
	v_mov_b32_e32 v1, 0
	v_lshlrev_b32_e32 v2, 3, v0
	v_mov_b32_e32 v7, 0xff7fffff
	v_lshlrev_b32_e32 v6, 4, v0
	v_mov_b32_e32 v3, v1
	s_waitcnt lgkmcnt(0)
	v_cmp_gt_i64_e64 s0, s[12:13], v[2:3]
	s_mul_i32 s1, s13, s6
	s_mul_hi_u32 s2, s12, s6
	s_mul_i32 s6, s12, s6
	s_add_i32 s7, s2, s1
	s_and_saveexec_b32 s2, s0
	s_cbranch_execz .LBB430_4
; %bb.1:
	s_load_dword s1, s[4:5], 0x24
	s_lshl_b64 s[14:15], s[6:7], 1
	v_mov_b32_e32 v5, v1
	v_mov_b32_e32 v7, 0xff7fffff
	;; [unrolled: 1-line block ×3, first 2 shown]
	s_waitcnt lgkmcnt(0)
	s_and_b32 s3, s1, 0xffff
	s_add_u32 s1, s10, s14
	s_addc_u32 s14, s11, s15
	v_add_co_u32 v2, s1, s1, v6
	v_add_co_ci_u32_e64 v3, null, s14, 0, s1
	s_mov_b32 s14, 0
	v_add_co_u32 v2, vcc_lo, v2, 14
	v_add_co_ci_u32_e64 v3, null, 0, v3, vcc_lo
	s_lshl_b32 s15, s3, 4
	s_inst_prefetch 0x1
	.p2align	6
.LBB430_2:                              ; =>This Inner Loop Header: Depth=1
	global_load_dwordx4 v[8:11], v[2:3], off offset:-14
	v_add_co_u32 v4, vcc_lo, v4, s3
	v_add_co_ci_u32_e64 v5, null, 0, v5, vcc_lo
	v_add_co_u32 v2, s1, v2, s15
	v_add_co_ci_u32_e64 v3, null, 0, v3, s1
	s_waitcnt vmcnt(0)
	v_cvt_f32_f16_e32 v12, v8
	v_cvt_f32_f16_sdwa v8, v8 dst_sel:DWORD dst_unused:UNUSED_PAD src0_sel:WORD_1
	v_cvt_f32_f16_e32 v13, v9
	v_cvt_f32_f16_sdwa v9, v9 dst_sel:DWORD dst_unused:UNUSED_PAD src0_sel:WORD_1
	;; [unrolled: 2-line block ×3, first 2 shown]
	v_max3_f32 v12, v7, v12, v8
	v_lshlrev_b64 v[7:8], 3, v[4:5]
	v_max3_f32 v9, v12, v13, v9
	v_cmp_le_i64_e32 vcc_lo, s[12:13], v[7:8]
	v_cvt_f32_f16_e32 v7, v11
	v_cvt_f32_f16_sdwa v8, v11 dst_sel:DWORD dst_unused:UNUSED_PAD src0_sel:WORD_1
	v_max3_f32 v9, v9, v14, v10
	s_or_b32 s14, vcc_lo, s14
	v_max3_f32 v7, v9, v7, v8
	s_andn2_b32 exec_lo, exec_lo, s14
	s_cbranch_execnz .LBB430_2
; %bb.3:
	s_inst_prefetch 0x2
	s_or_b32 exec_lo, exec_lo, s14
.LBB430_4:
	s_or_b32 exec_lo, exec_lo, s2
	v_mbcnt_lo_u32_b32 v2, -1, 0
	v_lshrrev_b32_e32 v13, 3, v0
	s_barrier
	buffer_gl0_inv
	v_lshl_or_b32 v8, v2, 2, 64
	v_cmp_gt_u32_e32 vcc_lo, 24, v2
	ds_bpermute_b32 v3, v8, v7
	v_cndmask_b32_e64 v4, 0, 8, vcc_lo
	v_add_lshl_u32 v9, v4, v2, 2
	s_waitcnt lgkmcnt(0)
	v_cmp_lt_f32_e32 vcc_lo, v7, v3
	v_cndmask_b32_e32 v3, v7, v3, vcc_lo
	v_cmp_gt_u32_e32 vcc_lo, 28, v2
	ds_bpermute_b32 v4, v9, v3
	v_cndmask_b32_e64 v5, 0, 4, vcc_lo
	v_add_lshl_u32 v10, v5, v2, 2
	s_waitcnt lgkmcnt(0)
	v_cmp_lt_f32_e32 vcc_lo, v3, v4
	v_cndmask_b32_e32 v3, v3, v4, vcc_lo
	;; [unrolled: 7-line block ×3, first 2 shown]
	v_cmp_ne_u32_e32 vcc_lo, 31, v2
	ds_bpermute_b32 v4, v11, v3
	v_add_co_ci_u32_e64 v5, null, 0, v2, vcc_lo
	v_lshlrev_b32_e32 v12, 2, v5
	s_waitcnt lgkmcnt(0)
	v_cmp_lt_f32_e32 vcc_lo, v3, v4
	v_cndmask_b32_e32 v2, v3, v4, vcc_lo
	v_and_b32_e32 v3, 31, v0
	ds_bpermute_b32 v4, v12, v2
	v_cmp_eq_u32_e32 vcc_lo, 0, v3
	s_and_saveexec_b32 s2, vcc_lo
	s_cbranch_execz .LBB430_6
; %bb.5:
	s_waitcnt lgkmcnt(0)
	v_cmp_lt_f32_e64 s1, v2, v4
	v_add_nc_u32_e32 v5, 0, v13
	v_cndmask_b32_e64 v2, v2, v4, s1
	ds_write_b32 v5, v2
.LBB430_6:
	s_or_b32 exec_lo, exec_lo, s2
	s_waitcnt lgkmcnt(0)
	s_barrier
	buffer_gl0_inv
	s_load_dword s14, s[4:5], 0x24
	v_mov_b32_e32 v2, 0xff7fffff
	v_lshl_add_u32 v14, v3, 2, 0
	s_waitcnt lgkmcnt(0)
	s_bfe_u32 s1, s14, 0xb0005
	v_cmp_gt_u32_e64 s1, s1, v0
	s_and_saveexec_b32 s2, s1
	s_cbranch_execnz .LBB430_24
; %bb.7:
	s_or_b32 exec_lo, exec_lo, s2
	v_cmp_gt_u32_e64 s2, 32, v0
	s_and_saveexec_b32 s4, s2
	s_cbranch_execnz .LBB430_25
.LBB430_8:
	s_or_b32 exec_lo, exec_lo, s4
	v_cmp_eq_u32_e64 s3, 0, v0
	s_and_saveexec_b32 s4, s3
	s_cbranch_execz .LBB430_10
.LBB430_9:
	v_mov_b32_e32 v3, 0
	s_waitcnt lgkmcnt(0)
	ds_write_b32 v3, v2
.LBB430_10:
	s_or_b32 exec_lo, exec_lo, s4
	v_mov_b32_e32 v15, 0
	s_waitcnt lgkmcnt(0)
	s_barrier
	buffer_gl0_inv
	s_mov_b32 s16, 0
	ds_read_b32 v7, v15
	s_and_saveexec_b32 s15, s0
	s_cbranch_execz .LBB430_14
; %bb.11:
	s_lshl_b64 s[4:5], s[6:7], 1
	s_and_b32 s17, s14, 0xffff
	s_add_u32 s4, s10, s4
	s_addc_u32 s5, s11, s5
	v_add_co_u32 v2, s4, s4, v6
	v_add_co_ci_u32_e64 v3, null, s5, 0, s4
	v_mov_b32_e32 v5, v1
	v_add_co_u32 v2, s4, v2, 14
	v_mov_b32_e32 v15, 0
	v_add_co_ci_u32_e64 v3, null, 0, v3, s4
	v_mov_b32_e32 v4, v0
	s_lshl_b32 s18, s17, 4
.LBB430_12:                             ; =>This Inner Loop Header: Depth=1
	global_load_dwordx4 v[16:19], v[2:3], off offset:-14
	v_add_co_u32 v4, s4, v4, s17
	v_add_co_ci_u32_e64 v5, null, 0, v5, s4
	v_add_co_u32 v2, s5, v2, s18
	v_add_co_ci_u32_e64 v3, null, 0, v3, s5
	s_waitcnt vmcnt(0)
	v_cvt_f32_f16_e32 v20, v16
	v_cvt_f32_f16_sdwa v16, v16 dst_sel:DWORD dst_unused:UNUSED_PAD src0_sel:WORD_1
	v_cvt_f32_f16_e32 v21, v17
	v_cvt_f32_f16_sdwa v17, v17 dst_sel:DWORD dst_unused:UNUSED_PAD src0_sel:WORD_1
	v_cvt_f32_f16_e32 v22, v18
	s_waitcnt lgkmcnt(0)
	v_sub_f32_e32 v20, v20, v7
	v_sub_f32_e32 v16, v16, v7
	;; [unrolled: 1-line block ×4, first 2 shown]
	v_cvt_f32_f16_sdwa v18, v18 dst_sel:DWORD dst_unused:UNUSED_PAD src0_sel:WORD_1
	v_mul_f32_e32 v20, 0x3fb8aa3b, v20
	v_mul_f32_e32 v16, 0x3fb8aa3b, v16
	;; [unrolled: 1-line block ×3, first 2 shown]
	v_sub_f32_e32 v22, v22, v7
	v_mul_f32_e32 v17, 0x3fb8aa3b, v17
	v_exp_f32_e32 v20, v20
	v_exp_f32_e32 v16, v16
	;; [unrolled: 1-line block ×3, first 2 shown]
	v_cvt_f32_f16_e32 v23, v19
	v_sub_f32_e32 v18, v18, v7
	v_exp_f32_e32 v17, v17
	v_cvt_f32_f16_sdwa v19, v19 dst_sel:DWORD dst_unused:UNUSED_PAD src0_sel:WORD_1
	v_mul_f32_e32 v18, 0x3fb8aa3b, v18
	v_add_f32_e32 v15, v15, v20
	v_mul_f32_e32 v20, 0x3fb8aa3b, v22
	v_sub_f32_e32 v19, v19, v7
	v_exp_f32_e32 v18, v18
	v_add_f32_e32 v15, v15, v16
	v_sub_f32_e32 v16, v23, v7
	v_exp_f32_e32 v20, v20
	v_add_f32_e32 v15, v15, v21
	v_mul_f32_e32 v16, 0x3fb8aa3b, v16
	v_add_f32_e32 v15, v15, v17
	v_mul_f32_e32 v17, 0x3fb8aa3b, v19
	v_exp_f32_e32 v19, v16
	v_add_f32_e32 v20, v15, v20
	v_lshlrev_b64 v[15:16], 3, v[4:5]
	v_exp_f32_e32 v17, v17
	v_add_f32_e32 v18, v20, v18
	v_cmp_le_i64_e64 s4, s[12:13], v[15:16]
	v_add_f32_e32 v15, v18, v19
	s_or_b32 s16, s4, s16
	v_add_f32_e32 v15, v15, v17
	s_andn2_b32 exec_lo, exec_lo, s16
	s_cbranch_execnz .LBB430_12
; %bb.13:
	s_or_b32 exec_lo, exec_lo, s16
.LBB430_14:
	s_or_b32 exec_lo, exec_lo, s15
	ds_bpermute_b32 v2, v8, v15
	s_waitcnt lgkmcnt(0)
	s_barrier
	buffer_gl0_inv
	v_add_f32_e32 v2, v15, v2
	ds_bpermute_b32 v3, v9, v2
	s_waitcnt lgkmcnt(0)
	v_add_f32_e32 v2, v2, v3
	ds_bpermute_b32 v3, v10, v2
	s_waitcnt lgkmcnt(0)
	;; [unrolled: 3-line block ×3, first 2 shown]
	v_add_f32_e32 v2, v2, v3
	ds_bpermute_b32 v3, v12, v2
	s_and_saveexec_b32 s4, vcc_lo
	s_cbranch_execz .LBB430_16
; %bb.15:
	v_add_nc_u32_e32 v4, 0, v13
	s_waitcnt lgkmcnt(0)
	v_add_f32_e32 v2, v2, v3
	ds_write_b32 v4, v2
.LBB430_16:
	s_or_b32 exec_lo, exec_lo, s4
	v_mov_b32_e32 v2, 0
	s_waitcnt lgkmcnt(0)
	s_barrier
	buffer_gl0_inv
	s_and_saveexec_b32 s4, s1
	s_cbranch_execnz .LBB430_26
; %bb.17:
	s_or_b32 exec_lo, exec_lo, s4
	s_and_saveexec_b32 s1, s2
	s_cbranch_execnz .LBB430_27
.LBB430_18:
	s_or_b32 exec_lo, exec_lo, s1
	s_and_saveexec_b32 s1, s3
	s_cbranch_execz .LBB430_20
.LBB430_19:
	s_waitcnt lgkmcnt(0)
	v_div_scale_f32 v3, null, v2, v2, 1.0
	v_div_scale_f32 v8, vcc_lo, 1.0, v2, 1.0
	v_rcp_f32_e32 v4, v3
	v_fma_f32 v5, -v3, v4, 1.0
	v_fmac_f32_e32 v4, v5, v4
	v_mul_f32_e32 v5, v8, v4
	v_fma_f32 v9, -v3, v5, v8
	v_fmac_f32_e32 v5, v9, v4
	v_fma_f32 v3, -v3, v5, v8
	v_div_fmas_f32 v3, v3, v4, v5
	v_div_fixup_f32 v2, v3, v2, 1.0
	v_mov_b32_e32 v3, 0
	ds_write_b32 v3, v2
.LBB430_20:
	s_or_b32 exec_lo, exec_lo, s1
	s_waitcnt lgkmcnt(0)
	s_barrier
	buffer_gl0_inv
	s_and_saveexec_b32 s1, s0
	s_cbranch_execz .LBB430_23
; %bb.21:
	v_mov_b32_e32 v2, 0
	s_lshl_b64 s[2:3], s[6:7], 1
	s_mov_b32 s5, 0
	s_add_u32 s0, s10, s2
	s_addc_u32 s1, s11, s3
	ds_read_b32 v2, v2
	s_add_u32 s2, s8, s2
	s_addc_u32 s3, s9, s3
	s_and_b32 s4, s14, 0xffff
	s_lshl_b32 s6, s4, 4
.LBB430_22:                             ; =>This Inner Loop Header: Depth=1
	v_add_co_u32 v3, s7, s0, v6
	v_add_co_ci_u32_e64 v4, null, s1, 0, s7
	v_add_co_u32 v0, vcc_lo, v0, s4
	v_add_co_ci_u32_e64 v1, null, 0, v1, vcc_lo
	global_load_dwordx4 v[8:11], v[3:4], off
	v_add_co_u32 v3, s7, s2, v6
	s_add_u32 s0, s0, s6
	v_add_co_ci_u32_e64 v4, null, s3, 0, s7
	s_addc_u32 s1, s1, 0
	s_add_u32 s2, s2, s6
	s_addc_u32 s3, s3, 0
	s_waitcnt vmcnt(0)
	v_cvt_f32_f16_e32 v5, v8
	v_cvt_f32_f16_e32 v12, v9
	;; [unrolled: 1-line block ×4, first 2 shown]
	v_cvt_f32_f16_sdwa v8, v8 dst_sel:DWORD dst_unused:UNUSED_PAD src0_sel:WORD_1
	v_cvt_f32_f16_sdwa v9, v9 dst_sel:DWORD dst_unused:UNUSED_PAD src0_sel:WORD_1
	;; [unrolled: 1-line block ×4, first 2 shown]
	v_sub_f32_e32 v5, v5, v7
	v_sub_f32_e32 v12, v12, v7
	;; [unrolled: 1-line block ×8, first 2 shown]
	v_mul_f32_e32 v5, 0x3fb8aa3b, v5
	v_mul_f32_e32 v12, 0x3fb8aa3b, v12
	;; [unrolled: 1-line block ×8, first 2 shown]
	v_exp_f32_e32 v14, v14
	v_exp_f32_e32 v15, v13
	;; [unrolled: 1-line block ×8, first 2 shown]
	v_lshlrev_b64 v[12:13], 3, v[0:1]
	s_waitcnt lgkmcnt(0)
	v_fma_mixlo_f16 v11, v2, v14, 0
	v_fma_mixlo_f16 v10, v2, v15, 0
	;; [unrolled: 1-line block ×4, first 2 shown]
	v_cmp_le_i64_e32 vcc_lo, s[12:13], v[12:13]
	v_fma_mixhi_f16 v11, v2, v18, 0
	v_fma_mixhi_f16 v10, v2, v19, 0
	;; [unrolled: 1-line block ×4, first 2 shown]
	s_or_b32 s5, vcc_lo, s5
	global_store_dwordx4 v[3:4], v[8:11], off
	s_andn2_b32 exec_lo, exec_lo, s5
	s_cbranch_execnz .LBB430_22
.LBB430_23:
	s_endpgm
.LBB430_24:
	ds_read_b32 v2, v14
	s_or_b32 exec_lo, exec_lo, s2
	v_cmp_gt_u32_e64 s2, 32, v0
	s_and_saveexec_b32 s4, s2
	s_cbranch_execz .LBB430_8
.LBB430_25:
	s_waitcnt lgkmcnt(0)
	ds_bpermute_b32 v3, v8, v2
	s_waitcnt lgkmcnt(0)
	v_cmp_lt_f32_e64 s3, v2, v3
	v_cndmask_b32_e64 v2, v2, v3, s3
	ds_bpermute_b32 v3, v9, v2
	s_waitcnt lgkmcnt(0)
	v_cmp_lt_f32_e64 s3, v2, v3
	v_cndmask_b32_e64 v2, v2, v3, s3
	;; [unrolled: 4-line block ×5, first 2 shown]
	s_or_b32 exec_lo, exec_lo, s4
	v_cmp_eq_u32_e64 s3, 0, v0
	s_and_saveexec_b32 s4, s3
	s_cbranch_execnz .LBB430_9
	s_branch .LBB430_10
.LBB430_26:
	ds_read_b32 v2, v14
	s_or_b32 exec_lo, exec_lo, s4
	s_and_saveexec_b32 s1, s2
	s_cbranch_execz .LBB430_18
.LBB430_27:
	s_waitcnt lgkmcnt(0)
	ds_bpermute_b32 v3, v8, v2
	s_waitcnt lgkmcnt(0)
	v_add_f32_e32 v2, v2, v3
	ds_bpermute_b32 v3, v9, v2
	s_waitcnt lgkmcnt(0)
	v_add_f32_e32 v2, v2, v3
	;; [unrolled: 3-line block ×5, first 2 shown]
	s_or_b32 exec_lo, exec_lo, s1
	s_and_saveexec_b32 s1, s3
	s_cbranch_execnz .LBB430_19
	s_branch .LBB430_20
	.section	.rodata,"a",@progbits
	.p2align	6, 0x0
	.amdhsa_kernel _ZN2at6native12_GLOBAL__N_123cunn_SoftMaxForwardGmemILi8EN3c104HalfEfS4_NS1_29SoftMaxForwardWithMulEpilogueElEEvPT2_PKT0_T4_
		.amdhsa_group_segment_fixed_size 0
		.amdhsa_private_segment_fixed_size 0
		.amdhsa_kernarg_size 280
		.amdhsa_user_sgpr_count 6
		.amdhsa_user_sgpr_private_segment_buffer 1
		.amdhsa_user_sgpr_dispatch_ptr 0
		.amdhsa_user_sgpr_queue_ptr 0
		.amdhsa_user_sgpr_kernarg_segment_ptr 1
		.amdhsa_user_sgpr_dispatch_id 0
		.amdhsa_user_sgpr_flat_scratch_init 0
		.amdhsa_user_sgpr_private_segment_size 0
		.amdhsa_wavefront_size32 1
		.amdhsa_uses_dynamic_stack 0
		.amdhsa_system_sgpr_private_segment_wavefront_offset 0
		.amdhsa_system_sgpr_workgroup_id_x 1
		.amdhsa_system_sgpr_workgroup_id_y 0
		.amdhsa_system_sgpr_workgroup_id_z 0
		.amdhsa_system_sgpr_workgroup_info 0
		.amdhsa_system_vgpr_workitem_id 0
		.amdhsa_next_free_vgpr 24
		.amdhsa_next_free_sgpr 19
		.amdhsa_reserve_vcc 1
		.amdhsa_reserve_flat_scratch 0
		.amdhsa_float_round_mode_32 0
		.amdhsa_float_round_mode_16_64 0
		.amdhsa_float_denorm_mode_32 3
		.amdhsa_float_denorm_mode_16_64 3
		.amdhsa_dx10_clamp 1
		.amdhsa_ieee_mode 1
		.amdhsa_fp16_overflow 0
		.amdhsa_workgroup_processor_mode 1
		.amdhsa_memory_ordered 1
		.amdhsa_forward_progress 1
		.amdhsa_shared_vgpr_count 0
		.amdhsa_exception_fp_ieee_invalid_op 0
		.amdhsa_exception_fp_denorm_src 0
		.amdhsa_exception_fp_ieee_div_zero 0
		.amdhsa_exception_fp_ieee_overflow 0
		.amdhsa_exception_fp_ieee_underflow 0
		.amdhsa_exception_fp_ieee_inexact 0
		.amdhsa_exception_int_div_zero 0
	.end_amdhsa_kernel
	.section	.text._ZN2at6native12_GLOBAL__N_123cunn_SoftMaxForwardGmemILi8EN3c104HalfEfS4_NS1_29SoftMaxForwardWithMulEpilogueElEEvPT2_PKT0_T4_,"axG",@progbits,_ZN2at6native12_GLOBAL__N_123cunn_SoftMaxForwardGmemILi8EN3c104HalfEfS4_NS1_29SoftMaxForwardWithMulEpilogueElEEvPT2_PKT0_T4_,comdat
.Lfunc_end430:
	.size	_ZN2at6native12_GLOBAL__N_123cunn_SoftMaxForwardGmemILi8EN3c104HalfEfS4_NS1_29SoftMaxForwardWithMulEpilogueElEEvPT2_PKT0_T4_, .Lfunc_end430-_ZN2at6native12_GLOBAL__N_123cunn_SoftMaxForwardGmemILi8EN3c104HalfEfS4_NS1_29SoftMaxForwardWithMulEpilogueElEEvPT2_PKT0_T4_
                                        ; -- End function
	.set _ZN2at6native12_GLOBAL__N_123cunn_SoftMaxForwardGmemILi8EN3c104HalfEfS4_NS1_29SoftMaxForwardWithMulEpilogueElEEvPT2_PKT0_T4_.num_vgpr, 24
	.set _ZN2at6native12_GLOBAL__N_123cunn_SoftMaxForwardGmemILi8EN3c104HalfEfS4_NS1_29SoftMaxForwardWithMulEpilogueElEEvPT2_PKT0_T4_.num_agpr, 0
	.set _ZN2at6native12_GLOBAL__N_123cunn_SoftMaxForwardGmemILi8EN3c104HalfEfS4_NS1_29SoftMaxForwardWithMulEpilogueElEEvPT2_PKT0_T4_.numbered_sgpr, 19
	.set _ZN2at6native12_GLOBAL__N_123cunn_SoftMaxForwardGmemILi8EN3c104HalfEfS4_NS1_29SoftMaxForwardWithMulEpilogueElEEvPT2_PKT0_T4_.num_named_barrier, 0
	.set _ZN2at6native12_GLOBAL__N_123cunn_SoftMaxForwardGmemILi8EN3c104HalfEfS4_NS1_29SoftMaxForwardWithMulEpilogueElEEvPT2_PKT0_T4_.private_seg_size, 0
	.set _ZN2at6native12_GLOBAL__N_123cunn_SoftMaxForwardGmemILi8EN3c104HalfEfS4_NS1_29SoftMaxForwardWithMulEpilogueElEEvPT2_PKT0_T4_.uses_vcc, 1
	.set _ZN2at6native12_GLOBAL__N_123cunn_SoftMaxForwardGmemILi8EN3c104HalfEfS4_NS1_29SoftMaxForwardWithMulEpilogueElEEvPT2_PKT0_T4_.uses_flat_scratch, 0
	.set _ZN2at6native12_GLOBAL__N_123cunn_SoftMaxForwardGmemILi8EN3c104HalfEfS4_NS1_29SoftMaxForwardWithMulEpilogueElEEvPT2_PKT0_T4_.has_dyn_sized_stack, 0
	.set _ZN2at6native12_GLOBAL__N_123cunn_SoftMaxForwardGmemILi8EN3c104HalfEfS4_NS1_29SoftMaxForwardWithMulEpilogueElEEvPT2_PKT0_T4_.has_recursion, 0
	.set _ZN2at6native12_GLOBAL__N_123cunn_SoftMaxForwardGmemILi8EN3c104HalfEfS4_NS1_29SoftMaxForwardWithMulEpilogueElEEvPT2_PKT0_T4_.has_indirect_call, 0
	.section	.AMDGPU.csdata,"",@progbits
; Kernel info:
; codeLenInByte = 2132
; TotalNumSgprs: 21
; NumVgprs: 24
; ScratchSize: 0
; MemoryBound: 0
; FloatMode: 240
; IeeeMode: 1
; LDSByteSize: 0 bytes/workgroup (compile time only)
; SGPRBlocks: 0
; VGPRBlocks: 2
; NumSGPRsForWavesPerEU: 21
; NumVGPRsForWavesPerEU: 24
; Occupancy: 16
; WaveLimiterHint : 0
; COMPUTE_PGM_RSRC2:SCRATCH_EN: 0
; COMPUTE_PGM_RSRC2:USER_SGPR: 6
; COMPUTE_PGM_RSRC2:TRAP_HANDLER: 0
; COMPUTE_PGM_RSRC2:TGID_X_EN: 1
; COMPUTE_PGM_RSRC2:TGID_Y_EN: 0
; COMPUTE_PGM_RSRC2:TGID_Z_EN: 0
; COMPUTE_PGM_RSRC2:TIDIG_COMP_CNT: 0
	.section	.text._ZN2at6native12_GLOBAL__N_123cunn_SoftMaxForwardFastILi8EN3c104HalfEfS4_NS1_29SoftMaxForwardWithMulEpilogueEEEvPT2_PKT0_i,"axG",@progbits,_ZN2at6native12_GLOBAL__N_123cunn_SoftMaxForwardFastILi8EN3c104HalfEfS4_NS1_29SoftMaxForwardWithMulEpilogueEEEvPT2_PKT0_i,comdat
	.globl	_ZN2at6native12_GLOBAL__N_123cunn_SoftMaxForwardFastILi8EN3c104HalfEfS4_NS1_29SoftMaxForwardWithMulEpilogueEEEvPT2_PKT0_i ; -- Begin function _ZN2at6native12_GLOBAL__N_123cunn_SoftMaxForwardFastILi8EN3c104HalfEfS4_NS1_29SoftMaxForwardWithMulEpilogueEEEvPT2_PKT0_i
	.p2align	8
	.type	_ZN2at6native12_GLOBAL__N_123cunn_SoftMaxForwardFastILi8EN3c104HalfEfS4_NS1_29SoftMaxForwardWithMulEpilogueEEEvPT2_PKT0_i,@function
_ZN2at6native12_GLOBAL__N_123cunn_SoftMaxForwardFastILi8EN3c104HalfEfS4_NS1_29SoftMaxForwardWithMulEpilogueEEEvPT2_PKT0_i: ; @_ZN2at6native12_GLOBAL__N_123cunn_SoftMaxForwardFastILi8EN3c104HalfEfS4_NS1_29SoftMaxForwardWithMulEpilogueEEEvPT2_PKT0_i
; %bb.0:
	s_clause 0x1
	s_load_dword s7, s[4:5], 0x10
	s_load_dwordx4 s[8:11], s[4:5], 0x0
	s_mov_b32 s15, 0
	s_waitcnt lgkmcnt(0)
	s_ashr_i32 s0, s7, 31
	s_mul_hi_u32 s1, s7, s6
	s_mul_i32 s2, s0, s6
	s_mul_i32 s0, s7, s6
	s_add_i32 s1, s1, s2
	s_lshl_b64 s[12:13], s[0:1], 1
	s_add_u32 s10, s10, s12
	s_addc_u32 s11, s11, s13
	s_bfe_u32 s14, s10, 0x30001
	s_cmp_lg_u32 s14, 0
	v_cmp_le_u32_e64 s0, s14, v0
	s_cselect_b32 s18, -1, 0
	s_add_u32 s2, s4, 24
	s_addc_u32 s3, s5, 0
	s_and_b32 vcc_lo, exec_lo, s18
	s_cbranch_vccz .LBB431_25
; %bb.1:
	s_lshl_b64 s[2:3], s[14:15], 1
	v_mov_b32_e32 v5, 0xff7fffff
	s_sub_u32 s16, s10, s2
	s_subb_u32 s17, s11, s3
	s_add_i32 s1, s14, s7
	v_cmp_gt_i32_e32 vcc_lo, s1, v0
	s_and_b32 s2, s0, vcc_lo
	s_and_saveexec_b32 s0, s2
	s_cbranch_execz .LBB431_3
; %bb.2:
	v_lshlrev_b32_e32 v1, 1, v0
	global_load_ushort v1, v1, s[16:17]
	s_waitcnt vmcnt(0)
	v_cvt_f32_f16_e32 v1, v1
	v_max_f32_e32 v5, 0xff7fffff, v1
.LBB431_3:
	s_or_b32 exec_lo, exec_lo, s0
	s_load_dword s0, s[4:5], 0x24
	s_add_u32 s2, s4, 24
	s_addc_u32 s3, s5, 0
	s_waitcnt lgkmcnt(0)
	s_and_b32 s0, s0, 0xffff
	v_sub_nc_u32_e64 v1, s1, s0 clamp
	s_lshl_b32 s0, s0, 1
	s_add_u32 s0, s16, s0
	s_addc_u32 s1, s17, 0
	v_readfirstlane_b32 s15, v1
	s_branch .LBB431_5
.LBB431_4:
	v_mov_b32_e32 v5, 0xff7fffff
	s_mov_b32 s15, s7
	s_mov_b64 s[0:1], s[10:11]
.LBB431_5:
	s_load_dword s16, s[2:3], 0x0
	v_mov_b32_e32 v1, 0
	v_lshlrev_b32_e32 v11, 3, v0
	s_waitcnt lgkmcnt(0)
	s_cmp_lt_u32 s6, s16
	s_cselect_b32 s16, 12, 18
	s_add_u32 s2, s2, s16
	s_addc_u32 s3, s3, 0
	global_load_ushort v3, v1, s[2:3]
	s_waitcnt vmcnt(0)
	v_readfirstlane_b32 s2, v3
	s_lshl_b32 s2, s2, 3
	v_cvt_f32_u32_e32 v1, s2
	s_sub_i32 s16, 0, s2
	v_rcp_iflag_f32_e32 v1, v1
	v_mul_f32_e32 v1, 0x4f7ffffe, v1
	v_cvt_u32_f32_e32 v1, v1
	v_readfirstlane_b32 s3, v1
	s_mul_i32 s16, s16, s3
	s_mul_hi_u32 s16, s3, s16
	s_add_i32 s3, s3, s16
	s_mul_hi_u32 s3, s15, s3
	s_mul_i32 s3, s3, s2
	s_sub_i32 s3, s15, s3
	s_sub_i32 s16, s3, s2
	s_cmp_ge_u32 s3, s2
	s_cselect_b32 s3, s16, s3
	s_sub_i32 s16, s3, s2
	s_cmp_ge_u32 s3, s2
	s_cselect_b32 s2, s16, s3
	s_mov_b32 s16, 0
	s_sub_i32 s2, s15, s2
	s_mov_b32 s3, exec_lo
	v_cmpx_gt_i32_e64 s2, v11
	s_cbranch_execz .LBB431_9
; %bb.6:
	v_mov_b32_e32 v1, v0
	s_inst_prefetch 0x1
	.p2align	6
.LBB431_7:                              ; =>This Inner Loop Header: Depth=1
	v_ashrrev_i32_e32 v2, 31, v1
	v_lshlrev_b64 v[6:7], 4, v[1:2]
	v_add_nc_u32_e32 v1, v1, v3
	v_add_co_u32 v6, vcc_lo, s0, v6
	v_add_co_ci_u32_e64 v7, null, s1, v7, vcc_lo
	global_load_dwordx4 v[6:9], v[6:7], off
	s_waitcnt vmcnt(0)
	v_cvt_f32_f16_e32 v2, v6
	v_cvt_f32_f16_sdwa v4, v6 dst_sel:DWORD dst_unused:UNUSED_PAD src0_sel:WORD_1
	v_cvt_f32_f16_e32 v6, v7
	v_cvt_f32_f16_sdwa v7, v7 dst_sel:DWORD dst_unused:UNUSED_PAD src0_sel:WORD_1
	v_max3_f32 v2, v5, v2, v4
	v_cvt_f32_f16_e32 v4, v8
	v_cvt_f32_f16_sdwa v5, v8 dst_sel:DWORD dst_unused:UNUSED_PAD src0_sel:WORD_1
	v_cvt_f32_f16_sdwa v8, v9 dst_sel:DWORD dst_unused:UNUSED_PAD src0_sel:WORD_1
	v_max3_f32 v2, v2, v6, v7
	v_lshlrev_b32_e32 v6, 3, v1
	v_cvt_f32_f16_e32 v7, v9
	v_max3_f32 v2, v2, v4, v5
	v_cmp_le_i32_e32 vcc_lo, s2, v6
	v_max3_f32 v5, v2, v7, v8
	s_or_b32 s16, vcc_lo, s16
	s_andn2_b32 exec_lo, exec_lo, s16
	s_cbranch_execnz .LBB431_7
; %bb.8:
	s_inst_prefetch 0x2
	s_or_b32 exec_lo, exec_lo, s16
.LBB431_9:
	s_or_b32 exec_lo, exec_lo, s3
	v_add_nc_u32_e32 v1, s2, v0
	s_mov_b32 s2, exec_lo
	v_cmpx_gt_i32_e64 s15, v1
	s_cbranch_execz .LBB431_13
; %bb.10:
	s_mov_b32 s3, 0
	.p2align	6
.LBB431_11:                             ; =>This Inner Loop Header: Depth=1
	v_ashrrev_i32_e32 v2, 31, v1
	v_max_f32_e32 v4, v5, v5
	v_lshlrev_b64 v[6:7], 1, v[1:2]
	v_add_nc_u32_e32 v1, v1, v3
	v_add_co_u32 v6, vcc_lo, s0, v6
	v_add_co_ci_u32_e64 v7, null, s1, v7, vcc_lo
	v_cmp_le_i32_e32 vcc_lo, s15, v1
	global_load_ushort v2, v[6:7], off
	s_or_b32 s3, vcc_lo, s3
	s_waitcnt vmcnt(0)
	v_cvt_f32_f16_e32 v2, v2
	v_max_f32_e32 v5, v4, v2
	s_andn2_b32 exec_lo, exec_lo, s3
	s_cbranch_execnz .LBB431_11
; %bb.12:
	s_or_b32 exec_lo, exec_lo, s3
.LBB431_13:
	s_or_b32 exec_lo, exec_lo, s2
	v_mbcnt_lo_u32_b32 v1, -1, 0
	v_lshrrev_b32_e32 v9, 3, v0
	s_barrier
	buffer_gl0_inv
	v_lshl_or_b32 v3, v1, 2, 64
	v_cmp_gt_u32_e32 vcc_lo, 24, v1
	ds_bpermute_b32 v2, v3, v5
	v_cndmask_b32_e64 v4, 0, 8, vcc_lo
	v_add_lshl_u32 v4, v4, v1, 2
	s_waitcnt lgkmcnt(0)
	v_cmp_lt_f32_e32 vcc_lo, v5, v2
	v_cndmask_b32_e32 v2, v5, v2, vcc_lo
	v_cmp_gt_u32_e32 vcc_lo, 28, v1
	ds_bpermute_b32 v6, v4, v2
	v_cndmask_b32_e64 v5, 0, 4, vcc_lo
	v_add_lshl_u32 v5, v5, v1, 2
	s_waitcnt lgkmcnt(0)
	v_cmp_lt_f32_e32 vcc_lo, v2, v6
	v_cndmask_b32_e32 v2, v2, v6, vcc_lo
	;; [unrolled: 7-line block ×3, first 2 shown]
	v_cmp_ne_u32_e32 vcc_lo, 31, v1
	ds_bpermute_b32 v7, v6, v2
	v_add_co_ci_u32_e64 v8, null, 0, v1, vcc_lo
	s_waitcnt lgkmcnt(0)
	v_cmp_lt_f32_e32 vcc_lo, v2, v7
	v_cndmask_b32_e32 v1, v2, v7, vcc_lo
	v_lshlrev_b32_e32 v7, 2, v8
	v_and_b32_e32 v2, 31, v0
	ds_bpermute_b32 v8, v7, v1
	v_cmp_eq_u32_e64 s0, 0, v2
	s_and_saveexec_b32 s1, s0
	s_cbranch_execz .LBB431_15
; %bb.14:
	s_waitcnt lgkmcnt(0)
	v_cmp_lt_f32_e32 vcc_lo, v1, v8
	v_add_nc_u32_e32 v10, 0, v9
	v_cndmask_b32_e32 v1, v1, v8, vcc_lo
	ds_write_b32 v10, v1
.LBB431_15:
	s_or_b32 exec_lo, exec_lo, s1
	s_waitcnt lgkmcnt(0)
	s_barrier
	buffer_gl0_inv
	s_load_dword s20, s[4:5], 0x24
	s_add_u32 s16, s4, 24
	s_addc_u32 s17, s5, 0
	v_mov_b32_e32 v1, 0xff7fffff
	v_lshl_add_u32 v10, v2, 2, 0
	s_waitcnt lgkmcnt(0)
	s_bfe_u32 s1, s20, 0xb0005
	v_cmp_gt_u32_e64 s1, s1, v0
	s_and_saveexec_b32 s2, s1
	s_cbranch_execnz .LBB431_23
; %bb.16:
	s_or_b32 exec_lo, exec_lo, s2
	v_cmp_gt_u32_e64 s2, 32, v0
	s_and_saveexec_b32 s3, s2
	s_cbranch_execnz .LBB431_24
.LBB431_17:
	s_or_b32 exec_lo, exec_lo, s3
	v_cmp_eq_u32_e64 s3, 0, v0
	s_and_saveexec_b32 s4, s3
	s_cbranch_execz .LBB431_19
.LBB431_18:
	v_mov_b32_e32 v2, 0
	s_waitcnt lgkmcnt(0)
	ds_write_b32 v2, v1
.LBB431_19:
	s_or_b32 exec_lo, exec_lo, s4
	v_mov_b32_e32 v12, 0
	s_waitcnt lgkmcnt(0)
	s_barrier
	buffer_gl0_inv
	s_andn2_b32 vcc_lo, exec_lo, s18
	ds_read_b32 v8, v12
	s_mov_b32 s15, 0
	s_cbranch_vccnz .LBB431_26
; %bb.20:
	s_lshl_b64 s[4:5], s[14:15], 1
	v_cmp_le_u32_e32 vcc_lo, s14, v0
	s_sub_u32 s18, s10, s4
	s_subb_u32 s19, s11, s5
	s_add_i32 s5, s14, s7
	v_mov_b32_e32 v12, 0
	v_cmp_gt_i32_e64 s4, s5, v0
	s_and_b32 s14, vcc_lo, s4
	s_and_saveexec_b32 s4, s14
	s_cbranch_execz .LBB431_22
; %bb.21:
	v_lshlrev_b32_e32 v1, 1, v0
	global_load_ushort v1, v1, s[18:19]
	s_waitcnt vmcnt(0)
	v_cvt_f32_f16_e32 v1, v1
	s_waitcnt lgkmcnt(0)
	v_sub_f32_e32 v1, v1, v8
	v_mul_f32_e32 v1, 0x3fb8aa3b, v1
	v_exp_f32_e32 v1, v1
	v_add_f32_e32 v12, 0, v1
.LBB431_22:
	s_or_b32 exec_lo, exec_lo, s4
	s_and_b32 s4, 0xffff, s20
	v_sub_nc_u32_e64 v1, s5, s4 clamp
	s_lshl_b32 s4, s4, 1
	s_add_u32 s4, s18, s4
	s_addc_u32 s5, s19, 0
	v_readfirstlane_b32 s14, v1
	s_branch .LBB431_27
.LBB431_23:
	ds_read_b32 v1, v10
	s_or_b32 exec_lo, exec_lo, s2
	v_cmp_gt_u32_e64 s2, 32, v0
	s_and_saveexec_b32 s3, s2
	s_cbranch_execz .LBB431_17
.LBB431_24:
	s_waitcnt lgkmcnt(0)
	ds_bpermute_b32 v2, v3, v1
	s_waitcnt lgkmcnt(0)
	v_cmp_lt_f32_e32 vcc_lo, v1, v2
	v_cndmask_b32_e32 v1, v1, v2, vcc_lo
	ds_bpermute_b32 v2, v4, v1
	s_waitcnt lgkmcnt(0)
	v_cmp_lt_f32_e32 vcc_lo, v1, v2
	v_cndmask_b32_e32 v1, v1, v2, vcc_lo
	;; [unrolled: 4-line block ×5, first 2 shown]
	s_or_b32 exec_lo, exec_lo, s3
	v_cmp_eq_u32_e64 s3, 0, v0
	s_and_saveexec_b32 s4, s3
	s_cbranch_execnz .LBB431_18
	s_branch .LBB431_19
.LBB431_25:
                                        ; implicit-def: $sgpr0_sgpr1
                                        ; implicit-def: $sgpr15
                                        ; implicit-def: $vgpr5
	s_cbranch_execnz .LBB431_4
	s_branch .LBB431_5
.LBB431_26:
	s_mov_b64 s[4:5], s[10:11]
	s_mov_b32 s14, s7
.LBB431_27:
	s_load_dword s15, s[16:17], 0x0
	v_mov_b32_e32 v1, 0
	s_waitcnt lgkmcnt(0)
	s_cmp_lt_u32 s6, s15
	s_cselect_b32 s6, 12, 18
	s_add_u32 s16, s16, s6
	s_addc_u32 s17, s17, 0
	global_load_ushort v13, v1, s[16:17]
	s_waitcnt vmcnt(0)
	v_readfirstlane_b32 s6, v13
	s_lshl_b32 s6, s6, 3
	v_cvt_f32_u32_e32 v1, s6
	s_sub_i32 s16, 0, s6
	v_rcp_iflag_f32_e32 v1, v1
	v_mul_f32_e32 v1, 0x4f7ffffe, v1
	v_cvt_u32_f32_e32 v1, v1
	v_readfirstlane_b32 s15, v1
	s_mul_i32 s16, s16, s15
	s_mul_hi_u32 s16, s15, s16
	s_add_i32 s15, s15, s16
	s_mul_hi_u32 s15, s14, s15
	s_mul_i32 s15, s15, s6
	s_sub_i32 s15, s14, s15
	s_sub_i32 s16, s15, s6
	s_cmp_ge_u32 s15, s6
	s_cselect_b32 s15, s16, s15
	s_sub_i32 s16, s15, s6
	s_cmp_ge_u32 s15, s6
	s_cselect_b32 s6, s16, s15
	s_mov_b32 s16, 0
	s_sub_i32 s6, s14, s6
	s_mov_b32 s15, exec_lo
	v_cmpx_gt_i32_e64 s6, v11
	s_cbranch_execz .LBB431_31
; %bb.28:
	v_mov_b32_e32 v1, v0
.LBB431_29:                             ; =>This Inner Loop Header: Depth=1
	v_ashrrev_i32_e32 v2, 31, v1
	v_lshlrev_b64 v[14:15], 4, v[1:2]
	v_add_nc_u32_e32 v1, v1, v13
	v_add_co_u32 v14, vcc_lo, s4, v14
	v_add_co_ci_u32_e64 v15, null, s5, v15, vcc_lo
	global_load_dwordx4 v[14:17], v[14:15], off
	s_waitcnt vmcnt(0)
	v_cvt_f32_f16_e32 v2, v14
	v_cvt_f32_f16_sdwa v11, v14 dst_sel:DWORD dst_unused:UNUSED_PAD src0_sel:WORD_1
	v_cvt_f32_f16_e32 v14, v15
	v_cvt_f32_f16_sdwa v15, v15 dst_sel:DWORD dst_unused:UNUSED_PAD src0_sel:WORD_1
	v_cvt_f32_f16_e32 v18, v16
	v_sub_f32_e32 v2, v2, v8
	v_sub_f32_e32 v11, v11, v8
	;; [unrolled: 1-line block ×4, first 2 shown]
	v_cvt_f32_f16_sdwa v16, v16 dst_sel:DWORD dst_unused:UNUSED_PAD src0_sel:WORD_1
	v_mul_f32_e32 v2, 0x3fb8aa3b, v2
	v_mul_f32_e32 v11, 0x3fb8aa3b, v11
	;; [unrolled: 1-line block ×3, first 2 shown]
	v_sub_f32_e32 v18, v18, v8
	v_mul_f32_e32 v15, 0x3fb8aa3b, v15
	v_exp_f32_e32 v2, v2
	v_exp_f32_e32 v11, v11
	;; [unrolled: 1-line block ×3, first 2 shown]
	v_sub_f32_e32 v16, v16, v8
	v_mul_f32_e32 v18, 0x3fb8aa3b, v18
	v_exp_f32_e32 v15, v15
	v_mul_f32_e32 v16, 0x3fb8aa3b, v16
	v_add_f32_e32 v2, v12, v2
	v_cvt_f32_f16_e32 v12, v17
	v_add_f32_e32 v2, v2, v11
	v_cvt_f32_f16_sdwa v11, v17 dst_sel:DWORD dst_unused:UNUSED_PAD src0_sel:WORD_1
	v_sub_f32_e32 v12, v12, v8
	v_exp_f32_e32 v17, v18
	v_add_f32_e32 v2, v2, v14
	v_sub_f32_e32 v11, v11, v8
	v_mul_f32_e32 v12, 0x3fb8aa3b, v12
	v_exp_f32_e32 v14, v16
	v_add_f32_e32 v2, v2, v15
	v_mul_f32_e32 v11, 0x3fb8aa3b, v11
	v_exp_f32_e32 v12, v12
	v_add_f32_e32 v2, v2, v17
	v_exp_f32_e32 v11, v11
	v_add_f32_e32 v2, v2, v14
	v_lshlrev_b32_e32 v14, 3, v1
	v_add_f32_e32 v2, v2, v12
	v_cmp_le_i32_e32 vcc_lo, s6, v14
	v_add_f32_e32 v12, v2, v11
	s_or_b32 s16, vcc_lo, s16
	s_andn2_b32 exec_lo, exec_lo, s16
	s_cbranch_execnz .LBB431_29
; %bb.30:
	s_or_b32 exec_lo, exec_lo, s16
.LBB431_31:
	s_or_b32 exec_lo, exec_lo, s15
	v_add_nc_u32_e32 v1, s6, v0
	s_mov_b32 s6, exec_lo
	v_cmpx_gt_i32_e64 s14, v1
	s_cbranch_execz .LBB431_35
; %bb.32:
	s_mov_b32 s15, 0
	.p2align	6
.LBB431_33:                             ; =>This Inner Loop Header: Depth=1
	v_ashrrev_i32_e32 v2, 31, v1
	v_lshlrev_b64 v[14:15], 1, v[1:2]
	v_add_nc_u32_e32 v1, v1, v13
	v_add_co_u32 v14, vcc_lo, s4, v14
	v_add_co_ci_u32_e64 v15, null, s5, v15, vcc_lo
	v_cmp_le_i32_e32 vcc_lo, s14, v1
	global_load_ushort v2, v[14:15], off
	s_or_b32 s15, vcc_lo, s15
	s_waitcnt vmcnt(0)
	v_cvt_f32_f16_e32 v2, v2
	v_sub_f32_e32 v2, v2, v8
	v_mul_f32_e32 v2, 0x3fb8aa3b, v2
	v_exp_f32_e32 v2, v2
	v_add_f32_e32 v12, v12, v2
	s_andn2_b32 exec_lo, exec_lo, s15
	s_cbranch_execnz .LBB431_33
; %bb.34:
	s_or_b32 exec_lo, exec_lo, s15
.LBB431_35:
	s_or_b32 exec_lo, exec_lo, s6
	ds_bpermute_b32 v1, v3, v12
	s_waitcnt lgkmcnt(0)
	s_barrier
	buffer_gl0_inv
	v_add_f32_e32 v1, v12, v1
	ds_bpermute_b32 v2, v4, v1
	s_waitcnt lgkmcnt(0)
	v_add_f32_e32 v1, v1, v2
	ds_bpermute_b32 v2, v5, v1
	s_waitcnt lgkmcnt(0)
	;; [unrolled: 3-line block ×3, first 2 shown]
	v_add_f32_e32 v1, v1, v2
	ds_bpermute_b32 v2, v7, v1
	s_and_saveexec_b32 s4, s0
	s_cbranch_execz .LBB431_37
; %bb.36:
	v_add_nc_u32_e32 v9, 0, v9
	s_waitcnt lgkmcnt(0)
	v_add_f32_e32 v1, v1, v2
	ds_write_b32 v9, v1
.LBB431_37:
	s_or_b32 exec_lo, exec_lo, s4
	v_mov_b32_e32 v1, 0
	s_waitcnt lgkmcnt(0)
	s_barrier
	buffer_gl0_inv
	s_and_saveexec_b32 s0, s1
	s_cbranch_execnz .LBB431_45
; %bb.38:
	s_or_b32 exec_lo, exec_lo, s0
	s_and_saveexec_b32 s0, s2
	s_cbranch_execnz .LBB431_46
.LBB431_39:
	s_or_b32 exec_lo, exec_lo, s0
	s_and_saveexec_b32 s0, s3
	s_cbranch_execz .LBB431_41
.LBB431_40:
	s_waitcnt lgkmcnt(0)
	v_div_scale_f32 v2, null, v1, v1, 1.0
	v_div_scale_f32 v5, vcc_lo, 1.0, v1, 1.0
	v_rcp_f32_e32 v3, v2
	v_fma_f32 v4, -v2, v3, 1.0
	v_fmac_f32_e32 v3, v4, v3
	v_mul_f32_e32 v4, v5, v3
	v_fma_f32 v6, -v2, v4, v5
	v_fmac_f32_e32 v4, v6, v3
	v_fma_f32 v2, -v2, v4, v5
	v_div_fmas_f32 v2, v2, v3, v4
	v_div_fixup_f32 v1, v2, v1, 1.0
	v_mov_b32_e32 v2, 0
	ds_write_b32 v2, v1
.LBB431_41:
	s_or_b32 exec_lo, exec_lo, s0
	s_waitcnt lgkmcnt(0)
	s_barrier
	buffer_gl0_inv
	s_mov_b32 s0, exec_lo
	v_cmpx_gt_i32_e64 s7, v0
	s_cbranch_execz .LBB431_44
; %bb.42:
	v_mov_b32_e32 v1, 0
	s_and_b32 s2, 0xffff, s20
	s_add_u32 s3, s8, s12
	s_mov_b32 s1, 0
	s_addc_u32 s4, s9, s13
	ds_read_b32 v2, v1
	.p2align	6
.LBB431_43:                             ; =>This Inner Loop Header: Depth=1
	v_ashrrev_i32_e32 v1, 31, v0
	v_lshlrev_b64 v[3:4], 1, v[0:1]
	v_add_nc_u32_e32 v0, s2, v0
	v_add_co_u32 v5, vcc_lo, s10, v3
	v_add_co_ci_u32_e64 v6, null, s11, v4, vcc_lo
	v_cmp_le_i32_e32 vcc_lo, s7, v0
	v_add_co_u32 v3, s0, s3, v3
	global_load_ushort v1, v[5:6], off
	v_add_co_ci_u32_e64 v4, null, s4, v4, s0
	s_or_b32 s1, vcc_lo, s1
	s_waitcnt vmcnt(0)
	v_cvt_f32_f16_e32 v1, v1
	v_sub_f32_e32 v1, v1, v8
	v_mul_f32_e32 v1, 0x3fb8aa3b, v1
	v_exp_f32_e32 v1, v1
	s_waitcnt lgkmcnt(0)
	v_fma_mixlo_f16 v1, v2, v1, 0
	global_store_short v[3:4], v1, off
	s_andn2_b32 exec_lo, exec_lo, s1
	s_cbranch_execnz .LBB431_43
.LBB431_44:
	s_endpgm
.LBB431_45:
	ds_read_b32 v1, v10
	s_or_b32 exec_lo, exec_lo, s0
	s_and_saveexec_b32 s0, s2
	s_cbranch_execz .LBB431_39
.LBB431_46:
	s_waitcnt lgkmcnt(0)
	ds_bpermute_b32 v2, v3, v1
	s_waitcnt lgkmcnt(0)
	v_add_f32_e32 v1, v1, v2
	ds_bpermute_b32 v2, v4, v1
	s_waitcnt lgkmcnt(0)
	v_add_f32_e32 v1, v1, v2
	;; [unrolled: 3-line block ×5, first 2 shown]
	s_or_b32 exec_lo, exec_lo, s0
	s_and_saveexec_b32 s0, s3
	s_cbranch_execnz .LBB431_40
	s_branch .LBB431_41
	.section	.rodata,"a",@progbits
	.p2align	6, 0x0
	.amdhsa_kernel _ZN2at6native12_GLOBAL__N_123cunn_SoftMaxForwardFastILi8EN3c104HalfEfS4_NS1_29SoftMaxForwardWithMulEpilogueEEEvPT2_PKT0_i
		.amdhsa_group_segment_fixed_size 0
		.amdhsa_private_segment_fixed_size 0
		.amdhsa_kernarg_size 280
		.amdhsa_user_sgpr_count 6
		.amdhsa_user_sgpr_private_segment_buffer 1
		.amdhsa_user_sgpr_dispatch_ptr 0
		.amdhsa_user_sgpr_queue_ptr 0
		.amdhsa_user_sgpr_kernarg_segment_ptr 1
		.amdhsa_user_sgpr_dispatch_id 0
		.amdhsa_user_sgpr_flat_scratch_init 0
		.amdhsa_user_sgpr_private_segment_size 0
		.amdhsa_wavefront_size32 1
		.amdhsa_uses_dynamic_stack 0
		.amdhsa_system_sgpr_private_segment_wavefront_offset 0
		.amdhsa_system_sgpr_workgroup_id_x 1
		.amdhsa_system_sgpr_workgroup_id_y 0
		.amdhsa_system_sgpr_workgroup_id_z 0
		.amdhsa_system_sgpr_workgroup_info 0
		.amdhsa_system_vgpr_workitem_id 0
		.amdhsa_next_free_vgpr 19
		.amdhsa_next_free_sgpr 21
		.amdhsa_reserve_vcc 1
		.amdhsa_reserve_flat_scratch 0
		.amdhsa_float_round_mode_32 0
		.amdhsa_float_round_mode_16_64 0
		.amdhsa_float_denorm_mode_32 3
		.amdhsa_float_denorm_mode_16_64 3
		.amdhsa_dx10_clamp 1
		.amdhsa_ieee_mode 1
		.amdhsa_fp16_overflow 0
		.amdhsa_workgroup_processor_mode 1
		.amdhsa_memory_ordered 1
		.amdhsa_forward_progress 1
		.amdhsa_shared_vgpr_count 0
		.amdhsa_exception_fp_ieee_invalid_op 0
		.amdhsa_exception_fp_denorm_src 0
		.amdhsa_exception_fp_ieee_div_zero 0
		.amdhsa_exception_fp_ieee_overflow 0
		.amdhsa_exception_fp_ieee_underflow 0
		.amdhsa_exception_fp_ieee_inexact 0
		.amdhsa_exception_int_div_zero 0
	.end_amdhsa_kernel
	.section	.text._ZN2at6native12_GLOBAL__N_123cunn_SoftMaxForwardFastILi8EN3c104HalfEfS4_NS1_29SoftMaxForwardWithMulEpilogueEEEvPT2_PKT0_i,"axG",@progbits,_ZN2at6native12_GLOBAL__N_123cunn_SoftMaxForwardFastILi8EN3c104HalfEfS4_NS1_29SoftMaxForwardWithMulEpilogueEEEvPT2_PKT0_i,comdat
.Lfunc_end431:
	.size	_ZN2at6native12_GLOBAL__N_123cunn_SoftMaxForwardFastILi8EN3c104HalfEfS4_NS1_29SoftMaxForwardWithMulEpilogueEEEvPT2_PKT0_i, .Lfunc_end431-_ZN2at6native12_GLOBAL__N_123cunn_SoftMaxForwardFastILi8EN3c104HalfEfS4_NS1_29SoftMaxForwardWithMulEpilogueEEEvPT2_PKT0_i
                                        ; -- End function
	.set _ZN2at6native12_GLOBAL__N_123cunn_SoftMaxForwardFastILi8EN3c104HalfEfS4_NS1_29SoftMaxForwardWithMulEpilogueEEEvPT2_PKT0_i.num_vgpr, 19
	.set _ZN2at6native12_GLOBAL__N_123cunn_SoftMaxForwardFastILi8EN3c104HalfEfS4_NS1_29SoftMaxForwardWithMulEpilogueEEEvPT2_PKT0_i.num_agpr, 0
	.set _ZN2at6native12_GLOBAL__N_123cunn_SoftMaxForwardFastILi8EN3c104HalfEfS4_NS1_29SoftMaxForwardWithMulEpilogueEEEvPT2_PKT0_i.numbered_sgpr, 21
	.set _ZN2at6native12_GLOBAL__N_123cunn_SoftMaxForwardFastILi8EN3c104HalfEfS4_NS1_29SoftMaxForwardWithMulEpilogueEEEvPT2_PKT0_i.num_named_barrier, 0
	.set _ZN2at6native12_GLOBAL__N_123cunn_SoftMaxForwardFastILi8EN3c104HalfEfS4_NS1_29SoftMaxForwardWithMulEpilogueEEEvPT2_PKT0_i.private_seg_size, 0
	.set _ZN2at6native12_GLOBAL__N_123cunn_SoftMaxForwardFastILi8EN3c104HalfEfS4_NS1_29SoftMaxForwardWithMulEpilogueEEEvPT2_PKT0_i.uses_vcc, 1
	.set _ZN2at6native12_GLOBAL__N_123cunn_SoftMaxForwardFastILi8EN3c104HalfEfS4_NS1_29SoftMaxForwardWithMulEpilogueEEEvPT2_PKT0_i.uses_flat_scratch, 0
	.set _ZN2at6native12_GLOBAL__N_123cunn_SoftMaxForwardFastILi8EN3c104HalfEfS4_NS1_29SoftMaxForwardWithMulEpilogueEEEvPT2_PKT0_i.has_dyn_sized_stack, 0
	.set _ZN2at6native12_GLOBAL__N_123cunn_SoftMaxForwardFastILi8EN3c104HalfEfS4_NS1_29SoftMaxForwardWithMulEpilogueEEEvPT2_PKT0_i.has_recursion, 0
	.set _ZN2at6native12_GLOBAL__N_123cunn_SoftMaxForwardFastILi8EN3c104HalfEfS4_NS1_29SoftMaxForwardWithMulEpilogueEEEvPT2_PKT0_i.has_indirect_call, 0
	.section	.AMDGPU.csdata,"",@progbits
; Kernel info:
; codeLenInByte = 2608
; TotalNumSgprs: 23
; NumVgprs: 19
; ScratchSize: 0
; MemoryBound: 0
; FloatMode: 240
; IeeeMode: 1
; LDSByteSize: 0 bytes/workgroup (compile time only)
; SGPRBlocks: 0
; VGPRBlocks: 2
; NumSGPRsForWavesPerEU: 23
; NumVGPRsForWavesPerEU: 19
; Occupancy: 16
; WaveLimiterHint : 0
; COMPUTE_PGM_RSRC2:SCRATCH_EN: 0
; COMPUTE_PGM_RSRC2:USER_SGPR: 6
; COMPUTE_PGM_RSRC2:TRAP_HANDLER: 0
; COMPUTE_PGM_RSRC2:TGID_X_EN: 1
; COMPUTE_PGM_RSRC2:TGID_Y_EN: 0
; COMPUTE_PGM_RSRC2:TGID_Z_EN: 0
; COMPUTE_PGM_RSRC2:TIDIG_COMP_CNT: 0
	.section	.text._ZN12_GLOBAL__N_120softmax_warp_forwardIN3c104HalfEffLi0ELb0ELb0ELi64EEEvPT0_PKT_iiiPKbib,"axG",@progbits,_ZN12_GLOBAL__N_120softmax_warp_forwardIN3c104HalfEffLi0ELb0ELb0ELi64EEEvPT0_PKT_iiiPKbib,comdat
	.globl	_ZN12_GLOBAL__N_120softmax_warp_forwardIN3c104HalfEffLi0ELb0ELb0ELi64EEEvPT0_PKT_iiiPKbib ; -- Begin function _ZN12_GLOBAL__N_120softmax_warp_forwardIN3c104HalfEffLi0ELb0ELb0ELi64EEEvPT0_PKT_iiiPKbib
	.p2align	8
	.type	_ZN12_GLOBAL__N_120softmax_warp_forwardIN3c104HalfEffLi0ELb0ELb0ELi64EEEvPT0_PKT_iiiPKbib,@function
_ZN12_GLOBAL__N_120softmax_warp_forwardIN3c104HalfEffLi0ELb0ELb0ELi64EEEvPT0_PKT_iiiPKbib: ; @_ZN12_GLOBAL__N_120softmax_warp_forwardIN3c104HalfEffLi0ELb0ELb0ELi64EEEvPT0_PKT_iiiPKbib
; %bb.0:
	s_clause 0x1
	s_load_dword s0, s[4:5], 0x3c
	s_load_dwordx8 s[8:15], s[4:5], 0x0
	v_mov_b32_e32 v6, 0xff800000
	v_mov_b32_e32 v7, 0xff800000
	s_waitcnt lgkmcnt(0)
	s_lshr_b32 s0, s0, 16
	s_and_b32 s0, s0, 0xffff
	s_mul_i32 s6, s6, s0
	v_cmp_gt_i32_e64 s0, s14, v0
	v_add_lshl_u32 v3, s6, v1, 1
	v_mad_u64_u32 v[1:2], null, v3, s13, v[0:1]
	v_sub_nc_u32_e32 v5, s12, v3
	v_cmp_lt_i32_e32 vcc_lo, 0, v5
	v_ashrrev_i32_e32 v2, 31, v1
	s_and_b32 s2, s0, vcc_lo
	v_lshlrev_b64 v[3:4], 1, v[1:2]
	v_add_co_u32 v3, s1, s10, v3
	v_add_co_ci_u32_e64 v4, null, s11, v4, s1
	s_and_saveexec_b32 s1, s2
	s_cbranch_execz .LBB432_2
; %bb.1:
	global_load_ushort v0, v[3:4], off
	s_waitcnt vmcnt(0)
	v_cvt_f32_f16_e32 v7, v0
.LBB432_2:
	s_or_b32 exec_lo, exec_lo, s1
	v_cmp_lt_i32_e64 s1, 1, v5
	s_and_b32 s1, s0, s1
	s_and_saveexec_b32 s2, s1
	s_cbranch_execz .LBB432_4
; %bb.3:
	s_mov_b32 s15, 0
	s_lshl_b64 s[4:5], s[14:15], 1
	v_add_co_u32 v3, s1, v3, s4
	v_add_co_ci_u32_e64 v4, null, s5, v4, s1
	global_load_ushort v0, v[3:4], off
	s_waitcnt vmcnt(0)
	v_cvt_f32_f16_e32 v6, v0
.LBB432_4:
	s_or_b32 exec_lo, exec_lo, s2
	s_and_saveexec_b32 s1, vcc_lo
	s_cbranch_execz .LBB432_9
; %bb.5:
	v_lshlrev_b64 v[0:1], 2, v[1:2]
	v_add_co_u32 v0, vcc_lo, s8, v0
	v_add_co_ci_u32_e64 v1, null, s9, v1, vcc_lo
	s_and_saveexec_b32 s1, s0
	s_cbranch_execz .LBB432_7
; %bb.6:
	v_sub_f32_e32 v2, v7, v7
	v_mul_f32_e32 v3, 0x3fb8aa3b, v2
	v_cmp_ngt_f32_e32 vcc_lo, 0xc2ce8ed0, v2
	v_rndne_f32_e32 v4, v3
	v_fma_f32 v7, 0x3fb8aa3b, v2, -v3
	v_sub_f32_e32 v3, v3, v4
	v_fmamk_f32 v7, v2, 0x32a5705f, v7
	v_cvt_i32_f32_e32 v4, v4
	v_add_f32_e32 v3, v3, v7
	v_exp_f32_e32 v3, v3
	v_ldexp_f32 v3, v3, v4
	v_cndmask_b32_e32 v3, 0, v3, vcc_lo
	v_cmp_nlt_f32_e32 vcc_lo, 0x42b17218, v2
	v_cndmask_b32_e32 v2, 0x7f800000, v3, vcc_lo
	v_div_scale_f32 v3, vcc_lo, v2, v2, v2
	v_rcp_f32_e32 v4, v3
	v_fma_f32 v7, -v3, v4, 1.0
	v_fmac_f32_e32 v4, v7, v4
	v_mul_f32_e32 v7, v3, v4
	v_fma_f32 v8, -v3, v7, v3
	v_fmac_f32_e32 v7, v8, v4
	v_fma_f32 v3, -v3, v7, v3
	v_div_fmas_f32 v3, v3, v4, v7
	v_cmp_neq_f32_e32 vcc_lo, 0, v2
	v_div_fixup_f32 v3, v3, v2, v2
	v_cndmask_b32_e32 v2, 0x7fc00000, v3, vcc_lo
	global_store_dword v[0:1], v2, off
.LBB432_7:
	s_or_b32 exec_lo, exec_lo, s1
	v_cmp_ne_u32_e32 vcc_lo, 1, v5
	s_and_b32 s0, vcc_lo, s0
	s_and_b32 exec_lo, exec_lo, s0
	s_cbranch_execz .LBB432_9
; %bb.8:
	v_sub_f32_e32 v2, v6, v6
	s_mov_b32 s15, 0
	s_lshl_b64 s[0:1], s[14:15], 2
	v_mul_f32_e32 v3, 0x3fb8aa3b, v2
	v_cmp_ngt_f32_e32 vcc_lo, 0xc2ce8ed0, v2
	v_rndne_f32_e32 v4, v3
	v_fma_f32 v5, 0x3fb8aa3b, v2, -v3
	v_sub_f32_e32 v3, v3, v4
	v_fmamk_f32 v5, v2, 0x32a5705f, v5
	v_cvt_i32_f32_e32 v4, v4
	v_add_f32_e32 v3, v3, v5
	v_exp_f32_e32 v3, v3
	v_ldexp_f32 v3, v3, v4
	v_cndmask_b32_e32 v3, 0, v3, vcc_lo
	v_cmp_nlt_f32_e32 vcc_lo, 0x42b17218, v2
	v_cndmask_b32_e32 v2, 0x7f800000, v3, vcc_lo
	v_div_scale_f32 v3, vcc_lo, v2, v2, v2
	v_rcp_f32_e32 v4, v3
	v_fma_f32 v5, -v3, v4, 1.0
	v_fmac_f32_e32 v4, v5, v4
	v_mul_f32_e32 v5, v3, v4
	v_fma_f32 v6, -v3, v5, v3
	v_fmac_f32_e32 v5, v6, v4
	v_fma_f32 v3, -v3, v5, v3
	v_div_fmas_f32 v3, v3, v4, v5
	v_add_co_u32 v0, vcc_lo, v0, s0
	v_add_co_ci_u32_e64 v1, null, s1, v1, vcc_lo
	v_div_fixup_f32 v3, v3, v2, v2
	v_cmp_neq_f32_e32 vcc_lo, 0, v2
	v_cndmask_b32_e32 v2, 0x7fc00000, v3, vcc_lo
	global_store_dword v[0:1], v2, off
.LBB432_9:
	s_endpgm
	.section	.rodata,"a",@progbits
	.p2align	6, 0x0
	.amdhsa_kernel _ZN12_GLOBAL__N_120softmax_warp_forwardIN3c104HalfEffLi0ELb0ELb0ELi64EEEvPT0_PKT_iiiPKbib
		.amdhsa_group_segment_fixed_size 0
		.amdhsa_private_segment_fixed_size 0
		.amdhsa_kernarg_size 304
		.amdhsa_user_sgpr_count 6
		.amdhsa_user_sgpr_private_segment_buffer 1
		.amdhsa_user_sgpr_dispatch_ptr 0
		.amdhsa_user_sgpr_queue_ptr 0
		.amdhsa_user_sgpr_kernarg_segment_ptr 1
		.amdhsa_user_sgpr_dispatch_id 0
		.amdhsa_user_sgpr_flat_scratch_init 0
		.amdhsa_user_sgpr_private_segment_size 0
		.amdhsa_wavefront_size32 1
		.amdhsa_uses_dynamic_stack 0
		.amdhsa_system_sgpr_private_segment_wavefront_offset 0
		.amdhsa_system_sgpr_workgroup_id_x 1
		.amdhsa_system_sgpr_workgroup_id_y 0
		.amdhsa_system_sgpr_workgroup_id_z 0
		.amdhsa_system_sgpr_workgroup_info 0
		.amdhsa_system_vgpr_workitem_id 1
		.amdhsa_next_free_vgpr 9
		.amdhsa_next_free_sgpr 16
		.amdhsa_reserve_vcc 1
		.amdhsa_reserve_flat_scratch 0
		.amdhsa_float_round_mode_32 0
		.amdhsa_float_round_mode_16_64 0
		.amdhsa_float_denorm_mode_32 3
		.amdhsa_float_denorm_mode_16_64 3
		.amdhsa_dx10_clamp 1
		.amdhsa_ieee_mode 1
		.amdhsa_fp16_overflow 0
		.amdhsa_workgroup_processor_mode 1
		.amdhsa_memory_ordered 1
		.amdhsa_forward_progress 1
		.amdhsa_shared_vgpr_count 0
		.amdhsa_exception_fp_ieee_invalid_op 0
		.amdhsa_exception_fp_denorm_src 0
		.amdhsa_exception_fp_ieee_div_zero 0
		.amdhsa_exception_fp_ieee_overflow 0
		.amdhsa_exception_fp_ieee_underflow 0
		.amdhsa_exception_fp_ieee_inexact 0
		.amdhsa_exception_int_div_zero 0
	.end_amdhsa_kernel
	.section	.text._ZN12_GLOBAL__N_120softmax_warp_forwardIN3c104HalfEffLi0ELb0ELb0ELi64EEEvPT0_PKT_iiiPKbib,"axG",@progbits,_ZN12_GLOBAL__N_120softmax_warp_forwardIN3c104HalfEffLi0ELb0ELb0ELi64EEEvPT0_PKT_iiiPKbib,comdat
.Lfunc_end432:
	.size	_ZN12_GLOBAL__N_120softmax_warp_forwardIN3c104HalfEffLi0ELb0ELb0ELi64EEEvPT0_PKT_iiiPKbib, .Lfunc_end432-_ZN12_GLOBAL__N_120softmax_warp_forwardIN3c104HalfEffLi0ELb0ELb0ELi64EEEvPT0_PKT_iiiPKbib
                                        ; -- End function
	.set _ZN12_GLOBAL__N_120softmax_warp_forwardIN3c104HalfEffLi0ELb0ELb0ELi64EEEvPT0_PKT_iiiPKbib.num_vgpr, 9
	.set _ZN12_GLOBAL__N_120softmax_warp_forwardIN3c104HalfEffLi0ELb0ELb0ELi64EEEvPT0_PKT_iiiPKbib.num_agpr, 0
	.set _ZN12_GLOBAL__N_120softmax_warp_forwardIN3c104HalfEffLi0ELb0ELb0ELi64EEEvPT0_PKT_iiiPKbib.numbered_sgpr, 16
	.set _ZN12_GLOBAL__N_120softmax_warp_forwardIN3c104HalfEffLi0ELb0ELb0ELi64EEEvPT0_PKT_iiiPKbib.num_named_barrier, 0
	.set _ZN12_GLOBAL__N_120softmax_warp_forwardIN3c104HalfEffLi0ELb0ELb0ELi64EEEvPT0_PKT_iiiPKbib.private_seg_size, 0
	.set _ZN12_GLOBAL__N_120softmax_warp_forwardIN3c104HalfEffLi0ELb0ELb0ELi64EEEvPT0_PKT_iiiPKbib.uses_vcc, 1
	.set _ZN12_GLOBAL__N_120softmax_warp_forwardIN3c104HalfEffLi0ELb0ELb0ELi64EEEvPT0_PKT_iiiPKbib.uses_flat_scratch, 0
	.set _ZN12_GLOBAL__N_120softmax_warp_forwardIN3c104HalfEffLi0ELb0ELb0ELi64EEEvPT0_PKT_iiiPKbib.has_dyn_sized_stack, 0
	.set _ZN12_GLOBAL__N_120softmax_warp_forwardIN3c104HalfEffLi0ELb0ELb0ELi64EEEvPT0_PKT_iiiPKbib.has_recursion, 0
	.set _ZN12_GLOBAL__N_120softmax_warp_forwardIN3c104HalfEffLi0ELb0ELb0ELi64EEEvPT0_PKT_iiiPKbib.has_indirect_call, 0
	.section	.AMDGPU.csdata,"",@progbits
; Kernel info:
; codeLenInByte = 644
; TotalNumSgprs: 18
; NumVgprs: 9
; ScratchSize: 0
; MemoryBound: 0
; FloatMode: 240
; IeeeMode: 1
; LDSByteSize: 0 bytes/workgroup (compile time only)
; SGPRBlocks: 0
; VGPRBlocks: 1
; NumSGPRsForWavesPerEU: 18
; NumVGPRsForWavesPerEU: 9
; Occupancy: 16
; WaveLimiterHint : 0
; COMPUTE_PGM_RSRC2:SCRATCH_EN: 0
; COMPUTE_PGM_RSRC2:USER_SGPR: 6
; COMPUTE_PGM_RSRC2:TRAP_HANDLER: 0
; COMPUTE_PGM_RSRC2:TGID_X_EN: 1
; COMPUTE_PGM_RSRC2:TGID_Y_EN: 0
; COMPUTE_PGM_RSRC2:TGID_Z_EN: 0
; COMPUTE_PGM_RSRC2:TIDIG_COMP_CNT: 1
	.section	.text._ZN12_GLOBAL__N_120softmax_warp_forwardIN3c104HalfEffLi0ELb0ELb0ELi32EEEvPT0_PKT_iiiPKbib,"axG",@progbits,_ZN12_GLOBAL__N_120softmax_warp_forwardIN3c104HalfEffLi0ELb0ELb0ELi32EEEvPT0_PKT_iiiPKbib,comdat
	.globl	_ZN12_GLOBAL__N_120softmax_warp_forwardIN3c104HalfEffLi0ELb0ELb0ELi32EEEvPT0_PKT_iiiPKbib ; -- Begin function _ZN12_GLOBAL__N_120softmax_warp_forwardIN3c104HalfEffLi0ELb0ELb0ELi32EEEvPT0_PKT_iiiPKbib
	.p2align	8
	.type	_ZN12_GLOBAL__N_120softmax_warp_forwardIN3c104HalfEffLi0ELb0ELb0ELi32EEEvPT0_PKT_iiiPKbib,@function
_ZN12_GLOBAL__N_120softmax_warp_forwardIN3c104HalfEffLi0ELb0ELb0ELi32EEEvPT0_PKT_iiiPKbib: ; @_ZN12_GLOBAL__N_120softmax_warp_forwardIN3c104HalfEffLi0ELb0ELb0ELi32EEEvPT0_PKT_iiiPKbib
; %bb.0:
	s_clause 0x1
	s_load_dword s0, s[4:5], 0x3c
	s_load_dwordx8 s[8:15], s[4:5], 0x0
	v_mov_b32_e32 v6, 0xff800000
	v_mov_b32_e32 v7, 0xff800000
	s_waitcnt lgkmcnt(0)
	s_lshr_b32 s0, s0, 16
	s_and_b32 s0, s0, 0xffff
	s_mul_i32 s6, s6, s0
	v_cmp_gt_i32_e64 s0, s14, v0
	v_add_lshl_u32 v3, s6, v1, 1
	v_mad_u64_u32 v[1:2], null, v3, s13, v[0:1]
	v_sub_nc_u32_e32 v5, s12, v3
	v_cmp_lt_i32_e32 vcc_lo, 0, v5
	v_ashrrev_i32_e32 v2, 31, v1
	s_and_b32 s2, s0, vcc_lo
	v_lshlrev_b64 v[3:4], 1, v[1:2]
	v_add_co_u32 v3, s1, s10, v3
	v_add_co_ci_u32_e64 v4, null, s11, v4, s1
	s_and_saveexec_b32 s1, s2
	s_cbranch_execz .LBB433_2
; %bb.1:
	global_load_ushort v0, v[3:4], off
	s_waitcnt vmcnt(0)
	v_cvt_f32_f16_e32 v7, v0
.LBB433_2:
	s_or_b32 exec_lo, exec_lo, s1
	v_cmp_lt_i32_e64 s1, 1, v5
	s_and_b32 s1, s0, s1
	s_and_saveexec_b32 s2, s1
	s_cbranch_execz .LBB433_4
; %bb.3:
	s_mov_b32 s15, 0
	s_lshl_b64 s[4:5], s[14:15], 1
	v_add_co_u32 v3, s1, v3, s4
	v_add_co_ci_u32_e64 v4, null, s5, v4, s1
	global_load_ushort v0, v[3:4], off
	s_waitcnt vmcnt(0)
	v_cvt_f32_f16_e32 v6, v0
.LBB433_4:
	s_or_b32 exec_lo, exec_lo, s2
	s_and_saveexec_b32 s1, vcc_lo
	s_cbranch_execz .LBB433_9
; %bb.5:
	v_lshlrev_b64 v[0:1], 2, v[1:2]
	v_add_co_u32 v0, vcc_lo, s8, v0
	v_add_co_ci_u32_e64 v1, null, s9, v1, vcc_lo
	s_and_saveexec_b32 s1, s0
	s_cbranch_execz .LBB433_7
; %bb.6:
	v_sub_f32_e32 v2, v7, v7
	v_mul_f32_e32 v3, 0x3fb8aa3b, v2
	v_cmp_ngt_f32_e32 vcc_lo, 0xc2ce8ed0, v2
	v_rndne_f32_e32 v4, v3
	v_fma_f32 v7, 0x3fb8aa3b, v2, -v3
	v_sub_f32_e32 v3, v3, v4
	v_fmamk_f32 v7, v2, 0x32a5705f, v7
	v_cvt_i32_f32_e32 v4, v4
	v_add_f32_e32 v3, v3, v7
	v_exp_f32_e32 v3, v3
	v_ldexp_f32 v3, v3, v4
	v_cndmask_b32_e32 v3, 0, v3, vcc_lo
	v_cmp_nlt_f32_e32 vcc_lo, 0x42b17218, v2
	v_cndmask_b32_e32 v2, 0x7f800000, v3, vcc_lo
	v_div_scale_f32 v3, vcc_lo, v2, v2, v2
	v_rcp_f32_e32 v4, v3
	v_fma_f32 v7, -v3, v4, 1.0
	v_fmac_f32_e32 v4, v7, v4
	v_mul_f32_e32 v7, v3, v4
	v_fma_f32 v8, -v3, v7, v3
	v_fmac_f32_e32 v7, v8, v4
	v_fma_f32 v3, -v3, v7, v3
	v_div_fmas_f32 v3, v3, v4, v7
	v_cmp_neq_f32_e32 vcc_lo, 0, v2
	v_div_fixup_f32 v3, v3, v2, v2
	v_cndmask_b32_e32 v2, 0x7fc00000, v3, vcc_lo
	global_store_dword v[0:1], v2, off
.LBB433_7:
	s_or_b32 exec_lo, exec_lo, s1
	v_cmp_ne_u32_e32 vcc_lo, 1, v5
	s_and_b32 s0, vcc_lo, s0
	s_and_b32 exec_lo, exec_lo, s0
	s_cbranch_execz .LBB433_9
; %bb.8:
	v_sub_f32_e32 v2, v6, v6
	s_mov_b32 s15, 0
	s_lshl_b64 s[0:1], s[14:15], 2
	v_mul_f32_e32 v3, 0x3fb8aa3b, v2
	v_cmp_ngt_f32_e32 vcc_lo, 0xc2ce8ed0, v2
	v_rndne_f32_e32 v4, v3
	v_fma_f32 v5, 0x3fb8aa3b, v2, -v3
	v_sub_f32_e32 v3, v3, v4
	v_fmamk_f32 v5, v2, 0x32a5705f, v5
	v_cvt_i32_f32_e32 v4, v4
	v_add_f32_e32 v3, v3, v5
	v_exp_f32_e32 v3, v3
	v_ldexp_f32 v3, v3, v4
	v_cndmask_b32_e32 v3, 0, v3, vcc_lo
	v_cmp_nlt_f32_e32 vcc_lo, 0x42b17218, v2
	v_cndmask_b32_e32 v2, 0x7f800000, v3, vcc_lo
	v_div_scale_f32 v3, vcc_lo, v2, v2, v2
	v_rcp_f32_e32 v4, v3
	v_fma_f32 v5, -v3, v4, 1.0
	v_fmac_f32_e32 v4, v5, v4
	v_mul_f32_e32 v5, v3, v4
	v_fma_f32 v6, -v3, v5, v3
	v_fmac_f32_e32 v5, v6, v4
	v_fma_f32 v3, -v3, v5, v3
	v_div_fmas_f32 v3, v3, v4, v5
	v_add_co_u32 v0, vcc_lo, v0, s0
	v_add_co_ci_u32_e64 v1, null, s1, v1, vcc_lo
	v_div_fixup_f32 v3, v3, v2, v2
	v_cmp_neq_f32_e32 vcc_lo, 0, v2
	v_cndmask_b32_e32 v2, 0x7fc00000, v3, vcc_lo
	global_store_dword v[0:1], v2, off
.LBB433_9:
	s_endpgm
	.section	.rodata,"a",@progbits
	.p2align	6, 0x0
	.amdhsa_kernel _ZN12_GLOBAL__N_120softmax_warp_forwardIN3c104HalfEffLi0ELb0ELb0ELi32EEEvPT0_PKT_iiiPKbib
		.amdhsa_group_segment_fixed_size 0
		.amdhsa_private_segment_fixed_size 0
		.amdhsa_kernarg_size 304
		.amdhsa_user_sgpr_count 6
		.amdhsa_user_sgpr_private_segment_buffer 1
		.amdhsa_user_sgpr_dispatch_ptr 0
		.amdhsa_user_sgpr_queue_ptr 0
		.amdhsa_user_sgpr_kernarg_segment_ptr 1
		.amdhsa_user_sgpr_dispatch_id 0
		.amdhsa_user_sgpr_flat_scratch_init 0
		.amdhsa_user_sgpr_private_segment_size 0
		.amdhsa_wavefront_size32 1
		.amdhsa_uses_dynamic_stack 0
		.amdhsa_system_sgpr_private_segment_wavefront_offset 0
		.amdhsa_system_sgpr_workgroup_id_x 1
		.amdhsa_system_sgpr_workgroup_id_y 0
		.amdhsa_system_sgpr_workgroup_id_z 0
		.amdhsa_system_sgpr_workgroup_info 0
		.amdhsa_system_vgpr_workitem_id 1
		.amdhsa_next_free_vgpr 9
		.amdhsa_next_free_sgpr 16
		.amdhsa_reserve_vcc 1
		.amdhsa_reserve_flat_scratch 0
		.amdhsa_float_round_mode_32 0
		.amdhsa_float_round_mode_16_64 0
		.amdhsa_float_denorm_mode_32 3
		.amdhsa_float_denorm_mode_16_64 3
		.amdhsa_dx10_clamp 1
		.amdhsa_ieee_mode 1
		.amdhsa_fp16_overflow 0
		.amdhsa_workgroup_processor_mode 1
		.amdhsa_memory_ordered 1
		.amdhsa_forward_progress 1
		.amdhsa_shared_vgpr_count 0
		.amdhsa_exception_fp_ieee_invalid_op 0
		.amdhsa_exception_fp_denorm_src 0
		.amdhsa_exception_fp_ieee_div_zero 0
		.amdhsa_exception_fp_ieee_overflow 0
		.amdhsa_exception_fp_ieee_underflow 0
		.amdhsa_exception_fp_ieee_inexact 0
		.amdhsa_exception_int_div_zero 0
	.end_amdhsa_kernel
	.section	.text._ZN12_GLOBAL__N_120softmax_warp_forwardIN3c104HalfEffLi0ELb0ELb0ELi32EEEvPT0_PKT_iiiPKbib,"axG",@progbits,_ZN12_GLOBAL__N_120softmax_warp_forwardIN3c104HalfEffLi0ELb0ELb0ELi32EEEvPT0_PKT_iiiPKbib,comdat
.Lfunc_end433:
	.size	_ZN12_GLOBAL__N_120softmax_warp_forwardIN3c104HalfEffLi0ELb0ELb0ELi32EEEvPT0_PKT_iiiPKbib, .Lfunc_end433-_ZN12_GLOBAL__N_120softmax_warp_forwardIN3c104HalfEffLi0ELb0ELb0ELi32EEEvPT0_PKT_iiiPKbib
                                        ; -- End function
	.set _ZN12_GLOBAL__N_120softmax_warp_forwardIN3c104HalfEffLi0ELb0ELb0ELi32EEEvPT0_PKT_iiiPKbib.num_vgpr, 9
	.set _ZN12_GLOBAL__N_120softmax_warp_forwardIN3c104HalfEffLi0ELb0ELb0ELi32EEEvPT0_PKT_iiiPKbib.num_agpr, 0
	.set _ZN12_GLOBAL__N_120softmax_warp_forwardIN3c104HalfEffLi0ELb0ELb0ELi32EEEvPT0_PKT_iiiPKbib.numbered_sgpr, 16
	.set _ZN12_GLOBAL__N_120softmax_warp_forwardIN3c104HalfEffLi0ELb0ELb0ELi32EEEvPT0_PKT_iiiPKbib.num_named_barrier, 0
	.set _ZN12_GLOBAL__N_120softmax_warp_forwardIN3c104HalfEffLi0ELb0ELb0ELi32EEEvPT0_PKT_iiiPKbib.private_seg_size, 0
	.set _ZN12_GLOBAL__N_120softmax_warp_forwardIN3c104HalfEffLi0ELb0ELb0ELi32EEEvPT0_PKT_iiiPKbib.uses_vcc, 1
	.set _ZN12_GLOBAL__N_120softmax_warp_forwardIN3c104HalfEffLi0ELb0ELb0ELi32EEEvPT0_PKT_iiiPKbib.uses_flat_scratch, 0
	.set _ZN12_GLOBAL__N_120softmax_warp_forwardIN3c104HalfEffLi0ELb0ELb0ELi32EEEvPT0_PKT_iiiPKbib.has_dyn_sized_stack, 0
	.set _ZN12_GLOBAL__N_120softmax_warp_forwardIN3c104HalfEffLi0ELb0ELb0ELi32EEEvPT0_PKT_iiiPKbib.has_recursion, 0
	.set _ZN12_GLOBAL__N_120softmax_warp_forwardIN3c104HalfEffLi0ELb0ELb0ELi32EEEvPT0_PKT_iiiPKbib.has_indirect_call, 0
	.section	.AMDGPU.csdata,"",@progbits
; Kernel info:
; codeLenInByte = 644
; TotalNumSgprs: 18
; NumVgprs: 9
; ScratchSize: 0
; MemoryBound: 0
; FloatMode: 240
; IeeeMode: 1
; LDSByteSize: 0 bytes/workgroup (compile time only)
; SGPRBlocks: 0
; VGPRBlocks: 1
; NumSGPRsForWavesPerEU: 18
; NumVGPRsForWavesPerEU: 9
; Occupancy: 16
; WaveLimiterHint : 0
; COMPUTE_PGM_RSRC2:SCRATCH_EN: 0
; COMPUTE_PGM_RSRC2:USER_SGPR: 6
; COMPUTE_PGM_RSRC2:TRAP_HANDLER: 0
; COMPUTE_PGM_RSRC2:TGID_X_EN: 1
; COMPUTE_PGM_RSRC2:TGID_Y_EN: 0
; COMPUTE_PGM_RSRC2:TGID_Z_EN: 0
; COMPUTE_PGM_RSRC2:TIDIG_COMP_CNT: 1
	.section	.text._ZN12_GLOBAL__N_120softmax_warp_forwardIN3c104HalfEffLi1ELb0ELb0ELi64EEEvPT0_PKT_iiiPKbib,"axG",@progbits,_ZN12_GLOBAL__N_120softmax_warp_forwardIN3c104HalfEffLi1ELb0ELb0ELi64EEEvPT0_PKT_iiiPKbib,comdat
	.globl	_ZN12_GLOBAL__N_120softmax_warp_forwardIN3c104HalfEffLi1ELb0ELb0ELi64EEEvPT0_PKT_iiiPKbib ; -- Begin function _ZN12_GLOBAL__N_120softmax_warp_forwardIN3c104HalfEffLi1ELb0ELb0ELi64EEEvPT0_PKT_iiiPKbib
	.p2align	8
	.type	_ZN12_GLOBAL__N_120softmax_warp_forwardIN3c104HalfEffLi1ELb0ELb0ELi64EEEvPT0_PKT_iiiPKbib,@function
_ZN12_GLOBAL__N_120softmax_warp_forwardIN3c104HalfEffLi1ELb0ELb0ELi64EEEvPT0_PKT_iiiPKbib: ; @_ZN12_GLOBAL__N_120softmax_warp_forwardIN3c104HalfEffLi1ELb0ELb0ELi64EEEvPT0_PKT_iiiPKbib
; %bb.0:
	s_clause 0x1
	s_load_dword s0, s[4:5], 0x3c
	s_load_dwordx8 s[8:15], s[4:5], 0x0
	v_mov_b32_e32 v6, 0xff800000
	s_waitcnt lgkmcnt(0)
	s_lshr_b32 s0, s0, 16
	s_and_b32 s0, s0, 0xffff
	s_mul_i32 s6, s6, s0
	v_cmp_gt_i32_e64 s0, s14, v0
	v_add_lshl_u32 v3, s6, v1, 1
	v_mad_u64_u32 v[1:2], null, v3, s13, v[0:1]
	v_sub_nc_u32_e32 v5, s12, v3
	v_mov_b32_e32 v0, 0xff800000
	v_cmp_lt_i32_e32 vcc_lo, 0, v5
	v_ashrrev_i32_e32 v2, 31, v1
	s_and_b32 s2, s0, vcc_lo
	v_lshlrev_b64 v[3:4], 1, v[1:2]
	v_add_co_u32 v3, s1, s10, v3
	v_add_co_ci_u32_e64 v4, null, s11, v4, s1
	s_and_saveexec_b32 s1, s2
	s_cbranch_execz .LBB434_2
; %bb.1:
	global_load_ushort v0, v[3:4], off
	s_waitcnt vmcnt(0)
	v_cvt_f32_f16_e32 v0, v0
.LBB434_2:
	s_or_b32 exec_lo, exec_lo, s1
	v_cmp_lt_i32_e64 s1, 1, v5
	s_and_b32 s1, s0, s1
	s_and_saveexec_b32 s2, s1
	s_cbranch_execz .LBB434_4
; %bb.3:
	s_mov_b32 s15, 0
	s_lshl_b64 s[4:5], s[14:15], 1
	v_add_co_u32 v3, s1, v3, s4
	v_add_co_ci_u32_e64 v4, null, s5, v4, s1
	global_load_ushort v3, v[3:4], off
	s_waitcnt vmcnt(0)
	v_cvt_f32_f16_e32 v6, v3
.LBB434_4:
	s_or_b32 exec_lo, exec_lo, s2
	v_mbcnt_lo_u32_b32 v3, -1, 0
	v_and_b32_e32 v4, 30, v3
	v_xor_b32_e32 v7, 1, v3
	v_add_nc_u32_e32 v4, 2, v4
	v_cmp_lt_i32_e64 s1, v7, v4
	v_cndmask_b32_e64 v3, v3, v7, s1
	v_lshlrev_b32_e32 v4, 2, v3
	ds_bpermute_b32 v3, v4, v0
	ds_bpermute_b32 v7, v4, v6
	s_waitcnt lgkmcnt(1)
	v_cmp_lt_f32_e64 s1, v0, v3
	v_cndmask_b32_e64 v3, v0, v3, s1
	s_waitcnt lgkmcnt(0)
	v_cmp_lt_f32_e64 s1, v6, v7
	v_sub_f32_e32 v0, v0, v3
	v_cndmask_b32_e64 v7, v6, v7, s1
	v_cmp_ngt_f32_e64 s1, 0xc2ce8ed0, v0
	v_sub_f32_e32 v3, v6, v7
	v_mul_f32_e32 v6, 0x3fb8aa3b, v0
	v_mul_f32_e32 v7, 0x3fb8aa3b, v3
	v_fma_f32 v8, 0x3fb8aa3b, v0, -v6
	v_rndne_f32_e32 v9, v6
	v_fma_f32 v10, 0x3fb8aa3b, v3, -v7
	v_rndne_f32_e32 v11, v7
	v_fmac_f32_e32 v8, 0x32a5705f, v0
	v_sub_f32_e32 v6, v6, v9
	v_fmac_f32_e32 v10, 0x32a5705f, v3
	v_sub_f32_e32 v7, v7, v11
	v_add_f32_e32 v6, v6, v8
	v_cvt_i32_f32_e32 v8, v9
	v_cvt_i32_f32_e32 v9, v11
	v_add_f32_e32 v7, v7, v10
	v_exp_f32_e32 v6, v6
	v_exp_f32_e32 v7, v7
	v_ldexp_f32 v6, v6, v8
	v_ldexp_f32 v7, v7, v9
	v_cndmask_b32_e64 v6, 0, v6, s1
	v_cmp_ngt_f32_e64 s1, 0xc2ce8ed0, v3
	v_cndmask_b32_e64 v7, 0, v7, s1
	v_cmp_nlt_f32_e64 s1, 0x42b17218, v0
	v_cndmask_b32_e64 v6, 0x7f800000, v6, s1
	v_cmp_nlt_f32_e64 s1, 0x42b17218, v3
	v_cndmask_b32_e64 v3, 0x7f800000, v7, s1
	ds_bpermute_b32 v7, v4, v6
	ds_bpermute_b32 v4, v4, v3
	s_and_saveexec_b32 s1, vcc_lo
	s_cbranch_execz .LBB434_9
; %bb.5:
	v_lshlrev_b64 v[0:1], 2, v[1:2]
	v_add_co_u32 v0, vcc_lo, s8, v0
	v_add_co_ci_u32_e64 v1, null, s9, v1, vcc_lo
	s_and_saveexec_b32 s1, s0
	s_cbranch_execz .LBB434_7
; %bb.6:
	s_waitcnt lgkmcnt(1)
	v_add_f32_e32 v2, v6, v7
	v_div_scale_f32 v7, null, v2, v2, v6
	v_rcp_f32_e32 v8, v7
	v_fma_f32 v9, -v7, v8, 1.0
	v_fmac_f32_e32 v8, v9, v8
	v_div_scale_f32 v9, vcc_lo, v6, v2, v6
	v_mul_f32_e32 v10, v9, v8
	v_fma_f32 v11, -v7, v10, v9
	v_fmac_f32_e32 v10, v11, v8
	v_fma_f32 v7, -v7, v10, v9
	v_div_fmas_f32 v7, v7, v8, v10
	v_cmp_neq_f32_e32 vcc_lo, 0, v2
	v_div_fixup_f32 v6, v7, v2, v6
	v_cndmask_b32_e32 v2, 0x7fc00000, v6, vcc_lo
	global_store_dword v[0:1], v2, off
.LBB434_7:
	s_or_b32 exec_lo, exec_lo, s1
	v_cmp_ne_u32_e32 vcc_lo, 1, v5
	s_and_b32 s0, vcc_lo, s0
	s_and_b32 exec_lo, exec_lo, s0
	s_cbranch_execz .LBB434_9
; %bb.8:
	s_waitcnt lgkmcnt(0)
	v_add_f32_e32 v2, v3, v4
	s_mov_b32 s15, 0
	s_lshl_b64 s[0:1], s[14:15], 2
	v_div_scale_f32 v4, null, v2, v2, v3
	v_div_scale_f32 v7, vcc_lo, v3, v2, v3
	v_rcp_f32_e32 v5, v4
	v_fma_f32 v6, -v4, v5, 1.0
	v_fmac_f32_e32 v5, v6, v5
	v_mul_f32_e32 v6, v7, v5
	v_fma_f32 v8, -v4, v6, v7
	v_fmac_f32_e32 v6, v8, v5
	v_fma_f32 v4, -v4, v6, v7
	v_div_fmas_f32 v4, v4, v5, v6
	v_add_co_u32 v0, vcc_lo, v0, s0
	v_add_co_ci_u32_e64 v1, null, s1, v1, vcc_lo
	v_div_fixup_f32 v3, v4, v2, v3
	v_cmp_neq_f32_e32 vcc_lo, 0, v2
	v_cndmask_b32_e32 v2, 0x7fc00000, v3, vcc_lo
	global_store_dword v[0:1], v2, off
.LBB434_9:
	s_endpgm
	.section	.rodata,"a",@progbits
	.p2align	6, 0x0
	.amdhsa_kernel _ZN12_GLOBAL__N_120softmax_warp_forwardIN3c104HalfEffLi1ELb0ELb0ELi64EEEvPT0_PKT_iiiPKbib
		.amdhsa_group_segment_fixed_size 0
		.amdhsa_private_segment_fixed_size 0
		.amdhsa_kernarg_size 304
		.amdhsa_user_sgpr_count 6
		.amdhsa_user_sgpr_private_segment_buffer 1
		.amdhsa_user_sgpr_dispatch_ptr 0
		.amdhsa_user_sgpr_queue_ptr 0
		.amdhsa_user_sgpr_kernarg_segment_ptr 1
		.amdhsa_user_sgpr_dispatch_id 0
		.amdhsa_user_sgpr_flat_scratch_init 0
		.amdhsa_user_sgpr_private_segment_size 0
		.amdhsa_wavefront_size32 1
		.amdhsa_uses_dynamic_stack 0
		.amdhsa_system_sgpr_private_segment_wavefront_offset 0
		.amdhsa_system_sgpr_workgroup_id_x 1
		.amdhsa_system_sgpr_workgroup_id_y 0
		.amdhsa_system_sgpr_workgroup_id_z 0
		.amdhsa_system_sgpr_workgroup_info 0
		.amdhsa_system_vgpr_workitem_id 1
		.amdhsa_next_free_vgpr 12
		.amdhsa_next_free_sgpr 16
		.amdhsa_reserve_vcc 1
		.amdhsa_reserve_flat_scratch 0
		.amdhsa_float_round_mode_32 0
		.amdhsa_float_round_mode_16_64 0
		.amdhsa_float_denorm_mode_32 3
		.amdhsa_float_denorm_mode_16_64 3
		.amdhsa_dx10_clamp 1
		.amdhsa_ieee_mode 1
		.amdhsa_fp16_overflow 0
		.amdhsa_workgroup_processor_mode 1
		.amdhsa_memory_ordered 1
		.amdhsa_forward_progress 1
		.amdhsa_shared_vgpr_count 0
		.amdhsa_exception_fp_ieee_invalid_op 0
		.amdhsa_exception_fp_denorm_src 0
		.amdhsa_exception_fp_ieee_div_zero 0
		.amdhsa_exception_fp_ieee_overflow 0
		.amdhsa_exception_fp_ieee_underflow 0
		.amdhsa_exception_fp_ieee_inexact 0
		.amdhsa_exception_int_div_zero 0
	.end_amdhsa_kernel
	.section	.text._ZN12_GLOBAL__N_120softmax_warp_forwardIN3c104HalfEffLi1ELb0ELb0ELi64EEEvPT0_PKT_iiiPKbib,"axG",@progbits,_ZN12_GLOBAL__N_120softmax_warp_forwardIN3c104HalfEffLi1ELb0ELb0ELi64EEEvPT0_PKT_iiiPKbib,comdat
.Lfunc_end434:
	.size	_ZN12_GLOBAL__N_120softmax_warp_forwardIN3c104HalfEffLi1ELb0ELb0ELi64EEEvPT0_PKT_iiiPKbib, .Lfunc_end434-_ZN12_GLOBAL__N_120softmax_warp_forwardIN3c104HalfEffLi1ELb0ELb0ELi64EEEvPT0_PKT_iiiPKbib
                                        ; -- End function
	.set _ZN12_GLOBAL__N_120softmax_warp_forwardIN3c104HalfEffLi1ELb0ELb0ELi64EEEvPT0_PKT_iiiPKbib.num_vgpr, 12
	.set _ZN12_GLOBAL__N_120softmax_warp_forwardIN3c104HalfEffLi1ELb0ELb0ELi64EEEvPT0_PKT_iiiPKbib.num_agpr, 0
	.set _ZN12_GLOBAL__N_120softmax_warp_forwardIN3c104HalfEffLi1ELb0ELb0ELi64EEEvPT0_PKT_iiiPKbib.numbered_sgpr, 16
	.set _ZN12_GLOBAL__N_120softmax_warp_forwardIN3c104HalfEffLi1ELb0ELb0ELi64EEEvPT0_PKT_iiiPKbib.num_named_barrier, 0
	.set _ZN12_GLOBAL__N_120softmax_warp_forwardIN3c104HalfEffLi1ELb0ELb0ELi64EEEvPT0_PKT_iiiPKbib.private_seg_size, 0
	.set _ZN12_GLOBAL__N_120softmax_warp_forwardIN3c104HalfEffLi1ELb0ELb0ELi64EEEvPT0_PKT_iiiPKbib.uses_vcc, 1
	.set _ZN12_GLOBAL__N_120softmax_warp_forwardIN3c104HalfEffLi1ELb0ELb0ELi64EEEvPT0_PKT_iiiPKbib.uses_flat_scratch, 0
	.set _ZN12_GLOBAL__N_120softmax_warp_forwardIN3c104HalfEffLi1ELb0ELb0ELi64EEEvPT0_PKT_iiiPKbib.has_dyn_sized_stack, 0
	.set _ZN12_GLOBAL__N_120softmax_warp_forwardIN3c104HalfEffLi1ELb0ELb0ELi64EEEvPT0_PKT_iiiPKbib.has_recursion, 0
	.set _ZN12_GLOBAL__N_120softmax_warp_forwardIN3c104HalfEffLi1ELb0ELb0ELi64EEEvPT0_PKT_iiiPKbib.has_indirect_call, 0
	.section	.AMDGPU.csdata,"",@progbits
; Kernel info:
; codeLenInByte = 820
; TotalNumSgprs: 18
; NumVgprs: 12
; ScratchSize: 0
; MemoryBound: 0
; FloatMode: 240
; IeeeMode: 1
; LDSByteSize: 0 bytes/workgroup (compile time only)
; SGPRBlocks: 0
; VGPRBlocks: 1
; NumSGPRsForWavesPerEU: 18
; NumVGPRsForWavesPerEU: 12
; Occupancy: 16
; WaveLimiterHint : 0
; COMPUTE_PGM_RSRC2:SCRATCH_EN: 0
; COMPUTE_PGM_RSRC2:USER_SGPR: 6
; COMPUTE_PGM_RSRC2:TRAP_HANDLER: 0
; COMPUTE_PGM_RSRC2:TGID_X_EN: 1
; COMPUTE_PGM_RSRC2:TGID_Y_EN: 0
; COMPUTE_PGM_RSRC2:TGID_Z_EN: 0
; COMPUTE_PGM_RSRC2:TIDIG_COMP_CNT: 1
	.section	.text._ZN12_GLOBAL__N_120softmax_warp_forwardIN3c104HalfEffLi1ELb0ELb0ELi32EEEvPT0_PKT_iiiPKbib,"axG",@progbits,_ZN12_GLOBAL__N_120softmax_warp_forwardIN3c104HalfEffLi1ELb0ELb0ELi32EEEvPT0_PKT_iiiPKbib,comdat
	.globl	_ZN12_GLOBAL__N_120softmax_warp_forwardIN3c104HalfEffLi1ELb0ELb0ELi32EEEvPT0_PKT_iiiPKbib ; -- Begin function _ZN12_GLOBAL__N_120softmax_warp_forwardIN3c104HalfEffLi1ELb0ELb0ELi32EEEvPT0_PKT_iiiPKbib
	.p2align	8
	.type	_ZN12_GLOBAL__N_120softmax_warp_forwardIN3c104HalfEffLi1ELb0ELb0ELi32EEEvPT0_PKT_iiiPKbib,@function
_ZN12_GLOBAL__N_120softmax_warp_forwardIN3c104HalfEffLi1ELb0ELb0ELi32EEEvPT0_PKT_iiiPKbib: ; @_ZN12_GLOBAL__N_120softmax_warp_forwardIN3c104HalfEffLi1ELb0ELb0ELi32EEEvPT0_PKT_iiiPKbib
; %bb.0:
	s_clause 0x1
	s_load_dword s0, s[4:5], 0x3c
	s_load_dwordx8 s[8:15], s[4:5], 0x0
	v_mov_b32_e32 v6, 0xff800000
	s_waitcnt lgkmcnt(0)
	s_lshr_b32 s0, s0, 16
	s_and_b32 s0, s0, 0xffff
	s_mul_i32 s6, s6, s0
	v_cmp_gt_i32_e64 s0, s14, v0
	v_add_lshl_u32 v3, s6, v1, 1
	v_mad_u64_u32 v[1:2], null, v3, s13, v[0:1]
	v_sub_nc_u32_e32 v5, s12, v3
	v_mov_b32_e32 v0, 0xff800000
	v_cmp_lt_i32_e32 vcc_lo, 0, v5
	v_ashrrev_i32_e32 v2, 31, v1
	s_and_b32 s2, s0, vcc_lo
	v_lshlrev_b64 v[3:4], 1, v[1:2]
	v_add_co_u32 v3, s1, s10, v3
	v_add_co_ci_u32_e64 v4, null, s11, v4, s1
	s_and_saveexec_b32 s1, s2
	s_cbranch_execz .LBB435_2
; %bb.1:
	global_load_ushort v0, v[3:4], off
	s_waitcnt vmcnt(0)
	v_cvt_f32_f16_e32 v0, v0
.LBB435_2:
	s_or_b32 exec_lo, exec_lo, s1
	v_cmp_lt_i32_e64 s1, 1, v5
	s_and_b32 s1, s0, s1
	s_and_saveexec_b32 s2, s1
	s_cbranch_execz .LBB435_4
; %bb.3:
	s_mov_b32 s15, 0
	s_lshl_b64 s[4:5], s[14:15], 1
	v_add_co_u32 v3, s1, v3, s4
	v_add_co_ci_u32_e64 v4, null, s5, v4, s1
	global_load_ushort v3, v[3:4], off
	s_waitcnt vmcnt(0)
	v_cvt_f32_f16_e32 v6, v3
.LBB435_4:
	s_or_b32 exec_lo, exec_lo, s2
	v_mbcnt_lo_u32_b32 v3, -1, 0
	v_and_b32_e32 v4, 30, v3
	v_xor_b32_e32 v7, 1, v3
	v_add_nc_u32_e32 v4, 2, v4
	v_cmp_lt_i32_e64 s1, v7, v4
	v_cndmask_b32_e64 v3, v3, v7, s1
	v_lshlrev_b32_e32 v4, 2, v3
	ds_bpermute_b32 v3, v4, v0
	ds_bpermute_b32 v7, v4, v6
	s_waitcnt lgkmcnt(1)
	v_cmp_lt_f32_e64 s1, v0, v3
	v_cndmask_b32_e64 v3, v0, v3, s1
	s_waitcnt lgkmcnt(0)
	v_cmp_lt_f32_e64 s1, v6, v7
	v_sub_f32_e32 v0, v0, v3
	v_cndmask_b32_e64 v7, v6, v7, s1
	v_cmp_ngt_f32_e64 s1, 0xc2ce8ed0, v0
	v_sub_f32_e32 v3, v6, v7
	v_mul_f32_e32 v6, 0x3fb8aa3b, v0
	v_mul_f32_e32 v7, 0x3fb8aa3b, v3
	v_fma_f32 v8, 0x3fb8aa3b, v0, -v6
	v_rndne_f32_e32 v9, v6
	v_fma_f32 v10, 0x3fb8aa3b, v3, -v7
	v_rndne_f32_e32 v11, v7
	v_fmac_f32_e32 v8, 0x32a5705f, v0
	v_sub_f32_e32 v6, v6, v9
	v_fmac_f32_e32 v10, 0x32a5705f, v3
	v_sub_f32_e32 v7, v7, v11
	v_add_f32_e32 v6, v6, v8
	v_cvt_i32_f32_e32 v8, v9
	v_cvt_i32_f32_e32 v9, v11
	v_add_f32_e32 v7, v7, v10
	v_exp_f32_e32 v6, v6
	v_exp_f32_e32 v7, v7
	v_ldexp_f32 v6, v6, v8
	v_ldexp_f32 v7, v7, v9
	v_cndmask_b32_e64 v6, 0, v6, s1
	v_cmp_ngt_f32_e64 s1, 0xc2ce8ed0, v3
	v_cndmask_b32_e64 v7, 0, v7, s1
	v_cmp_nlt_f32_e64 s1, 0x42b17218, v0
	v_cndmask_b32_e64 v6, 0x7f800000, v6, s1
	v_cmp_nlt_f32_e64 s1, 0x42b17218, v3
	v_cndmask_b32_e64 v3, 0x7f800000, v7, s1
	ds_bpermute_b32 v7, v4, v6
	ds_bpermute_b32 v4, v4, v3
	s_and_saveexec_b32 s1, vcc_lo
	s_cbranch_execz .LBB435_9
; %bb.5:
	v_lshlrev_b64 v[0:1], 2, v[1:2]
	v_add_co_u32 v0, vcc_lo, s8, v0
	v_add_co_ci_u32_e64 v1, null, s9, v1, vcc_lo
	s_and_saveexec_b32 s1, s0
	s_cbranch_execz .LBB435_7
; %bb.6:
	s_waitcnt lgkmcnt(1)
	v_add_f32_e32 v2, v6, v7
	v_div_scale_f32 v7, null, v2, v2, v6
	v_rcp_f32_e32 v8, v7
	v_fma_f32 v9, -v7, v8, 1.0
	v_fmac_f32_e32 v8, v9, v8
	v_div_scale_f32 v9, vcc_lo, v6, v2, v6
	v_mul_f32_e32 v10, v9, v8
	v_fma_f32 v11, -v7, v10, v9
	v_fmac_f32_e32 v10, v11, v8
	v_fma_f32 v7, -v7, v10, v9
	v_div_fmas_f32 v7, v7, v8, v10
	v_cmp_neq_f32_e32 vcc_lo, 0, v2
	v_div_fixup_f32 v6, v7, v2, v6
	v_cndmask_b32_e32 v2, 0x7fc00000, v6, vcc_lo
	global_store_dword v[0:1], v2, off
.LBB435_7:
	s_or_b32 exec_lo, exec_lo, s1
	v_cmp_ne_u32_e32 vcc_lo, 1, v5
	s_and_b32 s0, vcc_lo, s0
	s_and_b32 exec_lo, exec_lo, s0
	s_cbranch_execz .LBB435_9
; %bb.8:
	s_waitcnt lgkmcnt(0)
	v_add_f32_e32 v2, v3, v4
	s_mov_b32 s15, 0
	s_lshl_b64 s[0:1], s[14:15], 2
	v_div_scale_f32 v4, null, v2, v2, v3
	v_div_scale_f32 v7, vcc_lo, v3, v2, v3
	v_rcp_f32_e32 v5, v4
	v_fma_f32 v6, -v4, v5, 1.0
	v_fmac_f32_e32 v5, v6, v5
	v_mul_f32_e32 v6, v7, v5
	v_fma_f32 v8, -v4, v6, v7
	v_fmac_f32_e32 v6, v8, v5
	v_fma_f32 v4, -v4, v6, v7
	v_div_fmas_f32 v4, v4, v5, v6
	v_add_co_u32 v0, vcc_lo, v0, s0
	v_add_co_ci_u32_e64 v1, null, s1, v1, vcc_lo
	v_div_fixup_f32 v3, v4, v2, v3
	v_cmp_neq_f32_e32 vcc_lo, 0, v2
	v_cndmask_b32_e32 v2, 0x7fc00000, v3, vcc_lo
	global_store_dword v[0:1], v2, off
.LBB435_9:
	s_endpgm
	.section	.rodata,"a",@progbits
	.p2align	6, 0x0
	.amdhsa_kernel _ZN12_GLOBAL__N_120softmax_warp_forwardIN3c104HalfEffLi1ELb0ELb0ELi32EEEvPT0_PKT_iiiPKbib
		.amdhsa_group_segment_fixed_size 0
		.amdhsa_private_segment_fixed_size 0
		.amdhsa_kernarg_size 304
		.amdhsa_user_sgpr_count 6
		.amdhsa_user_sgpr_private_segment_buffer 1
		.amdhsa_user_sgpr_dispatch_ptr 0
		.amdhsa_user_sgpr_queue_ptr 0
		.amdhsa_user_sgpr_kernarg_segment_ptr 1
		.amdhsa_user_sgpr_dispatch_id 0
		.amdhsa_user_sgpr_flat_scratch_init 0
		.amdhsa_user_sgpr_private_segment_size 0
		.amdhsa_wavefront_size32 1
		.amdhsa_uses_dynamic_stack 0
		.amdhsa_system_sgpr_private_segment_wavefront_offset 0
		.amdhsa_system_sgpr_workgroup_id_x 1
		.amdhsa_system_sgpr_workgroup_id_y 0
		.amdhsa_system_sgpr_workgroup_id_z 0
		.amdhsa_system_sgpr_workgroup_info 0
		.amdhsa_system_vgpr_workitem_id 1
		.amdhsa_next_free_vgpr 12
		.amdhsa_next_free_sgpr 16
		.amdhsa_reserve_vcc 1
		.amdhsa_reserve_flat_scratch 0
		.amdhsa_float_round_mode_32 0
		.amdhsa_float_round_mode_16_64 0
		.amdhsa_float_denorm_mode_32 3
		.amdhsa_float_denorm_mode_16_64 3
		.amdhsa_dx10_clamp 1
		.amdhsa_ieee_mode 1
		.amdhsa_fp16_overflow 0
		.amdhsa_workgroup_processor_mode 1
		.amdhsa_memory_ordered 1
		.amdhsa_forward_progress 1
		.amdhsa_shared_vgpr_count 0
		.amdhsa_exception_fp_ieee_invalid_op 0
		.amdhsa_exception_fp_denorm_src 0
		.amdhsa_exception_fp_ieee_div_zero 0
		.amdhsa_exception_fp_ieee_overflow 0
		.amdhsa_exception_fp_ieee_underflow 0
		.amdhsa_exception_fp_ieee_inexact 0
		.amdhsa_exception_int_div_zero 0
	.end_amdhsa_kernel
	.section	.text._ZN12_GLOBAL__N_120softmax_warp_forwardIN3c104HalfEffLi1ELb0ELb0ELi32EEEvPT0_PKT_iiiPKbib,"axG",@progbits,_ZN12_GLOBAL__N_120softmax_warp_forwardIN3c104HalfEffLi1ELb0ELb0ELi32EEEvPT0_PKT_iiiPKbib,comdat
.Lfunc_end435:
	.size	_ZN12_GLOBAL__N_120softmax_warp_forwardIN3c104HalfEffLi1ELb0ELb0ELi32EEEvPT0_PKT_iiiPKbib, .Lfunc_end435-_ZN12_GLOBAL__N_120softmax_warp_forwardIN3c104HalfEffLi1ELb0ELb0ELi32EEEvPT0_PKT_iiiPKbib
                                        ; -- End function
	.set _ZN12_GLOBAL__N_120softmax_warp_forwardIN3c104HalfEffLi1ELb0ELb0ELi32EEEvPT0_PKT_iiiPKbib.num_vgpr, 12
	.set _ZN12_GLOBAL__N_120softmax_warp_forwardIN3c104HalfEffLi1ELb0ELb0ELi32EEEvPT0_PKT_iiiPKbib.num_agpr, 0
	.set _ZN12_GLOBAL__N_120softmax_warp_forwardIN3c104HalfEffLi1ELb0ELb0ELi32EEEvPT0_PKT_iiiPKbib.numbered_sgpr, 16
	.set _ZN12_GLOBAL__N_120softmax_warp_forwardIN3c104HalfEffLi1ELb0ELb0ELi32EEEvPT0_PKT_iiiPKbib.num_named_barrier, 0
	.set _ZN12_GLOBAL__N_120softmax_warp_forwardIN3c104HalfEffLi1ELb0ELb0ELi32EEEvPT0_PKT_iiiPKbib.private_seg_size, 0
	.set _ZN12_GLOBAL__N_120softmax_warp_forwardIN3c104HalfEffLi1ELb0ELb0ELi32EEEvPT0_PKT_iiiPKbib.uses_vcc, 1
	.set _ZN12_GLOBAL__N_120softmax_warp_forwardIN3c104HalfEffLi1ELb0ELb0ELi32EEEvPT0_PKT_iiiPKbib.uses_flat_scratch, 0
	.set _ZN12_GLOBAL__N_120softmax_warp_forwardIN3c104HalfEffLi1ELb0ELb0ELi32EEEvPT0_PKT_iiiPKbib.has_dyn_sized_stack, 0
	.set _ZN12_GLOBAL__N_120softmax_warp_forwardIN3c104HalfEffLi1ELb0ELb0ELi32EEEvPT0_PKT_iiiPKbib.has_recursion, 0
	.set _ZN12_GLOBAL__N_120softmax_warp_forwardIN3c104HalfEffLi1ELb0ELb0ELi32EEEvPT0_PKT_iiiPKbib.has_indirect_call, 0
	.section	.AMDGPU.csdata,"",@progbits
; Kernel info:
; codeLenInByte = 820
; TotalNumSgprs: 18
; NumVgprs: 12
; ScratchSize: 0
; MemoryBound: 0
; FloatMode: 240
; IeeeMode: 1
; LDSByteSize: 0 bytes/workgroup (compile time only)
; SGPRBlocks: 0
; VGPRBlocks: 1
; NumSGPRsForWavesPerEU: 18
; NumVGPRsForWavesPerEU: 12
; Occupancy: 16
; WaveLimiterHint : 0
; COMPUTE_PGM_RSRC2:SCRATCH_EN: 0
; COMPUTE_PGM_RSRC2:USER_SGPR: 6
; COMPUTE_PGM_RSRC2:TRAP_HANDLER: 0
; COMPUTE_PGM_RSRC2:TGID_X_EN: 1
; COMPUTE_PGM_RSRC2:TGID_Y_EN: 0
; COMPUTE_PGM_RSRC2:TGID_Z_EN: 0
; COMPUTE_PGM_RSRC2:TIDIG_COMP_CNT: 1
	.section	.text._ZN12_GLOBAL__N_120softmax_warp_forwardIN3c104HalfEffLi2ELb0ELb0ELi64EEEvPT0_PKT_iiiPKbib,"axG",@progbits,_ZN12_GLOBAL__N_120softmax_warp_forwardIN3c104HalfEffLi2ELb0ELb0ELi64EEEvPT0_PKT_iiiPKbib,comdat
	.globl	_ZN12_GLOBAL__N_120softmax_warp_forwardIN3c104HalfEffLi2ELb0ELb0ELi64EEEvPT0_PKT_iiiPKbib ; -- Begin function _ZN12_GLOBAL__N_120softmax_warp_forwardIN3c104HalfEffLi2ELb0ELb0ELi64EEEvPT0_PKT_iiiPKbib
	.p2align	8
	.type	_ZN12_GLOBAL__N_120softmax_warp_forwardIN3c104HalfEffLi2ELb0ELb0ELi64EEEvPT0_PKT_iiiPKbib,@function
_ZN12_GLOBAL__N_120softmax_warp_forwardIN3c104HalfEffLi2ELb0ELb0ELi64EEEvPT0_PKT_iiiPKbib: ; @_ZN12_GLOBAL__N_120softmax_warp_forwardIN3c104HalfEffLi2ELb0ELb0ELi64EEEvPT0_PKT_iiiPKbib
; %bb.0:
	s_clause 0x1
	s_load_dword s0, s[4:5], 0x3c
	s_load_dwordx8 s[8:15], s[4:5], 0x0
	v_mov_b32_e32 v6, 0xff800000
	s_waitcnt lgkmcnt(0)
	s_lshr_b32 s0, s0, 16
	s_and_b32 s0, s0, 0xffff
	s_mul_i32 s6, s6, s0
	v_cmp_gt_i32_e64 s0, s14, v0
	v_add_lshl_u32 v3, s6, v1, 1
	v_mad_u64_u32 v[1:2], null, v3, s13, v[0:1]
	v_sub_nc_u32_e32 v5, s12, v3
	v_mov_b32_e32 v0, 0xff800000
	v_cmp_lt_i32_e32 vcc_lo, 0, v5
	v_ashrrev_i32_e32 v2, 31, v1
	s_and_b32 s2, s0, vcc_lo
	v_lshlrev_b64 v[3:4], 1, v[1:2]
	v_add_co_u32 v3, s1, s10, v3
	v_add_co_ci_u32_e64 v4, null, s11, v4, s1
	s_and_saveexec_b32 s1, s2
	s_cbranch_execz .LBB436_2
; %bb.1:
	global_load_ushort v0, v[3:4], off
	s_waitcnt vmcnt(0)
	v_cvt_f32_f16_e32 v0, v0
.LBB436_2:
	s_or_b32 exec_lo, exec_lo, s1
	v_cmp_lt_i32_e64 s1, 1, v5
	s_and_b32 s1, s0, s1
	s_and_saveexec_b32 s2, s1
	s_cbranch_execz .LBB436_4
; %bb.3:
	s_mov_b32 s15, 0
	s_lshl_b64 s[4:5], s[14:15], 1
	v_add_co_u32 v3, s1, v3, s4
	v_add_co_ci_u32_e64 v4, null, s5, v4, s1
	global_load_ushort v3, v[3:4], off
	s_waitcnt vmcnt(0)
	v_cvt_f32_f16_e32 v6, v3
.LBB436_4:
	s_or_b32 exec_lo, exec_lo, s2
	v_mbcnt_lo_u32_b32 v3, -1, 0
	v_and_b32_e32 v4, 28, v3
	v_xor_b32_e32 v7, 2, v3
	v_xor_b32_e32 v10, 1, v3
	v_add_nc_u32_e32 v4, 4, v4
	v_cmp_lt_i32_e64 s1, v7, v4
	v_cndmask_b32_e64 v7, v3, v7, s1
	v_cmp_lt_i32_e64 s1, v10, v4
	v_lshlrev_b32_e32 v8, 2, v7
	v_cndmask_b32_e64 v3, v3, v10, s1
	ds_bpermute_b32 v7, v8, v0
	ds_bpermute_b32 v9, v8, v6
	v_lshlrev_b32_e32 v10, 2, v3
	s_waitcnt lgkmcnt(1)
	v_cmp_lt_f32_e64 s1, v0, v7
	v_cndmask_b32_e64 v3, v0, v7, s1
	s_waitcnt lgkmcnt(0)
	v_cmp_lt_f32_e64 s1, v6, v9
	ds_bpermute_b32 v7, v10, v3
	v_cndmask_b32_e64 v4, v6, v9, s1
	ds_bpermute_b32 v9, v10, v4
	s_waitcnt lgkmcnt(1)
	v_cmp_lt_f32_e64 s1, v3, v7
	v_cndmask_b32_e64 v3, v3, v7, s1
	s_waitcnt lgkmcnt(0)
	v_cmp_lt_f32_e64 s1, v4, v9
	v_sub_f32_e32 v0, v0, v3
	v_cndmask_b32_e64 v4, v4, v9, s1
	v_cmp_ngt_f32_e64 s1, 0xc2ce8ed0, v0
	v_sub_f32_e32 v3, v6, v4
	v_mul_f32_e32 v4, 0x3fb8aa3b, v0
	v_mul_f32_e32 v6, 0x3fb8aa3b, v3
	v_fma_f32 v7, 0x3fb8aa3b, v0, -v4
	v_rndne_f32_e32 v9, v4
	v_fma_f32 v11, 0x3fb8aa3b, v3, -v6
	v_rndne_f32_e32 v12, v6
	v_fmac_f32_e32 v7, 0x32a5705f, v0
	v_sub_f32_e32 v4, v4, v9
	v_fmac_f32_e32 v11, 0x32a5705f, v3
	v_sub_f32_e32 v6, v6, v12
	v_add_f32_e32 v4, v4, v7
	v_cvt_i32_f32_e32 v7, v9
	v_cvt_i32_f32_e32 v9, v12
	v_add_f32_e32 v6, v6, v11
	v_exp_f32_e32 v4, v4
	v_exp_f32_e32 v6, v6
	v_ldexp_f32 v4, v4, v7
	v_ldexp_f32 v6, v6, v9
	v_cndmask_b32_e64 v4, 0, v4, s1
	v_cmp_ngt_f32_e64 s1, 0xc2ce8ed0, v3
	v_cndmask_b32_e64 v6, 0, v6, s1
	v_cmp_nlt_f32_e64 s1, 0x42b17218, v0
	v_cndmask_b32_e64 v7, 0x7f800000, v4, s1
	v_cmp_nlt_f32_e64 s1, 0x42b17218, v3
	ds_bpermute_b32 v0, v8, v7
	v_cndmask_b32_e64 v3, 0x7f800000, v6, s1
	ds_bpermute_b32 v4, v8, v3
	s_waitcnt lgkmcnt(1)
	v_add_f32_e32 v8, v7, v0
	ds_bpermute_b32 v9, v10, v8
	s_waitcnt lgkmcnt(1)
	v_add_f32_e32 v4, v3, v4
	ds_bpermute_b32 v6, v10, v4
	s_and_saveexec_b32 s1, vcc_lo
	s_cbranch_execz .LBB436_9
; %bb.5:
	v_lshlrev_b64 v[0:1], 2, v[1:2]
	v_add_co_u32 v0, vcc_lo, s8, v0
	v_add_co_ci_u32_e64 v1, null, s9, v1, vcc_lo
	s_and_saveexec_b32 s1, s0
	s_cbranch_execz .LBB436_7
; %bb.6:
	s_waitcnt lgkmcnt(1)
	v_add_f32_e32 v2, v8, v9
	v_div_scale_f32 v8, null, v2, v2, v7
	v_rcp_f32_e32 v9, v8
	v_fma_f32 v10, -v8, v9, 1.0
	v_fmac_f32_e32 v9, v10, v9
	v_div_scale_f32 v10, vcc_lo, v7, v2, v7
	v_mul_f32_e32 v11, v10, v9
	v_fma_f32 v12, -v8, v11, v10
	v_fmac_f32_e32 v11, v12, v9
	v_fma_f32 v8, -v8, v11, v10
	v_div_fmas_f32 v8, v8, v9, v11
	v_cmp_neq_f32_e32 vcc_lo, 0, v2
	v_div_fixup_f32 v7, v8, v2, v7
	v_cndmask_b32_e32 v2, 0x7fc00000, v7, vcc_lo
	global_store_dword v[0:1], v2, off
.LBB436_7:
	s_or_b32 exec_lo, exec_lo, s1
	v_cmp_ne_u32_e32 vcc_lo, 1, v5
	s_and_b32 s0, vcc_lo, s0
	s_and_b32 exec_lo, exec_lo, s0
	s_cbranch_execz .LBB436_9
; %bb.8:
	s_waitcnt lgkmcnt(0)
	v_add_f32_e32 v2, v4, v6
	s_mov_b32 s15, 0
	s_lshl_b64 s[0:1], s[14:15], 2
	v_div_scale_f32 v4, null, v2, v2, v3
	v_div_scale_f32 v7, vcc_lo, v3, v2, v3
	v_rcp_f32_e32 v5, v4
	v_fma_f32 v6, -v4, v5, 1.0
	v_fmac_f32_e32 v5, v6, v5
	v_mul_f32_e32 v6, v7, v5
	v_fma_f32 v8, -v4, v6, v7
	v_fmac_f32_e32 v6, v8, v5
	v_fma_f32 v4, -v4, v6, v7
	v_div_fmas_f32 v4, v4, v5, v6
	v_add_co_u32 v0, vcc_lo, v0, s0
	v_add_co_ci_u32_e64 v1, null, s1, v1, vcc_lo
	v_div_fixup_f32 v3, v4, v2, v3
	v_cmp_neq_f32_e32 vcc_lo, 0, v2
	v_cndmask_b32_e32 v2, 0x7fc00000, v3, vcc_lo
	global_store_dword v[0:1], v2, off
.LBB436_9:
	s_endpgm
	.section	.rodata,"a",@progbits
	.p2align	6, 0x0
	.amdhsa_kernel _ZN12_GLOBAL__N_120softmax_warp_forwardIN3c104HalfEffLi2ELb0ELb0ELi64EEEvPT0_PKT_iiiPKbib
		.amdhsa_group_segment_fixed_size 0
		.amdhsa_private_segment_fixed_size 0
		.amdhsa_kernarg_size 304
		.amdhsa_user_sgpr_count 6
		.amdhsa_user_sgpr_private_segment_buffer 1
		.amdhsa_user_sgpr_dispatch_ptr 0
		.amdhsa_user_sgpr_queue_ptr 0
		.amdhsa_user_sgpr_kernarg_segment_ptr 1
		.amdhsa_user_sgpr_dispatch_id 0
		.amdhsa_user_sgpr_flat_scratch_init 0
		.amdhsa_user_sgpr_private_segment_size 0
		.amdhsa_wavefront_size32 1
		.amdhsa_uses_dynamic_stack 0
		.amdhsa_system_sgpr_private_segment_wavefront_offset 0
		.amdhsa_system_sgpr_workgroup_id_x 1
		.amdhsa_system_sgpr_workgroup_id_y 0
		.amdhsa_system_sgpr_workgroup_id_z 0
		.amdhsa_system_sgpr_workgroup_info 0
		.amdhsa_system_vgpr_workitem_id 1
		.amdhsa_next_free_vgpr 13
		.amdhsa_next_free_sgpr 16
		.amdhsa_reserve_vcc 1
		.amdhsa_reserve_flat_scratch 0
		.amdhsa_float_round_mode_32 0
		.amdhsa_float_round_mode_16_64 0
		.amdhsa_float_denorm_mode_32 3
		.amdhsa_float_denorm_mode_16_64 3
		.amdhsa_dx10_clamp 1
		.amdhsa_ieee_mode 1
		.amdhsa_fp16_overflow 0
		.amdhsa_workgroup_processor_mode 1
		.amdhsa_memory_ordered 1
		.amdhsa_forward_progress 1
		.amdhsa_shared_vgpr_count 0
		.amdhsa_exception_fp_ieee_invalid_op 0
		.amdhsa_exception_fp_denorm_src 0
		.amdhsa_exception_fp_ieee_div_zero 0
		.amdhsa_exception_fp_ieee_overflow 0
		.amdhsa_exception_fp_ieee_underflow 0
		.amdhsa_exception_fp_ieee_inexact 0
		.amdhsa_exception_int_div_zero 0
	.end_amdhsa_kernel
	.section	.text._ZN12_GLOBAL__N_120softmax_warp_forwardIN3c104HalfEffLi2ELb0ELb0ELi64EEEvPT0_PKT_iiiPKbib,"axG",@progbits,_ZN12_GLOBAL__N_120softmax_warp_forwardIN3c104HalfEffLi2ELb0ELb0ELi64EEEvPT0_PKT_iiiPKbib,comdat
.Lfunc_end436:
	.size	_ZN12_GLOBAL__N_120softmax_warp_forwardIN3c104HalfEffLi2ELb0ELb0ELi64EEEvPT0_PKT_iiiPKbib, .Lfunc_end436-_ZN12_GLOBAL__N_120softmax_warp_forwardIN3c104HalfEffLi2ELb0ELb0ELi64EEEvPT0_PKT_iiiPKbib
                                        ; -- End function
	.set _ZN12_GLOBAL__N_120softmax_warp_forwardIN3c104HalfEffLi2ELb0ELb0ELi64EEEvPT0_PKT_iiiPKbib.num_vgpr, 13
	.set _ZN12_GLOBAL__N_120softmax_warp_forwardIN3c104HalfEffLi2ELb0ELb0ELi64EEEvPT0_PKT_iiiPKbib.num_agpr, 0
	.set _ZN12_GLOBAL__N_120softmax_warp_forwardIN3c104HalfEffLi2ELb0ELb0ELi64EEEvPT0_PKT_iiiPKbib.numbered_sgpr, 16
	.set _ZN12_GLOBAL__N_120softmax_warp_forwardIN3c104HalfEffLi2ELb0ELb0ELi64EEEvPT0_PKT_iiiPKbib.num_named_barrier, 0
	.set _ZN12_GLOBAL__N_120softmax_warp_forwardIN3c104HalfEffLi2ELb0ELb0ELi64EEEvPT0_PKT_iiiPKbib.private_seg_size, 0
	.set _ZN12_GLOBAL__N_120softmax_warp_forwardIN3c104HalfEffLi2ELb0ELb0ELi64EEEvPT0_PKT_iiiPKbib.uses_vcc, 1
	.set _ZN12_GLOBAL__N_120softmax_warp_forwardIN3c104HalfEffLi2ELb0ELb0ELi64EEEvPT0_PKT_iiiPKbib.uses_flat_scratch, 0
	.set _ZN12_GLOBAL__N_120softmax_warp_forwardIN3c104HalfEffLi2ELb0ELb0ELi64EEEvPT0_PKT_iiiPKbib.has_dyn_sized_stack, 0
	.set _ZN12_GLOBAL__N_120softmax_warp_forwardIN3c104HalfEffLi2ELb0ELb0ELi64EEEvPT0_PKT_iiiPKbib.has_recursion, 0
	.set _ZN12_GLOBAL__N_120softmax_warp_forwardIN3c104HalfEffLi2ELb0ELb0ELi64EEEvPT0_PKT_iiiPKbib.has_indirect_call, 0
	.section	.AMDGPU.csdata,"",@progbits
; Kernel info:
; codeLenInByte = 932
; TotalNumSgprs: 18
; NumVgprs: 13
; ScratchSize: 0
; MemoryBound: 0
; FloatMode: 240
; IeeeMode: 1
; LDSByteSize: 0 bytes/workgroup (compile time only)
; SGPRBlocks: 0
; VGPRBlocks: 1
; NumSGPRsForWavesPerEU: 18
; NumVGPRsForWavesPerEU: 13
; Occupancy: 16
; WaveLimiterHint : 0
; COMPUTE_PGM_RSRC2:SCRATCH_EN: 0
; COMPUTE_PGM_RSRC2:USER_SGPR: 6
; COMPUTE_PGM_RSRC2:TRAP_HANDLER: 0
; COMPUTE_PGM_RSRC2:TGID_X_EN: 1
; COMPUTE_PGM_RSRC2:TGID_Y_EN: 0
; COMPUTE_PGM_RSRC2:TGID_Z_EN: 0
; COMPUTE_PGM_RSRC2:TIDIG_COMP_CNT: 1
	.section	.text._ZN12_GLOBAL__N_120softmax_warp_forwardIN3c104HalfEffLi2ELb0ELb0ELi32EEEvPT0_PKT_iiiPKbib,"axG",@progbits,_ZN12_GLOBAL__N_120softmax_warp_forwardIN3c104HalfEffLi2ELb0ELb0ELi32EEEvPT0_PKT_iiiPKbib,comdat
	.globl	_ZN12_GLOBAL__N_120softmax_warp_forwardIN3c104HalfEffLi2ELb0ELb0ELi32EEEvPT0_PKT_iiiPKbib ; -- Begin function _ZN12_GLOBAL__N_120softmax_warp_forwardIN3c104HalfEffLi2ELb0ELb0ELi32EEEvPT0_PKT_iiiPKbib
	.p2align	8
	.type	_ZN12_GLOBAL__N_120softmax_warp_forwardIN3c104HalfEffLi2ELb0ELb0ELi32EEEvPT0_PKT_iiiPKbib,@function
_ZN12_GLOBAL__N_120softmax_warp_forwardIN3c104HalfEffLi2ELb0ELb0ELi32EEEvPT0_PKT_iiiPKbib: ; @_ZN12_GLOBAL__N_120softmax_warp_forwardIN3c104HalfEffLi2ELb0ELb0ELi32EEEvPT0_PKT_iiiPKbib
; %bb.0:
	s_clause 0x1
	s_load_dword s0, s[4:5], 0x3c
	s_load_dwordx8 s[8:15], s[4:5], 0x0
	v_mov_b32_e32 v6, 0xff800000
	s_waitcnt lgkmcnt(0)
	s_lshr_b32 s0, s0, 16
	s_and_b32 s0, s0, 0xffff
	s_mul_i32 s6, s6, s0
	v_cmp_gt_i32_e64 s0, s14, v0
	v_add_lshl_u32 v3, s6, v1, 1
	v_mad_u64_u32 v[1:2], null, v3, s13, v[0:1]
	v_sub_nc_u32_e32 v5, s12, v3
	v_mov_b32_e32 v0, 0xff800000
	v_cmp_lt_i32_e32 vcc_lo, 0, v5
	v_ashrrev_i32_e32 v2, 31, v1
	s_and_b32 s2, s0, vcc_lo
	v_lshlrev_b64 v[3:4], 1, v[1:2]
	v_add_co_u32 v3, s1, s10, v3
	v_add_co_ci_u32_e64 v4, null, s11, v4, s1
	s_and_saveexec_b32 s1, s2
	s_cbranch_execz .LBB437_2
; %bb.1:
	global_load_ushort v0, v[3:4], off
	s_waitcnt vmcnt(0)
	v_cvt_f32_f16_e32 v0, v0
.LBB437_2:
	s_or_b32 exec_lo, exec_lo, s1
	v_cmp_lt_i32_e64 s1, 1, v5
	s_and_b32 s1, s0, s1
	s_and_saveexec_b32 s2, s1
	s_cbranch_execz .LBB437_4
; %bb.3:
	s_mov_b32 s15, 0
	s_lshl_b64 s[4:5], s[14:15], 1
	v_add_co_u32 v3, s1, v3, s4
	v_add_co_ci_u32_e64 v4, null, s5, v4, s1
	global_load_ushort v3, v[3:4], off
	s_waitcnt vmcnt(0)
	v_cvt_f32_f16_e32 v6, v3
.LBB437_4:
	s_or_b32 exec_lo, exec_lo, s2
	v_mbcnt_lo_u32_b32 v3, -1, 0
	v_and_b32_e32 v4, 28, v3
	v_xor_b32_e32 v7, 2, v3
	v_xor_b32_e32 v10, 1, v3
	v_add_nc_u32_e32 v4, 4, v4
	v_cmp_lt_i32_e64 s1, v7, v4
	v_cndmask_b32_e64 v7, v3, v7, s1
	v_cmp_lt_i32_e64 s1, v10, v4
	v_lshlrev_b32_e32 v8, 2, v7
	v_cndmask_b32_e64 v3, v3, v10, s1
	ds_bpermute_b32 v7, v8, v0
	ds_bpermute_b32 v9, v8, v6
	v_lshlrev_b32_e32 v10, 2, v3
	s_waitcnt lgkmcnt(1)
	v_cmp_lt_f32_e64 s1, v0, v7
	v_cndmask_b32_e64 v3, v0, v7, s1
	s_waitcnt lgkmcnt(0)
	v_cmp_lt_f32_e64 s1, v6, v9
	ds_bpermute_b32 v7, v10, v3
	v_cndmask_b32_e64 v4, v6, v9, s1
	ds_bpermute_b32 v9, v10, v4
	s_waitcnt lgkmcnt(1)
	v_cmp_lt_f32_e64 s1, v3, v7
	v_cndmask_b32_e64 v3, v3, v7, s1
	s_waitcnt lgkmcnt(0)
	v_cmp_lt_f32_e64 s1, v4, v9
	v_sub_f32_e32 v0, v0, v3
	v_cndmask_b32_e64 v4, v4, v9, s1
	v_cmp_ngt_f32_e64 s1, 0xc2ce8ed0, v0
	v_sub_f32_e32 v3, v6, v4
	v_mul_f32_e32 v4, 0x3fb8aa3b, v0
	v_mul_f32_e32 v6, 0x3fb8aa3b, v3
	v_fma_f32 v7, 0x3fb8aa3b, v0, -v4
	v_rndne_f32_e32 v9, v4
	v_fma_f32 v11, 0x3fb8aa3b, v3, -v6
	v_rndne_f32_e32 v12, v6
	v_fmac_f32_e32 v7, 0x32a5705f, v0
	v_sub_f32_e32 v4, v4, v9
	v_fmac_f32_e32 v11, 0x32a5705f, v3
	v_sub_f32_e32 v6, v6, v12
	v_add_f32_e32 v4, v4, v7
	v_cvt_i32_f32_e32 v7, v9
	v_cvt_i32_f32_e32 v9, v12
	v_add_f32_e32 v6, v6, v11
	v_exp_f32_e32 v4, v4
	v_exp_f32_e32 v6, v6
	v_ldexp_f32 v4, v4, v7
	v_ldexp_f32 v6, v6, v9
	v_cndmask_b32_e64 v4, 0, v4, s1
	v_cmp_ngt_f32_e64 s1, 0xc2ce8ed0, v3
	v_cndmask_b32_e64 v6, 0, v6, s1
	v_cmp_nlt_f32_e64 s1, 0x42b17218, v0
	v_cndmask_b32_e64 v7, 0x7f800000, v4, s1
	v_cmp_nlt_f32_e64 s1, 0x42b17218, v3
	ds_bpermute_b32 v0, v8, v7
	v_cndmask_b32_e64 v3, 0x7f800000, v6, s1
	ds_bpermute_b32 v4, v8, v3
	s_waitcnt lgkmcnt(1)
	v_add_f32_e32 v8, v7, v0
	ds_bpermute_b32 v9, v10, v8
	s_waitcnt lgkmcnt(1)
	v_add_f32_e32 v4, v3, v4
	ds_bpermute_b32 v6, v10, v4
	s_and_saveexec_b32 s1, vcc_lo
	s_cbranch_execz .LBB437_9
; %bb.5:
	v_lshlrev_b64 v[0:1], 2, v[1:2]
	v_add_co_u32 v0, vcc_lo, s8, v0
	v_add_co_ci_u32_e64 v1, null, s9, v1, vcc_lo
	s_and_saveexec_b32 s1, s0
	s_cbranch_execz .LBB437_7
; %bb.6:
	s_waitcnt lgkmcnt(1)
	v_add_f32_e32 v2, v8, v9
	v_div_scale_f32 v8, null, v2, v2, v7
	v_rcp_f32_e32 v9, v8
	v_fma_f32 v10, -v8, v9, 1.0
	v_fmac_f32_e32 v9, v10, v9
	v_div_scale_f32 v10, vcc_lo, v7, v2, v7
	v_mul_f32_e32 v11, v10, v9
	v_fma_f32 v12, -v8, v11, v10
	v_fmac_f32_e32 v11, v12, v9
	v_fma_f32 v8, -v8, v11, v10
	v_div_fmas_f32 v8, v8, v9, v11
	v_cmp_neq_f32_e32 vcc_lo, 0, v2
	v_div_fixup_f32 v7, v8, v2, v7
	v_cndmask_b32_e32 v2, 0x7fc00000, v7, vcc_lo
	global_store_dword v[0:1], v2, off
.LBB437_7:
	s_or_b32 exec_lo, exec_lo, s1
	v_cmp_ne_u32_e32 vcc_lo, 1, v5
	s_and_b32 s0, vcc_lo, s0
	s_and_b32 exec_lo, exec_lo, s0
	s_cbranch_execz .LBB437_9
; %bb.8:
	s_waitcnt lgkmcnt(0)
	v_add_f32_e32 v2, v4, v6
	s_mov_b32 s15, 0
	s_lshl_b64 s[0:1], s[14:15], 2
	v_div_scale_f32 v4, null, v2, v2, v3
	v_div_scale_f32 v7, vcc_lo, v3, v2, v3
	v_rcp_f32_e32 v5, v4
	v_fma_f32 v6, -v4, v5, 1.0
	v_fmac_f32_e32 v5, v6, v5
	v_mul_f32_e32 v6, v7, v5
	v_fma_f32 v8, -v4, v6, v7
	v_fmac_f32_e32 v6, v8, v5
	v_fma_f32 v4, -v4, v6, v7
	v_div_fmas_f32 v4, v4, v5, v6
	v_add_co_u32 v0, vcc_lo, v0, s0
	v_add_co_ci_u32_e64 v1, null, s1, v1, vcc_lo
	v_div_fixup_f32 v3, v4, v2, v3
	v_cmp_neq_f32_e32 vcc_lo, 0, v2
	v_cndmask_b32_e32 v2, 0x7fc00000, v3, vcc_lo
	global_store_dword v[0:1], v2, off
.LBB437_9:
	s_endpgm
	.section	.rodata,"a",@progbits
	.p2align	6, 0x0
	.amdhsa_kernel _ZN12_GLOBAL__N_120softmax_warp_forwardIN3c104HalfEffLi2ELb0ELb0ELi32EEEvPT0_PKT_iiiPKbib
		.amdhsa_group_segment_fixed_size 0
		.amdhsa_private_segment_fixed_size 0
		.amdhsa_kernarg_size 304
		.amdhsa_user_sgpr_count 6
		.amdhsa_user_sgpr_private_segment_buffer 1
		.amdhsa_user_sgpr_dispatch_ptr 0
		.amdhsa_user_sgpr_queue_ptr 0
		.amdhsa_user_sgpr_kernarg_segment_ptr 1
		.amdhsa_user_sgpr_dispatch_id 0
		.amdhsa_user_sgpr_flat_scratch_init 0
		.amdhsa_user_sgpr_private_segment_size 0
		.amdhsa_wavefront_size32 1
		.amdhsa_uses_dynamic_stack 0
		.amdhsa_system_sgpr_private_segment_wavefront_offset 0
		.amdhsa_system_sgpr_workgroup_id_x 1
		.amdhsa_system_sgpr_workgroup_id_y 0
		.amdhsa_system_sgpr_workgroup_id_z 0
		.amdhsa_system_sgpr_workgroup_info 0
		.amdhsa_system_vgpr_workitem_id 1
		.amdhsa_next_free_vgpr 13
		.amdhsa_next_free_sgpr 16
		.amdhsa_reserve_vcc 1
		.amdhsa_reserve_flat_scratch 0
		.amdhsa_float_round_mode_32 0
		.amdhsa_float_round_mode_16_64 0
		.amdhsa_float_denorm_mode_32 3
		.amdhsa_float_denorm_mode_16_64 3
		.amdhsa_dx10_clamp 1
		.amdhsa_ieee_mode 1
		.amdhsa_fp16_overflow 0
		.amdhsa_workgroup_processor_mode 1
		.amdhsa_memory_ordered 1
		.amdhsa_forward_progress 1
		.amdhsa_shared_vgpr_count 0
		.amdhsa_exception_fp_ieee_invalid_op 0
		.amdhsa_exception_fp_denorm_src 0
		.amdhsa_exception_fp_ieee_div_zero 0
		.amdhsa_exception_fp_ieee_overflow 0
		.amdhsa_exception_fp_ieee_underflow 0
		.amdhsa_exception_fp_ieee_inexact 0
		.amdhsa_exception_int_div_zero 0
	.end_amdhsa_kernel
	.section	.text._ZN12_GLOBAL__N_120softmax_warp_forwardIN3c104HalfEffLi2ELb0ELb0ELi32EEEvPT0_PKT_iiiPKbib,"axG",@progbits,_ZN12_GLOBAL__N_120softmax_warp_forwardIN3c104HalfEffLi2ELb0ELb0ELi32EEEvPT0_PKT_iiiPKbib,comdat
.Lfunc_end437:
	.size	_ZN12_GLOBAL__N_120softmax_warp_forwardIN3c104HalfEffLi2ELb0ELb0ELi32EEEvPT0_PKT_iiiPKbib, .Lfunc_end437-_ZN12_GLOBAL__N_120softmax_warp_forwardIN3c104HalfEffLi2ELb0ELb0ELi32EEEvPT0_PKT_iiiPKbib
                                        ; -- End function
	.set _ZN12_GLOBAL__N_120softmax_warp_forwardIN3c104HalfEffLi2ELb0ELb0ELi32EEEvPT0_PKT_iiiPKbib.num_vgpr, 13
	.set _ZN12_GLOBAL__N_120softmax_warp_forwardIN3c104HalfEffLi2ELb0ELb0ELi32EEEvPT0_PKT_iiiPKbib.num_agpr, 0
	.set _ZN12_GLOBAL__N_120softmax_warp_forwardIN3c104HalfEffLi2ELb0ELb0ELi32EEEvPT0_PKT_iiiPKbib.numbered_sgpr, 16
	.set _ZN12_GLOBAL__N_120softmax_warp_forwardIN3c104HalfEffLi2ELb0ELb0ELi32EEEvPT0_PKT_iiiPKbib.num_named_barrier, 0
	.set _ZN12_GLOBAL__N_120softmax_warp_forwardIN3c104HalfEffLi2ELb0ELb0ELi32EEEvPT0_PKT_iiiPKbib.private_seg_size, 0
	.set _ZN12_GLOBAL__N_120softmax_warp_forwardIN3c104HalfEffLi2ELb0ELb0ELi32EEEvPT0_PKT_iiiPKbib.uses_vcc, 1
	.set _ZN12_GLOBAL__N_120softmax_warp_forwardIN3c104HalfEffLi2ELb0ELb0ELi32EEEvPT0_PKT_iiiPKbib.uses_flat_scratch, 0
	.set _ZN12_GLOBAL__N_120softmax_warp_forwardIN3c104HalfEffLi2ELb0ELb0ELi32EEEvPT0_PKT_iiiPKbib.has_dyn_sized_stack, 0
	.set _ZN12_GLOBAL__N_120softmax_warp_forwardIN3c104HalfEffLi2ELb0ELb0ELi32EEEvPT0_PKT_iiiPKbib.has_recursion, 0
	.set _ZN12_GLOBAL__N_120softmax_warp_forwardIN3c104HalfEffLi2ELb0ELb0ELi32EEEvPT0_PKT_iiiPKbib.has_indirect_call, 0
	.section	.AMDGPU.csdata,"",@progbits
; Kernel info:
; codeLenInByte = 932
; TotalNumSgprs: 18
; NumVgprs: 13
; ScratchSize: 0
; MemoryBound: 0
; FloatMode: 240
; IeeeMode: 1
; LDSByteSize: 0 bytes/workgroup (compile time only)
; SGPRBlocks: 0
; VGPRBlocks: 1
; NumSGPRsForWavesPerEU: 18
; NumVGPRsForWavesPerEU: 13
; Occupancy: 16
; WaveLimiterHint : 0
; COMPUTE_PGM_RSRC2:SCRATCH_EN: 0
; COMPUTE_PGM_RSRC2:USER_SGPR: 6
; COMPUTE_PGM_RSRC2:TRAP_HANDLER: 0
; COMPUTE_PGM_RSRC2:TGID_X_EN: 1
; COMPUTE_PGM_RSRC2:TGID_Y_EN: 0
; COMPUTE_PGM_RSRC2:TGID_Z_EN: 0
; COMPUTE_PGM_RSRC2:TIDIG_COMP_CNT: 1
	.section	.text._ZN12_GLOBAL__N_120softmax_warp_forwardIN3c104HalfEffLi3ELb0ELb0ELi64EEEvPT0_PKT_iiiPKbib,"axG",@progbits,_ZN12_GLOBAL__N_120softmax_warp_forwardIN3c104HalfEffLi3ELb0ELb0ELi64EEEvPT0_PKT_iiiPKbib,comdat
	.globl	_ZN12_GLOBAL__N_120softmax_warp_forwardIN3c104HalfEffLi3ELb0ELb0ELi64EEEvPT0_PKT_iiiPKbib ; -- Begin function _ZN12_GLOBAL__N_120softmax_warp_forwardIN3c104HalfEffLi3ELb0ELb0ELi64EEEvPT0_PKT_iiiPKbib
	.p2align	8
	.type	_ZN12_GLOBAL__N_120softmax_warp_forwardIN3c104HalfEffLi3ELb0ELb0ELi64EEEvPT0_PKT_iiiPKbib,@function
_ZN12_GLOBAL__N_120softmax_warp_forwardIN3c104HalfEffLi3ELb0ELb0ELi64EEEvPT0_PKT_iiiPKbib: ; @_ZN12_GLOBAL__N_120softmax_warp_forwardIN3c104HalfEffLi3ELb0ELb0ELi64EEEvPT0_PKT_iiiPKbib
; %bb.0:
	s_clause 0x1
	s_load_dword s0, s[4:5], 0x3c
	s_load_dwordx8 s[8:15], s[4:5], 0x0
	v_mov_b32_e32 v6, 0xff800000
	s_waitcnt lgkmcnt(0)
	s_lshr_b32 s0, s0, 16
	s_and_b32 s0, s0, 0xffff
	s_mul_i32 s6, s6, s0
	v_cmp_gt_i32_e64 s0, s14, v0
	v_add_lshl_u32 v3, s6, v1, 1
	v_mad_u64_u32 v[1:2], null, v3, s13, v[0:1]
	v_sub_nc_u32_e32 v5, s12, v3
	v_mov_b32_e32 v0, 0xff800000
	v_cmp_lt_i32_e32 vcc_lo, 0, v5
	v_ashrrev_i32_e32 v2, 31, v1
	s_and_b32 s2, s0, vcc_lo
	v_lshlrev_b64 v[3:4], 1, v[1:2]
	v_add_co_u32 v3, s1, s10, v3
	v_add_co_ci_u32_e64 v4, null, s11, v4, s1
	s_and_saveexec_b32 s1, s2
	s_cbranch_execz .LBB438_2
; %bb.1:
	global_load_ushort v0, v[3:4], off
	s_waitcnt vmcnt(0)
	v_cvt_f32_f16_e32 v0, v0
.LBB438_2:
	s_or_b32 exec_lo, exec_lo, s1
	v_cmp_lt_i32_e64 s1, 1, v5
	s_and_b32 s1, s0, s1
	s_and_saveexec_b32 s2, s1
	s_cbranch_execz .LBB438_4
; %bb.3:
	s_mov_b32 s15, 0
	s_lshl_b64 s[4:5], s[14:15], 1
	v_add_co_u32 v3, s1, v3, s4
	v_add_co_ci_u32_e64 v4, null, s5, v4, s1
	global_load_ushort v3, v[3:4], off
	s_waitcnt vmcnt(0)
	v_cvt_f32_f16_e32 v6, v3
.LBB438_4:
	s_or_b32 exec_lo, exec_lo, s2
	v_mbcnt_lo_u32_b32 v3, -1, 0
	v_and_b32_e32 v4, 24, v3
	v_xor_b32_e32 v7, 4, v3
	v_xor_b32_e32 v10, 2, v3
	;; [unrolled: 1-line block ×3, first 2 shown]
	v_add_nc_u32_e32 v4, 8, v4
	v_cmp_lt_i32_e64 s1, v7, v4
	v_cndmask_b32_e64 v7, v3, v7, s1
	v_cmp_lt_i32_e64 s1, v10, v4
	v_lshlrev_b32_e32 v8, 2, v7
	v_cndmask_b32_e64 v10, v3, v10, s1
	ds_bpermute_b32 v7, v8, v0
	ds_bpermute_b32 v9, v8, v6
	v_lshlrev_b32_e32 v10, 2, v10
	s_waitcnt lgkmcnt(1)
	v_cmp_lt_f32_e64 s1, v0, v7
	v_cndmask_b32_e64 v7, v0, v7, s1
	s_waitcnt lgkmcnt(0)
	v_cmp_lt_f32_e64 s1, v6, v9
	ds_bpermute_b32 v11, v10, v7
	v_cndmask_b32_e64 v9, v6, v9, s1
	v_cmp_lt_i32_e64 s1, v13, v4
	ds_bpermute_b32 v12, v10, v9
	v_cndmask_b32_e64 v3, v3, v13, s1
	v_lshlrev_b32_e32 v13, 2, v3
	s_waitcnt lgkmcnt(1)
	v_cmp_lt_f32_e64 s1, v7, v11
	v_cndmask_b32_e64 v3, v7, v11, s1
	s_waitcnt lgkmcnt(0)
	v_cmp_lt_f32_e64 s1, v9, v12
	ds_bpermute_b32 v7, v13, v3
	v_cndmask_b32_e64 v4, v9, v12, s1
	ds_bpermute_b32 v9, v13, v4
	s_waitcnt lgkmcnt(1)
	v_cmp_lt_f32_e64 s1, v3, v7
	v_cndmask_b32_e64 v3, v3, v7, s1
	s_waitcnt lgkmcnt(0)
	v_cmp_lt_f32_e64 s1, v4, v9
	v_sub_f32_e32 v0, v0, v3
	v_cndmask_b32_e64 v4, v4, v9, s1
	v_cmp_ngt_f32_e64 s1, 0xc2ce8ed0, v0
	v_sub_f32_e32 v3, v6, v4
	v_mul_f32_e32 v4, 0x3fb8aa3b, v0
	v_mul_f32_e32 v6, 0x3fb8aa3b, v3
	v_fma_f32 v7, 0x3fb8aa3b, v0, -v4
	v_rndne_f32_e32 v9, v4
	v_fma_f32 v11, 0x3fb8aa3b, v3, -v6
	v_rndne_f32_e32 v12, v6
	v_fmac_f32_e32 v7, 0x32a5705f, v0
	v_sub_f32_e32 v4, v4, v9
	v_fmac_f32_e32 v11, 0x32a5705f, v3
	v_sub_f32_e32 v6, v6, v12
	v_add_f32_e32 v4, v4, v7
	v_cvt_i32_f32_e32 v7, v9
	v_cvt_i32_f32_e32 v9, v12
	v_add_f32_e32 v6, v6, v11
	v_exp_f32_e32 v4, v4
	v_exp_f32_e32 v6, v6
	v_ldexp_f32 v4, v4, v7
	v_ldexp_f32 v6, v6, v9
	v_cndmask_b32_e64 v4, 0, v4, s1
	v_cmp_ngt_f32_e64 s1, 0xc2ce8ed0, v3
	v_cndmask_b32_e64 v6, 0, v6, s1
	v_cmp_nlt_f32_e64 s1, 0x42b17218, v0
	v_cndmask_b32_e64 v7, 0x7f800000, v4, s1
	v_cmp_nlt_f32_e64 s1, 0x42b17218, v3
	ds_bpermute_b32 v0, v8, v7
	v_cndmask_b32_e64 v3, 0x7f800000, v6, s1
	ds_bpermute_b32 v4, v8, v3
	s_waitcnt lgkmcnt(1)
	v_add_f32_e32 v0, v7, v0
	ds_bpermute_b32 v6, v10, v0
	s_waitcnt lgkmcnt(1)
	v_add_f32_e32 v4, v3, v4
	;; [unrolled: 3-line block ×3, first 2 shown]
	s_waitcnt lgkmcnt(0)
	v_add_f32_e32 v4, v4, v9
	ds_bpermute_b32 v9, v13, v8
	ds_bpermute_b32 v6, v13, v4
	s_and_saveexec_b32 s1, vcc_lo
	s_cbranch_execz .LBB438_9
; %bb.5:
	v_lshlrev_b64 v[0:1], 2, v[1:2]
	v_add_co_u32 v0, vcc_lo, s8, v0
	v_add_co_ci_u32_e64 v1, null, s9, v1, vcc_lo
	s_and_saveexec_b32 s1, s0
	s_cbranch_execz .LBB438_7
; %bb.6:
	s_waitcnt lgkmcnt(1)
	v_add_f32_e32 v2, v8, v9
	v_div_scale_f32 v8, null, v2, v2, v7
	v_rcp_f32_e32 v9, v8
	v_fma_f32 v10, -v8, v9, 1.0
	v_fmac_f32_e32 v9, v10, v9
	v_div_scale_f32 v10, vcc_lo, v7, v2, v7
	v_mul_f32_e32 v11, v10, v9
	v_fma_f32 v12, -v8, v11, v10
	v_fmac_f32_e32 v11, v12, v9
	v_fma_f32 v8, -v8, v11, v10
	v_div_fmas_f32 v8, v8, v9, v11
	v_cmp_neq_f32_e32 vcc_lo, 0, v2
	v_div_fixup_f32 v7, v8, v2, v7
	v_cndmask_b32_e32 v2, 0x7fc00000, v7, vcc_lo
	global_store_dword v[0:1], v2, off
.LBB438_7:
	s_or_b32 exec_lo, exec_lo, s1
	v_cmp_ne_u32_e32 vcc_lo, 1, v5
	s_and_b32 s0, vcc_lo, s0
	s_and_b32 exec_lo, exec_lo, s0
	s_cbranch_execz .LBB438_9
; %bb.8:
	s_waitcnt lgkmcnt(0)
	v_add_f32_e32 v2, v4, v6
	s_mov_b32 s15, 0
	s_lshl_b64 s[0:1], s[14:15], 2
	v_div_scale_f32 v4, null, v2, v2, v3
	v_div_scale_f32 v7, vcc_lo, v3, v2, v3
	v_rcp_f32_e32 v5, v4
	v_fma_f32 v6, -v4, v5, 1.0
	v_fmac_f32_e32 v5, v6, v5
	v_mul_f32_e32 v6, v7, v5
	v_fma_f32 v8, -v4, v6, v7
	v_fmac_f32_e32 v6, v8, v5
	v_fma_f32 v4, -v4, v6, v7
	v_div_fmas_f32 v4, v4, v5, v6
	v_add_co_u32 v0, vcc_lo, v0, s0
	v_add_co_ci_u32_e64 v1, null, s1, v1, vcc_lo
	v_div_fixup_f32 v3, v4, v2, v3
	v_cmp_neq_f32_e32 vcc_lo, 0, v2
	v_cndmask_b32_e32 v2, 0x7fc00000, v3, vcc_lo
	global_store_dword v[0:1], v2, off
.LBB438_9:
	s_endpgm
	.section	.rodata,"a",@progbits
	.p2align	6, 0x0
	.amdhsa_kernel _ZN12_GLOBAL__N_120softmax_warp_forwardIN3c104HalfEffLi3ELb0ELb0ELi64EEEvPT0_PKT_iiiPKbib
		.amdhsa_group_segment_fixed_size 0
		.amdhsa_private_segment_fixed_size 0
		.amdhsa_kernarg_size 304
		.amdhsa_user_sgpr_count 6
		.amdhsa_user_sgpr_private_segment_buffer 1
		.amdhsa_user_sgpr_dispatch_ptr 0
		.amdhsa_user_sgpr_queue_ptr 0
		.amdhsa_user_sgpr_kernarg_segment_ptr 1
		.amdhsa_user_sgpr_dispatch_id 0
		.amdhsa_user_sgpr_flat_scratch_init 0
		.amdhsa_user_sgpr_private_segment_size 0
		.amdhsa_wavefront_size32 1
		.amdhsa_uses_dynamic_stack 0
		.amdhsa_system_sgpr_private_segment_wavefront_offset 0
		.amdhsa_system_sgpr_workgroup_id_x 1
		.amdhsa_system_sgpr_workgroup_id_y 0
		.amdhsa_system_sgpr_workgroup_id_z 0
		.amdhsa_system_sgpr_workgroup_info 0
		.amdhsa_system_vgpr_workitem_id 1
		.amdhsa_next_free_vgpr 14
		.amdhsa_next_free_sgpr 16
		.amdhsa_reserve_vcc 1
		.amdhsa_reserve_flat_scratch 0
		.amdhsa_float_round_mode_32 0
		.amdhsa_float_round_mode_16_64 0
		.amdhsa_float_denorm_mode_32 3
		.amdhsa_float_denorm_mode_16_64 3
		.amdhsa_dx10_clamp 1
		.amdhsa_ieee_mode 1
		.amdhsa_fp16_overflow 0
		.amdhsa_workgroup_processor_mode 1
		.amdhsa_memory_ordered 1
		.amdhsa_forward_progress 1
		.amdhsa_shared_vgpr_count 0
		.amdhsa_exception_fp_ieee_invalid_op 0
		.amdhsa_exception_fp_denorm_src 0
		.amdhsa_exception_fp_ieee_div_zero 0
		.amdhsa_exception_fp_ieee_overflow 0
		.amdhsa_exception_fp_ieee_underflow 0
		.amdhsa_exception_fp_ieee_inexact 0
		.amdhsa_exception_int_div_zero 0
	.end_amdhsa_kernel
	.section	.text._ZN12_GLOBAL__N_120softmax_warp_forwardIN3c104HalfEffLi3ELb0ELb0ELi64EEEvPT0_PKT_iiiPKbib,"axG",@progbits,_ZN12_GLOBAL__N_120softmax_warp_forwardIN3c104HalfEffLi3ELb0ELb0ELi64EEEvPT0_PKT_iiiPKbib,comdat
.Lfunc_end438:
	.size	_ZN12_GLOBAL__N_120softmax_warp_forwardIN3c104HalfEffLi3ELb0ELb0ELi64EEEvPT0_PKT_iiiPKbib, .Lfunc_end438-_ZN12_GLOBAL__N_120softmax_warp_forwardIN3c104HalfEffLi3ELb0ELb0ELi64EEEvPT0_PKT_iiiPKbib
                                        ; -- End function
	.set _ZN12_GLOBAL__N_120softmax_warp_forwardIN3c104HalfEffLi3ELb0ELb0ELi64EEEvPT0_PKT_iiiPKbib.num_vgpr, 14
	.set _ZN12_GLOBAL__N_120softmax_warp_forwardIN3c104HalfEffLi3ELb0ELb0ELi64EEEvPT0_PKT_iiiPKbib.num_agpr, 0
	.set _ZN12_GLOBAL__N_120softmax_warp_forwardIN3c104HalfEffLi3ELb0ELb0ELi64EEEvPT0_PKT_iiiPKbib.numbered_sgpr, 16
	.set _ZN12_GLOBAL__N_120softmax_warp_forwardIN3c104HalfEffLi3ELb0ELb0ELi64EEEvPT0_PKT_iiiPKbib.num_named_barrier, 0
	.set _ZN12_GLOBAL__N_120softmax_warp_forwardIN3c104HalfEffLi3ELb0ELb0ELi64EEEvPT0_PKT_iiiPKbib.private_seg_size, 0
	.set _ZN12_GLOBAL__N_120softmax_warp_forwardIN3c104HalfEffLi3ELb0ELb0ELi64EEEvPT0_PKT_iiiPKbib.uses_vcc, 1
	.set _ZN12_GLOBAL__N_120softmax_warp_forwardIN3c104HalfEffLi3ELb0ELb0ELi64EEEvPT0_PKT_iiiPKbib.uses_flat_scratch, 0
	.set _ZN12_GLOBAL__N_120softmax_warp_forwardIN3c104HalfEffLi3ELb0ELb0ELi64EEEvPT0_PKT_iiiPKbib.has_dyn_sized_stack, 0
	.set _ZN12_GLOBAL__N_120softmax_warp_forwardIN3c104HalfEffLi3ELb0ELb0ELi64EEEvPT0_PKT_iiiPKbib.has_recursion, 0
	.set _ZN12_GLOBAL__N_120softmax_warp_forwardIN3c104HalfEffLi3ELb0ELb0ELi64EEEvPT0_PKT_iiiPKbib.has_indirect_call, 0
	.section	.AMDGPU.csdata,"",@progbits
; Kernel info:
; codeLenInByte = 1044
; TotalNumSgprs: 18
; NumVgprs: 14
; ScratchSize: 0
; MemoryBound: 0
; FloatMode: 240
; IeeeMode: 1
; LDSByteSize: 0 bytes/workgroup (compile time only)
; SGPRBlocks: 0
; VGPRBlocks: 1
; NumSGPRsForWavesPerEU: 18
; NumVGPRsForWavesPerEU: 14
; Occupancy: 16
; WaveLimiterHint : 0
; COMPUTE_PGM_RSRC2:SCRATCH_EN: 0
; COMPUTE_PGM_RSRC2:USER_SGPR: 6
; COMPUTE_PGM_RSRC2:TRAP_HANDLER: 0
; COMPUTE_PGM_RSRC2:TGID_X_EN: 1
; COMPUTE_PGM_RSRC2:TGID_Y_EN: 0
; COMPUTE_PGM_RSRC2:TGID_Z_EN: 0
; COMPUTE_PGM_RSRC2:TIDIG_COMP_CNT: 1
	.section	.text._ZN12_GLOBAL__N_120softmax_warp_forwardIN3c104HalfEffLi3ELb0ELb0ELi32EEEvPT0_PKT_iiiPKbib,"axG",@progbits,_ZN12_GLOBAL__N_120softmax_warp_forwardIN3c104HalfEffLi3ELb0ELb0ELi32EEEvPT0_PKT_iiiPKbib,comdat
	.globl	_ZN12_GLOBAL__N_120softmax_warp_forwardIN3c104HalfEffLi3ELb0ELb0ELi32EEEvPT0_PKT_iiiPKbib ; -- Begin function _ZN12_GLOBAL__N_120softmax_warp_forwardIN3c104HalfEffLi3ELb0ELb0ELi32EEEvPT0_PKT_iiiPKbib
	.p2align	8
	.type	_ZN12_GLOBAL__N_120softmax_warp_forwardIN3c104HalfEffLi3ELb0ELb0ELi32EEEvPT0_PKT_iiiPKbib,@function
_ZN12_GLOBAL__N_120softmax_warp_forwardIN3c104HalfEffLi3ELb0ELb0ELi32EEEvPT0_PKT_iiiPKbib: ; @_ZN12_GLOBAL__N_120softmax_warp_forwardIN3c104HalfEffLi3ELb0ELb0ELi32EEEvPT0_PKT_iiiPKbib
; %bb.0:
	s_clause 0x1
	s_load_dword s0, s[4:5], 0x3c
	s_load_dwordx8 s[8:15], s[4:5], 0x0
	v_mov_b32_e32 v6, 0xff800000
	s_waitcnt lgkmcnt(0)
	s_lshr_b32 s0, s0, 16
	s_and_b32 s0, s0, 0xffff
	s_mul_i32 s6, s6, s0
	v_cmp_gt_i32_e64 s0, s14, v0
	v_add_lshl_u32 v3, s6, v1, 1
	v_mad_u64_u32 v[1:2], null, v3, s13, v[0:1]
	v_sub_nc_u32_e32 v5, s12, v3
	v_mov_b32_e32 v0, 0xff800000
	v_cmp_lt_i32_e32 vcc_lo, 0, v5
	v_ashrrev_i32_e32 v2, 31, v1
	s_and_b32 s2, s0, vcc_lo
	v_lshlrev_b64 v[3:4], 1, v[1:2]
	v_add_co_u32 v3, s1, s10, v3
	v_add_co_ci_u32_e64 v4, null, s11, v4, s1
	s_and_saveexec_b32 s1, s2
	s_cbranch_execz .LBB439_2
; %bb.1:
	global_load_ushort v0, v[3:4], off
	s_waitcnt vmcnt(0)
	v_cvt_f32_f16_e32 v0, v0
.LBB439_2:
	s_or_b32 exec_lo, exec_lo, s1
	v_cmp_lt_i32_e64 s1, 1, v5
	s_and_b32 s1, s0, s1
	s_and_saveexec_b32 s2, s1
	s_cbranch_execz .LBB439_4
; %bb.3:
	s_mov_b32 s15, 0
	s_lshl_b64 s[4:5], s[14:15], 1
	v_add_co_u32 v3, s1, v3, s4
	v_add_co_ci_u32_e64 v4, null, s5, v4, s1
	global_load_ushort v3, v[3:4], off
	s_waitcnt vmcnt(0)
	v_cvt_f32_f16_e32 v6, v3
.LBB439_4:
	s_or_b32 exec_lo, exec_lo, s2
	v_mbcnt_lo_u32_b32 v3, -1, 0
	v_and_b32_e32 v4, 24, v3
	v_xor_b32_e32 v7, 4, v3
	v_xor_b32_e32 v10, 2, v3
	;; [unrolled: 1-line block ×3, first 2 shown]
	v_add_nc_u32_e32 v4, 8, v4
	v_cmp_lt_i32_e64 s1, v7, v4
	v_cndmask_b32_e64 v7, v3, v7, s1
	v_cmp_lt_i32_e64 s1, v10, v4
	v_lshlrev_b32_e32 v8, 2, v7
	v_cndmask_b32_e64 v10, v3, v10, s1
	ds_bpermute_b32 v7, v8, v0
	ds_bpermute_b32 v9, v8, v6
	v_lshlrev_b32_e32 v10, 2, v10
	s_waitcnt lgkmcnt(1)
	v_cmp_lt_f32_e64 s1, v0, v7
	v_cndmask_b32_e64 v7, v0, v7, s1
	s_waitcnt lgkmcnt(0)
	v_cmp_lt_f32_e64 s1, v6, v9
	ds_bpermute_b32 v11, v10, v7
	v_cndmask_b32_e64 v9, v6, v9, s1
	v_cmp_lt_i32_e64 s1, v13, v4
	ds_bpermute_b32 v12, v10, v9
	v_cndmask_b32_e64 v3, v3, v13, s1
	v_lshlrev_b32_e32 v13, 2, v3
	s_waitcnt lgkmcnt(1)
	v_cmp_lt_f32_e64 s1, v7, v11
	v_cndmask_b32_e64 v3, v7, v11, s1
	s_waitcnt lgkmcnt(0)
	v_cmp_lt_f32_e64 s1, v9, v12
	ds_bpermute_b32 v7, v13, v3
	v_cndmask_b32_e64 v4, v9, v12, s1
	ds_bpermute_b32 v9, v13, v4
	s_waitcnt lgkmcnt(1)
	v_cmp_lt_f32_e64 s1, v3, v7
	v_cndmask_b32_e64 v3, v3, v7, s1
	s_waitcnt lgkmcnt(0)
	v_cmp_lt_f32_e64 s1, v4, v9
	v_sub_f32_e32 v0, v0, v3
	v_cndmask_b32_e64 v4, v4, v9, s1
	v_cmp_ngt_f32_e64 s1, 0xc2ce8ed0, v0
	v_sub_f32_e32 v3, v6, v4
	v_mul_f32_e32 v4, 0x3fb8aa3b, v0
	v_mul_f32_e32 v6, 0x3fb8aa3b, v3
	v_fma_f32 v7, 0x3fb8aa3b, v0, -v4
	v_rndne_f32_e32 v9, v4
	v_fma_f32 v11, 0x3fb8aa3b, v3, -v6
	v_rndne_f32_e32 v12, v6
	v_fmac_f32_e32 v7, 0x32a5705f, v0
	v_sub_f32_e32 v4, v4, v9
	v_fmac_f32_e32 v11, 0x32a5705f, v3
	v_sub_f32_e32 v6, v6, v12
	v_add_f32_e32 v4, v4, v7
	v_cvt_i32_f32_e32 v7, v9
	v_cvt_i32_f32_e32 v9, v12
	v_add_f32_e32 v6, v6, v11
	v_exp_f32_e32 v4, v4
	v_exp_f32_e32 v6, v6
	v_ldexp_f32 v4, v4, v7
	v_ldexp_f32 v6, v6, v9
	v_cndmask_b32_e64 v4, 0, v4, s1
	v_cmp_ngt_f32_e64 s1, 0xc2ce8ed0, v3
	v_cndmask_b32_e64 v6, 0, v6, s1
	v_cmp_nlt_f32_e64 s1, 0x42b17218, v0
	v_cndmask_b32_e64 v7, 0x7f800000, v4, s1
	v_cmp_nlt_f32_e64 s1, 0x42b17218, v3
	ds_bpermute_b32 v0, v8, v7
	v_cndmask_b32_e64 v3, 0x7f800000, v6, s1
	ds_bpermute_b32 v4, v8, v3
	s_waitcnt lgkmcnt(1)
	v_add_f32_e32 v0, v7, v0
	ds_bpermute_b32 v6, v10, v0
	s_waitcnt lgkmcnt(1)
	v_add_f32_e32 v4, v3, v4
	;; [unrolled: 3-line block ×3, first 2 shown]
	s_waitcnt lgkmcnt(0)
	v_add_f32_e32 v4, v4, v9
	ds_bpermute_b32 v9, v13, v8
	ds_bpermute_b32 v6, v13, v4
	s_and_saveexec_b32 s1, vcc_lo
	s_cbranch_execz .LBB439_9
; %bb.5:
	v_lshlrev_b64 v[0:1], 2, v[1:2]
	v_add_co_u32 v0, vcc_lo, s8, v0
	v_add_co_ci_u32_e64 v1, null, s9, v1, vcc_lo
	s_and_saveexec_b32 s1, s0
	s_cbranch_execz .LBB439_7
; %bb.6:
	s_waitcnt lgkmcnt(1)
	v_add_f32_e32 v2, v8, v9
	v_div_scale_f32 v8, null, v2, v2, v7
	v_rcp_f32_e32 v9, v8
	v_fma_f32 v10, -v8, v9, 1.0
	v_fmac_f32_e32 v9, v10, v9
	v_div_scale_f32 v10, vcc_lo, v7, v2, v7
	v_mul_f32_e32 v11, v10, v9
	v_fma_f32 v12, -v8, v11, v10
	v_fmac_f32_e32 v11, v12, v9
	v_fma_f32 v8, -v8, v11, v10
	v_div_fmas_f32 v8, v8, v9, v11
	v_cmp_neq_f32_e32 vcc_lo, 0, v2
	v_div_fixup_f32 v7, v8, v2, v7
	v_cndmask_b32_e32 v2, 0x7fc00000, v7, vcc_lo
	global_store_dword v[0:1], v2, off
.LBB439_7:
	s_or_b32 exec_lo, exec_lo, s1
	v_cmp_ne_u32_e32 vcc_lo, 1, v5
	s_and_b32 s0, vcc_lo, s0
	s_and_b32 exec_lo, exec_lo, s0
	s_cbranch_execz .LBB439_9
; %bb.8:
	s_waitcnt lgkmcnt(0)
	v_add_f32_e32 v2, v4, v6
	s_mov_b32 s15, 0
	s_lshl_b64 s[0:1], s[14:15], 2
	v_div_scale_f32 v4, null, v2, v2, v3
	v_div_scale_f32 v7, vcc_lo, v3, v2, v3
	v_rcp_f32_e32 v5, v4
	v_fma_f32 v6, -v4, v5, 1.0
	v_fmac_f32_e32 v5, v6, v5
	v_mul_f32_e32 v6, v7, v5
	v_fma_f32 v8, -v4, v6, v7
	v_fmac_f32_e32 v6, v8, v5
	v_fma_f32 v4, -v4, v6, v7
	v_div_fmas_f32 v4, v4, v5, v6
	v_add_co_u32 v0, vcc_lo, v0, s0
	v_add_co_ci_u32_e64 v1, null, s1, v1, vcc_lo
	v_div_fixup_f32 v3, v4, v2, v3
	v_cmp_neq_f32_e32 vcc_lo, 0, v2
	v_cndmask_b32_e32 v2, 0x7fc00000, v3, vcc_lo
	global_store_dword v[0:1], v2, off
.LBB439_9:
	s_endpgm
	.section	.rodata,"a",@progbits
	.p2align	6, 0x0
	.amdhsa_kernel _ZN12_GLOBAL__N_120softmax_warp_forwardIN3c104HalfEffLi3ELb0ELb0ELi32EEEvPT0_PKT_iiiPKbib
		.amdhsa_group_segment_fixed_size 0
		.amdhsa_private_segment_fixed_size 0
		.amdhsa_kernarg_size 304
		.amdhsa_user_sgpr_count 6
		.amdhsa_user_sgpr_private_segment_buffer 1
		.amdhsa_user_sgpr_dispatch_ptr 0
		.amdhsa_user_sgpr_queue_ptr 0
		.amdhsa_user_sgpr_kernarg_segment_ptr 1
		.amdhsa_user_sgpr_dispatch_id 0
		.amdhsa_user_sgpr_flat_scratch_init 0
		.amdhsa_user_sgpr_private_segment_size 0
		.amdhsa_wavefront_size32 1
		.amdhsa_uses_dynamic_stack 0
		.amdhsa_system_sgpr_private_segment_wavefront_offset 0
		.amdhsa_system_sgpr_workgroup_id_x 1
		.amdhsa_system_sgpr_workgroup_id_y 0
		.amdhsa_system_sgpr_workgroup_id_z 0
		.amdhsa_system_sgpr_workgroup_info 0
		.amdhsa_system_vgpr_workitem_id 1
		.amdhsa_next_free_vgpr 14
		.amdhsa_next_free_sgpr 16
		.amdhsa_reserve_vcc 1
		.amdhsa_reserve_flat_scratch 0
		.amdhsa_float_round_mode_32 0
		.amdhsa_float_round_mode_16_64 0
		.amdhsa_float_denorm_mode_32 3
		.amdhsa_float_denorm_mode_16_64 3
		.amdhsa_dx10_clamp 1
		.amdhsa_ieee_mode 1
		.amdhsa_fp16_overflow 0
		.amdhsa_workgroup_processor_mode 1
		.amdhsa_memory_ordered 1
		.amdhsa_forward_progress 1
		.amdhsa_shared_vgpr_count 0
		.amdhsa_exception_fp_ieee_invalid_op 0
		.amdhsa_exception_fp_denorm_src 0
		.amdhsa_exception_fp_ieee_div_zero 0
		.amdhsa_exception_fp_ieee_overflow 0
		.amdhsa_exception_fp_ieee_underflow 0
		.amdhsa_exception_fp_ieee_inexact 0
		.amdhsa_exception_int_div_zero 0
	.end_amdhsa_kernel
	.section	.text._ZN12_GLOBAL__N_120softmax_warp_forwardIN3c104HalfEffLi3ELb0ELb0ELi32EEEvPT0_PKT_iiiPKbib,"axG",@progbits,_ZN12_GLOBAL__N_120softmax_warp_forwardIN3c104HalfEffLi3ELb0ELb0ELi32EEEvPT0_PKT_iiiPKbib,comdat
.Lfunc_end439:
	.size	_ZN12_GLOBAL__N_120softmax_warp_forwardIN3c104HalfEffLi3ELb0ELb0ELi32EEEvPT0_PKT_iiiPKbib, .Lfunc_end439-_ZN12_GLOBAL__N_120softmax_warp_forwardIN3c104HalfEffLi3ELb0ELb0ELi32EEEvPT0_PKT_iiiPKbib
                                        ; -- End function
	.set _ZN12_GLOBAL__N_120softmax_warp_forwardIN3c104HalfEffLi3ELb0ELb0ELi32EEEvPT0_PKT_iiiPKbib.num_vgpr, 14
	.set _ZN12_GLOBAL__N_120softmax_warp_forwardIN3c104HalfEffLi3ELb0ELb0ELi32EEEvPT0_PKT_iiiPKbib.num_agpr, 0
	.set _ZN12_GLOBAL__N_120softmax_warp_forwardIN3c104HalfEffLi3ELb0ELb0ELi32EEEvPT0_PKT_iiiPKbib.numbered_sgpr, 16
	.set _ZN12_GLOBAL__N_120softmax_warp_forwardIN3c104HalfEffLi3ELb0ELb0ELi32EEEvPT0_PKT_iiiPKbib.num_named_barrier, 0
	.set _ZN12_GLOBAL__N_120softmax_warp_forwardIN3c104HalfEffLi3ELb0ELb0ELi32EEEvPT0_PKT_iiiPKbib.private_seg_size, 0
	.set _ZN12_GLOBAL__N_120softmax_warp_forwardIN3c104HalfEffLi3ELb0ELb0ELi32EEEvPT0_PKT_iiiPKbib.uses_vcc, 1
	.set _ZN12_GLOBAL__N_120softmax_warp_forwardIN3c104HalfEffLi3ELb0ELb0ELi32EEEvPT0_PKT_iiiPKbib.uses_flat_scratch, 0
	.set _ZN12_GLOBAL__N_120softmax_warp_forwardIN3c104HalfEffLi3ELb0ELb0ELi32EEEvPT0_PKT_iiiPKbib.has_dyn_sized_stack, 0
	.set _ZN12_GLOBAL__N_120softmax_warp_forwardIN3c104HalfEffLi3ELb0ELb0ELi32EEEvPT0_PKT_iiiPKbib.has_recursion, 0
	.set _ZN12_GLOBAL__N_120softmax_warp_forwardIN3c104HalfEffLi3ELb0ELb0ELi32EEEvPT0_PKT_iiiPKbib.has_indirect_call, 0
	.section	.AMDGPU.csdata,"",@progbits
; Kernel info:
; codeLenInByte = 1044
; TotalNumSgprs: 18
; NumVgprs: 14
; ScratchSize: 0
; MemoryBound: 0
; FloatMode: 240
; IeeeMode: 1
; LDSByteSize: 0 bytes/workgroup (compile time only)
; SGPRBlocks: 0
; VGPRBlocks: 1
; NumSGPRsForWavesPerEU: 18
; NumVGPRsForWavesPerEU: 14
; Occupancy: 16
; WaveLimiterHint : 0
; COMPUTE_PGM_RSRC2:SCRATCH_EN: 0
; COMPUTE_PGM_RSRC2:USER_SGPR: 6
; COMPUTE_PGM_RSRC2:TRAP_HANDLER: 0
; COMPUTE_PGM_RSRC2:TGID_X_EN: 1
; COMPUTE_PGM_RSRC2:TGID_Y_EN: 0
; COMPUTE_PGM_RSRC2:TGID_Z_EN: 0
; COMPUTE_PGM_RSRC2:TIDIG_COMP_CNT: 1
	.section	.text._ZN12_GLOBAL__N_120softmax_warp_forwardIN3c104HalfEffLi4ELb0ELb0ELi64EEEvPT0_PKT_iiiPKbib,"axG",@progbits,_ZN12_GLOBAL__N_120softmax_warp_forwardIN3c104HalfEffLi4ELb0ELb0ELi64EEEvPT0_PKT_iiiPKbib,comdat
	.globl	_ZN12_GLOBAL__N_120softmax_warp_forwardIN3c104HalfEffLi4ELb0ELb0ELi64EEEvPT0_PKT_iiiPKbib ; -- Begin function _ZN12_GLOBAL__N_120softmax_warp_forwardIN3c104HalfEffLi4ELb0ELb0ELi64EEEvPT0_PKT_iiiPKbib
	.p2align	8
	.type	_ZN12_GLOBAL__N_120softmax_warp_forwardIN3c104HalfEffLi4ELb0ELb0ELi64EEEvPT0_PKT_iiiPKbib,@function
_ZN12_GLOBAL__N_120softmax_warp_forwardIN3c104HalfEffLi4ELb0ELb0ELi64EEEvPT0_PKT_iiiPKbib: ; @_ZN12_GLOBAL__N_120softmax_warp_forwardIN3c104HalfEffLi4ELb0ELb0ELi64EEEvPT0_PKT_iiiPKbib
; %bb.0:
	s_clause 0x1
	s_load_dword s0, s[4:5], 0x3c
	s_load_dwordx8 s[8:15], s[4:5], 0x0
	v_mov_b32_e32 v6, 0xff800000
	s_waitcnt lgkmcnt(0)
	s_lshr_b32 s0, s0, 16
	s_and_b32 s0, s0, 0xffff
	s_mul_i32 s6, s6, s0
	v_cmp_gt_i32_e64 s0, s14, v0
	v_add_lshl_u32 v3, s6, v1, 1
	v_mad_u64_u32 v[1:2], null, v3, s13, v[0:1]
	v_sub_nc_u32_e32 v5, s12, v3
	v_mov_b32_e32 v0, 0xff800000
	v_cmp_lt_i32_e32 vcc_lo, 0, v5
	v_ashrrev_i32_e32 v2, 31, v1
	s_and_b32 s2, s0, vcc_lo
	v_lshlrev_b64 v[3:4], 1, v[1:2]
	v_add_co_u32 v3, s1, s10, v3
	v_add_co_ci_u32_e64 v4, null, s11, v4, s1
	s_and_saveexec_b32 s1, s2
	s_cbranch_execz .LBB440_2
; %bb.1:
	global_load_ushort v0, v[3:4], off
	s_waitcnt vmcnt(0)
	v_cvt_f32_f16_e32 v0, v0
.LBB440_2:
	s_or_b32 exec_lo, exec_lo, s1
	v_cmp_lt_i32_e64 s1, 1, v5
	s_and_b32 s1, s0, s1
	s_and_saveexec_b32 s2, s1
	s_cbranch_execz .LBB440_4
; %bb.3:
	s_mov_b32 s15, 0
	s_lshl_b64 s[4:5], s[14:15], 1
	v_add_co_u32 v3, s1, v3, s4
	v_add_co_ci_u32_e64 v4, null, s5, v4, s1
	global_load_ushort v3, v[3:4], off
	s_waitcnt vmcnt(0)
	v_cvt_f32_f16_e32 v6, v3
.LBB440_4:
	s_or_b32 exec_lo, exec_lo, s2
	v_mbcnt_lo_u32_b32 v3, -1, 0
	v_and_b32_e32 v4, 16, v3
	v_xor_b32_e32 v7, 8, v3
	v_xor_b32_e32 v10, 4, v3
	;; [unrolled: 1-line block ×4, first 2 shown]
	v_add_nc_u32_e32 v4, 16, v4
	v_cmp_lt_i32_e64 s1, v7, v4
	v_cndmask_b32_e64 v7, v3, v7, s1
	v_cmp_lt_i32_e64 s1, v10, v4
	v_lshlrev_b32_e32 v7, 2, v7
	v_cndmask_b32_e64 v10, v3, v10, s1
	ds_bpermute_b32 v8, v7, v0
	ds_bpermute_b32 v9, v7, v6
	v_lshlrev_b32_e32 v10, 2, v10
	s_waitcnt lgkmcnt(1)
	v_cmp_lt_f32_e64 s1, v0, v8
	v_cndmask_b32_e64 v8, v0, v8, s1
	s_waitcnt lgkmcnt(0)
	v_cmp_lt_f32_e64 s1, v6, v9
	ds_bpermute_b32 v11, v10, v8
	v_cndmask_b32_e64 v9, v6, v9, s1
	v_cmp_lt_i32_e64 s1, v13, v4
	ds_bpermute_b32 v12, v10, v9
	v_cndmask_b32_e64 v13, v3, v13, s1
	v_lshlrev_b32_e32 v13, 2, v13
	s_waitcnt lgkmcnt(1)
	v_cmp_lt_f32_e64 s1, v8, v11
	v_cndmask_b32_e64 v8, v8, v11, s1
	s_waitcnt lgkmcnt(0)
	v_cmp_lt_f32_e64 s1, v9, v12
	ds_bpermute_b32 v11, v13, v8
	v_cndmask_b32_e64 v9, v9, v12, s1
	v_cmp_lt_i32_e64 s1, v14, v4
	ds_bpermute_b32 v12, v13, v9
	v_cndmask_b32_e64 v3, v3, v14, s1
	v_lshlrev_b32_e32 v14, 2, v3
	s_waitcnt lgkmcnt(1)
	v_cmp_lt_f32_e64 s1, v8, v11
	v_cndmask_b32_e64 v3, v8, v11, s1
	s_waitcnt lgkmcnt(0)
	v_cmp_lt_f32_e64 s1, v9, v12
	ds_bpermute_b32 v8, v14, v3
	v_cndmask_b32_e64 v4, v9, v12, s1
	ds_bpermute_b32 v9, v14, v4
	s_waitcnt lgkmcnt(1)
	v_cmp_lt_f32_e64 s1, v3, v8
	v_cndmask_b32_e64 v3, v3, v8, s1
	s_waitcnt lgkmcnt(0)
	v_cmp_lt_f32_e64 s1, v4, v9
	v_sub_f32_e32 v0, v0, v3
	v_cndmask_b32_e64 v4, v4, v9, s1
	v_cmp_ngt_f32_e64 s1, 0xc2ce8ed0, v0
	v_sub_f32_e32 v3, v6, v4
	v_mul_f32_e32 v4, 0x3fb8aa3b, v0
	v_mul_f32_e32 v6, 0x3fb8aa3b, v3
	v_fma_f32 v8, 0x3fb8aa3b, v0, -v4
	v_rndne_f32_e32 v9, v4
	v_fma_f32 v11, 0x3fb8aa3b, v3, -v6
	v_rndne_f32_e32 v12, v6
	v_fmac_f32_e32 v8, 0x32a5705f, v0
	v_sub_f32_e32 v4, v4, v9
	v_fmac_f32_e32 v11, 0x32a5705f, v3
	v_sub_f32_e32 v6, v6, v12
	v_add_f32_e32 v4, v4, v8
	v_cvt_i32_f32_e32 v8, v9
	v_cvt_i32_f32_e32 v9, v12
	v_add_f32_e32 v6, v6, v11
	v_exp_f32_e32 v4, v4
	v_exp_f32_e32 v6, v6
	v_ldexp_f32 v4, v4, v8
	v_ldexp_f32 v6, v6, v9
	v_cndmask_b32_e64 v4, 0, v4, s1
	v_cmp_ngt_f32_e64 s1, 0xc2ce8ed0, v3
	v_cndmask_b32_e64 v6, 0, v6, s1
	v_cmp_nlt_f32_e64 s1, 0x42b17218, v0
	v_cndmask_b32_e64 v4, 0x7f800000, v4, s1
	v_cmp_nlt_f32_e64 s1, 0x42b17218, v3
	ds_bpermute_b32 v0, v7, v4
	v_cndmask_b32_e64 v3, 0x7f800000, v6, s1
	ds_bpermute_b32 v6, v7, v3
	s_waitcnt lgkmcnt(1)
	v_add_f32_e32 v0, v4, v0
	ds_bpermute_b32 v7, v10, v0
	s_waitcnt lgkmcnt(1)
	v_add_f32_e32 v6, v3, v6
	;; [unrolled: 3-line block ×5, first 2 shown]
	s_waitcnt lgkmcnt(0)
	v_add_f32_e32 v6, v6, v9
	ds_bpermute_b32 v9, v14, v8
	ds_bpermute_b32 v7, v14, v6
	s_and_saveexec_b32 s1, vcc_lo
	s_cbranch_execz .LBB440_9
; %bb.5:
	v_lshlrev_b64 v[0:1], 2, v[1:2]
	v_add_co_u32 v0, vcc_lo, s8, v0
	v_add_co_ci_u32_e64 v1, null, s9, v1, vcc_lo
	s_and_saveexec_b32 s1, s0
	s_cbranch_execz .LBB440_7
; %bb.6:
	s_waitcnt lgkmcnt(1)
	v_add_f32_e32 v2, v8, v9
	v_div_scale_f32 v8, null, v2, v2, v4
	v_rcp_f32_e32 v9, v8
	v_fma_f32 v10, -v8, v9, 1.0
	v_fmac_f32_e32 v9, v10, v9
	v_div_scale_f32 v10, vcc_lo, v4, v2, v4
	v_mul_f32_e32 v11, v10, v9
	v_fma_f32 v12, -v8, v11, v10
	v_fmac_f32_e32 v11, v12, v9
	v_fma_f32 v8, -v8, v11, v10
	v_div_fmas_f32 v8, v8, v9, v11
	v_cmp_neq_f32_e32 vcc_lo, 0, v2
	v_div_fixup_f32 v4, v8, v2, v4
	v_cndmask_b32_e32 v2, 0x7fc00000, v4, vcc_lo
	global_store_dword v[0:1], v2, off
.LBB440_7:
	s_or_b32 exec_lo, exec_lo, s1
	v_cmp_ne_u32_e32 vcc_lo, 1, v5
	s_and_b32 s0, vcc_lo, s0
	s_and_b32 exec_lo, exec_lo, s0
	s_cbranch_execz .LBB440_9
; %bb.8:
	s_waitcnt lgkmcnt(0)
	v_add_f32_e32 v2, v6, v7
	s_mov_b32 s15, 0
	s_lshl_b64 s[0:1], s[14:15], 2
	v_div_scale_f32 v4, null, v2, v2, v3
	v_div_scale_f32 v7, vcc_lo, v3, v2, v3
	v_rcp_f32_e32 v5, v4
	v_fma_f32 v6, -v4, v5, 1.0
	v_fmac_f32_e32 v5, v6, v5
	v_mul_f32_e32 v6, v7, v5
	v_fma_f32 v8, -v4, v6, v7
	v_fmac_f32_e32 v6, v8, v5
	v_fma_f32 v4, -v4, v6, v7
	v_div_fmas_f32 v4, v4, v5, v6
	v_add_co_u32 v0, vcc_lo, v0, s0
	v_add_co_ci_u32_e64 v1, null, s1, v1, vcc_lo
	v_div_fixup_f32 v3, v4, v2, v3
	v_cmp_neq_f32_e32 vcc_lo, 0, v2
	v_cndmask_b32_e32 v2, 0x7fc00000, v3, vcc_lo
	global_store_dword v[0:1], v2, off
.LBB440_9:
	s_endpgm
	.section	.rodata,"a",@progbits
	.p2align	6, 0x0
	.amdhsa_kernel _ZN12_GLOBAL__N_120softmax_warp_forwardIN3c104HalfEffLi4ELb0ELb0ELi64EEEvPT0_PKT_iiiPKbib
		.amdhsa_group_segment_fixed_size 0
		.amdhsa_private_segment_fixed_size 0
		.amdhsa_kernarg_size 304
		.amdhsa_user_sgpr_count 6
		.amdhsa_user_sgpr_private_segment_buffer 1
		.amdhsa_user_sgpr_dispatch_ptr 0
		.amdhsa_user_sgpr_queue_ptr 0
		.amdhsa_user_sgpr_kernarg_segment_ptr 1
		.amdhsa_user_sgpr_dispatch_id 0
		.amdhsa_user_sgpr_flat_scratch_init 0
		.amdhsa_user_sgpr_private_segment_size 0
		.amdhsa_wavefront_size32 1
		.amdhsa_uses_dynamic_stack 0
		.amdhsa_system_sgpr_private_segment_wavefront_offset 0
		.amdhsa_system_sgpr_workgroup_id_x 1
		.amdhsa_system_sgpr_workgroup_id_y 0
		.amdhsa_system_sgpr_workgroup_id_z 0
		.amdhsa_system_sgpr_workgroup_info 0
		.amdhsa_system_vgpr_workitem_id 1
		.amdhsa_next_free_vgpr 15
		.amdhsa_next_free_sgpr 16
		.amdhsa_reserve_vcc 1
		.amdhsa_reserve_flat_scratch 0
		.amdhsa_float_round_mode_32 0
		.amdhsa_float_round_mode_16_64 0
		.amdhsa_float_denorm_mode_32 3
		.amdhsa_float_denorm_mode_16_64 3
		.amdhsa_dx10_clamp 1
		.amdhsa_ieee_mode 1
		.amdhsa_fp16_overflow 0
		.amdhsa_workgroup_processor_mode 1
		.amdhsa_memory_ordered 1
		.amdhsa_forward_progress 1
		.amdhsa_shared_vgpr_count 0
		.amdhsa_exception_fp_ieee_invalid_op 0
		.amdhsa_exception_fp_denorm_src 0
		.amdhsa_exception_fp_ieee_div_zero 0
		.amdhsa_exception_fp_ieee_overflow 0
		.amdhsa_exception_fp_ieee_underflow 0
		.amdhsa_exception_fp_ieee_inexact 0
		.amdhsa_exception_int_div_zero 0
	.end_amdhsa_kernel
	.section	.text._ZN12_GLOBAL__N_120softmax_warp_forwardIN3c104HalfEffLi4ELb0ELb0ELi64EEEvPT0_PKT_iiiPKbib,"axG",@progbits,_ZN12_GLOBAL__N_120softmax_warp_forwardIN3c104HalfEffLi4ELb0ELb0ELi64EEEvPT0_PKT_iiiPKbib,comdat
.Lfunc_end440:
	.size	_ZN12_GLOBAL__N_120softmax_warp_forwardIN3c104HalfEffLi4ELb0ELb0ELi64EEEvPT0_PKT_iiiPKbib, .Lfunc_end440-_ZN12_GLOBAL__N_120softmax_warp_forwardIN3c104HalfEffLi4ELb0ELb0ELi64EEEvPT0_PKT_iiiPKbib
                                        ; -- End function
	.set _ZN12_GLOBAL__N_120softmax_warp_forwardIN3c104HalfEffLi4ELb0ELb0ELi64EEEvPT0_PKT_iiiPKbib.num_vgpr, 15
	.set _ZN12_GLOBAL__N_120softmax_warp_forwardIN3c104HalfEffLi4ELb0ELb0ELi64EEEvPT0_PKT_iiiPKbib.num_agpr, 0
	.set _ZN12_GLOBAL__N_120softmax_warp_forwardIN3c104HalfEffLi4ELb0ELb0ELi64EEEvPT0_PKT_iiiPKbib.numbered_sgpr, 16
	.set _ZN12_GLOBAL__N_120softmax_warp_forwardIN3c104HalfEffLi4ELb0ELb0ELi64EEEvPT0_PKT_iiiPKbib.num_named_barrier, 0
	.set _ZN12_GLOBAL__N_120softmax_warp_forwardIN3c104HalfEffLi4ELb0ELb0ELi64EEEvPT0_PKT_iiiPKbib.private_seg_size, 0
	.set _ZN12_GLOBAL__N_120softmax_warp_forwardIN3c104HalfEffLi4ELb0ELb0ELi64EEEvPT0_PKT_iiiPKbib.uses_vcc, 1
	.set _ZN12_GLOBAL__N_120softmax_warp_forwardIN3c104HalfEffLi4ELb0ELb0ELi64EEEvPT0_PKT_iiiPKbib.uses_flat_scratch, 0
	.set _ZN12_GLOBAL__N_120softmax_warp_forwardIN3c104HalfEffLi4ELb0ELb0ELi64EEEvPT0_PKT_iiiPKbib.has_dyn_sized_stack, 0
	.set _ZN12_GLOBAL__N_120softmax_warp_forwardIN3c104HalfEffLi4ELb0ELb0ELi64EEEvPT0_PKT_iiiPKbib.has_recursion, 0
	.set _ZN12_GLOBAL__N_120softmax_warp_forwardIN3c104HalfEffLi4ELb0ELb0ELi64EEEvPT0_PKT_iiiPKbib.has_indirect_call, 0
	.section	.AMDGPU.csdata,"",@progbits
; Kernel info:
; codeLenInByte = 1156
; TotalNumSgprs: 18
; NumVgprs: 15
; ScratchSize: 0
; MemoryBound: 0
; FloatMode: 240
; IeeeMode: 1
; LDSByteSize: 0 bytes/workgroup (compile time only)
; SGPRBlocks: 0
; VGPRBlocks: 1
; NumSGPRsForWavesPerEU: 18
; NumVGPRsForWavesPerEU: 15
; Occupancy: 16
; WaveLimiterHint : 0
; COMPUTE_PGM_RSRC2:SCRATCH_EN: 0
; COMPUTE_PGM_RSRC2:USER_SGPR: 6
; COMPUTE_PGM_RSRC2:TRAP_HANDLER: 0
; COMPUTE_PGM_RSRC2:TGID_X_EN: 1
; COMPUTE_PGM_RSRC2:TGID_Y_EN: 0
; COMPUTE_PGM_RSRC2:TGID_Z_EN: 0
; COMPUTE_PGM_RSRC2:TIDIG_COMP_CNT: 1
	.section	.text._ZN12_GLOBAL__N_120softmax_warp_forwardIN3c104HalfEffLi4ELb0ELb0ELi32EEEvPT0_PKT_iiiPKbib,"axG",@progbits,_ZN12_GLOBAL__N_120softmax_warp_forwardIN3c104HalfEffLi4ELb0ELb0ELi32EEEvPT0_PKT_iiiPKbib,comdat
	.globl	_ZN12_GLOBAL__N_120softmax_warp_forwardIN3c104HalfEffLi4ELb0ELb0ELi32EEEvPT0_PKT_iiiPKbib ; -- Begin function _ZN12_GLOBAL__N_120softmax_warp_forwardIN3c104HalfEffLi4ELb0ELb0ELi32EEEvPT0_PKT_iiiPKbib
	.p2align	8
	.type	_ZN12_GLOBAL__N_120softmax_warp_forwardIN3c104HalfEffLi4ELb0ELb0ELi32EEEvPT0_PKT_iiiPKbib,@function
_ZN12_GLOBAL__N_120softmax_warp_forwardIN3c104HalfEffLi4ELb0ELb0ELi32EEEvPT0_PKT_iiiPKbib: ; @_ZN12_GLOBAL__N_120softmax_warp_forwardIN3c104HalfEffLi4ELb0ELb0ELi32EEEvPT0_PKT_iiiPKbib
; %bb.0:
	s_clause 0x1
	s_load_dword s0, s[4:5], 0x3c
	s_load_dwordx8 s[8:15], s[4:5], 0x0
	v_mov_b32_e32 v6, 0xff800000
	s_waitcnt lgkmcnt(0)
	s_lshr_b32 s0, s0, 16
	s_and_b32 s0, s0, 0xffff
	s_mul_i32 s6, s6, s0
	v_cmp_gt_i32_e64 s0, s14, v0
	v_add_lshl_u32 v3, s6, v1, 1
	v_mad_u64_u32 v[1:2], null, v3, s13, v[0:1]
	v_sub_nc_u32_e32 v5, s12, v3
	v_mov_b32_e32 v0, 0xff800000
	v_cmp_lt_i32_e32 vcc_lo, 0, v5
	v_ashrrev_i32_e32 v2, 31, v1
	s_and_b32 s2, s0, vcc_lo
	v_lshlrev_b64 v[3:4], 1, v[1:2]
	v_add_co_u32 v3, s1, s10, v3
	v_add_co_ci_u32_e64 v4, null, s11, v4, s1
	s_and_saveexec_b32 s1, s2
	s_cbranch_execz .LBB441_2
; %bb.1:
	global_load_ushort v0, v[3:4], off
	s_waitcnt vmcnt(0)
	v_cvt_f32_f16_e32 v0, v0
.LBB441_2:
	s_or_b32 exec_lo, exec_lo, s1
	v_cmp_lt_i32_e64 s1, 1, v5
	s_and_b32 s1, s0, s1
	s_and_saveexec_b32 s2, s1
	s_cbranch_execz .LBB441_4
; %bb.3:
	s_mov_b32 s15, 0
	s_lshl_b64 s[4:5], s[14:15], 1
	v_add_co_u32 v3, s1, v3, s4
	v_add_co_ci_u32_e64 v4, null, s5, v4, s1
	global_load_ushort v3, v[3:4], off
	s_waitcnt vmcnt(0)
	v_cvt_f32_f16_e32 v6, v3
.LBB441_4:
	s_or_b32 exec_lo, exec_lo, s2
	v_mbcnt_lo_u32_b32 v3, -1, 0
	v_and_b32_e32 v4, 16, v3
	v_xor_b32_e32 v7, 8, v3
	v_xor_b32_e32 v10, 4, v3
	;; [unrolled: 1-line block ×4, first 2 shown]
	v_add_nc_u32_e32 v4, 16, v4
	v_cmp_lt_i32_e64 s1, v7, v4
	v_cndmask_b32_e64 v7, v3, v7, s1
	v_cmp_lt_i32_e64 s1, v10, v4
	v_lshlrev_b32_e32 v7, 2, v7
	v_cndmask_b32_e64 v10, v3, v10, s1
	ds_bpermute_b32 v8, v7, v0
	ds_bpermute_b32 v9, v7, v6
	v_lshlrev_b32_e32 v10, 2, v10
	s_waitcnt lgkmcnt(1)
	v_cmp_lt_f32_e64 s1, v0, v8
	v_cndmask_b32_e64 v8, v0, v8, s1
	s_waitcnt lgkmcnt(0)
	v_cmp_lt_f32_e64 s1, v6, v9
	ds_bpermute_b32 v11, v10, v8
	v_cndmask_b32_e64 v9, v6, v9, s1
	v_cmp_lt_i32_e64 s1, v13, v4
	ds_bpermute_b32 v12, v10, v9
	v_cndmask_b32_e64 v13, v3, v13, s1
	v_lshlrev_b32_e32 v13, 2, v13
	s_waitcnt lgkmcnt(1)
	v_cmp_lt_f32_e64 s1, v8, v11
	v_cndmask_b32_e64 v8, v8, v11, s1
	s_waitcnt lgkmcnt(0)
	v_cmp_lt_f32_e64 s1, v9, v12
	ds_bpermute_b32 v11, v13, v8
	v_cndmask_b32_e64 v9, v9, v12, s1
	v_cmp_lt_i32_e64 s1, v14, v4
	ds_bpermute_b32 v12, v13, v9
	v_cndmask_b32_e64 v3, v3, v14, s1
	v_lshlrev_b32_e32 v14, 2, v3
	s_waitcnt lgkmcnt(1)
	v_cmp_lt_f32_e64 s1, v8, v11
	v_cndmask_b32_e64 v3, v8, v11, s1
	s_waitcnt lgkmcnt(0)
	v_cmp_lt_f32_e64 s1, v9, v12
	ds_bpermute_b32 v8, v14, v3
	v_cndmask_b32_e64 v4, v9, v12, s1
	ds_bpermute_b32 v9, v14, v4
	s_waitcnt lgkmcnt(1)
	v_cmp_lt_f32_e64 s1, v3, v8
	v_cndmask_b32_e64 v3, v3, v8, s1
	s_waitcnt lgkmcnt(0)
	v_cmp_lt_f32_e64 s1, v4, v9
	v_sub_f32_e32 v0, v0, v3
	v_cndmask_b32_e64 v4, v4, v9, s1
	v_cmp_ngt_f32_e64 s1, 0xc2ce8ed0, v0
	v_sub_f32_e32 v3, v6, v4
	v_mul_f32_e32 v4, 0x3fb8aa3b, v0
	v_mul_f32_e32 v6, 0x3fb8aa3b, v3
	v_fma_f32 v8, 0x3fb8aa3b, v0, -v4
	v_rndne_f32_e32 v9, v4
	v_fma_f32 v11, 0x3fb8aa3b, v3, -v6
	v_rndne_f32_e32 v12, v6
	v_fmac_f32_e32 v8, 0x32a5705f, v0
	v_sub_f32_e32 v4, v4, v9
	v_fmac_f32_e32 v11, 0x32a5705f, v3
	v_sub_f32_e32 v6, v6, v12
	v_add_f32_e32 v4, v4, v8
	v_cvt_i32_f32_e32 v8, v9
	v_cvt_i32_f32_e32 v9, v12
	v_add_f32_e32 v6, v6, v11
	v_exp_f32_e32 v4, v4
	v_exp_f32_e32 v6, v6
	v_ldexp_f32 v4, v4, v8
	v_ldexp_f32 v6, v6, v9
	v_cndmask_b32_e64 v4, 0, v4, s1
	v_cmp_ngt_f32_e64 s1, 0xc2ce8ed0, v3
	v_cndmask_b32_e64 v6, 0, v6, s1
	v_cmp_nlt_f32_e64 s1, 0x42b17218, v0
	v_cndmask_b32_e64 v4, 0x7f800000, v4, s1
	v_cmp_nlt_f32_e64 s1, 0x42b17218, v3
	ds_bpermute_b32 v0, v7, v4
	v_cndmask_b32_e64 v3, 0x7f800000, v6, s1
	ds_bpermute_b32 v6, v7, v3
	s_waitcnt lgkmcnt(1)
	v_add_f32_e32 v0, v4, v0
	ds_bpermute_b32 v7, v10, v0
	s_waitcnt lgkmcnt(1)
	v_add_f32_e32 v6, v3, v6
	;; [unrolled: 3-line block ×5, first 2 shown]
	s_waitcnt lgkmcnt(0)
	v_add_f32_e32 v6, v6, v9
	ds_bpermute_b32 v9, v14, v8
	ds_bpermute_b32 v7, v14, v6
	s_and_saveexec_b32 s1, vcc_lo
	s_cbranch_execz .LBB441_9
; %bb.5:
	v_lshlrev_b64 v[0:1], 2, v[1:2]
	v_add_co_u32 v0, vcc_lo, s8, v0
	v_add_co_ci_u32_e64 v1, null, s9, v1, vcc_lo
	s_and_saveexec_b32 s1, s0
	s_cbranch_execz .LBB441_7
; %bb.6:
	s_waitcnt lgkmcnt(1)
	v_add_f32_e32 v2, v8, v9
	v_div_scale_f32 v8, null, v2, v2, v4
	v_rcp_f32_e32 v9, v8
	v_fma_f32 v10, -v8, v9, 1.0
	v_fmac_f32_e32 v9, v10, v9
	v_div_scale_f32 v10, vcc_lo, v4, v2, v4
	v_mul_f32_e32 v11, v10, v9
	v_fma_f32 v12, -v8, v11, v10
	v_fmac_f32_e32 v11, v12, v9
	v_fma_f32 v8, -v8, v11, v10
	v_div_fmas_f32 v8, v8, v9, v11
	v_cmp_neq_f32_e32 vcc_lo, 0, v2
	v_div_fixup_f32 v4, v8, v2, v4
	v_cndmask_b32_e32 v2, 0x7fc00000, v4, vcc_lo
	global_store_dword v[0:1], v2, off
.LBB441_7:
	s_or_b32 exec_lo, exec_lo, s1
	v_cmp_ne_u32_e32 vcc_lo, 1, v5
	s_and_b32 s0, vcc_lo, s0
	s_and_b32 exec_lo, exec_lo, s0
	s_cbranch_execz .LBB441_9
; %bb.8:
	s_waitcnt lgkmcnt(0)
	v_add_f32_e32 v2, v6, v7
	s_mov_b32 s15, 0
	s_lshl_b64 s[0:1], s[14:15], 2
	v_div_scale_f32 v4, null, v2, v2, v3
	v_div_scale_f32 v7, vcc_lo, v3, v2, v3
	v_rcp_f32_e32 v5, v4
	v_fma_f32 v6, -v4, v5, 1.0
	v_fmac_f32_e32 v5, v6, v5
	v_mul_f32_e32 v6, v7, v5
	v_fma_f32 v8, -v4, v6, v7
	v_fmac_f32_e32 v6, v8, v5
	v_fma_f32 v4, -v4, v6, v7
	v_div_fmas_f32 v4, v4, v5, v6
	v_add_co_u32 v0, vcc_lo, v0, s0
	v_add_co_ci_u32_e64 v1, null, s1, v1, vcc_lo
	v_div_fixup_f32 v3, v4, v2, v3
	v_cmp_neq_f32_e32 vcc_lo, 0, v2
	v_cndmask_b32_e32 v2, 0x7fc00000, v3, vcc_lo
	global_store_dword v[0:1], v2, off
.LBB441_9:
	s_endpgm
	.section	.rodata,"a",@progbits
	.p2align	6, 0x0
	.amdhsa_kernel _ZN12_GLOBAL__N_120softmax_warp_forwardIN3c104HalfEffLi4ELb0ELb0ELi32EEEvPT0_PKT_iiiPKbib
		.amdhsa_group_segment_fixed_size 0
		.amdhsa_private_segment_fixed_size 0
		.amdhsa_kernarg_size 304
		.amdhsa_user_sgpr_count 6
		.amdhsa_user_sgpr_private_segment_buffer 1
		.amdhsa_user_sgpr_dispatch_ptr 0
		.amdhsa_user_sgpr_queue_ptr 0
		.amdhsa_user_sgpr_kernarg_segment_ptr 1
		.amdhsa_user_sgpr_dispatch_id 0
		.amdhsa_user_sgpr_flat_scratch_init 0
		.amdhsa_user_sgpr_private_segment_size 0
		.amdhsa_wavefront_size32 1
		.amdhsa_uses_dynamic_stack 0
		.amdhsa_system_sgpr_private_segment_wavefront_offset 0
		.amdhsa_system_sgpr_workgroup_id_x 1
		.amdhsa_system_sgpr_workgroup_id_y 0
		.amdhsa_system_sgpr_workgroup_id_z 0
		.amdhsa_system_sgpr_workgroup_info 0
		.amdhsa_system_vgpr_workitem_id 1
		.amdhsa_next_free_vgpr 15
		.amdhsa_next_free_sgpr 16
		.amdhsa_reserve_vcc 1
		.amdhsa_reserve_flat_scratch 0
		.amdhsa_float_round_mode_32 0
		.amdhsa_float_round_mode_16_64 0
		.amdhsa_float_denorm_mode_32 3
		.amdhsa_float_denorm_mode_16_64 3
		.amdhsa_dx10_clamp 1
		.amdhsa_ieee_mode 1
		.amdhsa_fp16_overflow 0
		.amdhsa_workgroup_processor_mode 1
		.amdhsa_memory_ordered 1
		.amdhsa_forward_progress 1
		.amdhsa_shared_vgpr_count 0
		.amdhsa_exception_fp_ieee_invalid_op 0
		.amdhsa_exception_fp_denorm_src 0
		.amdhsa_exception_fp_ieee_div_zero 0
		.amdhsa_exception_fp_ieee_overflow 0
		.amdhsa_exception_fp_ieee_underflow 0
		.amdhsa_exception_fp_ieee_inexact 0
		.amdhsa_exception_int_div_zero 0
	.end_amdhsa_kernel
	.section	.text._ZN12_GLOBAL__N_120softmax_warp_forwardIN3c104HalfEffLi4ELb0ELb0ELi32EEEvPT0_PKT_iiiPKbib,"axG",@progbits,_ZN12_GLOBAL__N_120softmax_warp_forwardIN3c104HalfEffLi4ELb0ELb0ELi32EEEvPT0_PKT_iiiPKbib,comdat
.Lfunc_end441:
	.size	_ZN12_GLOBAL__N_120softmax_warp_forwardIN3c104HalfEffLi4ELb0ELb0ELi32EEEvPT0_PKT_iiiPKbib, .Lfunc_end441-_ZN12_GLOBAL__N_120softmax_warp_forwardIN3c104HalfEffLi4ELb0ELb0ELi32EEEvPT0_PKT_iiiPKbib
                                        ; -- End function
	.set _ZN12_GLOBAL__N_120softmax_warp_forwardIN3c104HalfEffLi4ELb0ELb0ELi32EEEvPT0_PKT_iiiPKbib.num_vgpr, 15
	.set _ZN12_GLOBAL__N_120softmax_warp_forwardIN3c104HalfEffLi4ELb0ELb0ELi32EEEvPT0_PKT_iiiPKbib.num_agpr, 0
	.set _ZN12_GLOBAL__N_120softmax_warp_forwardIN3c104HalfEffLi4ELb0ELb0ELi32EEEvPT0_PKT_iiiPKbib.numbered_sgpr, 16
	.set _ZN12_GLOBAL__N_120softmax_warp_forwardIN3c104HalfEffLi4ELb0ELb0ELi32EEEvPT0_PKT_iiiPKbib.num_named_barrier, 0
	.set _ZN12_GLOBAL__N_120softmax_warp_forwardIN3c104HalfEffLi4ELb0ELb0ELi32EEEvPT0_PKT_iiiPKbib.private_seg_size, 0
	.set _ZN12_GLOBAL__N_120softmax_warp_forwardIN3c104HalfEffLi4ELb0ELb0ELi32EEEvPT0_PKT_iiiPKbib.uses_vcc, 1
	.set _ZN12_GLOBAL__N_120softmax_warp_forwardIN3c104HalfEffLi4ELb0ELb0ELi32EEEvPT0_PKT_iiiPKbib.uses_flat_scratch, 0
	.set _ZN12_GLOBAL__N_120softmax_warp_forwardIN3c104HalfEffLi4ELb0ELb0ELi32EEEvPT0_PKT_iiiPKbib.has_dyn_sized_stack, 0
	.set _ZN12_GLOBAL__N_120softmax_warp_forwardIN3c104HalfEffLi4ELb0ELb0ELi32EEEvPT0_PKT_iiiPKbib.has_recursion, 0
	.set _ZN12_GLOBAL__N_120softmax_warp_forwardIN3c104HalfEffLi4ELb0ELb0ELi32EEEvPT0_PKT_iiiPKbib.has_indirect_call, 0
	.section	.AMDGPU.csdata,"",@progbits
; Kernel info:
; codeLenInByte = 1156
; TotalNumSgprs: 18
; NumVgprs: 15
; ScratchSize: 0
; MemoryBound: 0
; FloatMode: 240
; IeeeMode: 1
; LDSByteSize: 0 bytes/workgroup (compile time only)
; SGPRBlocks: 0
; VGPRBlocks: 1
; NumSGPRsForWavesPerEU: 18
; NumVGPRsForWavesPerEU: 15
; Occupancy: 16
; WaveLimiterHint : 0
; COMPUTE_PGM_RSRC2:SCRATCH_EN: 0
; COMPUTE_PGM_RSRC2:USER_SGPR: 6
; COMPUTE_PGM_RSRC2:TRAP_HANDLER: 0
; COMPUTE_PGM_RSRC2:TGID_X_EN: 1
; COMPUTE_PGM_RSRC2:TGID_Y_EN: 0
; COMPUTE_PGM_RSRC2:TGID_Z_EN: 0
; COMPUTE_PGM_RSRC2:TIDIG_COMP_CNT: 1
	.section	.text._ZN12_GLOBAL__N_120softmax_warp_forwardIN3c104HalfEffLi5ELb0ELb0ELi64EEEvPT0_PKT_iiiPKbib,"axG",@progbits,_ZN12_GLOBAL__N_120softmax_warp_forwardIN3c104HalfEffLi5ELb0ELb0ELi64EEEvPT0_PKT_iiiPKbib,comdat
	.globl	_ZN12_GLOBAL__N_120softmax_warp_forwardIN3c104HalfEffLi5ELb0ELb0ELi64EEEvPT0_PKT_iiiPKbib ; -- Begin function _ZN12_GLOBAL__N_120softmax_warp_forwardIN3c104HalfEffLi5ELb0ELb0ELi64EEEvPT0_PKT_iiiPKbib
	.p2align	8
	.type	_ZN12_GLOBAL__N_120softmax_warp_forwardIN3c104HalfEffLi5ELb0ELb0ELi64EEEvPT0_PKT_iiiPKbib,@function
_ZN12_GLOBAL__N_120softmax_warp_forwardIN3c104HalfEffLi5ELb0ELb0ELi64EEEvPT0_PKT_iiiPKbib: ; @_ZN12_GLOBAL__N_120softmax_warp_forwardIN3c104HalfEffLi5ELb0ELb0ELi64EEEvPT0_PKT_iiiPKbib
; %bb.0:
	s_clause 0x1
	s_load_dword s0, s[4:5], 0x3c
	s_load_dwordx8 s[8:15], s[4:5], 0x0
	v_mov_b32_e32 v6, 0xff800000
	s_waitcnt lgkmcnt(0)
	s_lshr_b32 s0, s0, 16
	s_and_b32 s0, s0, 0xffff
	s_mul_i32 s6, s6, s0
	v_cmp_gt_i32_e64 s0, s14, v0
	v_add_lshl_u32 v3, s6, v1, 1
	v_mad_u64_u32 v[1:2], null, v3, s13, v[0:1]
	v_sub_nc_u32_e32 v5, s12, v3
	v_mov_b32_e32 v0, 0xff800000
	v_cmp_lt_i32_e32 vcc_lo, 0, v5
	v_ashrrev_i32_e32 v2, 31, v1
	s_and_b32 s2, s0, vcc_lo
	v_lshlrev_b64 v[3:4], 1, v[1:2]
	v_add_co_u32 v3, s1, s10, v3
	v_add_co_ci_u32_e64 v4, null, s11, v4, s1
	s_and_saveexec_b32 s1, s2
	s_cbranch_execz .LBB442_2
; %bb.1:
	global_load_ushort v0, v[3:4], off
	s_waitcnt vmcnt(0)
	v_cvt_f32_f16_e32 v0, v0
.LBB442_2:
	s_or_b32 exec_lo, exec_lo, s1
	v_cmp_lt_i32_e64 s1, 1, v5
	s_and_b32 s1, s0, s1
	s_and_saveexec_b32 s2, s1
	s_cbranch_execz .LBB442_4
; %bb.3:
	s_mov_b32 s15, 0
	s_lshl_b64 s[4:5], s[14:15], 1
	v_add_co_u32 v3, s1, v3, s4
	v_add_co_ci_u32_e64 v4, null, s5, v4, s1
	global_load_ushort v3, v[3:4], off
	s_waitcnt vmcnt(0)
	v_cvt_f32_f16_e32 v6, v3
.LBB442_4:
	s_or_b32 exec_lo, exec_lo, s2
	v_mbcnt_lo_u32_b32 v3, -1, 0
	v_xor_b32_e32 v4, 16, v3
	v_xor_b32_e32 v9, 8, v3
	;; [unrolled: 1-line block ×5, first 2 shown]
	v_cmp_gt_i32_e64 s1, 32, v4
	v_cndmask_b32_e64 v4, v3, v4, s1
	v_cmp_gt_i32_e64 s1, 32, v9
	v_lshlrev_b32_e32 v7, 2, v4
	v_cndmask_b32_e64 v9, v3, v9, s1
	ds_bpermute_b32 v4, v7, v0
	ds_bpermute_b32 v8, v7, v6
	v_lshlrev_b32_e32 v9, 2, v9
	s_waitcnt lgkmcnt(1)
	v_cmp_lt_f32_e64 s1, v0, v4
	v_cndmask_b32_e64 v4, v0, v4, s1
	s_waitcnt lgkmcnt(0)
	v_cmp_lt_f32_e64 s1, v6, v8
	ds_bpermute_b32 v10, v9, v4
	v_cndmask_b32_e64 v8, v6, v8, s1
	v_cmp_gt_i32_e64 s1, 32, v12
	ds_bpermute_b32 v11, v9, v8
	v_cndmask_b32_e64 v12, v3, v12, s1
	v_lshlrev_b32_e32 v12, 2, v12
	s_waitcnt lgkmcnt(1)
	v_cmp_lt_f32_e64 s1, v4, v10
	v_cndmask_b32_e64 v4, v4, v10, s1
	s_waitcnt lgkmcnt(0)
	v_cmp_lt_f32_e64 s1, v8, v11
	ds_bpermute_b32 v10, v12, v4
	v_cndmask_b32_e64 v8, v8, v11, s1
	v_cmp_gt_i32_e64 s1, 32, v13
	ds_bpermute_b32 v11, v12, v8
	v_cndmask_b32_e64 v13, v3, v13, s1
	;; [unrolled: 11-line block ×3, first 2 shown]
	v_lshlrev_b32_e32 v14, 2, v3
	s_waitcnt lgkmcnt(1)
	v_cmp_lt_f32_e64 s1, v4, v10
	v_cndmask_b32_e64 v3, v4, v10, s1
	s_waitcnt lgkmcnt(0)
	v_cmp_lt_f32_e64 s1, v8, v11
	v_cndmask_b32_e64 v4, v8, v11, s1
	ds_bpermute_b32 v8, v14, v3
	ds_bpermute_b32 v10, v14, v4
	s_waitcnt lgkmcnt(1)
	v_cmp_lt_f32_e64 s1, v3, v8
	v_cndmask_b32_e64 v3, v3, v8, s1
	s_waitcnt lgkmcnt(0)
	v_cmp_lt_f32_e64 s1, v4, v10
	v_sub_f32_e32 v0, v0, v3
	v_cndmask_b32_e64 v4, v4, v10, s1
	v_cmp_ngt_f32_e64 s1, 0xc2ce8ed0, v0
	v_sub_f32_e32 v3, v6, v4
	v_mul_f32_e32 v4, 0x3fb8aa3b, v0
	v_mul_f32_e32 v6, 0x3fb8aa3b, v3
	v_fma_f32 v8, 0x3fb8aa3b, v0, -v4
	v_rndne_f32_e32 v10, v4
	v_fma_f32 v11, 0x3fb8aa3b, v3, -v6
	v_rndne_f32_e32 v15, v6
	v_fmac_f32_e32 v8, 0x32a5705f, v0
	v_sub_f32_e32 v4, v4, v10
	v_fmac_f32_e32 v11, 0x32a5705f, v3
	v_sub_f32_e32 v6, v6, v15
	v_add_f32_e32 v4, v4, v8
	v_cvt_i32_f32_e32 v8, v10
	v_cvt_i32_f32_e32 v10, v15
	v_add_f32_e32 v6, v6, v11
	v_exp_f32_e32 v4, v4
	v_exp_f32_e32 v6, v6
	v_ldexp_f32 v4, v4, v8
	v_ldexp_f32 v6, v6, v10
	v_cndmask_b32_e64 v4, 0, v4, s1
	v_cmp_ngt_f32_e64 s1, 0xc2ce8ed0, v3
	v_cndmask_b32_e64 v6, 0, v6, s1
	v_cmp_nlt_f32_e64 s1, 0x42b17218, v0
	v_cndmask_b32_e64 v4, 0x7f800000, v4, s1
	v_cmp_nlt_f32_e64 s1, 0x42b17218, v3
	ds_bpermute_b32 v0, v7, v4
	v_cndmask_b32_e64 v3, 0x7f800000, v6, s1
	ds_bpermute_b32 v6, v7, v3
	s_waitcnt lgkmcnt(1)
	v_add_f32_e32 v0, v4, v0
	ds_bpermute_b32 v7, v9, v0
	s_waitcnt lgkmcnt(1)
	v_add_f32_e32 v6, v3, v6
	;; [unrolled: 3-line block ×7, first 2 shown]
	s_waitcnt lgkmcnt(0)
	v_add_f32_e32 v6, v6, v9
	ds_bpermute_b32 v9, v14, v8
	ds_bpermute_b32 v7, v14, v6
	s_and_saveexec_b32 s1, vcc_lo
	s_cbranch_execz .LBB442_9
; %bb.5:
	v_lshlrev_b64 v[0:1], 2, v[1:2]
	v_add_co_u32 v0, vcc_lo, s8, v0
	v_add_co_ci_u32_e64 v1, null, s9, v1, vcc_lo
	s_and_saveexec_b32 s1, s0
	s_cbranch_execz .LBB442_7
; %bb.6:
	s_waitcnt lgkmcnt(1)
	v_add_f32_e32 v2, v8, v9
	v_div_scale_f32 v8, null, v2, v2, v4
	v_rcp_f32_e32 v9, v8
	v_fma_f32 v10, -v8, v9, 1.0
	v_fmac_f32_e32 v9, v10, v9
	v_div_scale_f32 v10, vcc_lo, v4, v2, v4
	v_mul_f32_e32 v11, v10, v9
	v_fma_f32 v12, -v8, v11, v10
	v_fmac_f32_e32 v11, v12, v9
	v_fma_f32 v8, -v8, v11, v10
	v_div_fmas_f32 v8, v8, v9, v11
	v_cmp_neq_f32_e32 vcc_lo, 0, v2
	v_div_fixup_f32 v4, v8, v2, v4
	v_cndmask_b32_e32 v2, 0x7fc00000, v4, vcc_lo
	global_store_dword v[0:1], v2, off
.LBB442_7:
	s_or_b32 exec_lo, exec_lo, s1
	v_cmp_ne_u32_e32 vcc_lo, 1, v5
	s_and_b32 s0, vcc_lo, s0
	s_and_b32 exec_lo, exec_lo, s0
	s_cbranch_execz .LBB442_9
; %bb.8:
	s_waitcnt lgkmcnt(0)
	v_add_f32_e32 v2, v6, v7
	s_mov_b32 s15, 0
	s_lshl_b64 s[0:1], s[14:15], 2
	v_div_scale_f32 v4, null, v2, v2, v3
	v_div_scale_f32 v7, vcc_lo, v3, v2, v3
	v_rcp_f32_e32 v5, v4
	v_fma_f32 v6, -v4, v5, 1.0
	v_fmac_f32_e32 v5, v6, v5
	v_mul_f32_e32 v6, v7, v5
	v_fma_f32 v8, -v4, v6, v7
	v_fmac_f32_e32 v6, v8, v5
	v_fma_f32 v4, -v4, v6, v7
	v_div_fmas_f32 v4, v4, v5, v6
	v_add_co_u32 v0, vcc_lo, v0, s0
	v_add_co_ci_u32_e64 v1, null, s1, v1, vcc_lo
	v_div_fixup_f32 v3, v4, v2, v3
	v_cmp_neq_f32_e32 vcc_lo, 0, v2
	v_cndmask_b32_e32 v2, 0x7fc00000, v3, vcc_lo
	global_store_dword v[0:1], v2, off
.LBB442_9:
	s_endpgm
	.section	.rodata,"a",@progbits
	.p2align	6, 0x0
	.amdhsa_kernel _ZN12_GLOBAL__N_120softmax_warp_forwardIN3c104HalfEffLi5ELb0ELb0ELi64EEEvPT0_PKT_iiiPKbib
		.amdhsa_group_segment_fixed_size 0
		.amdhsa_private_segment_fixed_size 0
		.amdhsa_kernarg_size 304
		.amdhsa_user_sgpr_count 6
		.amdhsa_user_sgpr_private_segment_buffer 1
		.amdhsa_user_sgpr_dispatch_ptr 0
		.amdhsa_user_sgpr_queue_ptr 0
		.amdhsa_user_sgpr_kernarg_segment_ptr 1
		.amdhsa_user_sgpr_dispatch_id 0
		.amdhsa_user_sgpr_flat_scratch_init 0
		.amdhsa_user_sgpr_private_segment_size 0
		.amdhsa_wavefront_size32 1
		.amdhsa_uses_dynamic_stack 0
		.amdhsa_system_sgpr_private_segment_wavefront_offset 0
		.amdhsa_system_sgpr_workgroup_id_x 1
		.amdhsa_system_sgpr_workgroup_id_y 0
		.amdhsa_system_sgpr_workgroup_id_z 0
		.amdhsa_system_sgpr_workgroup_info 0
		.amdhsa_system_vgpr_workitem_id 1
		.amdhsa_next_free_vgpr 16
		.amdhsa_next_free_sgpr 16
		.amdhsa_reserve_vcc 1
		.amdhsa_reserve_flat_scratch 0
		.amdhsa_float_round_mode_32 0
		.amdhsa_float_round_mode_16_64 0
		.amdhsa_float_denorm_mode_32 3
		.amdhsa_float_denorm_mode_16_64 3
		.amdhsa_dx10_clamp 1
		.amdhsa_ieee_mode 1
		.amdhsa_fp16_overflow 0
		.amdhsa_workgroup_processor_mode 1
		.amdhsa_memory_ordered 1
		.amdhsa_forward_progress 1
		.amdhsa_shared_vgpr_count 0
		.amdhsa_exception_fp_ieee_invalid_op 0
		.amdhsa_exception_fp_denorm_src 0
		.amdhsa_exception_fp_ieee_div_zero 0
		.amdhsa_exception_fp_ieee_overflow 0
		.amdhsa_exception_fp_ieee_underflow 0
		.amdhsa_exception_fp_ieee_inexact 0
		.amdhsa_exception_int_div_zero 0
	.end_amdhsa_kernel
	.section	.text._ZN12_GLOBAL__N_120softmax_warp_forwardIN3c104HalfEffLi5ELb0ELb0ELi64EEEvPT0_PKT_iiiPKbib,"axG",@progbits,_ZN12_GLOBAL__N_120softmax_warp_forwardIN3c104HalfEffLi5ELb0ELb0ELi64EEEvPT0_PKT_iiiPKbib,comdat
.Lfunc_end442:
	.size	_ZN12_GLOBAL__N_120softmax_warp_forwardIN3c104HalfEffLi5ELb0ELb0ELi64EEEvPT0_PKT_iiiPKbib, .Lfunc_end442-_ZN12_GLOBAL__N_120softmax_warp_forwardIN3c104HalfEffLi5ELb0ELb0ELi64EEEvPT0_PKT_iiiPKbib
                                        ; -- End function
	.set _ZN12_GLOBAL__N_120softmax_warp_forwardIN3c104HalfEffLi5ELb0ELb0ELi64EEEvPT0_PKT_iiiPKbib.num_vgpr, 16
	.set _ZN12_GLOBAL__N_120softmax_warp_forwardIN3c104HalfEffLi5ELb0ELb0ELi64EEEvPT0_PKT_iiiPKbib.num_agpr, 0
	.set _ZN12_GLOBAL__N_120softmax_warp_forwardIN3c104HalfEffLi5ELb0ELb0ELi64EEEvPT0_PKT_iiiPKbib.numbered_sgpr, 16
	.set _ZN12_GLOBAL__N_120softmax_warp_forwardIN3c104HalfEffLi5ELb0ELb0ELi64EEEvPT0_PKT_iiiPKbib.num_named_barrier, 0
	.set _ZN12_GLOBAL__N_120softmax_warp_forwardIN3c104HalfEffLi5ELb0ELb0ELi64EEEvPT0_PKT_iiiPKbib.private_seg_size, 0
	.set _ZN12_GLOBAL__N_120softmax_warp_forwardIN3c104HalfEffLi5ELb0ELb0ELi64EEEvPT0_PKT_iiiPKbib.uses_vcc, 1
	.set _ZN12_GLOBAL__N_120softmax_warp_forwardIN3c104HalfEffLi5ELb0ELb0ELi64EEEvPT0_PKT_iiiPKbib.uses_flat_scratch, 0
	.set _ZN12_GLOBAL__N_120softmax_warp_forwardIN3c104HalfEffLi5ELb0ELb0ELi64EEEvPT0_PKT_iiiPKbib.has_dyn_sized_stack, 0
	.set _ZN12_GLOBAL__N_120softmax_warp_forwardIN3c104HalfEffLi5ELb0ELb0ELi64EEEvPT0_PKT_iiiPKbib.has_recursion, 0
	.set _ZN12_GLOBAL__N_120softmax_warp_forwardIN3c104HalfEffLi5ELb0ELb0ELi64EEEvPT0_PKT_iiiPKbib.has_indirect_call, 0
	.section	.AMDGPU.csdata,"",@progbits
; Kernel info:
; codeLenInByte = 1260
; TotalNumSgprs: 18
; NumVgprs: 16
; ScratchSize: 0
; MemoryBound: 0
; FloatMode: 240
; IeeeMode: 1
; LDSByteSize: 0 bytes/workgroup (compile time only)
; SGPRBlocks: 0
; VGPRBlocks: 1
; NumSGPRsForWavesPerEU: 18
; NumVGPRsForWavesPerEU: 16
; Occupancy: 16
; WaveLimiterHint : 0
; COMPUTE_PGM_RSRC2:SCRATCH_EN: 0
; COMPUTE_PGM_RSRC2:USER_SGPR: 6
; COMPUTE_PGM_RSRC2:TRAP_HANDLER: 0
; COMPUTE_PGM_RSRC2:TGID_X_EN: 1
; COMPUTE_PGM_RSRC2:TGID_Y_EN: 0
; COMPUTE_PGM_RSRC2:TGID_Z_EN: 0
; COMPUTE_PGM_RSRC2:TIDIG_COMP_CNT: 1
	.section	.text._ZN12_GLOBAL__N_120softmax_warp_forwardIN3c104HalfEffLi5ELb0ELb0ELi32EEEvPT0_PKT_iiiPKbib,"axG",@progbits,_ZN12_GLOBAL__N_120softmax_warp_forwardIN3c104HalfEffLi5ELb0ELb0ELi32EEEvPT0_PKT_iiiPKbib,comdat
	.globl	_ZN12_GLOBAL__N_120softmax_warp_forwardIN3c104HalfEffLi5ELb0ELb0ELi32EEEvPT0_PKT_iiiPKbib ; -- Begin function _ZN12_GLOBAL__N_120softmax_warp_forwardIN3c104HalfEffLi5ELb0ELb0ELi32EEEvPT0_PKT_iiiPKbib
	.p2align	8
	.type	_ZN12_GLOBAL__N_120softmax_warp_forwardIN3c104HalfEffLi5ELb0ELb0ELi32EEEvPT0_PKT_iiiPKbib,@function
_ZN12_GLOBAL__N_120softmax_warp_forwardIN3c104HalfEffLi5ELb0ELb0ELi32EEEvPT0_PKT_iiiPKbib: ; @_ZN12_GLOBAL__N_120softmax_warp_forwardIN3c104HalfEffLi5ELb0ELb0ELi32EEEvPT0_PKT_iiiPKbib
; %bb.0:
	s_clause 0x1
	s_load_dword s0, s[4:5], 0x3c
	s_load_dwordx8 s[8:15], s[4:5], 0x0
	v_mov_b32_e32 v6, 0xff800000
	s_waitcnt lgkmcnt(0)
	s_lshr_b32 s0, s0, 16
	s_and_b32 s0, s0, 0xffff
	s_mul_i32 s6, s6, s0
	v_cmp_gt_i32_e64 s0, s14, v0
	v_add_lshl_u32 v3, s6, v1, 1
	v_mad_u64_u32 v[1:2], null, v3, s13, v[0:1]
	v_sub_nc_u32_e32 v5, s12, v3
	v_mov_b32_e32 v0, 0xff800000
	v_cmp_lt_i32_e32 vcc_lo, 0, v5
	v_ashrrev_i32_e32 v2, 31, v1
	s_and_b32 s2, s0, vcc_lo
	v_lshlrev_b64 v[3:4], 1, v[1:2]
	v_add_co_u32 v3, s1, s10, v3
	v_add_co_ci_u32_e64 v4, null, s11, v4, s1
	s_and_saveexec_b32 s1, s2
	s_cbranch_execz .LBB443_2
; %bb.1:
	global_load_ushort v0, v[3:4], off
	s_waitcnt vmcnt(0)
	v_cvt_f32_f16_e32 v0, v0
.LBB443_2:
	s_or_b32 exec_lo, exec_lo, s1
	v_cmp_lt_i32_e64 s1, 1, v5
	s_and_b32 s1, s0, s1
	s_and_saveexec_b32 s2, s1
	s_cbranch_execz .LBB443_4
; %bb.3:
	s_mov_b32 s15, 0
	s_lshl_b64 s[4:5], s[14:15], 1
	v_add_co_u32 v3, s1, v3, s4
	v_add_co_ci_u32_e64 v4, null, s5, v4, s1
	global_load_ushort v3, v[3:4], off
	s_waitcnt vmcnt(0)
	v_cvt_f32_f16_e32 v6, v3
.LBB443_4:
	s_or_b32 exec_lo, exec_lo, s2
	v_mbcnt_lo_u32_b32 v3, -1, 0
	v_xor_b32_e32 v4, 16, v3
	v_xor_b32_e32 v9, 8, v3
	;; [unrolled: 1-line block ×5, first 2 shown]
	v_cmp_gt_i32_e64 s1, 32, v4
	v_cndmask_b32_e64 v4, v3, v4, s1
	v_cmp_gt_i32_e64 s1, 32, v9
	v_lshlrev_b32_e32 v7, 2, v4
	v_cndmask_b32_e64 v9, v3, v9, s1
	ds_bpermute_b32 v4, v7, v0
	ds_bpermute_b32 v8, v7, v6
	v_lshlrev_b32_e32 v9, 2, v9
	s_waitcnt lgkmcnt(1)
	v_cmp_lt_f32_e64 s1, v0, v4
	v_cndmask_b32_e64 v4, v0, v4, s1
	s_waitcnt lgkmcnt(0)
	v_cmp_lt_f32_e64 s1, v6, v8
	ds_bpermute_b32 v10, v9, v4
	v_cndmask_b32_e64 v8, v6, v8, s1
	v_cmp_gt_i32_e64 s1, 32, v12
	ds_bpermute_b32 v11, v9, v8
	v_cndmask_b32_e64 v12, v3, v12, s1
	v_lshlrev_b32_e32 v12, 2, v12
	s_waitcnt lgkmcnt(1)
	v_cmp_lt_f32_e64 s1, v4, v10
	v_cndmask_b32_e64 v4, v4, v10, s1
	s_waitcnt lgkmcnt(0)
	v_cmp_lt_f32_e64 s1, v8, v11
	ds_bpermute_b32 v10, v12, v4
	v_cndmask_b32_e64 v8, v8, v11, s1
	v_cmp_gt_i32_e64 s1, 32, v13
	ds_bpermute_b32 v11, v12, v8
	v_cndmask_b32_e64 v13, v3, v13, s1
	;; [unrolled: 11-line block ×3, first 2 shown]
	v_lshlrev_b32_e32 v14, 2, v3
	s_waitcnt lgkmcnt(1)
	v_cmp_lt_f32_e64 s1, v4, v10
	v_cndmask_b32_e64 v3, v4, v10, s1
	s_waitcnt lgkmcnt(0)
	v_cmp_lt_f32_e64 s1, v8, v11
	v_cndmask_b32_e64 v4, v8, v11, s1
	ds_bpermute_b32 v8, v14, v3
	ds_bpermute_b32 v10, v14, v4
	s_waitcnt lgkmcnt(1)
	v_cmp_lt_f32_e64 s1, v3, v8
	v_cndmask_b32_e64 v3, v3, v8, s1
	s_waitcnt lgkmcnt(0)
	v_cmp_lt_f32_e64 s1, v4, v10
	v_sub_f32_e32 v0, v0, v3
	v_cndmask_b32_e64 v4, v4, v10, s1
	v_cmp_ngt_f32_e64 s1, 0xc2ce8ed0, v0
	v_sub_f32_e32 v3, v6, v4
	v_mul_f32_e32 v4, 0x3fb8aa3b, v0
	v_mul_f32_e32 v6, 0x3fb8aa3b, v3
	v_fma_f32 v8, 0x3fb8aa3b, v0, -v4
	v_rndne_f32_e32 v10, v4
	v_fma_f32 v11, 0x3fb8aa3b, v3, -v6
	v_rndne_f32_e32 v15, v6
	v_fmac_f32_e32 v8, 0x32a5705f, v0
	v_sub_f32_e32 v4, v4, v10
	v_fmac_f32_e32 v11, 0x32a5705f, v3
	v_sub_f32_e32 v6, v6, v15
	v_add_f32_e32 v4, v4, v8
	v_cvt_i32_f32_e32 v8, v10
	v_cvt_i32_f32_e32 v10, v15
	v_add_f32_e32 v6, v6, v11
	v_exp_f32_e32 v4, v4
	v_exp_f32_e32 v6, v6
	v_ldexp_f32 v4, v4, v8
	v_ldexp_f32 v6, v6, v10
	v_cndmask_b32_e64 v4, 0, v4, s1
	v_cmp_ngt_f32_e64 s1, 0xc2ce8ed0, v3
	v_cndmask_b32_e64 v6, 0, v6, s1
	v_cmp_nlt_f32_e64 s1, 0x42b17218, v0
	v_cndmask_b32_e64 v4, 0x7f800000, v4, s1
	v_cmp_nlt_f32_e64 s1, 0x42b17218, v3
	ds_bpermute_b32 v0, v7, v4
	v_cndmask_b32_e64 v3, 0x7f800000, v6, s1
	ds_bpermute_b32 v6, v7, v3
	s_waitcnt lgkmcnt(1)
	v_add_f32_e32 v0, v4, v0
	ds_bpermute_b32 v7, v9, v0
	s_waitcnt lgkmcnt(1)
	v_add_f32_e32 v6, v3, v6
	;; [unrolled: 3-line block ×7, first 2 shown]
	s_waitcnt lgkmcnt(0)
	v_add_f32_e32 v6, v6, v9
	ds_bpermute_b32 v9, v14, v8
	ds_bpermute_b32 v7, v14, v6
	s_and_saveexec_b32 s1, vcc_lo
	s_cbranch_execz .LBB443_9
; %bb.5:
	v_lshlrev_b64 v[0:1], 2, v[1:2]
	v_add_co_u32 v0, vcc_lo, s8, v0
	v_add_co_ci_u32_e64 v1, null, s9, v1, vcc_lo
	s_and_saveexec_b32 s1, s0
	s_cbranch_execz .LBB443_7
; %bb.6:
	s_waitcnt lgkmcnt(1)
	v_add_f32_e32 v2, v8, v9
	v_div_scale_f32 v8, null, v2, v2, v4
	v_rcp_f32_e32 v9, v8
	v_fma_f32 v10, -v8, v9, 1.0
	v_fmac_f32_e32 v9, v10, v9
	v_div_scale_f32 v10, vcc_lo, v4, v2, v4
	v_mul_f32_e32 v11, v10, v9
	v_fma_f32 v12, -v8, v11, v10
	v_fmac_f32_e32 v11, v12, v9
	v_fma_f32 v8, -v8, v11, v10
	v_div_fmas_f32 v8, v8, v9, v11
	v_cmp_neq_f32_e32 vcc_lo, 0, v2
	v_div_fixup_f32 v4, v8, v2, v4
	v_cndmask_b32_e32 v2, 0x7fc00000, v4, vcc_lo
	global_store_dword v[0:1], v2, off
.LBB443_7:
	s_or_b32 exec_lo, exec_lo, s1
	v_cmp_ne_u32_e32 vcc_lo, 1, v5
	s_and_b32 s0, vcc_lo, s0
	s_and_b32 exec_lo, exec_lo, s0
	s_cbranch_execz .LBB443_9
; %bb.8:
	s_waitcnt lgkmcnt(0)
	v_add_f32_e32 v2, v6, v7
	s_mov_b32 s15, 0
	s_lshl_b64 s[0:1], s[14:15], 2
	v_div_scale_f32 v4, null, v2, v2, v3
	v_div_scale_f32 v7, vcc_lo, v3, v2, v3
	v_rcp_f32_e32 v5, v4
	v_fma_f32 v6, -v4, v5, 1.0
	v_fmac_f32_e32 v5, v6, v5
	v_mul_f32_e32 v6, v7, v5
	v_fma_f32 v8, -v4, v6, v7
	v_fmac_f32_e32 v6, v8, v5
	v_fma_f32 v4, -v4, v6, v7
	v_div_fmas_f32 v4, v4, v5, v6
	v_add_co_u32 v0, vcc_lo, v0, s0
	v_add_co_ci_u32_e64 v1, null, s1, v1, vcc_lo
	v_div_fixup_f32 v3, v4, v2, v3
	v_cmp_neq_f32_e32 vcc_lo, 0, v2
	v_cndmask_b32_e32 v2, 0x7fc00000, v3, vcc_lo
	global_store_dword v[0:1], v2, off
.LBB443_9:
	s_endpgm
	.section	.rodata,"a",@progbits
	.p2align	6, 0x0
	.amdhsa_kernel _ZN12_GLOBAL__N_120softmax_warp_forwardIN3c104HalfEffLi5ELb0ELb0ELi32EEEvPT0_PKT_iiiPKbib
		.amdhsa_group_segment_fixed_size 0
		.amdhsa_private_segment_fixed_size 0
		.amdhsa_kernarg_size 304
		.amdhsa_user_sgpr_count 6
		.amdhsa_user_sgpr_private_segment_buffer 1
		.amdhsa_user_sgpr_dispatch_ptr 0
		.amdhsa_user_sgpr_queue_ptr 0
		.amdhsa_user_sgpr_kernarg_segment_ptr 1
		.amdhsa_user_sgpr_dispatch_id 0
		.amdhsa_user_sgpr_flat_scratch_init 0
		.amdhsa_user_sgpr_private_segment_size 0
		.amdhsa_wavefront_size32 1
		.amdhsa_uses_dynamic_stack 0
		.amdhsa_system_sgpr_private_segment_wavefront_offset 0
		.amdhsa_system_sgpr_workgroup_id_x 1
		.amdhsa_system_sgpr_workgroup_id_y 0
		.amdhsa_system_sgpr_workgroup_id_z 0
		.amdhsa_system_sgpr_workgroup_info 0
		.amdhsa_system_vgpr_workitem_id 1
		.amdhsa_next_free_vgpr 16
		.amdhsa_next_free_sgpr 16
		.amdhsa_reserve_vcc 1
		.amdhsa_reserve_flat_scratch 0
		.amdhsa_float_round_mode_32 0
		.amdhsa_float_round_mode_16_64 0
		.amdhsa_float_denorm_mode_32 3
		.amdhsa_float_denorm_mode_16_64 3
		.amdhsa_dx10_clamp 1
		.amdhsa_ieee_mode 1
		.amdhsa_fp16_overflow 0
		.amdhsa_workgroup_processor_mode 1
		.amdhsa_memory_ordered 1
		.amdhsa_forward_progress 1
		.amdhsa_shared_vgpr_count 0
		.amdhsa_exception_fp_ieee_invalid_op 0
		.amdhsa_exception_fp_denorm_src 0
		.amdhsa_exception_fp_ieee_div_zero 0
		.amdhsa_exception_fp_ieee_overflow 0
		.amdhsa_exception_fp_ieee_underflow 0
		.amdhsa_exception_fp_ieee_inexact 0
		.amdhsa_exception_int_div_zero 0
	.end_amdhsa_kernel
	.section	.text._ZN12_GLOBAL__N_120softmax_warp_forwardIN3c104HalfEffLi5ELb0ELb0ELi32EEEvPT0_PKT_iiiPKbib,"axG",@progbits,_ZN12_GLOBAL__N_120softmax_warp_forwardIN3c104HalfEffLi5ELb0ELb0ELi32EEEvPT0_PKT_iiiPKbib,comdat
.Lfunc_end443:
	.size	_ZN12_GLOBAL__N_120softmax_warp_forwardIN3c104HalfEffLi5ELb0ELb0ELi32EEEvPT0_PKT_iiiPKbib, .Lfunc_end443-_ZN12_GLOBAL__N_120softmax_warp_forwardIN3c104HalfEffLi5ELb0ELb0ELi32EEEvPT0_PKT_iiiPKbib
                                        ; -- End function
	.set _ZN12_GLOBAL__N_120softmax_warp_forwardIN3c104HalfEffLi5ELb0ELb0ELi32EEEvPT0_PKT_iiiPKbib.num_vgpr, 16
	.set _ZN12_GLOBAL__N_120softmax_warp_forwardIN3c104HalfEffLi5ELb0ELb0ELi32EEEvPT0_PKT_iiiPKbib.num_agpr, 0
	.set _ZN12_GLOBAL__N_120softmax_warp_forwardIN3c104HalfEffLi5ELb0ELb0ELi32EEEvPT0_PKT_iiiPKbib.numbered_sgpr, 16
	.set _ZN12_GLOBAL__N_120softmax_warp_forwardIN3c104HalfEffLi5ELb0ELb0ELi32EEEvPT0_PKT_iiiPKbib.num_named_barrier, 0
	.set _ZN12_GLOBAL__N_120softmax_warp_forwardIN3c104HalfEffLi5ELb0ELb0ELi32EEEvPT0_PKT_iiiPKbib.private_seg_size, 0
	.set _ZN12_GLOBAL__N_120softmax_warp_forwardIN3c104HalfEffLi5ELb0ELb0ELi32EEEvPT0_PKT_iiiPKbib.uses_vcc, 1
	.set _ZN12_GLOBAL__N_120softmax_warp_forwardIN3c104HalfEffLi5ELb0ELb0ELi32EEEvPT0_PKT_iiiPKbib.uses_flat_scratch, 0
	.set _ZN12_GLOBAL__N_120softmax_warp_forwardIN3c104HalfEffLi5ELb0ELb0ELi32EEEvPT0_PKT_iiiPKbib.has_dyn_sized_stack, 0
	.set _ZN12_GLOBAL__N_120softmax_warp_forwardIN3c104HalfEffLi5ELb0ELb0ELi32EEEvPT0_PKT_iiiPKbib.has_recursion, 0
	.set _ZN12_GLOBAL__N_120softmax_warp_forwardIN3c104HalfEffLi5ELb0ELb0ELi32EEEvPT0_PKT_iiiPKbib.has_indirect_call, 0
	.section	.AMDGPU.csdata,"",@progbits
; Kernel info:
; codeLenInByte = 1260
; TotalNumSgprs: 18
; NumVgprs: 16
; ScratchSize: 0
; MemoryBound: 0
; FloatMode: 240
; IeeeMode: 1
; LDSByteSize: 0 bytes/workgroup (compile time only)
; SGPRBlocks: 0
; VGPRBlocks: 1
; NumSGPRsForWavesPerEU: 18
; NumVGPRsForWavesPerEU: 16
; Occupancy: 16
; WaveLimiterHint : 0
; COMPUTE_PGM_RSRC2:SCRATCH_EN: 0
; COMPUTE_PGM_RSRC2:USER_SGPR: 6
; COMPUTE_PGM_RSRC2:TRAP_HANDLER: 0
; COMPUTE_PGM_RSRC2:TGID_X_EN: 1
; COMPUTE_PGM_RSRC2:TGID_Y_EN: 0
; COMPUTE_PGM_RSRC2:TGID_Z_EN: 0
; COMPUTE_PGM_RSRC2:TIDIG_COMP_CNT: 1
	.section	.text._ZN12_GLOBAL__N_120softmax_warp_forwardIN3c104HalfEffLi6ELb0ELb0ELi64EEEvPT0_PKT_iiiPKbib,"axG",@progbits,_ZN12_GLOBAL__N_120softmax_warp_forwardIN3c104HalfEffLi6ELb0ELb0ELi64EEEvPT0_PKT_iiiPKbib,comdat
	.globl	_ZN12_GLOBAL__N_120softmax_warp_forwardIN3c104HalfEffLi6ELb0ELb0ELi64EEEvPT0_PKT_iiiPKbib ; -- Begin function _ZN12_GLOBAL__N_120softmax_warp_forwardIN3c104HalfEffLi6ELb0ELb0ELi64EEEvPT0_PKT_iiiPKbib
	.p2align	8
	.type	_ZN12_GLOBAL__N_120softmax_warp_forwardIN3c104HalfEffLi6ELb0ELb0ELi64EEEvPT0_PKT_iiiPKbib,@function
_ZN12_GLOBAL__N_120softmax_warp_forwardIN3c104HalfEffLi6ELb0ELb0ELi64EEEvPT0_PKT_iiiPKbib: ; @_ZN12_GLOBAL__N_120softmax_warp_forwardIN3c104HalfEffLi6ELb0ELb0ELi64EEEvPT0_PKT_iiiPKbib
; %bb.0:
	s_clause 0x1
	s_load_dword s0, s[4:5], 0x3c
	s_load_dwordx8 s[8:15], s[4:5], 0x0
	v_mov_b32_e32 v6, 0xff800000
	s_waitcnt lgkmcnt(0)
	s_lshr_b32 s0, s0, 16
	s_and_b32 s0, s0, 0xffff
	s_mul_i32 s6, s6, s0
	v_cmp_gt_i32_e64 s0, s14, v0
	v_add_lshl_u32 v3, s6, v1, 1
	v_mad_u64_u32 v[1:2], null, v3, s13, v[0:1]
	v_sub_nc_u32_e32 v5, s12, v3
	v_mov_b32_e32 v0, 0xff800000
	v_cmp_lt_i32_e32 vcc_lo, 0, v5
	v_ashrrev_i32_e32 v2, 31, v1
	s_and_b32 s2, s0, vcc_lo
	v_lshlrev_b64 v[3:4], 1, v[1:2]
	v_add_co_u32 v3, s1, s10, v3
	v_add_co_ci_u32_e64 v4, null, s11, v4, s1
	s_and_saveexec_b32 s1, s2
	s_cbranch_execz .LBB444_2
; %bb.1:
	global_load_ushort v0, v[3:4], off
	s_waitcnt vmcnt(0)
	v_cvt_f32_f16_e32 v0, v0
.LBB444_2:
	s_or_b32 exec_lo, exec_lo, s1
	v_cmp_lt_i32_e64 s1, 1, v5
	s_and_b32 s1, s0, s1
	s_and_saveexec_b32 s2, s1
	s_cbranch_execz .LBB444_4
; %bb.3:
	s_mov_b32 s15, 0
	s_lshl_b64 s[4:5], s[14:15], 1
	v_add_co_u32 v3, s1, v3, s4
	v_add_co_ci_u32_e64 v4, null, s5, v4, s1
	global_load_ushort v3, v[3:4], off
	s_waitcnt vmcnt(0)
	v_cvt_f32_f16_e32 v6, v3
.LBB444_4:
	s_or_b32 exec_lo, exec_lo, s2
	v_mbcnt_lo_u32_b32 v3, -1, 0
	v_or_b32_e32 v4, 32, v3
	v_xor_b32_e32 v9, 16, v3
	v_xor_b32_e32 v12, 8, v3
	v_xor_b32_e32 v13, 4, v3
	v_xor_b32_e32 v14, 2, v3
	v_cmp_gt_i32_e64 s1, 64, v4
	v_xor_b32_e32 v15, 1, v3
	v_cndmask_b32_e64 v4, v3, v4, s1
	v_cmp_gt_i32_e64 s1, 64, v9
	v_lshlrev_b32_e32 v7, 2, v4
	v_cndmask_b32_e64 v9, v3, v9, s1
	ds_bpermute_b32 v4, v7, v0
	ds_bpermute_b32 v8, v7, v6
	v_lshlrev_b32_e32 v9, 2, v9
	s_waitcnt lgkmcnt(1)
	v_cmp_lt_f32_e64 s1, v0, v4
	v_cndmask_b32_e64 v4, v0, v4, s1
	s_waitcnt lgkmcnt(0)
	v_cmp_lt_f32_e64 s1, v6, v8
	ds_bpermute_b32 v10, v9, v4
	v_cndmask_b32_e64 v8, v6, v8, s1
	v_cmp_gt_i32_e64 s1, 64, v12
	ds_bpermute_b32 v11, v9, v8
	v_cndmask_b32_e64 v12, v3, v12, s1
	v_lshlrev_b32_e32 v12, 2, v12
	s_waitcnt lgkmcnt(1)
	v_cmp_lt_f32_e64 s1, v4, v10
	v_cndmask_b32_e64 v4, v4, v10, s1
	s_waitcnt lgkmcnt(0)
	v_cmp_lt_f32_e64 s1, v8, v11
	ds_bpermute_b32 v10, v12, v4
	v_cndmask_b32_e64 v8, v8, v11, s1
	v_cmp_gt_i32_e64 s1, 64, v13
	ds_bpermute_b32 v11, v12, v8
	v_cndmask_b32_e64 v13, v3, v13, s1
	;; [unrolled: 11-line block ×4, first 2 shown]
	v_lshlrev_b32_e32 v15, 2, v3
	s_waitcnt lgkmcnt(1)
	v_cmp_lt_f32_e64 s1, v4, v10
	v_cndmask_b32_e64 v3, v4, v10, s1
	s_waitcnt lgkmcnt(0)
	v_cmp_lt_f32_e64 s1, v8, v11
	v_cndmask_b32_e64 v4, v8, v11, s1
	ds_bpermute_b32 v8, v15, v3
	ds_bpermute_b32 v10, v15, v4
	s_waitcnt lgkmcnt(1)
	v_cmp_lt_f32_e64 s1, v3, v8
	v_cndmask_b32_e64 v3, v3, v8, s1
	s_waitcnt lgkmcnt(0)
	v_cmp_lt_f32_e64 s1, v4, v10
	v_sub_f32_e32 v0, v0, v3
	v_cndmask_b32_e64 v4, v4, v10, s1
	v_cmp_ngt_f32_e64 s1, 0xc2ce8ed0, v0
	v_sub_f32_e32 v3, v6, v4
	v_mul_f32_e32 v4, 0x3fb8aa3b, v0
	v_mul_f32_e32 v6, 0x3fb8aa3b, v3
	v_fma_f32 v8, 0x3fb8aa3b, v0, -v4
	v_rndne_f32_e32 v10, v4
	v_fma_f32 v11, 0x3fb8aa3b, v3, -v6
	v_rndne_f32_e32 v16, v6
	v_fmac_f32_e32 v8, 0x32a5705f, v0
	v_sub_f32_e32 v4, v4, v10
	v_fmac_f32_e32 v11, 0x32a5705f, v3
	v_sub_f32_e32 v6, v6, v16
	v_add_f32_e32 v4, v4, v8
	v_cvt_i32_f32_e32 v8, v10
	v_cvt_i32_f32_e32 v10, v16
	v_add_f32_e32 v6, v6, v11
	v_exp_f32_e32 v4, v4
	v_exp_f32_e32 v6, v6
	v_ldexp_f32 v4, v4, v8
	v_ldexp_f32 v6, v6, v10
	v_cndmask_b32_e64 v4, 0, v4, s1
	v_cmp_ngt_f32_e64 s1, 0xc2ce8ed0, v3
	v_cndmask_b32_e64 v6, 0, v6, s1
	v_cmp_nlt_f32_e64 s1, 0x42b17218, v0
	v_cndmask_b32_e64 v4, 0x7f800000, v4, s1
	v_cmp_nlt_f32_e64 s1, 0x42b17218, v3
	ds_bpermute_b32 v0, v7, v4
	v_cndmask_b32_e64 v3, 0x7f800000, v6, s1
	ds_bpermute_b32 v6, v7, v3
	s_waitcnt lgkmcnt(1)
	v_add_f32_e32 v0, v4, v0
	ds_bpermute_b32 v7, v9, v0
	s_waitcnt lgkmcnt(1)
	v_add_f32_e32 v6, v3, v6
	;; [unrolled: 3-line block ×9, first 2 shown]
	s_waitcnt lgkmcnt(0)
	v_add_f32_e32 v6, v6, v9
	ds_bpermute_b32 v9, v15, v8
	ds_bpermute_b32 v7, v15, v6
	s_and_saveexec_b32 s1, vcc_lo
	s_cbranch_execz .LBB444_9
; %bb.5:
	v_lshlrev_b64 v[0:1], 2, v[1:2]
	v_add_co_u32 v0, vcc_lo, s8, v0
	v_add_co_ci_u32_e64 v1, null, s9, v1, vcc_lo
	s_and_saveexec_b32 s1, s0
	s_cbranch_execz .LBB444_7
; %bb.6:
	s_waitcnt lgkmcnt(1)
	v_add_f32_e32 v2, v8, v9
	v_div_scale_f32 v8, null, v2, v2, v4
	v_rcp_f32_e32 v9, v8
	v_fma_f32 v10, -v8, v9, 1.0
	v_fmac_f32_e32 v9, v10, v9
	v_div_scale_f32 v10, vcc_lo, v4, v2, v4
	v_mul_f32_e32 v11, v10, v9
	v_fma_f32 v12, -v8, v11, v10
	v_fmac_f32_e32 v11, v12, v9
	v_fma_f32 v8, -v8, v11, v10
	v_div_fmas_f32 v8, v8, v9, v11
	v_cmp_neq_f32_e32 vcc_lo, 0, v2
	v_div_fixup_f32 v4, v8, v2, v4
	v_cndmask_b32_e32 v2, 0x7fc00000, v4, vcc_lo
	global_store_dword v[0:1], v2, off
.LBB444_7:
	s_or_b32 exec_lo, exec_lo, s1
	v_cmp_ne_u32_e32 vcc_lo, 1, v5
	s_and_b32 s0, vcc_lo, s0
	s_and_b32 exec_lo, exec_lo, s0
	s_cbranch_execz .LBB444_9
; %bb.8:
	s_waitcnt lgkmcnt(0)
	v_add_f32_e32 v2, v6, v7
	s_mov_b32 s15, 0
	s_lshl_b64 s[0:1], s[14:15], 2
	v_div_scale_f32 v4, null, v2, v2, v3
	v_div_scale_f32 v7, vcc_lo, v3, v2, v3
	v_rcp_f32_e32 v5, v4
	v_fma_f32 v6, -v4, v5, 1.0
	v_fmac_f32_e32 v5, v6, v5
	v_mul_f32_e32 v6, v7, v5
	v_fma_f32 v8, -v4, v6, v7
	v_fmac_f32_e32 v6, v8, v5
	v_fma_f32 v4, -v4, v6, v7
	v_div_fmas_f32 v4, v4, v5, v6
	v_add_co_u32 v0, vcc_lo, v0, s0
	v_add_co_ci_u32_e64 v1, null, s1, v1, vcc_lo
	v_div_fixup_f32 v3, v4, v2, v3
	v_cmp_neq_f32_e32 vcc_lo, 0, v2
	v_cndmask_b32_e32 v2, 0x7fc00000, v3, vcc_lo
	global_store_dword v[0:1], v2, off
.LBB444_9:
	s_endpgm
	.section	.rodata,"a",@progbits
	.p2align	6, 0x0
	.amdhsa_kernel _ZN12_GLOBAL__N_120softmax_warp_forwardIN3c104HalfEffLi6ELb0ELb0ELi64EEEvPT0_PKT_iiiPKbib
		.amdhsa_group_segment_fixed_size 0
		.amdhsa_private_segment_fixed_size 0
		.amdhsa_kernarg_size 304
		.amdhsa_user_sgpr_count 6
		.amdhsa_user_sgpr_private_segment_buffer 1
		.amdhsa_user_sgpr_dispatch_ptr 0
		.amdhsa_user_sgpr_queue_ptr 0
		.amdhsa_user_sgpr_kernarg_segment_ptr 1
		.amdhsa_user_sgpr_dispatch_id 0
		.amdhsa_user_sgpr_flat_scratch_init 0
		.amdhsa_user_sgpr_private_segment_size 0
		.amdhsa_wavefront_size32 1
		.amdhsa_uses_dynamic_stack 0
		.amdhsa_system_sgpr_private_segment_wavefront_offset 0
		.amdhsa_system_sgpr_workgroup_id_x 1
		.amdhsa_system_sgpr_workgroup_id_y 0
		.amdhsa_system_sgpr_workgroup_id_z 0
		.amdhsa_system_sgpr_workgroup_info 0
		.amdhsa_system_vgpr_workitem_id 1
		.amdhsa_next_free_vgpr 17
		.amdhsa_next_free_sgpr 16
		.amdhsa_reserve_vcc 1
		.amdhsa_reserve_flat_scratch 0
		.amdhsa_float_round_mode_32 0
		.amdhsa_float_round_mode_16_64 0
		.amdhsa_float_denorm_mode_32 3
		.amdhsa_float_denorm_mode_16_64 3
		.amdhsa_dx10_clamp 1
		.amdhsa_ieee_mode 1
		.amdhsa_fp16_overflow 0
		.amdhsa_workgroup_processor_mode 1
		.amdhsa_memory_ordered 1
		.amdhsa_forward_progress 1
		.amdhsa_shared_vgpr_count 0
		.amdhsa_exception_fp_ieee_invalid_op 0
		.amdhsa_exception_fp_denorm_src 0
		.amdhsa_exception_fp_ieee_div_zero 0
		.amdhsa_exception_fp_ieee_overflow 0
		.amdhsa_exception_fp_ieee_underflow 0
		.amdhsa_exception_fp_ieee_inexact 0
		.amdhsa_exception_int_div_zero 0
	.end_amdhsa_kernel
	.section	.text._ZN12_GLOBAL__N_120softmax_warp_forwardIN3c104HalfEffLi6ELb0ELb0ELi64EEEvPT0_PKT_iiiPKbib,"axG",@progbits,_ZN12_GLOBAL__N_120softmax_warp_forwardIN3c104HalfEffLi6ELb0ELb0ELi64EEEvPT0_PKT_iiiPKbib,comdat
.Lfunc_end444:
	.size	_ZN12_GLOBAL__N_120softmax_warp_forwardIN3c104HalfEffLi6ELb0ELb0ELi64EEEvPT0_PKT_iiiPKbib, .Lfunc_end444-_ZN12_GLOBAL__N_120softmax_warp_forwardIN3c104HalfEffLi6ELb0ELb0ELi64EEEvPT0_PKT_iiiPKbib
                                        ; -- End function
	.set _ZN12_GLOBAL__N_120softmax_warp_forwardIN3c104HalfEffLi6ELb0ELb0ELi64EEEvPT0_PKT_iiiPKbib.num_vgpr, 17
	.set _ZN12_GLOBAL__N_120softmax_warp_forwardIN3c104HalfEffLi6ELb0ELb0ELi64EEEvPT0_PKT_iiiPKbib.num_agpr, 0
	.set _ZN12_GLOBAL__N_120softmax_warp_forwardIN3c104HalfEffLi6ELb0ELb0ELi64EEEvPT0_PKT_iiiPKbib.numbered_sgpr, 16
	.set _ZN12_GLOBAL__N_120softmax_warp_forwardIN3c104HalfEffLi6ELb0ELb0ELi64EEEvPT0_PKT_iiiPKbib.num_named_barrier, 0
	.set _ZN12_GLOBAL__N_120softmax_warp_forwardIN3c104HalfEffLi6ELb0ELb0ELi64EEEvPT0_PKT_iiiPKbib.private_seg_size, 0
	.set _ZN12_GLOBAL__N_120softmax_warp_forwardIN3c104HalfEffLi6ELb0ELb0ELi64EEEvPT0_PKT_iiiPKbib.uses_vcc, 1
	.set _ZN12_GLOBAL__N_120softmax_warp_forwardIN3c104HalfEffLi6ELb0ELb0ELi64EEEvPT0_PKT_iiiPKbib.uses_flat_scratch, 0
	.set _ZN12_GLOBAL__N_120softmax_warp_forwardIN3c104HalfEffLi6ELb0ELb0ELi64EEEvPT0_PKT_iiiPKbib.has_dyn_sized_stack, 0
	.set _ZN12_GLOBAL__N_120softmax_warp_forwardIN3c104HalfEffLi6ELb0ELb0ELi64EEEvPT0_PKT_iiiPKbib.has_recursion, 0
	.set _ZN12_GLOBAL__N_120softmax_warp_forwardIN3c104HalfEffLi6ELb0ELb0ELi64EEEvPT0_PKT_iiiPKbib.has_indirect_call, 0
	.section	.AMDGPU.csdata,"",@progbits
; Kernel info:
; codeLenInByte = 1372
; TotalNumSgprs: 18
; NumVgprs: 17
; ScratchSize: 0
; MemoryBound: 0
; FloatMode: 240
; IeeeMode: 1
; LDSByteSize: 0 bytes/workgroup (compile time only)
; SGPRBlocks: 0
; VGPRBlocks: 2
; NumSGPRsForWavesPerEU: 18
; NumVGPRsForWavesPerEU: 17
; Occupancy: 16
; WaveLimiterHint : 0
; COMPUTE_PGM_RSRC2:SCRATCH_EN: 0
; COMPUTE_PGM_RSRC2:USER_SGPR: 6
; COMPUTE_PGM_RSRC2:TRAP_HANDLER: 0
; COMPUTE_PGM_RSRC2:TGID_X_EN: 1
; COMPUTE_PGM_RSRC2:TGID_Y_EN: 0
; COMPUTE_PGM_RSRC2:TGID_Z_EN: 0
; COMPUTE_PGM_RSRC2:TIDIG_COMP_CNT: 1
	.section	.text._ZN12_GLOBAL__N_120softmax_warp_forwardIN3c104HalfEffLi6ELb0ELb0ELi32EEEvPT0_PKT_iiiPKbib,"axG",@progbits,_ZN12_GLOBAL__N_120softmax_warp_forwardIN3c104HalfEffLi6ELb0ELb0ELi32EEEvPT0_PKT_iiiPKbib,comdat
	.globl	_ZN12_GLOBAL__N_120softmax_warp_forwardIN3c104HalfEffLi6ELb0ELb0ELi32EEEvPT0_PKT_iiiPKbib ; -- Begin function _ZN12_GLOBAL__N_120softmax_warp_forwardIN3c104HalfEffLi6ELb0ELb0ELi32EEEvPT0_PKT_iiiPKbib
	.p2align	8
	.type	_ZN12_GLOBAL__N_120softmax_warp_forwardIN3c104HalfEffLi6ELb0ELb0ELi32EEEvPT0_PKT_iiiPKbib,@function
_ZN12_GLOBAL__N_120softmax_warp_forwardIN3c104HalfEffLi6ELb0ELb0ELi32EEEvPT0_PKT_iiiPKbib: ; @_ZN12_GLOBAL__N_120softmax_warp_forwardIN3c104HalfEffLi6ELb0ELb0ELi32EEEvPT0_PKT_iiiPKbib
; %bb.0:
	s_clause 0x1
	s_load_dword s0, s[4:5], 0x3c
	s_load_dwordx8 s[8:15], s[4:5], 0x0
	v_mov_b32_e32 v6, 0xff800000
	v_mov_b32_e32 v7, 0xff800000
	s_waitcnt lgkmcnt(0)
	s_lshr_b32 s0, s0, 16
	v_cmp_gt_i32_e64 s1, s14, v0
	s_and_b32 s0, s0, 0xffff
	s_mul_i32 s6, s6, s0
	v_add_lshl_u32 v3, s6, v1, 1
	v_mad_u64_u32 v[1:2], null, v3, s13, v[0:1]
	v_sub_nc_u32_e32 v5, s12, v3
	v_cmp_lt_i32_e32 vcc_lo, 0, v5
	v_ashrrev_i32_e32 v2, 31, v1
	s_and_b32 s2, vcc_lo, s1
	v_lshlrev_b64 v[3:4], 1, v[1:2]
	v_add_co_u32 v3, s0, s10, v3
	v_add_co_ci_u32_e64 v4, null, s11, v4, s0
	s_and_saveexec_b32 s0, s2
	s_cbranch_execz .LBB445_2
; %bb.1:
	global_load_ushort v7, v[3:4], off
	s_waitcnt vmcnt(0)
	v_cvt_f32_f16_e32 v7, v7
.LBB445_2:
	s_or_b32 exec_lo, exec_lo, s0
	v_add_nc_u32_e32 v0, 32, v0
	v_cmp_gt_i32_e64 s0, s14, v0
	s_and_b32 s3, vcc_lo, s0
	s_and_saveexec_b32 s2, s3
	s_cbranch_execz .LBB445_4
; %bb.3:
	global_load_ushort v0, v[3:4], off offset:64
	s_waitcnt vmcnt(0)
	v_cvt_f32_f16_e32 v6, v0
.LBB445_4:
	s_or_b32 exec_lo, exec_lo, s2
	v_cmp_lt_i32_e64 s2, 1, v5
	v_mov_b32_e32 v0, 0xff800000
	v_mov_b32_e32 v8, 0xff800000
	s_and_b32 s3, s2, s1
	s_and_saveexec_b32 s4, s3
	s_cbranch_execz .LBB445_6
; %bb.5:
	s_mov_b32 s15, 0
	s_lshl_b64 s[6:7], s[14:15], 1
	v_add_co_u32 v8, s3, v3, s6
	v_add_co_ci_u32_e64 v9, null, s7, v4, s3
	global_load_ushort v8, v[8:9], off
	s_waitcnt vmcnt(0)
	v_cvt_f32_f16_e32 v8, v8
.LBB445_6:
	s_or_b32 exec_lo, exec_lo, s4
	s_and_b32 s2, s2, s0
	s_and_saveexec_b32 s3, s2
	s_cbranch_execz .LBB445_8
; %bb.7:
	s_mov_b32 s15, 0
	s_lshl_b64 s[4:5], s[14:15], 1
	v_add_co_u32 v3, s2, v3, s4
	v_add_co_ci_u32_e64 v4, null, s5, v4, s2
	global_load_ushort v0, v[3:4], off offset:64
	s_waitcnt vmcnt(0)
	v_cvt_f32_f16_e32 v0, v0
.LBB445_8:
	s_or_b32 exec_lo, exec_lo, s3
	v_mbcnt_lo_u32_b32 v3, -1, 0
	v_xor_b32_e32 v4, 16, v3
	v_xor_b32_e32 v13, 8, v3
	;; [unrolled: 1-line block ×5, first 2 shown]
	v_cmp_gt_i32_e64 s2, 32, v4
	v_cndmask_b32_e64 v4, v3, v4, s2
	v_cmp_gt_f32_e64 s2, v7, v6
	v_lshlrev_b32_e32 v10, 2, v4
	v_cndmask_b32_e64 v9, v6, v7, s2
	v_cmp_gt_f32_e64 s2, v8, v0
	ds_bpermute_b32 v11, v10, v9
	v_cndmask_b32_e64 v4, v0, v8, s2
	v_cmp_gt_i32_e64 s2, 32, v13
	ds_bpermute_b32 v12, v10, v4
	v_cndmask_b32_e64 v13, v3, v13, s2
	v_lshlrev_b32_e32 v13, 2, v13
	s_waitcnt lgkmcnt(1)
	v_cmp_lt_f32_e64 s2, v9, v11
	v_cndmask_b32_e64 v9, v9, v11, s2
	s_waitcnt lgkmcnt(0)
	v_cmp_lt_f32_e64 s2, v4, v12
	ds_bpermute_b32 v11, v13, v9
	v_cndmask_b32_e64 v4, v4, v12, s2
	v_cmp_gt_i32_e64 s2, 32, v14
	ds_bpermute_b32 v12, v13, v4
	v_cndmask_b32_e64 v14, v3, v14, s2
	v_lshlrev_b32_e32 v14, 2, v14
	s_waitcnt lgkmcnt(1)
	v_cmp_lt_f32_e64 s2, v9, v11
	v_cndmask_b32_e64 v9, v9, v11, s2
	s_waitcnt lgkmcnt(0)
	v_cmp_lt_f32_e64 s2, v4, v12
	;; [unrolled: 11-line block ×4, first 2 shown]
	ds_bpermute_b32 v9, v16, v3
	v_cndmask_b32_e64 v4, v4, v12, s2
	ds_bpermute_b32 v11, v16, v4
	s_waitcnt lgkmcnt(1)
	v_cmp_lt_f32_e64 s2, v3, v9
	v_cndmask_b32_e64 v3, v3, v9, s2
	s_waitcnt lgkmcnt(0)
	v_cmp_lt_f32_e64 s2, v4, v11
	v_sub_f32_e32 v7, v7, v3
	v_cndmask_b32_e64 v4, v4, v11, s2
	v_sub_f32_e32 v3, v6, v3
	v_cmp_ngt_f32_e64 s2, 0xc2ce8ed0, v7
	v_sub_f32_e32 v8, v8, v4
	v_sub_f32_e32 v0, v0, v4
	v_mul_f32_e32 v4, 0x3fb8aa3b, v7
	v_mul_f32_e32 v6, 0x3fb8aa3b, v3
	;; [unrolled: 1-line block ×4, first 2 shown]
	v_fma_f32 v12, 0x3fb8aa3b, v7, -v4
	v_rndne_f32_e32 v17, v4
	v_fma_f32 v18, 0x3fb8aa3b, v3, -v6
	v_rndne_f32_e32 v19, v6
	v_fma_f32 v20, 0x3fb8aa3b, v8, -v9
	v_fmac_f32_e32 v12, 0x32a5705f, v7
	v_sub_f32_e32 v4, v4, v17
	v_rndne_f32_e32 v21, v9
	v_fmac_f32_e32 v18, 0x32a5705f, v3
	v_sub_f32_e32 v6, v6, v19
	v_fma_f32 v22, 0x3fb8aa3b, v0, -v11
	v_add_f32_e32 v4, v4, v12
	v_rndne_f32_e32 v23, v11
	v_fmac_f32_e32 v20, 0x32a5705f, v8
	v_sub_f32_e32 v9, v9, v21
	v_add_f32_e32 v6, v6, v18
	v_exp_f32_e32 v4, v4
	v_fmac_f32_e32 v22, 0x32a5705f, v0
	v_sub_f32_e32 v11, v11, v23
	v_add_f32_e32 v9, v9, v20
	v_exp_f32_e32 v6, v6
	v_cvt_i32_f32_e32 v12, v17
	v_cvt_i32_f32_e32 v17, v19
	v_add_f32_e32 v11, v11, v22
	v_exp_f32_e32 v9, v9
	v_cvt_i32_f32_e32 v18, v21
	v_ldexp_f32 v4, v4, v12
	v_cvt_i32_f32_e32 v19, v23
	v_exp_f32_e32 v11, v11
	v_ldexp_f32 v6, v6, v17
	v_cndmask_b32_e64 v4, 0, v4, s2
	v_cmp_ngt_f32_e64 s2, 0xc2ce8ed0, v3
	v_ldexp_f32 v9, v9, v18
	v_cndmask_b32_e64 v6, 0, v6, s2
	v_cmp_ngt_f32_e64 s2, 0xc2ce8ed0, v8
	;; [unrolled: 3-line block ×3, first 2 shown]
	v_cndmask_b32_e64 v11, 0, v11, s2
	v_cmp_nlt_f32_e64 s2, 0x42b17218, v7
	v_cndmask_b32_e64 v9, 0x7f800000, v4, s2
	v_cmp_nlt_f32_e64 s2, 0x42b17218, v3
	;; [unrolled: 2-line block ×4, first 2 shown]
	v_add_f32_e32 v0, v9, v6
	v_cndmask_b32_e64 v3, 0x7f800000, v11, s2
	ds_bpermute_b32 v8, v10, v0
	v_add_f32_e32 v7, v4, v3
	ds_bpermute_b32 v10, v10, v7
	s_waitcnt lgkmcnt(1)
	v_add_f32_e32 v0, v0, v8
	ds_bpermute_b32 v8, v13, v0
	s_waitcnt lgkmcnt(1)
	v_add_f32_e32 v7, v7, v10
	ds_bpermute_b32 v10, v13, v7
	s_waitcnt lgkmcnt(1)
	v_add_f32_e32 v0, v0, v8
	ds_bpermute_b32 v8, v14, v0
	s_waitcnt lgkmcnt(1)
	v_add_f32_e32 v7, v7, v10
	ds_bpermute_b32 v10, v14, v7
	s_waitcnt lgkmcnt(1)
	v_add_f32_e32 v0, v0, v8
	ds_bpermute_b32 v8, v15, v0
	s_waitcnt lgkmcnt(1)
	v_add_f32_e32 v7, v7, v10
	ds_bpermute_b32 v11, v15, v7
	s_waitcnt lgkmcnt(1)
	v_add_f32_e32 v10, v0, v8
	s_waitcnt lgkmcnt(0)
	v_add_f32_e32 v7, v7, v11
	ds_bpermute_b32 v11, v16, v10
	ds_bpermute_b32 v8, v16, v7
	s_and_saveexec_b32 s2, vcc_lo
	s_cbranch_execz .LBB445_16
; %bb.9:
	v_lshlrev_b64 v[0:1], 2, v[1:2]
	v_add_co_u32 v0, vcc_lo, s8, v0
	v_add_co_ci_u32_e64 v1, null, s9, v1, vcc_lo
	s_and_saveexec_b32 s3, s1
	s_cbranch_execz .LBB445_12
; %bb.10:
	s_waitcnt lgkmcnt(1)
	v_add_f32_e32 v2, v10, v11
	v_div_scale_f32 v10, null, v2, v2, v9
	v_cmp_eq_f32_e64 s2, 0, v2
	v_rcp_f32_e32 v11, v10
	v_fma_f32 v12, -v10, v11, 1.0
	v_fmac_f32_e32 v11, v12, v11
	v_div_scale_f32 v12, vcc_lo, v9, v2, v9
	v_mul_f32_e32 v13, v12, v11
	v_fma_f32 v14, -v10, v13, v12
	v_fmac_f32_e32 v13, v14, v11
	v_fma_f32 v10, -v10, v13, v12
	v_div_fmas_f32 v10, v10, v11, v13
	v_div_fixup_f32 v9, v10, v2, v9
	v_cndmask_b32_e64 v9, v9, 0x7fc00000, s2
	global_store_dword v[0:1], v9, off
	s_and_b32 exec_lo, exec_lo, s0
	s_cbranch_execz .LBB445_12
; %bb.11:
	v_div_scale_f32 v9, null, v2, v2, v6
	v_rcp_f32_e32 v10, v9
	v_fma_f32 v11, -v9, v10, 1.0
	v_fmac_f32_e32 v10, v11, v10
	v_div_scale_f32 v11, vcc_lo, v6, v2, v6
	v_mul_f32_e32 v12, v11, v10
	v_fma_f32 v13, -v9, v12, v11
	v_fmac_f32_e32 v12, v13, v10
	v_fma_f32 v9, -v9, v12, v11
	v_div_fmas_f32 v9, v9, v10, v12
	v_div_fixup_f32 v2, v9, v2, v6
	v_cndmask_b32_e64 v2, v2, 0x7fc00000, s2
	global_store_dword v[0:1], v2, off offset:128
.LBB445_12:
	s_or_b32 exec_lo, exec_lo, s3
	v_cmp_ne_u32_e32 vcc_lo, 1, v5
	s_and_b32 exec_lo, exec_lo, vcc_lo
	s_cbranch_execz .LBB445_16
; %bb.13:
	s_and_b32 exec_lo, exec_lo, s1
	s_cbranch_execz .LBB445_16
; %bb.14:
	s_waitcnt lgkmcnt(0)
	v_add_f32_e32 v2, v7, v8
	s_mov_b32 s15, 0
	s_lshl_b64 s[2:3], s[14:15], 2
	v_div_scale_f32 v5, null, v2, v2, v4
	v_div_scale_f32 v8, vcc_lo, v4, v2, v4
	v_cmp_eq_f32_e64 s1, 0, v2
	v_rcp_f32_e32 v6, v5
	v_fma_f32 v7, -v5, v6, 1.0
	v_fmac_f32_e32 v6, v7, v6
	v_mul_f32_e32 v7, v8, v6
	v_fma_f32 v9, -v5, v7, v8
	v_fmac_f32_e32 v7, v9, v6
	v_fma_f32 v5, -v5, v7, v8
	v_div_fmas_f32 v5, v5, v6, v7
	v_add_co_u32 v0, vcc_lo, v0, s2
	v_add_co_ci_u32_e64 v1, null, s3, v1, vcc_lo
	v_div_fixup_f32 v4, v5, v2, v4
	v_cndmask_b32_e64 v4, v4, 0x7fc00000, s1
	global_store_dword v[0:1], v4, off
	s_and_b32 exec_lo, exec_lo, s0
	s_cbranch_execz .LBB445_16
; %bb.15:
	v_div_scale_f32 v4, null, v2, v2, v3
	v_rcp_f32_e32 v5, v4
	v_fma_f32 v6, -v4, v5, 1.0
	v_fmac_f32_e32 v5, v6, v5
	v_div_scale_f32 v6, vcc_lo, v3, v2, v3
	v_mul_f32_e32 v7, v6, v5
	v_fma_f32 v8, -v4, v7, v6
	v_fmac_f32_e32 v7, v8, v5
	v_fma_f32 v4, -v4, v7, v6
	v_div_fmas_f32 v4, v4, v5, v7
	v_div_fixup_f32 v2, v4, v2, v3
	v_cndmask_b32_e64 v2, v2, 0x7fc00000, s1
	global_store_dword v[0:1], v2, off offset:128
.LBB445_16:
	s_endpgm
	.section	.rodata,"a",@progbits
	.p2align	6, 0x0
	.amdhsa_kernel _ZN12_GLOBAL__N_120softmax_warp_forwardIN3c104HalfEffLi6ELb0ELb0ELi32EEEvPT0_PKT_iiiPKbib
		.amdhsa_group_segment_fixed_size 0
		.amdhsa_private_segment_fixed_size 0
		.amdhsa_kernarg_size 304
		.amdhsa_user_sgpr_count 6
		.amdhsa_user_sgpr_private_segment_buffer 1
		.amdhsa_user_sgpr_dispatch_ptr 0
		.amdhsa_user_sgpr_queue_ptr 0
		.amdhsa_user_sgpr_kernarg_segment_ptr 1
		.amdhsa_user_sgpr_dispatch_id 0
		.amdhsa_user_sgpr_flat_scratch_init 0
		.amdhsa_user_sgpr_private_segment_size 0
		.amdhsa_wavefront_size32 1
		.amdhsa_uses_dynamic_stack 0
		.amdhsa_system_sgpr_private_segment_wavefront_offset 0
		.amdhsa_system_sgpr_workgroup_id_x 1
		.amdhsa_system_sgpr_workgroup_id_y 0
		.amdhsa_system_sgpr_workgroup_id_z 0
		.amdhsa_system_sgpr_workgroup_info 0
		.amdhsa_system_vgpr_workitem_id 1
		.amdhsa_next_free_vgpr 24
		.amdhsa_next_free_sgpr 16
		.amdhsa_reserve_vcc 1
		.amdhsa_reserve_flat_scratch 0
		.amdhsa_float_round_mode_32 0
		.amdhsa_float_round_mode_16_64 0
		.amdhsa_float_denorm_mode_32 3
		.amdhsa_float_denorm_mode_16_64 3
		.amdhsa_dx10_clamp 1
		.amdhsa_ieee_mode 1
		.amdhsa_fp16_overflow 0
		.amdhsa_workgroup_processor_mode 1
		.amdhsa_memory_ordered 1
		.amdhsa_forward_progress 1
		.amdhsa_shared_vgpr_count 0
		.amdhsa_exception_fp_ieee_invalid_op 0
		.amdhsa_exception_fp_denorm_src 0
		.amdhsa_exception_fp_ieee_div_zero 0
		.amdhsa_exception_fp_ieee_overflow 0
		.amdhsa_exception_fp_ieee_underflow 0
		.amdhsa_exception_fp_ieee_inexact 0
		.amdhsa_exception_int_div_zero 0
	.end_amdhsa_kernel
	.section	.text._ZN12_GLOBAL__N_120softmax_warp_forwardIN3c104HalfEffLi6ELb0ELb0ELi32EEEvPT0_PKT_iiiPKbib,"axG",@progbits,_ZN12_GLOBAL__N_120softmax_warp_forwardIN3c104HalfEffLi6ELb0ELb0ELi32EEEvPT0_PKT_iiiPKbib,comdat
.Lfunc_end445:
	.size	_ZN12_GLOBAL__N_120softmax_warp_forwardIN3c104HalfEffLi6ELb0ELb0ELi32EEEvPT0_PKT_iiiPKbib, .Lfunc_end445-_ZN12_GLOBAL__N_120softmax_warp_forwardIN3c104HalfEffLi6ELb0ELb0ELi32EEEvPT0_PKT_iiiPKbib
                                        ; -- End function
	.set _ZN12_GLOBAL__N_120softmax_warp_forwardIN3c104HalfEffLi6ELb0ELb0ELi32EEEvPT0_PKT_iiiPKbib.num_vgpr, 24
	.set _ZN12_GLOBAL__N_120softmax_warp_forwardIN3c104HalfEffLi6ELb0ELb0ELi32EEEvPT0_PKT_iiiPKbib.num_agpr, 0
	.set _ZN12_GLOBAL__N_120softmax_warp_forwardIN3c104HalfEffLi6ELb0ELb0ELi32EEEvPT0_PKT_iiiPKbib.numbered_sgpr, 16
	.set _ZN12_GLOBAL__N_120softmax_warp_forwardIN3c104HalfEffLi6ELb0ELb0ELi32EEEvPT0_PKT_iiiPKbib.num_named_barrier, 0
	.set _ZN12_GLOBAL__N_120softmax_warp_forwardIN3c104HalfEffLi6ELb0ELb0ELi32EEEvPT0_PKT_iiiPKbib.private_seg_size, 0
	.set _ZN12_GLOBAL__N_120softmax_warp_forwardIN3c104HalfEffLi6ELb0ELb0ELi32EEEvPT0_PKT_iiiPKbib.uses_vcc, 1
	.set _ZN12_GLOBAL__N_120softmax_warp_forwardIN3c104HalfEffLi6ELb0ELb0ELi32EEEvPT0_PKT_iiiPKbib.uses_flat_scratch, 0
	.set _ZN12_GLOBAL__N_120softmax_warp_forwardIN3c104HalfEffLi6ELb0ELb0ELi32EEEvPT0_PKT_iiiPKbib.has_dyn_sized_stack, 0
	.set _ZN12_GLOBAL__N_120softmax_warp_forwardIN3c104HalfEffLi6ELb0ELb0ELi32EEEvPT0_PKT_iiiPKbib.has_recursion, 0
	.set _ZN12_GLOBAL__N_120softmax_warp_forwardIN3c104HalfEffLi6ELb0ELb0ELi32EEEvPT0_PKT_iiiPKbib.has_indirect_call, 0
	.section	.AMDGPU.csdata,"",@progbits
; Kernel info:
; codeLenInByte = 1844
; TotalNumSgprs: 18
; NumVgprs: 24
; ScratchSize: 0
; MemoryBound: 0
; FloatMode: 240
; IeeeMode: 1
; LDSByteSize: 0 bytes/workgroup (compile time only)
; SGPRBlocks: 0
; VGPRBlocks: 2
; NumSGPRsForWavesPerEU: 18
; NumVGPRsForWavesPerEU: 24
; Occupancy: 16
; WaveLimiterHint : 0
; COMPUTE_PGM_RSRC2:SCRATCH_EN: 0
; COMPUTE_PGM_RSRC2:USER_SGPR: 6
; COMPUTE_PGM_RSRC2:TRAP_HANDLER: 0
; COMPUTE_PGM_RSRC2:TGID_X_EN: 1
; COMPUTE_PGM_RSRC2:TGID_Y_EN: 0
; COMPUTE_PGM_RSRC2:TGID_Z_EN: 0
; COMPUTE_PGM_RSRC2:TIDIG_COMP_CNT: 1
	.section	.text._ZN12_GLOBAL__N_120softmax_warp_forwardIN3c104HalfEffLi7ELb0ELb0ELi64EEEvPT0_PKT_iiiPKbib,"axG",@progbits,_ZN12_GLOBAL__N_120softmax_warp_forwardIN3c104HalfEffLi7ELb0ELb0ELi64EEEvPT0_PKT_iiiPKbib,comdat
	.globl	_ZN12_GLOBAL__N_120softmax_warp_forwardIN3c104HalfEffLi7ELb0ELb0ELi64EEEvPT0_PKT_iiiPKbib ; -- Begin function _ZN12_GLOBAL__N_120softmax_warp_forwardIN3c104HalfEffLi7ELb0ELb0ELi64EEEvPT0_PKT_iiiPKbib
	.p2align	8
	.type	_ZN12_GLOBAL__N_120softmax_warp_forwardIN3c104HalfEffLi7ELb0ELb0ELi64EEEvPT0_PKT_iiiPKbib,@function
_ZN12_GLOBAL__N_120softmax_warp_forwardIN3c104HalfEffLi7ELb0ELb0ELi64EEEvPT0_PKT_iiiPKbib: ; @_ZN12_GLOBAL__N_120softmax_warp_forwardIN3c104HalfEffLi7ELb0ELb0ELi64EEEvPT0_PKT_iiiPKbib
; %bb.0:
	s_clause 0x1
	s_load_dword s0, s[4:5], 0x3c
	s_load_dwordx8 s[8:15], s[4:5], 0x0
	v_mov_b32_e32 v6, 0xff800000
	v_mov_b32_e32 v7, 0xff800000
	s_waitcnt lgkmcnt(0)
	s_lshr_b32 s0, s0, 16
	v_cmp_gt_i32_e64 s1, s14, v0
	s_and_b32 s0, s0, 0xffff
	s_mul_i32 s6, s6, s0
	v_add_lshl_u32 v3, s6, v1, 1
	v_mad_u64_u32 v[1:2], null, v3, s13, v[0:1]
	v_sub_nc_u32_e32 v5, s12, v3
	v_cmp_lt_i32_e32 vcc_lo, 0, v5
	v_ashrrev_i32_e32 v2, 31, v1
	s_and_b32 s2, vcc_lo, s1
	v_lshlrev_b64 v[3:4], 1, v[1:2]
	v_add_co_u32 v3, s0, s10, v3
	v_add_co_ci_u32_e64 v4, null, s11, v4, s0
	s_and_saveexec_b32 s0, s2
	s_cbranch_execz .LBB446_2
; %bb.1:
	global_load_ushort v7, v[3:4], off
	s_waitcnt vmcnt(0)
	v_cvt_f32_f16_e32 v7, v7
.LBB446_2:
	s_or_b32 exec_lo, exec_lo, s0
	v_add_nc_u32_e32 v0, 64, v0
	v_cmp_gt_i32_e64 s0, s14, v0
	s_and_b32 s3, vcc_lo, s0
	s_and_saveexec_b32 s2, s3
	s_cbranch_execz .LBB446_4
; %bb.3:
	global_load_ushort v0, v[3:4], off offset:128
	s_waitcnt vmcnt(0)
	v_cvt_f32_f16_e32 v6, v0
.LBB446_4:
	s_or_b32 exec_lo, exec_lo, s2
	v_cmp_lt_i32_e64 s2, 1, v5
	v_mov_b32_e32 v0, 0xff800000
	v_mov_b32_e32 v8, 0xff800000
	s_and_b32 s3, s2, s1
	s_and_saveexec_b32 s4, s3
	s_cbranch_execz .LBB446_6
; %bb.5:
	s_mov_b32 s15, 0
	s_lshl_b64 s[6:7], s[14:15], 1
	v_add_co_u32 v8, s3, v3, s6
	v_add_co_ci_u32_e64 v9, null, s7, v4, s3
	global_load_ushort v8, v[8:9], off
	s_waitcnt vmcnt(0)
	v_cvt_f32_f16_e32 v8, v8
.LBB446_6:
	s_or_b32 exec_lo, exec_lo, s4
	s_and_b32 s2, s2, s0
	s_and_saveexec_b32 s3, s2
	s_cbranch_execz .LBB446_8
; %bb.7:
	s_mov_b32 s15, 0
	s_lshl_b64 s[4:5], s[14:15], 1
	v_add_co_u32 v3, s2, v3, s4
	v_add_co_ci_u32_e64 v4, null, s5, v4, s2
	global_load_ushort v0, v[3:4], off offset:128
	s_waitcnt vmcnt(0)
	v_cvt_f32_f16_e32 v0, v0
.LBB446_8:
	s_or_b32 exec_lo, exec_lo, s3
	v_mbcnt_lo_u32_b32 v3, -1, 0
	v_or_b32_e32 v4, 32, v3
	v_xor_b32_e32 v13, 16, v3
	v_xor_b32_e32 v14, 8, v3
	;; [unrolled: 1-line block ×4, first 2 shown]
	v_cmp_gt_i32_e64 s2, 64, v4
	v_xor_b32_e32 v17, 1, v3
	v_cndmask_b32_e64 v4, v3, v4, s2
	v_cmp_gt_f32_e64 s2, v7, v6
	v_lshlrev_b32_e32 v10, 2, v4
	v_cndmask_b32_e64 v9, v6, v7, s2
	v_cmp_gt_f32_e64 s2, v8, v0
	ds_bpermute_b32 v11, v10, v9
	v_cndmask_b32_e64 v4, v0, v8, s2
	v_cmp_gt_i32_e64 s2, 64, v13
	ds_bpermute_b32 v12, v10, v4
	v_cndmask_b32_e64 v13, v3, v13, s2
	v_lshlrev_b32_e32 v13, 2, v13
	s_waitcnt lgkmcnt(1)
	v_cmp_lt_f32_e64 s2, v9, v11
	v_cndmask_b32_e64 v9, v9, v11, s2
	s_waitcnt lgkmcnt(0)
	v_cmp_lt_f32_e64 s2, v4, v12
	ds_bpermute_b32 v11, v13, v9
	v_cndmask_b32_e64 v4, v4, v12, s2
	v_cmp_gt_i32_e64 s2, 64, v14
	ds_bpermute_b32 v12, v13, v4
	v_cndmask_b32_e64 v14, v3, v14, s2
	v_lshlrev_b32_e32 v14, 2, v14
	s_waitcnt lgkmcnt(1)
	v_cmp_lt_f32_e64 s2, v9, v11
	v_cndmask_b32_e64 v9, v9, v11, s2
	s_waitcnt lgkmcnt(0)
	v_cmp_lt_f32_e64 s2, v4, v12
	;; [unrolled: 11-line block ×5, first 2 shown]
	ds_bpermute_b32 v9, v17, v3
	v_cndmask_b32_e64 v4, v4, v12, s2
	ds_bpermute_b32 v11, v17, v4
	s_waitcnt lgkmcnt(1)
	v_cmp_lt_f32_e64 s2, v3, v9
	v_cndmask_b32_e64 v3, v3, v9, s2
	s_waitcnt lgkmcnt(0)
	v_cmp_lt_f32_e64 s2, v4, v11
	v_sub_f32_e32 v7, v7, v3
	v_cndmask_b32_e64 v4, v4, v11, s2
	v_sub_f32_e32 v3, v6, v3
	v_cmp_ngt_f32_e64 s2, 0xc2ce8ed0, v7
	v_sub_f32_e32 v8, v8, v4
	v_sub_f32_e32 v0, v0, v4
	v_mul_f32_e32 v4, 0x3fb8aa3b, v7
	v_mul_f32_e32 v6, 0x3fb8aa3b, v3
	;; [unrolled: 1-line block ×4, first 2 shown]
	v_fma_f32 v12, 0x3fb8aa3b, v7, -v4
	v_rndne_f32_e32 v18, v4
	v_fma_f32 v19, 0x3fb8aa3b, v3, -v6
	v_rndne_f32_e32 v20, v6
	v_fma_f32 v21, 0x3fb8aa3b, v8, -v9
	v_fmac_f32_e32 v12, 0x32a5705f, v7
	v_sub_f32_e32 v4, v4, v18
	v_rndne_f32_e32 v22, v9
	v_fmac_f32_e32 v19, 0x32a5705f, v3
	v_sub_f32_e32 v6, v6, v20
	v_fma_f32 v23, 0x3fb8aa3b, v0, -v11
	v_add_f32_e32 v4, v4, v12
	v_rndne_f32_e32 v24, v11
	v_fmac_f32_e32 v21, 0x32a5705f, v8
	v_sub_f32_e32 v9, v9, v22
	v_add_f32_e32 v6, v6, v19
	v_exp_f32_e32 v4, v4
	v_fmac_f32_e32 v23, 0x32a5705f, v0
	v_sub_f32_e32 v11, v11, v24
	v_add_f32_e32 v9, v9, v21
	v_exp_f32_e32 v6, v6
	v_cvt_i32_f32_e32 v12, v18
	v_cvt_i32_f32_e32 v18, v20
	v_add_f32_e32 v11, v11, v23
	v_exp_f32_e32 v9, v9
	v_cvt_i32_f32_e32 v19, v22
	v_ldexp_f32 v4, v4, v12
	v_cvt_i32_f32_e32 v20, v24
	v_exp_f32_e32 v11, v11
	v_ldexp_f32 v6, v6, v18
	v_cndmask_b32_e64 v4, 0, v4, s2
	v_cmp_ngt_f32_e64 s2, 0xc2ce8ed0, v3
	v_ldexp_f32 v9, v9, v19
	v_cndmask_b32_e64 v6, 0, v6, s2
	v_cmp_ngt_f32_e64 s2, 0xc2ce8ed0, v8
	;; [unrolled: 3-line block ×3, first 2 shown]
	v_cndmask_b32_e64 v11, 0, v11, s2
	v_cmp_nlt_f32_e64 s2, 0x42b17218, v7
	v_cndmask_b32_e64 v9, 0x7f800000, v4, s2
	v_cmp_nlt_f32_e64 s2, 0x42b17218, v3
	;; [unrolled: 2-line block ×4, first 2 shown]
	v_add_f32_e32 v0, v9, v6
	v_cndmask_b32_e64 v3, 0x7f800000, v11, s2
	ds_bpermute_b32 v8, v10, v0
	v_add_f32_e32 v7, v4, v3
	ds_bpermute_b32 v10, v10, v7
	s_waitcnt lgkmcnt(1)
	v_add_f32_e32 v0, v0, v8
	ds_bpermute_b32 v8, v13, v0
	s_waitcnt lgkmcnt(1)
	;; [unrolled: 3-line block ×9, first 2 shown]
	v_add_f32_e32 v10, v0, v8
	s_waitcnt lgkmcnt(0)
	v_add_f32_e32 v7, v7, v11
	ds_bpermute_b32 v11, v17, v10
	ds_bpermute_b32 v8, v17, v7
	s_and_saveexec_b32 s2, vcc_lo
	s_cbranch_execz .LBB446_16
; %bb.9:
	v_lshlrev_b64 v[0:1], 2, v[1:2]
	v_add_co_u32 v0, vcc_lo, s8, v0
	v_add_co_ci_u32_e64 v1, null, s9, v1, vcc_lo
	s_and_saveexec_b32 s3, s1
	s_cbranch_execz .LBB446_12
; %bb.10:
	s_waitcnt lgkmcnt(1)
	v_add_f32_e32 v2, v10, v11
	v_div_scale_f32 v10, null, v2, v2, v9
	v_cmp_eq_f32_e64 s2, 0, v2
	v_rcp_f32_e32 v11, v10
	v_fma_f32 v12, -v10, v11, 1.0
	v_fmac_f32_e32 v11, v12, v11
	v_div_scale_f32 v12, vcc_lo, v9, v2, v9
	v_mul_f32_e32 v13, v12, v11
	v_fma_f32 v14, -v10, v13, v12
	v_fmac_f32_e32 v13, v14, v11
	v_fma_f32 v10, -v10, v13, v12
	v_div_fmas_f32 v10, v10, v11, v13
	v_div_fixup_f32 v9, v10, v2, v9
	v_cndmask_b32_e64 v9, v9, 0x7fc00000, s2
	global_store_dword v[0:1], v9, off
	s_and_b32 exec_lo, exec_lo, s0
	s_cbranch_execz .LBB446_12
; %bb.11:
	v_div_scale_f32 v9, null, v2, v2, v6
	v_rcp_f32_e32 v10, v9
	v_fma_f32 v11, -v9, v10, 1.0
	v_fmac_f32_e32 v10, v11, v10
	v_div_scale_f32 v11, vcc_lo, v6, v2, v6
	v_mul_f32_e32 v12, v11, v10
	v_fma_f32 v13, -v9, v12, v11
	v_fmac_f32_e32 v12, v13, v10
	v_fma_f32 v9, -v9, v12, v11
	v_div_fmas_f32 v9, v9, v10, v12
	v_div_fixup_f32 v2, v9, v2, v6
	v_cndmask_b32_e64 v2, v2, 0x7fc00000, s2
	global_store_dword v[0:1], v2, off offset:256
.LBB446_12:
	s_or_b32 exec_lo, exec_lo, s3
	v_cmp_ne_u32_e32 vcc_lo, 1, v5
	s_and_b32 exec_lo, exec_lo, vcc_lo
	s_cbranch_execz .LBB446_16
; %bb.13:
	s_and_b32 exec_lo, exec_lo, s1
	s_cbranch_execz .LBB446_16
; %bb.14:
	s_waitcnt lgkmcnt(0)
	v_add_f32_e32 v2, v7, v8
	s_mov_b32 s15, 0
	s_lshl_b64 s[2:3], s[14:15], 2
	v_div_scale_f32 v5, null, v2, v2, v4
	v_div_scale_f32 v8, vcc_lo, v4, v2, v4
	v_cmp_eq_f32_e64 s1, 0, v2
	v_rcp_f32_e32 v6, v5
	v_fma_f32 v7, -v5, v6, 1.0
	v_fmac_f32_e32 v6, v7, v6
	v_mul_f32_e32 v7, v8, v6
	v_fma_f32 v9, -v5, v7, v8
	v_fmac_f32_e32 v7, v9, v6
	v_fma_f32 v5, -v5, v7, v8
	v_div_fmas_f32 v5, v5, v6, v7
	v_add_co_u32 v0, vcc_lo, v0, s2
	v_add_co_ci_u32_e64 v1, null, s3, v1, vcc_lo
	v_div_fixup_f32 v4, v5, v2, v4
	v_cndmask_b32_e64 v4, v4, 0x7fc00000, s1
	global_store_dword v[0:1], v4, off
	s_and_b32 exec_lo, exec_lo, s0
	s_cbranch_execz .LBB446_16
; %bb.15:
	v_div_scale_f32 v4, null, v2, v2, v3
	v_rcp_f32_e32 v5, v4
	v_fma_f32 v6, -v4, v5, 1.0
	v_fmac_f32_e32 v5, v6, v5
	v_div_scale_f32 v6, vcc_lo, v3, v2, v3
	v_mul_f32_e32 v7, v6, v5
	v_fma_f32 v8, -v4, v7, v6
	v_fmac_f32_e32 v7, v8, v5
	v_fma_f32 v4, -v4, v7, v6
	v_div_fmas_f32 v4, v4, v5, v7
	v_div_fixup_f32 v2, v4, v2, v3
	v_cndmask_b32_e64 v2, v2, 0x7fc00000, s1
	global_store_dword v[0:1], v2, off offset:256
.LBB446_16:
	s_endpgm
	.section	.rodata,"a",@progbits
	.p2align	6, 0x0
	.amdhsa_kernel _ZN12_GLOBAL__N_120softmax_warp_forwardIN3c104HalfEffLi7ELb0ELb0ELi64EEEvPT0_PKT_iiiPKbib
		.amdhsa_group_segment_fixed_size 0
		.amdhsa_private_segment_fixed_size 0
		.amdhsa_kernarg_size 304
		.amdhsa_user_sgpr_count 6
		.amdhsa_user_sgpr_private_segment_buffer 1
		.amdhsa_user_sgpr_dispatch_ptr 0
		.amdhsa_user_sgpr_queue_ptr 0
		.amdhsa_user_sgpr_kernarg_segment_ptr 1
		.amdhsa_user_sgpr_dispatch_id 0
		.amdhsa_user_sgpr_flat_scratch_init 0
		.amdhsa_user_sgpr_private_segment_size 0
		.amdhsa_wavefront_size32 1
		.amdhsa_uses_dynamic_stack 0
		.amdhsa_system_sgpr_private_segment_wavefront_offset 0
		.amdhsa_system_sgpr_workgroup_id_x 1
		.amdhsa_system_sgpr_workgroup_id_y 0
		.amdhsa_system_sgpr_workgroup_id_z 0
		.amdhsa_system_sgpr_workgroup_info 0
		.amdhsa_system_vgpr_workitem_id 1
		.amdhsa_next_free_vgpr 25
		.amdhsa_next_free_sgpr 16
		.amdhsa_reserve_vcc 1
		.amdhsa_reserve_flat_scratch 0
		.amdhsa_float_round_mode_32 0
		.amdhsa_float_round_mode_16_64 0
		.amdhsa_float_denorm_mode_32 3
		.amdhsa_float_denorm_mode_16_64 3
		.amdhsa_dx10_clamp 1
		.amdhsa_ieee_mode 1
		.amdhsa_fp16_overflow 0
		.amdhsa_workgroup_processor_mode 1
		.amdhsa_memory_ordered 1
		.amdhsa_forward_progress 1
		.amdhsa_shared_vgpr_count 0
		.amdhsa_exception_fp_ieee_invalid_op 0
		.amdhsa_exception_fp_denorm_src 0
		.amdhsa_exception_fp_ieee_div_zero 0
		.amdhsa_exception_fp_ieee_overflow 0
		.amdhsa_exception_fp_ieee_underflow 0
		.amdhsa_exception_fp_ieee_inexact 0
		.amdhsa_exception_int_div_zero 0
	.end_amdhsa_kernel
	.section	.text._ZN12_GLOBAL__N_120softmax_warp_forwardIN3c104HalfEffLi7ELb0ELb0ELi64EEEvPT0_PKT_iiiPKbib,"axG",@progbits,_ZN12_GLOBAL__N_120softmax_warp_forwardIN3c104HalfEffLi7ELb0ELb0ELi64EEEvPT0_PKT_iiiPKbib,comdat
.Lfunc_end446:
	.size	_ZN12_GLOBAL__N_120softmax_warp_forwardIN3c104HalfEffLi7ELb0ELb0ELi64EEEvPT0_PKT_iiiPKbib, .Lfunc_end446-_ZN12_GLOBAL__N_120softmax_warp_forwardIN3c104HalfEffLi7ELb0ELb0ELi64EEEvPT0_PKT_iiiPKbib
                                        ; -- End function
	.set _ZN12_GLOBAL__N_120softmax_warp_forwardIN3c104HalfEffLi7ELb0ELb0ELi64EEEvPT0_PKT_iiiPKbib.num_vgpr, 25
	.set _ZN12_GLOBAL__N_120softmax_warp_forwardIN3c104HalfEffLi7ELb0ELb0ELi64EEEvPT0_PKT_iiiPKbib.num_agpr, 0
	.set _ZN12_GLOBAL__N_120softmax_warp_forwardIN3c104HalfEffLi7ELb0ELb0ELi64EEEvPT0_PKT_iiiPKbib.numbered_sgpr, 16
	.set _ZN12_GLOBAL__N_120softmax_warp_forwardIN3c104HalfEffLi7ELb0ELb0ELi64EEEvPT0_PKT_iiiPKbib.num_named_barrier, 0
	.set _ZN12_GLOBAL__N_120softmax_warp_forwardIN3c104HalfEffLi7ELb0ELb0ELi64EEEvPT0_PKT_iiiPKbib.private_seg_size, 0
	.set _ZN12_GLOBAL__N_120softmax_warp_forwardIN3c104HalfEffLi7ELb0ELb0ELi64EEEvPT0_PKT_iiiPKbib.uses_vcc, 1
	.set _ZN12_GLOBAL__N_120softmax_warp_forwardIN3c104HalfEffLi7ELb0ELb0ELi64EEEvPT0_PKT_iiiPKbib.uses_flat_scratch, 0
	.set _ZN12_GLOBAL__N_120softmax_warp_forwardIN3c104HalfEffLi7ELb0ELb0ELi64EEEvPT0_PKT_iiiPKbib.has_dyn_sized_stack, 0
	.set _ZN12_GLOBAL__N_120softmax_warp_forwardIN3c104HalfEffLi7ELb0ELb0ELi64EEEvPT0_PKT_iiiPKbib.has_recursion, 0
	.set _ZN12_GLOBAL__N_120softmax_warp_forwardIN3c104HalfEffLi7ELb0ELb0ELi64EEEvPT0_PKT_iiiPKbib.has_indirect_call, 0
	.section	.AMDGPU.csdata,"",@progbits
; Kernel info:
; codeLenInByte = 1956
; TotalNumSgprs: 18
; NumVgprs: 25
; ScratchSize: 0
; MemoryBound: 0
; FloatMode: 240
; IeeeMode: 1
; LDSByteSize: 0 bytes/workgroup (compile time only)
; SGPRBlocks: 0
; VGPRBlocks: 3
; NumSGPRsForWavesPerEU: 18
; NumVGPRsForWavesPerEU: 25
; Occupancy: 16
; WaveLimiterHint : 0
; COMPUTE_PGM_RSRC2:SCRATCH_EN: 0
; COMPUTE_PGM_RSRC2:USER_SGPR: 6
; COMPUTE_PGM_RSRC2:TRAP_HANDLER: 0
; COMPUTE_PGM_RSRC2:TGID_X_EN: 1
; COMPUTE_PGM_RSRC2:TGID_Y_EN: 0
; COMPUTE_PGM_RSRC2:TGID_Z_EN: 0
; COMPUTE_PGM_RSRC2:TIDIG_COMP_CNT: 1
	.section	.text._ZN12_GLOBAL__N_120softmax_warp_forwardIN3c104HalfEffLi7ELb0ELb0ELi32EEEvPT0_PKT_iiiPKbib,"axG",@progbits,_ZN12_GLOBAL__N_120softmax_warp_forwardIN3c104HalfEffLi7ELb0ELb0ELi32EEEvPT0_PKT_iiiPKbib,comdat
	.globl	_ZN12_GLOBAL__N_120softmax_warp_forwardIN3c104HalfEffLi7ELb0ELb0ELi32EEEvPT0_PKT_iiiPKbib ; -- Begin function _ZN12_GLOBAL__N_120softmax_warp_forwardIN3c104HalfEffLi7ELb0ELb0ELi32EEEvPT0_PKT_iiiPKbib
	.p2align	8
	.type	_ZN12_GLOBAL__N_120softmax_warp_forwardIN3c104HalfEffLi7ELb0ELb0ELi32EEEvPT0_PKT_iiiPKbib,@function
_ZN12_GLOBAL__N_120softmax_warp_forwardIN3c104HalfEffLi7ELb0ELb0ELi32EEEvPT0_PKT_iiiPKbib: ; @_ZN12_GLOBAL__N_120softmax_warp_forwardIN3c104HalfEffLi7ELb0ELb0ELi32EEEvPT0_PKT_iiiPKbib
; %bb.0:
	s_clause 0x1
	s_load_dword s0, s[4:5], 0x3c
	s_load_dwordx8 s[8:15], s[4:5], 0x0
	v_mov_b32_e32 v6, 0xff800000
	v_mov_b32_e32 v11, 0xff800000
	s_waitcnt lgkmcnt(0)
	s_lshr_b32 s0, s0, 16
	v_cmp_gt_i32_e64 s3, s14, v0
	s_and_b32 s0, s0, 0xffff
	s_mul_i32 s6, s6, s0
	v_add_lshl_u32 v3, s6, v1, 1
	v_mad_u64_u32 v[1:2], null, v3, s13, v[0:1]
	v_sub_nc_u32_e32 v5, s12, v3
	v_cmp_lt_i32_e32 vcc_lo, 0, v5
	v_ashrrev_i32_e32 v2, 31, v1
	s_and_b32 s1, vcc_lo, s3
	v_lshlrev_b64 v[3:4], 1, v[1:2]
	v_add_co_u32 v3, s0, s10, v3
	v_add_co_ci_u32_e64 v4, null, s11, v4, s0
	s_and_saveexec_b32 s0, s1
	s_cbranch_execz .LBB447_2
; %bb.1:
	global_load_ushort v7, v[3:4], off
	s_waitcnt vmcnt(0)
	v_cvt_f32_f16_e32 v11, v7
.LBB447_2:
	s_or_b32 exec_lo, exec_lo, s0
	v_add_nc_u32_e32 v7, 32, v0
	v_cmp_gt_i32_e64 s2, s14, v7
	s_and_b32 s1, vcc_lo, s2
	s_and_saveexec_b32 s0, s1
	s_cbranch_execz .LBB447_4
; %bb.3:
	global_load_ushort v6, v[3:4], off offset:64
	s_waitcnt vmcnt(0)
	v_cvt_f32_f16_e32 v6, v6
.LBB447_4:
	s_or_b32 exec_lo, exec_lo, s0
	v_add_nc_u32_e32 v7, 64, v0
	v_mov_b32_e32 v8, 0xff800000
	v_mov_b32_e32 v12, 0xff800000
	v_cmp_gt_i32_e64 s1, s14, v7
	s_and_b32 s4, vcc_lo, s1
	s_and_saveexec_b32 s0, s4
	s_cbranch_execz .LBB447_6
; %bb.5:
	global_load_ushort v7, v[3:4], off offset:128
	s_waitcnt vmcnt(0)
	v_cvt_f32_f16_e32 v12, v7
.LBB447_6:
	s_or_b32 exec_lo, exec_lo, s0
	v_add_nc_u32_e32 v0, 0x60, v0
	v_cmp_gt_i32_e64 s0, s14, v0
	s_and_b32 s5, vcc_lo, s0
	s_and_saveexec_b32 s4, s5
	s_cbranch_execz .LBB447_8
; %bb.7:
	global_load_ushort v0, v[3:4], off offset:192
	s_waitcnt vmcnt(0)
	v_cvt_f32_f16_e32 v8, v0
.LBB447_8:
	s_or_b32 exec_lo, exec_lo, s4
	v_cmp_lt_i32_e64 s4, 1, v5
	v_mov_b32_e32 v10, 0xff800000
	v_mov_b32_e32 v14, 0xff800000
	s_and_b32 s5, s4, s3
	s_and_saveexec_b32 s6, s5
	s_cbranch_execz .LBB447_10
; %bb.9:
	s_mov_b32 s15, 0
	s_lshl_b64 s[10:11], s[14:15], 1
	v_add_co_u32 v13, s5, v3, s10
	v_add_co_ci_u32_e64 v14, null, s11, v4, s5
	global_load_ushort v0, v[13:14], off
	s_waitcnt vmcnt(0)
	v_cvt_f32_f16_e32 v14, v0
.LBB447_10:
	s_or_b32 exec_lo, exec_lo, s6
	s_and_b32 s5, s4, s2
	s_and_saveexec_b32 s6, s5
	s_cbranch_execz .LBB447_12
; %bb.11:
	s_mov_b32 s15, 0
	s_lshl_b64 s[10:11], s[14:15], 1
	v_add_co_u32 v9, s5, v3, s10
	v_add_co_ci_u32_e64 v10, null, s11, v4, s5
	global_load_ushort v0, v[9:10], off offset:64
	s_waitcnt vmcnt(0)
	v_cvt_f32_f16_e32 v10, v0
.LBB447_12:
	s_or_b32 exec_lo, exec_lo, s6
	v_mov_b32_e32 v13, 0xff800000
	v_mov_b32_e32 v15, 0xff800000
	s_and_b32 s5, s4, s1
	s_and_saveexec_b32 s6, s5
	s_cbranch_execz .LBB447_14
; %bb.13:
	s_mov_b32 s15, 0
	s_lshl_b64 s[10:11], s[14:15], 1
	v_add_co_u32 v15, s5, v3, s10
	v_add_co_ci_u32_e64 v16, null, s11, v4, s5
	global_load_ushort v0, v[15:16], off offset:128
	s_waitcnt vmcnt(0)
	v_cvt_f32_f16_e32 v15, v0
.LBB447_14:
	s_or_b32 exec_lo, exec_lo, s6
	s_and_b32 s4, s4, s0
	s_and_saveexec_b32 s5, s4
	s_cbranch_execz .LBB447_16
; %bb.15:
	s_mov_b32 s15, 0
	s_lshl_b64 s[6:7], s[14:15], 1
	v_add_co_u32 v3, s4, v3, s6
	v_add_co_ci_u32_e64 v4, null, s7, v4, s4
	global_load_ushort v0, v[3:4], off offset:192
	s_waitcnt vmcnt(0)
	v_cvt_f32_f16_e32 v13, v0
.LBB447_16:
	s_or_b32 exec_lo, exec_lo, s5
	v_cmp_gt_f32_e64 s4, v11, v6
	v_mbcnt_lo_u32_b32 v9, -1, 0
	v_cndmask_b32_e64 v0, v6, v11, s4
	v_cmp_gt_f32_e64 s4, v14, v10
	v_xor_b32_e32 v3, 16, v9
	v_xor_b32_e32 v20, 1, v9
	v_cndmask_b32_e64 v4, v10, v14, s4
	v_cmp_gt_f32_e64 s4, v0, v12
	v_cndmask_b32_e64 v0, v12, v0, s4
	v_cmp_gt_i32_e64 s4, 32, v3
	v_cndmask_b32_e64 v3, v9, v3, s4
	v_cmp_gt_f32_e64 s4, v4, v15
	v_cndmask_b32_e64 v4, v15, v4, s4
	v_cmp_gt_f32_e64 s4, v0, v8
	v_cndmask_b32_e64 v7, v8, v0, s4
	v_lshlrev_b32_e32 v0, 2, v3
	v_cmp_gt_f32_e64 s4, v4, v13
	v_xor_b32_e32 v3, 8, v9
	ds_bpermute_b32 v16, v0, v7
	v_cndmask_b32_e64 v4, v13, v4, s4
	v_cmp_gt_i32_e64 s4, 32, v3
	ds_bpermute_b32 v17, v0, v4
	v_cndmask_b32_e64 v3, v9, v3, s4
	v_lshlrev_b32_e32 v3, 2, v3
	s_waitcnt lgkmcnt(1)
	v_cmp_lt_f32_e64 s4, v7, v16
	v_cndmask_b32_e64 v7, v7, v16, s4
	s_waitcnt lgkmcnt(0)
	v_cmp_lt_f32_e64 s4, v4, v17
	v_cndmask_b32_e64 v16, v4, v17, s4
	ds_bpermute_b32 v17, v3, v7
	v_xor_b32_e32 v4, 4, v9
	ds_bpermute_b32 v18, v3, v16
	v_cmp_gt_i32_e64 s4, 32, v4
	v_cndmask_b32_e64 v4, v9, v4, s4
	v_lshlrev_b32_e32 v4, 2, v4
	s_waitcnt lgkmcnt(1)
	v_cmp_lt_f32_e64 s4, v7, v17
	v_cndmask_b32_e64 v17, v7, v17, s4
	s_waitcnt lgkmcnt(0)
	v_cmp_lt_f32_e64 s4, v16, v18
	v_xor_b32_e32 v7, 2, v9
	v_cndmask_b32_e64 v16, v16, v18, s4
	ds_bpermute_b32 v18, v4, v17
	v_cmp_gt_i32_e64 s4, 32, v7
	ds_bpermute_b32 v19, v4, v16
	v_cndmask_b32_e64 v7, v9, v7, s4
	v_lshlrev_b32_e32 v7, 2, v7
	s_waitcnt lgkmcnt(1)
	v_cmp_lt_f32_e64 s4, v17, v18
	v_cndmask_b32_e64 v17, v17, v18, s4
	s_waitcnt lgkmcnt(0)
	v_cmp_lt_f32_e64 s4, v16, v19
	ds_bpermute_b32 v18, v7, v17
	v_cndmask_b32_e64 v16, v16, v19, s4
	v_cmp_gt_i32_e64 s4, 32, v20
	ds_bpermute_b32 v19, v7, v16
	v_cndmask_b32_e64 v9, v9, v20, s4
	v_lshlrev_b32_e32 v9, 2, v9
	s_waitcnt lgkmcnt(1)
	v_cmp_lt_f32_e64 s4, v17, v18
	v_cndmask_b32_e64 v17, v17, v18, s4
	s_waitcnt lgkmcnt(0)
	v_cmp_lt_f32_e64 s4, v16, v19
	ds_bpermute_b32 v18, v9, v17
	v_cndmask_b32_e64 v16, v16, v19, s4
	ds_bpermute_b32 v19, v9, v16
	s_waitcnt lgkmcnt(1)
	v_cmp_lt_f32_e64 s4, v17, v18
	v_cndmask_b32_e64 v17, v17, v18, s4
	s_waitcnt lgkmcnt(0)
	v_cmp_lt_f32_e64 s4, v16, v19
	v_sub_f32_e32 v11, v11, v17
	v_cndmask_b32_e64 v16, v16, v19, s4
	v_sub_f32_e32 v6, v6, v17
	v_sub_f32_e32 v12, v12, v17
	;; [unrolled: 1-line block ×3, first 2 shown]
	v_cmp_ngt_f32_e64 s4, 0xc2ce8ed0, v11
	v_sub_f32_e32 v8, v14, v16
	v_sub_f32_e32 v10, v10, v16
	;; [unrolled: 1-line block ×4, first 2 shown]
	v_mul_f32_e32 v13, 0x3fb8aa3b, v11
	v_mul_f32_e32 v14, 0x3fb8aa3b, v6
	;; [unrolled: 1-line block ×5, first 2 shown]
	v_fma_f32 v24, 0x3fb8aa3b, v11, -v13
	v_rndne_f32_e32 v25, v13
	v_fma_f32 v26, 0x3fb8aa3b, v6, -v14
	v_rndne_f32_e32 v27, v14
	v_fma_f32 v28, 0x3fb8aa3b, v12, -v15
	v_fmac_f32_e32 v24, 0x32a5705f, v11
	v_sub_f32_e32 v13, v13, v25
	v_rndne_f32_e32 v29, v15
	v_fmac_f32_e32 v26, 0x32a5705f, v6
	v_sub_f32_e32 v14, v14, v27
	v_mul_f32_e32 v20, 0x3fb8aa3b, v8
	v_add_f32_e32 v13, v13, v24
	v_fma_f32 v30, 0x3fb8aa3b, v17, -v19
	v_rndne_f32_e32 v31, v19
	v_fma_f32 v36, 0x3fb8aa3b, v18, -v22
	v_rndne_f32_e32 v37, v22
	v_fmac_f32_e32 v28, 0x32a5705f, v12
	v_sub_f32_e32 v15, v15, v29
	v_add_f32_e32 v14, v14, v26
	v_exp_f32_e32 v13, v13
	v_mul_f32_e32 v21, 0x3fb8aa3b, v10
	v_fma_f32 v32, 0x3fb8aa3b, v8, -v20
	v_rndne_f32_e32 v33, v20
	v_cvt_i32_f32_e32 v25, v25
	v_fmac_f32_e32 v30, 0x32a5705f, v17
	v_sub_f32_e32 v19, v19, v31
	v_fmac_f32_e32 v36, 0x32a5705f, v18
	v_sub_f32_e32 v22, v22, v37
	v_add_f32_e32 v15, v15, v28
	v_exp_f32_e32 v14, v14
	v_fma_f32 v34, 0x3fb8aa3b, v10, -v21
	v_rndne_f32_e32 v35, v21
	v_cvt_i32_f32_e32 v27, v27
	v_fmac_f32_e32 v32, 0x32a5705f, v8
	v_sub_f32_e32 v20, v20, v33
	v_add_f32_e32 v19, v19, v30
	v_add_f32_e32 v22, v22, v36
	v_exp_f32_e32 v15, v15
	v_ldexp_f32 v13, v13, v25
	v_mul_f32_e32 v23, 0x3fb8aa3b, v16
	v_cvt_i32_f32_e32 v29, v29
	v_fmac_f32_e32 v34, 0x32a5705f, v10
	v_sub_f32_e32 v21, v21, v35
	v_add_f32_e32 v20, v20, v32
	v_exp_f32_e32 v19, v19
	v_exp_f32_e32 v22, v22
	v_ldexp_f32 v14, v14, v27
	v_cndmask_b32_e64 v13, 0, v13, s4
	v_cmp_ngt_f32_e64 s4, 0xc2ce8ed0, v6
	v_fma_f32 v38, 0x3fb8aa3b, v16, -v23
	v_rndne_f32_e32 v39, v23
	v_cvt_i32_f32_e32 v31, v31
	v_add_f32_e32 v21, v21, v34
	v_exp_f32_e32 v20, v20
	v_cvt_i32_f32_e32 v24, v37
	v_ldexp_f32 v15, v15, v29
	v_cndmask_b32_e64 v14, 0, v14, s4
	v_cmp_ngt_f32_e64 s4, 0xc2ce8ed0, v12
	v_cvt_i32_f32_e32 v33, v33
	v_fmac_f32_e32 v38, 0x32a5705f, v16
	v_sub_f32_e32 v23, v23, v39
	v_exp_f32_e32 v21, v21
	v_ldexp_f32 v19, v19, v31
	v_ldexp_f32 v22, v22, v24
	v_cndmask_b32_e64 v24, 0, v15, s4
	v_cmp_ngt_f32_e64 s4, 0xc2ce8ed0, v17
	v_cvt_i32_f32_e32 v35, v35
	v_add_f32_e32 v23, v23, v38
	v_ldexp_f32 v20, v20, v33
	v_cvt_i32_f32_e32 v26, v39
	v_cndmask_b32_e64 v19, 0, v19, s4
	v_cmp_ngt_f32_e64 s4, 0xc2ce8ed0, v8
	v_exp_f32_e32 v23, v23
	v_ldexp_f32 v21, v21, v35
	v_cndmask_b32_e64 v20, 0, v20, s4
	v_cmp_ngt_f32_e64 s4, 0xc2ce8ed0, v10
	v_cndmask_b32_e64 v21, 0, v21, s4
	v_cmp_ngt_f32_e64 s4, 0xc2ce8ed0, v18
	v_ldexp_f32 v23, v23, v26
	v_cndmask_b32_e64 v22, 0, v22, s4
	v_cmp_ngt_f32_e64 s4, 0xc2ce8ed0, v16
	v_cndmask_b32_e64 v23, 0, v23, s4
	v_cmp_nlt_f32_e64 s4, 0x42b17218, v11
	v_cndmask_b32_e64 v15, 0x7f800000, v13, s4
	v_cmp_nlt_f32_e64 s4, 0x42b17218, v6
	;; [unrolled: 2-line block ×5, first 2 shown]
	v_add_f32_e32 v20, v11, v10
	v_cndmask_b32_e64 v13, 0x7f800000, v24, s4
	v_cmp_nlt_f32_e64 s4, 0x42b17218, v18
	v_add_f32_e32 v18, v15, v14
	v_cndmask_b32_e64 v8, 0x7f800000, v22, s4
	v_cmp_nlt_f32_e64 s4, 0x42b17218, v17
	;; [unrolled: 3-line block ×3, first 2 shown]
	v_add_f32_e32 v16, v18, v13
	v_cndmask_b32_e64 v6, 0x7f800000, v23, s4
	v_add_f32_e32 v16, v16, v12
	v_add_f32_e32 v17, v17, v6
	ds_bpermute_b32 v18, v0, v16
	ds_bpermute_b32 v0, v0, v17
	s_waitcnt lgkmcnt(1)
	v_add_f32_e32 v16, v16, v18
	s_waitcnt lgkmcnt(0)
	v_add_f32_e32 v0, v17, v0
	ds_bpermute_b32 v17, v3, v16
	ds_bpermute_b32 v3, v3, v0
	s_waitcnt lgkmcnt(1)
	v_add_f32_e32 v16, v16, v17
	s_waitcnt lgkmcnt(0)
	;; [unrolled: 6-line block ×4, first 2 shown]
	v_add_f32_e32 v3, v0, v16
	ds_bpermute_b32 v16, v9, v7
	ds_bpermute_b32 v4, v9, v3
	s_and_saveexec_b32 s4, vcc_lo
	s_cbranch_execz .LBB447_28
; %bb.17:
	v_lshlrev_b64 v[0:1], 2, v[1:2]
	v_add_co_u32 v0, vcc_lo, s8, v0
	v_add_co_ci_u32_e64 v1, null, s9, v1, vcc_lo
	s_and_saveexec_b32 s5, s3
	s_cbranch_execz .LBB447_22
; %bb.18:
	s_waitcnt lgkmcnt(1)
	v_add_f32_e32 v2, v7, v16
	v_div_scale_f32 v7, null, v2, v2, v15
	v_cmp_eq_f32_e64 s4, 0, v2
	v_rcp_f32_e32 v9, v7
	v_fma_f32 v16, -v7, v9, 1.0
	v_fmac_f32_e32 v9, v16, v9
	v_div_scale_f32 v16, vcc_lo, v15, v2, v15
	v_mul_f32_e32 v17, v16, v9
	v_fma_f32 v18, -v7, v17, v16
	v_fmac_f32_e32 v17, v18, v9
	v_fma_f32 v7, -v7, v17, v16
	v_div_fmas_f32 v7, v7, v9, v17
	v_div_fixup_f32 v7, v7, v2, v15
	v_cndmask_b32_e64 v7, v7, 0x7fc00000, s4
	global_store_dword v[0:1], v7, off
	s_and_b32 exec_lo, exec_lo, s2
	s_cbranch_execz .LBB447_22
; %bb.19:
	v_div_scale_f32 v7, null, v2, v2, v14
	v_rcp_f32_e32 v9, v7
	v_fma_f32 v15, -v7, v9, 1.0
	v_fmac_f32_e32 v9, v15, v9
	v_div_scale_f32 v15, vcc_lo, v14, v2, v14
	v_mul_f32_e32 v16, v15, v9
	v_fma_f32 v17, -v7, v16, v15
	v_fmac_f32_e32 v16, v17, v9
	v_fma_f32 v7, -v7, v16, v15
	v_div_fmas_f32 v7, v7, v9, v16
	v_div_fixup_f32 v7, v7, v2, v14
	v_cndmask_b32_e64 v7, v7, 0x7fc00000, s4
	global_store_dword v[0:1], v7, off offset:128
	s_and_b32 exec_lo, exec_lo, s1
	s_cbranch_execz .LBB447_22
; %bb.20:
	v_div_scale_f32 v7, null, v2, v2, v13
	v_rcp_f32_e32 v9, v7
	v_fma_f32 v14, -v7, v9, 1.0
	v_fmac_f32_e32 v9, v14, v9
	v_div_scale_f32 v14, vcc_lo, v13, v2, v13
	v_mul_f32_e32 v15, v14, v9
	v_fma_f32 v16, -v7, v15, v14
	v_fmac_f32_e32 v15, v16, v9
	v_fma_f32 v7, -v7, v15, v14
	v_div_fmas_f32 v7, v7, v9, v15
	v_div_fixup_f32 v7, v7, v2, v13
	v_cndmask_b32_e64 v7, v7, 0x7fc00000, s4
	global_store_dword v[0:1], v7, off offset:256
	;; [unrolled: 16-line block ×3, first 2 shown]
.LBB447_22:
	s_or_b32 exec_lo, exec_lo, s5
	v_cmp_ne_u32_e32 vcc_lo, 1, v5
	s_and_b32 exec_lo, exec_lo, vcc_lo
	s_cbranch_execz .LBB447_28
; %bb.23:
	s_and_b32 exec_lo, exec_lo, s3
	s_cbranch_execz .LBB447_28
; %bb.24:
	s_waitcnt lgkmcnt(0)
	v_add_f32_e32 v2, v3, v4
	s_mov_b32 s15, 0
	s_lshl_b64 s[4:5], s[14:15], 2
	v_div_scale_f32 v3, null, v2, v2, v11
	v_div_scale_f32 v7, vcc_lo, v11, v2, v11
	v_cmp_eq_f32_e64 s3, 0, v2
	v_rcp_f32_e32 v4, v3
	v_fma_f32 v5, -v3, v4, 1.0
	v_fmac_f32_e32 v4, v5, v4
	v_mul_f32_e32 v5, v7, v4
	v_fma_f32 v9, -v3, v5, v7
	v_fmac_f32_e32 v5, v9, v4
	v_fma_f32 v3, -v3, v5, v7
	v_div_fmas_f32 v3, v3, v4, v5
	v_add_co_u32 v0, vcc_lo, v0, s4
	v_add_co_ci_u32_e64 v1, null, s5, v1, vcc_lo
	v_div_fixup_f32 v3, v3, v2, v11
	v_cndmask_b32_e64 v3, v3, 0x7fc00000, s3
	global_store_dword v[0:1], v3, off
	s_and_b32 exec_lo, exec_lo, s2
	s_cbranch_execz .LBB447_28
; %bb.25:
	v_div_scale_f32 v3, null, v2, v2, v10
	v_rcp_f32_e32 v4, v3
	v_fma_f32 v5, -v3, v4, 1.0
	v_fmac_f32_e32 v4, v5, v4
	v_div_scale_f32 v5, vcc_lo, v10, v2, v10
	v_mul_f32_e32 v7, v5, v4
	v_fma_f32 v9, -v3, v7, v5
	v_fmac_f32_e32 v7, v9, v4
	v_fma_f32 v3, -v3, v7, v5
	v_div_fmas_f32 v3, v3, v4, v7
	v_div_fixup_f32 v3, v3, v2, v10
	v_cndmask_b32_e64 v3, v3, 0x7fc00000, s3
	global_store_dword v[0:1], v3, off offset:128
	s_and_b32 exec_lo, exec_lo, s1
	s_cbranch_execz .LBB447_28
; %bb.26:
	v_div_scale_f32 v3, null, v2, v2, v8
	v_rcp_f32_e32 v4, v3
	v_fma_f32 v5, -v3, v4, 1.0
	v_fmac_f32_e32 v4, v5, v4
	v_div_scale_f32 v5, vcc_lo, v8, v2, v8
	v_mul_f32_e32 v7, v5, v4
	v_fma_f32 v9, -v3, v7, v5
	v_fmac_f32_e32 v7, v9, v4
	v_fma_f32 v3, -v3, v7, v5
	v_div_fmas_f32 v3, v3, v4, v7
	v_div_fixup_f32 v3, v3, v2, v8
	v_cndmask_b32_e64 v3, v3, 0x7fc00000, s3
	global_store_dword v[0:1], v3, off offset:256
	;; [unrolled: 16-line block ×3, first 2 shown]
.LBB447_28:
	s_endpgm
	.section	.rodata,"a",@progbits
	.p2align	6, 0x0
	.amdhsa_kernel _ZN12_GLOBAL__N_120softmax_warp_forwardIN3c104HalfEffLi7ELb0ELb0ELi32EEEvPT0_PKT_iiiPKbib
		.amdhsa_group_segment_fixed_size 0
		.amdhsa_private_segment_fixed_size 0
		.amdhsa_kernarg_size 304
		.amdhsa_user_sgpr_count 6
		.amdhsa_user_sgpr_private_segment_buffer 1
		.amdhsa_user_sgpr_dispatch_ptr 0
		.amdhsa_user_sgpr_queue_ptr 0
		.amdhsa_user_sgpr_kernarg_segment_ptr 1
		.amdhsa_user_sgpr_dispatch_id 0
		.amdhsa_user_sgpr_flat_scratch_init 0
		.amdhsa_user_sgpr_private_segment_size 0
		.amdhsa_wavefront_size32 1
		.amdhsa_uses_dynamic_stack 0
		.amdhsa_system_sgpr_private_segment_wavefront_offset 0
		.amdhsa_system_sgpr_workgroup_id_x 1
		.amdhsa_system_sgpr_workgroup_id_y 0
		.amdhsa_system_sgpr_workgroup_id_z 0
		.amdhsa_system_sgpr_workgroup_info 0
		.amdhsa_system_vgpr_workitem_id 1
		.amdhsa_next_free_vgpr 40
		.amdhsa_next_free_sgpr 16
		.amdhsa_reserve_vcc 1
		.amdhsa_reserve_flat_scratch 0
		.amdhsa_float_round_mode_32 0
		.amdhsa_float_round_mode_16_64 0
		.amdhsa_float_denorm_mode_32 3
		.amdhsa_float_denorm_mode_16_64 3
		.amdhsa_dx10_clamp 1
		.amdhsa_ieee_mode 1
		.amdhsa_fp16_overflow 0
		.amdhsa_workgroup_processor_mode 1
		.amdhsa_memory_ordered 1
		.amdhsa_forward_progress 1
		.amdhsa_shared_vgpr_count 0
		.amdhsa_exception_fp_ieee_invalid_op 0
		.amdhsa_exception_fp_denorm_src 0
		.amdhsa_exception_fp_ieee_div_zero 0
		.amdhsa_exception_fp_ieee_overflow 0
		.amdhsa_exception_fp_ieee_underflow 0
		.amdhsa_exception_fp_ieee_inexact 0
		.amdhsa_exception_int_div_zero 0
	.end_amdhsa_kernel
	.section	.text._ZN12_GLOBAL__N_120softmax_warp_forwardIN3c104HalfEffLi7ELb0ELb0ELi32EEEvPT0_PKT_iiiPKbib,"axG",@progbits,_ZN12_GLOBAL__N_120softmax_warp_forwardIN3c104HalfEffLi7ELb0ELb0ELi32EEEvPT0_PKT_iiiPKbib,comdat
.Lfunc_end447:
	.size	_ZN12_GLOBAL__N_120softmax_warp_forwardIN3c104HalfEffLi7ELb0ELb0ELi32EEEvPT0_PKT_iiiPKbib, .Lfunc_end447-_ZN12_GLOBAL__N_120softmax_warp_forwardIN3c104HalfEffLi7ELb0ELb0ELi32EEEvPT0_PKT_iiiPKbib
                                        ; -- End function
	.set _ZN12_GLOBAL__N_120softmax_warp_forwardIN3c104HalfEffLi7ELb0ELb0ELi32EEEvPT0_PKT_iiiPKbib.num_vgpr, 40
	.set _ZN12_GLOBAL__N_120softmax_warp_forwardIN3c104HalfEffLi7ELb0ELb0ELi32EEEvPT0_PKT_iiiPKbib.num_agpr, 0
	.set _ZN12_GLOBAL__N_120softmax_warp_forwardIN3c104HalfEffLi7ELb0ELb0ELi32EEEvPT0_PKT_iiiPKbib.numbered_sgpr, 16
	.set _ZN12_GLOBAL__N_120softmax_warp_forwardIN3c104HalfEffLi7ELb0ELb0ELi32EEEvPT0_PKT_iiiPKbib.num_named_barrier, 0
	.set _ZN12_GLOBAL__N_120softmax_warp_forwardIN3c104HalfEffLi7ELb0ELb0ELi32EEEvPT0_PKT_iiiPKbib.private_seg_size, 0
	.set _ZN12_GLOBAL__N_120softmax_warp_forwardIN3c104HalfEffLi7ELb0ELb0ELi32EEEvPT0_PKT_iiiPKbib.uses_vcc, 1
	.set _ZN12_GLOBAL__N_120softmax_warp_forwardIN3c104HalfEffLi7ELb0ELb0ELi32EEEvPT0_PKT_iiiPKbib.uses_flat_scratch, 0
	.set _ZN12_GLOBAL__N_120softmax_warp_forwardIN3c104HalfEffLi7ELb0ELb0ELi32EEEvPT0_PKT_iiiPKbib.has_dyn_sized_stack, 0
	.set _ZN12_GLOBAL__N_120softmax_warp_forwardIN3c104HalfEffLi7ELb0ELb0ELi32EEEvPT0_PKT_iiiPKbib.has_recursion, 0
	.set _ZN12_GLOBAL__N_120softmax_warp_forwardIN3c104HalfEffLi7ELb0ELb0ELi32EEEvPT0_PKT_iiiPKbib.has_indirect_call, 0
	.section	.AMDGPU.csdata,"",@progbits
; Kernel info:
; codeLenInByte = 2976
; TotalNumSgprs: 18
; NumVgprs: 40
; ScratchSize: 0
; MemoryBound: 0
; FloatMode: 240
; IeeeMode: 1
; LDSByteSize: 0 bytes/workgroup (compile time only)
; SGPRBlocks: 0
; VGPRBlocks: 4
; NumSGPRsForWavesPerEU: 18
; NumVGPRsForWavesPerEU: 40
; Occupancy: 16
; WaveLimiterHint : 0
; COMPUTE_PGM_RSRC2:SCRATCH_EN: 0
; COMPUTE_PGM_RSRC2:USER_SGPR: 6
; COMPUTE_PGM_RSRC2:TRAP_HANDLER: 0
; COMPUTE_PGM_RSRC2:TGID_X_EN: 1
; COMPUTE_PGM_RSRC2:TGID_Y_EN: 0
; COMPUTE_PGM_RSRC2:TGID_Z_EN: 0
; COMPUTE_PGM_RSRC2:TIDIG_COMP_CNT: 1
	.section	.text._ZN12_GLOBAL__N_120softmax_warp_forwardIN3c104HalfEffLi8ELb0ELb0ELi64EEEvPT0_PKT_iiiPKbib,"axG",@progbits,_ZN12_GLOBAL__N_120softmax_warp_forwardIN3c104HalfEffLi8ELb0ELb0ELi64EEEvPT0_PKT_iiiPKbib,comdat
	.globl	_ZN12_GLOBAL__N_120softmax_warp_forwardIN3c104HalfEffLi8ELb0ELb0ELi64EEEvPT0_PKT_iiiPKbib ; -- Begin function _ZN12_GLOBAL__N_120softmax_warp_forwardIN3c104HalfEffLi8ELb0ELb0ELi64EEEvPT0_PKT_iiiPKbib
	.p2align	8
	.type	_ZN12_GLOBAL__N_120softmax_warp_forwardIN3c104HalfEffLi8ELb0ELb0ELi64EEEvPT0_PKT_iiiPKbib,@function
_ZN12_GLOBAL__N_120softmax_warp_forwardIN3c104HalfEffLi8ELb0ELb0ELi64EEEvPT0_PKT_iiiPKbib: ; @_ZN12_GLOBAL__N_120softmax_warp_forwardIN3c104HalfEffLi8ELb0ELb0ELi64EEEvPT0_PKT_iiiPKbib
; %bb.0:
	s_clause 0x1
	s_load_dword s0, s[4:5], 0x3c
	s_load_dwordx8 s[8:15], s[4:5], 0x0
	v_mov_b32_e32 v6, 0xff800000
	v_mov_b32_e32 v8, 0xff800000
	s_waitcnt lgkmcnt(0)
	s_lshr_b32 s0, s0, 16
	v_cmp_gt_i32_e32 vcc_lo, s14, v0
	v_mad_u64_u32 v[3:4], null, s6, s0, v[1:2]
	v_mad_u64_u32 v[1:2], null, v3, s13, v[0:1]
	v_sub_nc_u32_e32 v5, s12, v3
	v_cmp_lt_i32_e64 s3, 0, v5
	v_ashrrev_i32_e32 v2, 31, v1
	s_and_b32 s1, s3, vcc_lo
	v_lshlrev_b64 v[3:4], 1, v[1:2]
	v_add_co_u32 v3, s0, s10, v3
	v_add_co_ci_u32_e64 v4, null, s11, v4, s0
	s_and_saveexec_b32 s0, s1
	s_cbranch_execz .LBB448_2
; %bb.1:
	global_load_ushort v7, v[3:4], off
	s_waitcnt vmcnt(0)
	v_cvt_f32_f16_e32 v8, v7
.LBB448_2:
	s_or_b32 exec_lo, exec_lo, s0
	v_add_nc_u32_e32 v7, 64, v0
	v_cmp_gt_i32_e64 s2, s14, v7
	s_and_b32 s1, s3, s2
	s_and_saveexec_b32 s0, s1
	s_cbranch_execz .LBB448_4
; %bb.3:
	global_load_ushort v6, v[3:4], off offset:128
	s_waitcnt vmcnt(0)
	v_cvt_f32_f16_e32 v6, v6
.LBB448_4:
	s_or_b32 exec_lo, exec_lo, s0
	v_add_nc_u32_e32 v7, 0x80, v0
	v_mov_b32_e32 v9, 0xff800000
	v_cmp_gt_i32_e64 s1, s14, v7
	v_mov_b32_e32 v7, 0xff800000
	s_and_b32 s4, s3, s1
	s_and_saveexec_b32 s0, s4
	s_cbranch_execz .LBB448_6
; %bb.5:
	global_load_ushort v9, v[3:4], off offset:256
	s_waitcnt vmcnt(0)
	v_cvt_f32_f16_e32 v9, v9
.LBB448_6:
	s_or_b32 exec_lo, exec_lo, s0
	v_add_nc_u32_e32 v0, 0xc0, v0
	v_cmp_gt_i32_e64 s0, s14, v0
	s_and_b32 s4, s3, s0
	s_and_saveexec_b32 s3, s4
	s_cbranch_execz .LBB448_8
; %bb.7:
	global_load_ushort v0, v[3:4], off offset:384
	s_waitcnt vmcnt(0)
	v_cvt_f32_f16_e32 v7, v0
.LBB448_8:
	s_or_b32 exec_lo, exec_lo, s3
	v_cmp_gt_f32_e64 s3, v8, v6
	v_mbcnt_lo_u32_b32 v0, -1, 0
	s_mov_b32 s4, exec_lo
	v_cndmask_b32_e64 v3, v6, v8, s3
	v_or_b32_e32 v4, 32, v0
	v_xor_b32_e32 v11, 16, v0
	v_xor_b32_e32 v12, 8, v0
	;; [unrolled: 1-line block ×3, first 2 shown]
	v_cmp_gt_f32_e64 s3, v3, v9
	v_xor_b32_e32 v14, 2, v0
	v_xor_b32_e32 v15, 1, v0
	v_cndmask_b32_e64 v3, v9, v3, s3
	v_cmp_gt_i32_e64 s3, 64, v4
	v_cndmask_b32_e64 v4, v0, v4, s3
	v_cmp_gt_f32_e64 s3, v3, v7
	v_lshlrev_b32_e32 v10, 2, v4
	v_cndmask_b32_e64 v3, v7, v3, s3
	v_cmp_gt_i32_e64 s3, 64, v11
	ds_bpermute_b32 v4, v10, v3
	v_cndmask_b32_e64 v11, v0, v11, s3
	v_lshlrev_b32_e32 v11, 2, v11
	s_waitcnt lgkmcnt(0)
	v_cmp_lt_f32_e64 s3, v3, v4
	v_cndmask_b32_e64 v3, v3, v4, s3
	v_cmp_gt_i32_e64 s3, 64, v12
	ds_bpermute_b32 v4, v11, v3
	v_cndmask_b32_e64 v12, v0, v12, s3
	v_lshlrev_b32_e32 v12, 2, v12
	s_waitcnt lgkmcnt(0)
	v_cmp_lt_f32_e64 s3, v3, v4
	;; [unrolled: 7-line block ×5, first 2 shown]
	v_cndmask_b32_e64 v0, v3, v4, s3
	ds_bpermute_b32 v3, v15, v0
	s_waitcnt lgkmcnt(0)
	v_cmp_lt_f32_e64 s3, v0, v3
	v_cndmask_b32_e64 v0, v0, v3, s3
	v_sub_f32_e32 v3, v8, v0
	v_sub_f32_e32 v4, v6, v0
	;; [unrolled: 1-line block ×4, first 2 shown]
	v_mul_f32_e32 v0, 0x3fb8aa3b, v3
	v_mul_f32_e32 v6, 0x3fb8aa3b, v4
	v_mul_f32_e32 v9, 0x3fb8aa3b, v8
	v_mul_f32_e32 v16, 0x3fb8aa3b, v7
	v_cmp_ngt_f32_e64 s3, 0xc2ce8ed0, v3
	v_fma_f32 v17, 0x3fb8aa3b, v3, -v0
	v_rndne_f32_e32 v18, v0
	v_fma_f32 v19, 0x3fb8aa3b, v4, -v6
	v_rndne_f32_e32 v20, v6
	v_fma_f32 v21, 0x3fb8aa3b, v8, -v9
	v_fmac_f32_e32 v17, 0x32a5705f, v3
	v_sub_f32_e32 v0, v0, v18
	v_rndne_f32_e32 v22, v9
	v_fmac_f32_e32 v19, 0x32a5705f, v4
	v_sub_f32_e32 v6, v6, v20
	v_fmac_f32_e32 v21, 0x32a5705f, v8
	v_add_f32_e32 v0, v0, v17
	v_sub_f32_e32 v9, v9, v22
	v_cvt_i32_f32_e32 v18, v18
	v_add_f32_e32 v6, v6, v19
	v_cvt_i32_f32_e32 v19, v20
	v_exp_f32_e32 v0, v0
	v_add_f32_e32 v9, v9, v21
	v_fma_f32 v23, 0x3fb8aa3b, v7, -v16
	v_exp_f32_e32 v6, v6
	v_rndne_f32_e32 v17, v16
	v_cvt_i32_f32_e32 v20, v22
	v_exp_f32_e32 v9, v9
	v_fmac_f32_e32 v23, 0x32a5705f, v7
	v_sub_f32_e32 v16, v16, v17
	v_ldexp_f32 v0, v0, v18
	v_cvt_i32_f32_e32 v17, v17
	v_ldexp_f32 v6, v6, v19
	v_add_f32_e32 v16, v16, v23
	v_cndmask_b32_e64 v0, 0, v0, s3
	v_cmp_ngt_f32_e64 s3, 0xc2ce8ed0, v4
	v_ldexp_f32 v9, v9, v20
	v_exp_f32_e32 v16, v16
	v_cndmask_b32_e64 v6, 0, v6, s3
	v_cmp_ngt_f32_e64 s3, 0xc2ce8ed0, v8
	v_cndmask_b32_e64 v9, 0, v9, s3
	v_cmp_nlt_f32_e64 s3, 0x42b17218, v3
	v_ldexp_f32 v3, v16, v17
	v_cndmask_b32_e64 v0, 0x7f800000, v0, s3
	v_cmp_nlt_f32_e64 s3, 0x42b17218, v4
	v_cndmask_b32_e64 v6, 0x7f800000, v6, s3
	v_cmp_nlt_f32_e64 s3, 0x42b17218, v8
	v_add_f32_e32 v8, v0, v6
	v_cndmask_b32_e64 v4, 0x7f800000, v9, s3
	v_cmp_ngt_f32_e64 s3, 0xc2ce8ed0, v7
	v_add_f32_e32 v8, v8, v4
	v_cndmask_b32_e64 v3, 0, v3, s3
	v_cmp_nlt_f32_e64 s3, 0x42b17218, v7
	v_cndmask_b32_e64 v3, 0x7f800000, v3, s3
	v_add_f32_e32 v7, v8, v3
	ds_bpermute_b32 v8, v10, v7
	s_waitcnt lgkmcnt(0)
	v_add_f32_e32 v7, v7, v8
	ds_bpermute_b32 v8, v11, v7
	s_waitcnt lgkmcnt(0)
	;; [unrolled: 3-line block ×5, first 2 shown]
	v_add_f32_e32 v7, v7, v8
	ds_bpermute_b32 v8, v15, v7
	v_cmpx_lt_i32_e32 0, v5
	s_cbranch_execz .LBB448_14
; %bb.9:
	s_and_b32 exec_lo, exec_lo, vcc_lo
	s_cbranch_execz .LBB448_14
; %bb.10:
	s_waitcnt lgkmcnt(0)
	v_add_f32_e32 v5, v7, v8
	v_lshlrev_b64 v[1:2], 2, v[1:2]
	v_div_scale_f32 v7, null, v5, v5, v0
	v_div_scale_f32 v10, vcc_lo, v0, v5, v0
	v_cmp_eq_f32_e64 s3, 0, v5
	v_rcp_f32_e32 v8, v7
	v_fma_f32 v9, -v7, v8, 1.0
	v_fmac_f32_e32 v8, v9, v8
	v_mul_f32_e32 v9, v10, v8
	v_fma_f32 v11, -v7, v9, v10
	v_fmac_f32_e32 v9, v11, v8
	v_fma_f32 v7, -v7, v9, v10
	v_div_fmas_f32 v7, v7, v8, v9
	v_div_fixup_f32 v7, v7, v5, v0
	v_add_co_u32 v0, vcc_lo, s8, v1
	v_add_co_ci_u32_e64 v1, null, s9, v2, vcc_lo
	v_cndmask_b32_e64 v2, v7, 0x7fc00000, s3
	global_store_dword v[0:1], v2, off
	s_and_b32 exec_lo, exec_lo, s2
	s_cbranch_execz .LBB448_14
; %bb.11:
	v_div_scale_f32 v2, null, v5, v5, v6
	v_rcp_f32_e32 v7, v2
	v_fma_f32 v8, -v2, v7, 1.0
	v_fmac_f32_e32 v7, v8, v7
	v_div_scale_f32 v8, vcc_lo, v6, v5, v6
	v_mul_f32_e32 v9, v8, v7
	v_fma_f32 v10, -v2, v9, v8
	v_fmac_f32_e32 v9, v10, v7
	v_fma_f32 v2, -v2, v9, v8
	v_div_fmas_f32 v2, v2, v7, v9
	v_div_fixup_f32 v2, v2, v5, v6
	v_cndmask_b32_e64 v2, v2, 0x7fc00000, s3
	global_store_dword v[0:1], v2, off offset:256
	s_and_b32 exec_lo, exec_lo, s1
	s_cbranch_execz .LBB448_14
; %bb.12:
	v_div_scale_f32 v2, null, v5, v5, v4
	v_rcp_f32_e32 v6, v2
	v_fma_f32 v7, -v2, v6, 1.0
	v_fmac_f32_e32 v6, v7, v6
	v_div_scale_f32 v7, vcc_lo, v4, v5, v4
	v_mul_f32_e32 v8, v7, v6
	v_fma_f32 v9, -v2, v8, v7
	v_fmac_f32_e32 v8, v9, v6
	v_fma_f32 v2, -v2, v8, v7
	v_div_fmas_f32 v2, v2, v6, v8
	v_div_fixup_f32 v2, v2, v5, v4
	v_cndmask_b32_e64 v2, v2, 0x7fc00000, s3
	global_store_dword v[0:1], v2, off offset:512
	;; [unrolled: 16-line block ×3, first 2 shown]
.LBB448_14:
	s_endpgm
	.section	.rodata,"a",@progbits
	.p2align	6, 0x0
	.amdhsa_kernel _ZN12_GLOBAL__N_120softmax_warp_forwardIN3c104HalfEffLi8ELb0ELb0ELi64EEEvPT0_PKT_iiiPKbib
		.amdhsa_group_segment_fixed_size 0
		.amdhsa_private_segment_fixed_size 0
		.amdhsa_kernarg_size 304
		.amdhsa_user_sgpr_count 6
		.amdhsa_user_sgpr_private_segment_buffer 1
		.amdhsa_user_sgpr_dispatch_ptr 0
		.amdhsa_user_sgpr_queue_ptr 0
		.amdhsa_user_sgpr_kernarg_segment_ptr 1
		.amdhsa_user_sgpr_dispatch_id 0
		.amdhsa_user_sgpr_flat_scratch_init 0
		.amdhsa_user_sgpr_private_segment_size 0
		.amdhsa_wavefront_size32 1
		.amdhsa_uses_dynamic_stack 0
		.amdhsa_system_sgpr_private_segment_wavefront_offset 0
		.amdhsa_system_sgpr_workgroup_id_x 1
		.amdhsa_system_sgpr_workgroup_id_y 0
		.amdhsa_system_sgpr_workgroup_id_z 0
		.amdhsa_system_sgpr_workgroup_info 0
		.amdhsa_system_vgpr_workitem_id 1
		.amdhsa_next_free_vgpr 24
		.amdhsa_next_free_sgpr 16
		.amdhsa_reserve_vcc 1
		.amdhsa_reserve_flat_scratch 0
		.amdhsa_float_round_mode_32 0
		.amdhsa_float_round_mode_16_64 0
		.amdhsa_float_denorm_mode_32 3
		.amdhsa_float_denorm_mode_16_64 3
		.amdhsa_dx10_clamp 1
		.amdhsa_ieee_mode 1
		.amdhsa_fp16_overflow 0
		.amdhsa_workgroup_processor_mode 1
		.amdhsa_memory_ordered 1
		.amdhsa_forward_progress 1
		.amdhsa_shared_vgpr_count 0
		.amdhsa_exception_fp_ieee_invalid_op 0
		.amdhsa_exception_fp_denorm_src 0
		.amdhsa_exception_fp_ieee_div_zero 0
		.amdhsa_exception_fp_ieee_overflow 0
		.amdhsa_exception_fp_ieee_underflow 0
		.amdhsa_exception_fp_ieee_inexact 0
		.amdhsa_exception_int_div_zero 0
	.end_amdhsa_kernel
	.section	.text._ZN12_GLOBAL__N_120softmax_warp_forwardIN3c104HalfEffLi8ELb0ELb0ELi64EEEvPT0_PKT_iiiPKbib,"axG",@progbits,_ZN12_GLOBAL__N_120softmax_warp_forwardIN3c104HalfEffLi8ELb0ELb0ELi64EEEvPT0_PKT_iiiPKbib,comdat
.Lfunc_end448:
	.size	_ZN12_GLOBAL__N_120softmax_warp_forwardIN3c104HalfEffLi8ELb0ELb0ELi64EEEvPT0_PKT_iiiPKbib, .Lfunc_end448-_ZN12_GLOBAL__N_120softmax_warp_forwardIN3c104HalfEffLi8ELb0ELb0ELi64EEEvPT0_PKT_iiiPKbib
                                        ; -- End function
	.set _ZN12_GLOBAL__N_120softmax_warp_forwardIN3c104HalfEffLi8ELb0ELb0ELi64EEEvPT0_PKT_iiiPKbib.num_vgpr, 24
	.set _ZN12_GLOBAL__N_120softmax_warp_forwardIN3c104HalfEffLi8ELb0ELb0ELi64EEEvPT0_PKT_iiiPKbib.num_agpr, 0
	.set _ZN12_GLOBAL__N_120softmax_warp_forwardIN3c104HalfEffLi8ELb0ELb0ELi64EEEvPT0_PKT_iiiPKbib.numbered_sgpr, 16
	.set _ZN12_GLOBAL__N_120softmax_warp_forwardIN3c104HalfEffLi8ELb0ELb0ELi64EEEvPT0_PKT_iiiPKbib.num_named_barrier, 0
	.set _ZN12_GLOBAL__N_120softmax_warp_forwardIN3c104HalfEffLi8ELb0ELb0ELi64EEEvPT0_PKT_iiiPKbib.private_seg_size, 0
	.set _ZN12_GLOBAL__N_120softmax_warp_forwardIN3c104HalfEffLi8ELb0ELb0ELi64EEEvPT0_PKT_iiiPKbib.uses_vcc, 1
	.set _ZN12_GLOBAL__N_120softmax_warp_forwardIN3c104HalfEffLi8ELb0ELb0ELi64EEEvPT0_PKT_iiiPKbib.uses_flat_scratch, 0
	.set _ZN12_GLOBAL__N_120softmax_warp_forwardIN3c104HalfEffLi8ELb0ELb0ELi64EEEvPT0_PKT_iiiPKbib.has_dyn_sized_stack, 0
	.set _ZN12_GLOBAL__N_120softmax_warp_forwardIN3c104HalfEffLi8ELb0ELb0ELi64EEEvPT0_PKT_iiiPKbib.has_recursion, 0
	.set _ZN12_GLOBAL__N_120softmax_warp_forwardIN3c104HalfEffLi8ELb0ELb0ELi64EEEvPT0_PKT_iiiPKbib.has_indirect_call, 0
	.section	.AMDGPU.csdata,"",@progbits
; Kernel info:
; codeLenInByte = 1632
; TotalNumSgprs: 18
; NumVgprs: 24
; ScratchSize: 0
; MemoryBound: 0
; FloatMode: 240
; IeeeMode: 1
; LDSByteSize: 0 bytes/workgroup (compile time only)
; SGPRBlocks: 0
; VGPRBlocks: 2
; NumSGPRsForWavesPerEU: 18
; NumVGPRsForWavesPerEU: 24
; Occupancy: 16
; WaveLimiterHint : 0
; COMPUTE_PGM_RSRC2:SCRATCH_EN: 0
; COMPUTE_PGM_RSRC2:USER_SGPR: 6
; COMPUTE_PGM_RSRC2:TRAP_HANDLER: 0
; COMPUTE_PGM_RSRC2:TGID_X_EN: 1
; COMPUTE_PGM_RSRC2:TGID_Y_EN: 0
; COMPUTE_PGM_RSRC2:TGID_Z_EN: 0
; COMPUTE_PGM_RSRC2:TIDIG_COMP_CNT: 1
	.section	.text._ZN12_GLOBAL__N_120softmax_warp_forwardIN3c104HalfEffLi8ELb0ELb0ELi32EEEvPT0_PKT_iiiPKbib,"axG",@progbits,_ZN12_GLOBAL__N_120softmax_warp_forwardIN3c104HalfEffLi8ELb0ELb0ELi32EEEvPT0_PKT_iiiPKbib,comdat
	.globl	_ZN12_GLOBAL__N_120softmax_warp_forwardIN3c104HalfEffLi8ELb0ELb0ELi32EEEvPT0_PKT_iiiPKbib ; -- Begin function _ZN12_GLOBAL__N_120softmax_warp_forwardIN3c104HalfEffLi8ELb0ELb0ELi32EEEvPT0_PKT_iiiPKbib
	.p2align	8
	.type	_ZN12_GLOBAL__N_120softmax_warp_forwardIN3c104HalfEffLi8ELb0ELb0ELi32EEEvPT0_PKT_iiiPKbib,@function
_ZN12_GLOBAL__N_120softmax_warp_forwardIN3c104HalfEffLi8ELb0ELb0ELi32EEEvPT0_PKT_iiiPKbib: ; @_ZN12_GLOBAL__N_120softmax_warp_forwardIN3c104HalfEffLi8ELb0ELb0ELi32EEEvPT0_PKT_iiiPKbib
; %bb.0:
	s_clause 0x1
	s_load_dword s0, s[4:5], 0x3c
	s_load_dwordx8 s[8:15], s[4:5], 0x0
	v_mov_b32_e32 v6, 0xff800000
	v_mov_b32_e32 v10, 0xff800000
	s_waitcnt lgkmcnt(0)
	s_lshr_b32 s0, s0, 16
	v_cmp_gt_i32_e32 vcc_lo, s14, v0
	v_mad_u64_u32 v[3:4], null, s6, s0, v[1:2]
	v_mad_u64_u32 v[1:2], null, v3, s13, v[0:1]
	v_sub_nc_u32_e32 v5, s12, v3
	v_cmp_lt_i32_e64 s7, 0, v5
	v_ashrrev_i32_e32 v2, 31, v1
	s_and_b32 s1, s7, vcc_lo
	v_lshlrev_b64 v[3:4], 1, v[1:2]
	v_add_co_u32 v3, s0, s10, v3
	v_add_co_ci_u32_e64 v4, null, s11, v4, s0
	s_and_saveexec_b32 s0, s1
	s_cbranch_execz .LBB449_2
; %bb.1:
	global_load_ushort v7, v[3:4], off
	s_waitcnt vmcnt(0)
	v_cvt_f32_f16_e32 v10, v7
.LBB449_2:
	s_or_b32 exec_lo, exec_lo, s0
	v_add_nc_u32_e32 v7, 32, v0
	v_cmp_gt_i32_e64 s6, s14, v7
	s_and_b32 s1, s7, s6
	s_and_saveexec_b32 s0, s1
	s_cbranch_execz .LBB449_4
; %bb.3:
	global_load_ushort v6, v[3:4], off offset:64
	s_waitcnt vmcnt(0)
	v_cvt_f32_f16_e32 v6, v6
.LBB449_4:
	s_or_b32 exec_lo, exec_lo, s0
	v_add_nc_u32_e32 v7, 64, v0
	v_mov_b32_e32 v11, 0xff800000
	v_cmp_gt_i32_e64 s5, s14, v7
	v_mov_b32_e32 v7, 0xff800000
	s_and_b32 s1, s7, s5
	s_and_saveexec_b32 s0, s1
	s_cbranch_execz .LBB449_6
; %bb.5:
	global_load_ushort v8, v[3:4], off offset:128
	s_waitcnt vmcnt(0)
	v_cvt_f32_f16_e32 v11, v8
.LBB449_6:
	s_or_b32 exec_lo, exec_lo, s0
	v_add_nc_u32_e32 v8, 0x60, v0
	v_cmp_gt_i32_e64 s4, s14, v8
	s_and_b32 s1, s7, s4
	s_and_saveexec_b32 s0, s1
	s_cbranch_execz .LBB449_8
; %bb.7:
	global_load_ushort v7, v[3:4], off offset:192
	s_waitcnt vmcnt(0)
	v_cvt_f32_f16_e32 v7, v7
.LBB449_8:
	s_or_b32 exec_lo, exec_lo, s0
	v_add_nc_u32_e32 v8, 0x80, v0
	v_mov_b32_e32 v12, 0xff800000
	v_cmp_gt_i32_e64 s3, s14, v8
	v_mov_b32_e32 v8, 0xff800000
	s_and_b32 s1, s7, s3
	s_and_saveexec_b32 s0, s1
	s_cbranch_execz .LBB449_10
; %bb.9:
	global_load_ushort v9, v[3:4], off offset:256
	s_waitcnt vmcnt(0)
	v_cvt_f32_f16_e32 v12, v9
.LBB449_10:
	;; [unrolled: 24-line block ×3, first 2 shown]
	s_or_b32 exec_lo, exec_lo, s0
	v_add_nc_u32_e32 v0, 0xe0, v0
	v_cmp_gt_i32_e64 s0, s14, v0
	s_and_b32 s10, s7, s0
	s_and_saveexec_b32 s7, s10
	s_cbranch_execz .LBB449_16
; %bb.15:
	global_load_ushort v0, v[3:4], off offset:448
	s_waitcnt vmcnt(0)
	v_cvt_f32_f16_e32 v9, v0
.LBB449_16:
	s_or_b32 exec_lo, exec_lo, s7
	v_cmp_gt_f32_e64 s7, v10, v6
	v_mbcnt_lo_u32_b32 v4, -1, 0
	s_mov_b32 s10, exec_lo
	v_cndmask_b32_e64 v0, v6, v10, s7
	v_xor_b32_e32 v3, 16, v4
	v_xor_b32_e32 v16, 4, v4
	;; [unrolled: 1-line block ×4, first 2 shown]
	v_cmp_gt_f32_e64 s7, v0, v11
	v_cndmask_b32_e64 v0, v11, v0, s7
	v_cmp_gt_f32_e64 s7, v0, v7
	v_cndmask_b32_e64 v0, v7, v0, s7
	;; [unrolled: 2-line block ×4, first 2 shown]
	v_cmp_gt_i32_e64 s7, 32, v3
	v_cndmask_b32_e64 v3, v4, v3, s7
	v_cmp_gt_f32_e64 s7, v0, v13
	v_cndmask_b32_e64 v14, v13, v0, s7
	v_lshlrev_b32_e32 v0, 2, v3
	v_xor_b32_e32 v3, 8, v4
	v_cmp_gt_f32_e64 s7, v14, v9
	v_cndmask_b32_e64 v14, v9, v14, s7
	v_cmp_gt_i32_e64 s7, 32, v3
	ds_bpermute_b32 v15, v0, v14
	v_cndmask_b32_e64 v3, v4, v3, s7
	v_lshlrev_b32_e32 v3, 2, v3
	s_waitcnt lgkmcnt(0)
	v_cmp_lt_f32_e64 s7, v14, v15
	v_cndmask_b32_e64 v14, v14, v15, s7
	v_cmp_gt_i32_e64 s7, 32, v16
	ds_bpermute_b32 v15, v3, v14
	v_cndmask_b32_e64 v16, v4, v16, s7
	v_lshlrev_b32_e32 v16, 2, v16
	s_waitcnt lgkmcnt(0)
	v_cmp_lt_f32_e64 s7, v14, v15
	;; [unrolled: 7-line block ×4, first 2 shown]
	v_cndmask_b32_e64 v4, v14, v15, s7
	ds_bpermute_b32 v14, v18, v4
	s_waitcnt lgkmcnt(0)
	v_cmp_lt_f32_e64 s7, v4, v14
	v_cndmask_b32_e64 v4, v4, v14, s7
	v_sub_f32_e32 v10, v10, v4
	v_sub_f32_e32 v6, v6, v4
	;; [unrolled: 1-line block ×5, first 2 shown]
	v_mul_f32_e32 v8, 0x3fb8aa3b, v10
	v_sub_f32_e32 v15, v12, v4
	v_sub_f32_e32 v13, v13, v4
	v_sub_f32_e32 v4, v9, v4
	v_mul_f32_e32 v9, 0x3fb8aa3b, v6
	v_fma_f32 v24, 0x3fb8aa3b, v10, -v8
	v_rndne_f32_e32 v25, v8
	v_mul_f32_e32 v11, 0x3fb8aa3b, v14
	v_mul_f32_e32 v22, 0x3fb8aa3b, v13
	v_fma_f32 v26, 0x3fb8aa3b, v6, -v9
	v_rndne_f32_e32 v27, v9
	v_fmac_f32_e32 v24, 0x32a5705f, v10
	v_sub_f32_e32 v8, v8, v25
	v_fma_f32 v28, 0x3fb8aa3b, v14, -v11
	v_rndne_f32_e32 v29, v11
	v_fmac_f32_e32 v26, 0x32a5705f, v6
	v_sub_f32_e32 v9, v9, v27
	v_add_f32_e32 v8, v8, v24
	v_mul_f32_e32 v12, 0x3fb8aa3b, v7
	v_fma_f32 v36, 0x3fb8aa3b, v13, -v22
	v_rndne_f32_e32 v37, v22
	v_fmac_f32_e32 v28, 0x32a5705f, v14
	v_sub_f32_e32 v11, v11, v29
	v_add_f32_e32 v9, v9, v26
	v_exp_f32_e32 v8, v8
	v_fma_f32 v30, 0x3fb8aa3b, v7, -v12
	v_rndne_f32_e32 v31, v12
	v_cvt_i32_f32_e32 v25, v25
	v_fmac_f32_e32 v36, 0x32a5705f, v13
	v_sub_f32_e32 v22, v22, v37
	v_add_f32_e32 v11, v11, v28
	v_exp_f32_e32 v9, v9
	v_cvt_i32_f32_e32 v27, v27
	v_fmac_f32_e32 v30, 0x32a5705f, v7
	v_sub_f32_e32 v12, v12, v31
	v_add_f32_e32 v22, v22, v36
	v_exp_f32_e32 v11, v11
	v_ldexp_f32 v8, v8, v25
	v_cmp_ngt_f32_e64 s7, 0xc2ce8ed0, v10
	v_mul_f32_e32 v20, 0x3fb8aa3b, v15
	v_cvt_i32_f32_e32 v29, v29
	v_add_f32_e32 v12, v12, v30
	v_exp_f32_e32 v22, v22
	v_ldexp_f32 v9, v9, v27
	v_cndmask_b32_e64 v8, 0, v8, s7
	v_cmp_ngt_f32_e64 s7, 0xc2ce8ed0, v6
	v_fma_f32 v32, 0x3fb8aa3b, v15, -v20
	v_rndne_f32_e32 v33, v20
	v_exp_f32_e32 v12, v12
	v_cvt_i32_f32_e32 v24, v37
	v_ldexp_f32 v11, v11, v29
	v_cndmask_b32_e64 v9, 0, v9, s7
	v_cmp_ngt_f32_e64 s7, 0xc2ce8ed0, v14
	v_mul_f32_e32 v21, 0x3fb8aa3b, v19
	v_cvt_i32_f32_e32 v31, v31
	v_fmac_f32_e32 v32, 0x32a5705f, v15
	v_sub_f32_e32 v20, v20, v33
	v_ldexp_f32 v22, v22, v24
	v_cndmask_b32_e64 v24, 0, v11, s7
	v_cmp_nlt_f32_e64 s7, 0x42b17218, v10
	v_fma_f32 v34, 0x3fb8aa3b, v19, -v21
	v_rndne_f32_e32 v35, v21
	v_add_f32_e32 v20, v20, v32
	v_ldexp_f32 v25, v12, v31
	v_cndmask_b32_e64 v12, 0x7f800000, v8, s7
	v_cmp_nlt_f32_e64 s7, 0x42b17218, v6
	v_fmac_f32_e32 v34, 0x32a5705f, v19
	v_sub_f32_e32 v21, v21, v35
	v_exp_f32_e32 v20, v20
	v_cvt_i32_f32_e32 v33, v33
	v_cndmask_b32_e64 v11, 0x7f800000, v9, s7
	v_cmp_ngt_f32_e64 s7, 0xc2ce8ed0, v7
	v_add_f32_e32 v21, v21, v34
	v_mul_f32_e32 v23, 0x3fb8aa3b, v4
	v_cvt_i32_f32_e32 v35, v35
	v_add_f32_e32 v8, v12, v11
	v_cndmask_b32_e64 v6, 0, v25, s7
	v_cmp_nlt_f32_e64 s7, 0x42b17218, v14
	v_exp_f32_e32 v21, v21
	v_ldexp_f32 v20, v20, v33
	v_fma_f32 v38, 0x3fb8aa3b, v4, -v23
	v_rndne_f32_e32 v39, v23
	v_cndmask_b32_e64 v10, 0x7f800000, v24, s7
	v_cmp_ngt_f32_e64 s7, 0xc2ce8ed0, v15
	v_fmac_f32_e32 v38, 0x32a5705f, v4
	v_sub_f32_e32 v23, v23, v39
	v_cvt_i32_f32_e32 v26, v39
	v_cndmask_b32_e64 v14, 0, v20, s7
	v_cmp_nlt_f32_e64 s7, 0x42b17218, v7
	v_ldexp_f32 v21, v21, v35
	v_add_f32_e32 v23, v23, v38
	v_cndmask_b32_e64 v9, 0x7f800000, v6, s7
	v_cmp_ngt_f32_e64 s7, 0xc2ce8ed0, v19
	v_add_f32_e32 v6, v8, v10
	v_exp_f32_e32 v23, v23
	v_cndmask_b32_e64 v7, 0, v21, s7
	v_cmp_nlt_f32_e64 s7, 0x42b17218, v15
	v_add_f32_e32 v6, v6, v9
	v_cndmask_b32_e64 v8, 0x7f800000, v14, s7
	v_cmp_ngt_f32_e64 s7, 0xc2ce8ed0, v13
	v_add_f32_e32 v15, v6, v8
	v_cndmask_b32_e64 v14, 0, v22, s7
	v_cmp_nlt_f32_e64 s7, 0x42b17218, v19
	v_ldexp_f32 v19, v23, v26
	v_cndmask_b32_e64 v7, 0x7f800000, v7, s7
	v_cmp_nlt_f32_e64 s7, 0x42b17218, v13
	v_add_f32_e32 v13, v15, v7
	v_cndmask_b32_e64 v6, 0x7f800000, v14, s7
	v_cmp_ngt_f32_e64 s7, 0xc2ce8ed0, v4
	v_add_f32_e32 v13, v13, v6
	v_cndmask_b32_e64 v14, 0, v19, s7
	v_cmp_nlt_f32_e64 s7, 0x42b17218, v4
	v_cndmask_b32_e64 v4, 0x7f800000, v14, s7
	v_add_f32_e32 v13, v13, v4
	ds_bpermute_b32 v0, v0, v13
	s_waitcnt lgkmcnt(0)
	v_add_f32_e32 v0, v13, v0
	ds_bpermute_b32 v3, v3, v0
	s_waitcnt lgkmcnt(0)
	;; [unrolled: 3-line block ×4, first 2 shown]
	v_add_f32_e32 v0, v0, v3
	ds_bpermute_b32 v3, v18, v0
	v_cmpx_lt_i32_e32 0, v5
	s_cbranch_execz .LBB449_26
; %bb.17:
	s_and_b32 exec_lo, exec_lo, vcc_lo
	s_cbranch_execz .LBB449_26
; %bb.18:
	s_waitcnt lgkmcnt(0)
	v_add_f32_e32 v3, v0, v3
	v_div_scale_f32 v0, null, v3, v3, v12
	v_div_scale_f32 v14, vcc_lo, v12, v3, v12
	v_cmp_eq_f32_e64 s7, 0, v3
	v_rcp_f32_e32 v5, v0
	v_fma_f32 v13, -v0, v5, 1.0
	v_fmac_f32_e32 v5, v13, v5
	v_mul_f32_e32 v13, v14, v5
	v_fma_f32 v15, -v0, v13, v14
	v_fmac_f32_e32 v13, v15, v5
	v_fma_f32 v0, -v0, v13, v14
	v_div_fmas_f32 v5, v0, v5, v13
	v_lshlrev_b64 v[0:1], 2, v[1:2]
	v_div_fixup_f32 v2, v5, v3, v12
	v_add_co_u32 v0, vcc_lo, s8, v0
	v_add_co_ci_u32_e64 v1, null, s9, v1, vcc_lo
	v_cndmask_b32_e64 v2, v2, 0x7fc00000, s7
	global_store_dword v[0:1], v2, off
	s_and_b32 exec_lo, exec_lo, s6
	s_cbranch_execz .LBB449_26
; %bb.19:
	v_div_scale_f32 v2, null, v3, v3, v11
	v_rcp_f32_e32 v5, v2
	v_fma_f32 v12, -v2, v5, 1.0
	v_fmac_f32_e32 v5, v12, v5
	v_div_scale_f32 v12, vcc_lo, v11, v3, v11
	v_mul_f32_e32 v13, v12, v5
	v_fma_f32 v14, -v2, v13, v12
	v_fmac_f32_e32 v13, v14, v5
	v_fma_f32 v2, -v2, v13, v12
	v_div_fmas_f32 v2, v2, v5, v13
	v_div_fixup_f32 v2, v2, v3, v11
	v_cndmask_b32_e64 v2, v2, 0x7fc00000, s7
	global_store_dword v[0:1], v2, off offset:128
	s_and_b32 exec_lo, exec_lo, s5
	s_cbranch_execz .LBB449_26
; %bb.20:
	v_div_scale_f32 v2, null, v3, v3, v10
	v_rcp_f32_e32 v5, v2
	v_fma_f32 v11, -v2, v5, 1.0
	v_fmac_f32_e32 v5, v11, v5
	v_div_scale_f32 v11, vcc_lo, v10, v3, v10
	v_mul_f32_e32 v12, v11, v5
	v_fma_f32 v13, -v2, v12, v11
	v_fmac_f32_e32 v12, v13, v5
	v_fma_f32 v2, -v2, v12, v11
	v_div_fmas_f32 v2, v2, v5, v12
	v_div_fixup_f32 v2, v2, v3, v10
	v_cndmask_b32_e64 v2, v2, 0x7fc00000, s7
	global_store_dword v[0:1], v2, off offset:256
	;; [unrolled: 16-line block ×7, first 2 shown]
.LBB449_26:
	s_endpgm
	.section	.rodata,"a",@progbits
	.p2align	6, 0x0
	.amdhsa_kernel _ZN12_GLOBAL__N_120softmax_warp_forwardIN3c104HalfEffLi8ELb0ELb0ELi32EEEvPT0_PKT_iiiPKbib
		.amdhsa_group_segment_fixed_size 0
		.amdhsa_private_segment_fixed_size 0
		.amdhsa_kernarg_size 304
		.amdhsa_user_sgpr_count 6
		.amdhsa_user_sgpr_private_segment_buffer 1
		.amdhsa_user_sgpr_dispatch_ptr 0
		.amdhsa_user_sgpr_queue_ptr 0
		.amdhsa_user_sgpr_kernarg_segment_ptr 1
		.amdhsa_user_sgpr_dispatch_id 0
		.amdhsa_user_sgpr_flat_scratch_init 0
		.amdhsa_user_sgpr_private_segment_size 0
		.amdhsa_wavefront_size32 1
		.amdhsa_uses_dynamic_stack 0
		.amdhsa_system_sgpr_private_segment_wavefront_offset 0
		.amdhsa_system_sgpr_workgroup_id_x 1
		.amdhsa_system_sgpr_workgroup_id_y 0
		.amdhsa_system_sgpr_workgroup_id_z 0
		.amdhsa_system_sgpr_workgroup_info 0
		.amdhsa_system_vgpr_workitem_id 1
		.amdhsa_next_free_vgpr 40
		.amdhsa_next_free_sgpr 16
		.amdhsa_reserve_vcc 1
		.amdhsa_reserve_flat_scratch 0
		.amdhsa_float_round_mode_32 0
		.amdhsa_float_round_mode_16_64 0
		.amdhsa_float_denorm_mode_32 3
		.amdhsa_float_denorm_mode_16_64 3
		.amdhsa_dx10_clamp 1
		.amdhsa_ieee_mode 1
		.amdhsa_fp16_overflow 0
		.amdhsa_workgroup_processor_mode 1
		.amdhsa_memory_ordered 1
		.amdhsa_forward_progress 1
		.amdhsa_shared_vgpr_count 0
		.amdhsa_exception_fp_ieee_invalid_op 0
		.amdhsa_exception_fp_denorm_src 0
		.amdhsa_exception_fp_ieee_div_zero 0
		.amdhsa_exception_fp_ieee_overflow 0
		.amdhsa_exception_fp_ieee_underflow 0
		.amdhsa_exception_fp_ieee_inexact 0
		.amdhsa_exception_int_div_zero 0
	.end_amdhsa_kernel
	.section	.text._ZN12_GLOBAL__N_120softmax_warp_forwardIN3c104HalfEffLi8ELb0ELb0ELi32EEEvPT0_PKT_iiiPKbib,"axG",@progbits,_ZN12_GLOBAL__N_120softmax_warp_forwardIN3c104HalfEffLi8ELb0ELb0ELi32EEEvPT0_PKT_iiiPKbib,comdat
.Lfunc_end449:
	.size	_ZN12_GLOBAL__N_120softmax_warp_forwardIN3c104HalfEffLi8ELb0ELb0ELi32EEEvPT0_PKT_iiiPKbib, .Lfunc_end449-_ZN12_GLOBAL__N_120softmax_warp_forwardIN3c104HalfEffLi8ELb0ELb0ELi32EEEvPT0_PKT_iiiPKbib
                                        ; -- End function
	.set _ZN12_GLOBAL__N_120softmax_warp_forwardIN3c104HalfEffLi8ELb0ELb0ELi32EEEvPT0_PKT_iiiPKbib.num_vgpr, 40
	.set _ZN12_GLOBAL__N_120softmax_warp_forwardIN3c104HalfEffLi8ELb0ELb0ELi32EEEvPT0_PKT_iiiPKbib.num_agpr, 0
	.set _ZN12_GLOBAL__N_120softmax_warp_forwardIN3c104HalfEffLi8ELb0ELb0ELi32EEEvPT0_PKT_iiiPKbib.numbered_sgpr, 16
	.set _ZN12_GLOBAL__N_120softmax_warp_forwardIN3c104HalfEffLi8ELb0ELb0ELi32EEEvPT0_PKT_iiiPKbib.num_named_barrier, 0
	.set _ZN12_GLOBAL__N_120softmax_warp_forwardIN3c104HalfEffLi8ELb0ELb0ELi32EEEvPT0_PKT_iiiPKbib.private_seg_size, 0
	.set _ZN12_GLOBAL__N_120softmax_warp_forwardIN3c104HalfEffLi8ELb0ELb0ELi32EEEvPT0_PKT_iiiPKbib.uses_vcc, 1
	.set _ZN12_GLOBAL__N_120softmax_warp_forwardIN3c104HalfEffLi8ELb0ELb0ELi32EEEvPT0_PKT_iiiPKbib.uses_flat_scratch, 0
	.set _ZN12_GLOBAL__N_120softmax_warp_forwardIN3c104HalfEffLi8ELb0ELb0ELi32EEEvPT0_PKT_iiiPKbib.has_dyn_sized_stack, 0
	.set _ZN12_GLOBAL__N_120softmax_warp_forwardIN3c104HalfEffLi8ELb0ELb0ELi32EEEvPT0_PKT_iiiPKbib.has_recursion, 0
	.set _ZN12_GLOBAL__N_120softmax_warp_forwardIN3c104HalfEffLi8ELb0ELb0ELi32EEEvPT0_PKT_iiiPKbib.has_indirect_call, 0
	.section	.AMDGPU.csdata,"",@progbits
; Kernel info:
; codeLenInByte = 2680
; TotalNumSgprs: 18
; NumVgprs: 40
; ScratchSize: 0
; MemoryBound: 0
; FloatMode: 240
; IeeeMode: 1
; LDSByteSize: 0 bytes/workgroup (compile time only)
; SGPRBlocks: 0
; VGPRBlocks: 4
; NumSGPRsForWavesPerEU: 18
; NumVGPRsForWavesPerEU: 40
; Occupancy: 16
; WaveLimiterHint : 0
; COMPUTE_PGM_RSRC2:SCRATCH_EN: 0
; COMPUTE_PGM_RSRC2:USER_SGPR: 6
; COMPUTE_PGM_RSRC2:TRAP_HANDLER: 0
; COMPUTE_PGM_RSRC2:TGID_X_EN: 1
; COMPUTE_PGM_RSRC2:TGID_Y_EN: 0
; COMPUTE_PGM_RSRC2:TGID_Z_EN: 0
; COMPUTE_PGM_RSRC2:TIDIG_COMP_CNT: 1
	.section	.text._ZN12_GLOBAL__N_120softmax_warp_forwardIN3c104HalfEffLi9ELb0ELb0ELi64EEEvPT0_PKT_iiiPKbib,"axG",@progbits,_ZN12_GLOBAL__N_120softmax_warp_forwardIN3c104HalfEffLi9ELb0ELb0ELi64EEEvPT0_PKT_iiiPKbib,comdat
	.globl	_ZN12_GLOBAL__N_120softmax_warp_forwardIN3c104HalfEffLi9ELb0ELb0ELi64EEEvPT0_PKT_iiiPKbib ; -- Begin function _ZN12_GLOBAL__N_120softmax_warp_forwardIN3c104HalfEffLi9ELb0ELb0ELi64EEEvPT0_PKT_iiiPKbib
	.p2align	8
	.type	_ZN12_GLOBAL__N_120softmax_warp_forwardIN3c104HalfEffLi9ELb0ELb0ELi64EEEvPT0_PKT_iiiPKbib,@function
_ZN12_GLOBAL__N_120softmax_warp_forwardIN3c104HalfEffLi9ELb0ELb0ELi64EEEvPT0_PKT_iiiPKbib: ; @_ZN12_GLOBAL__N_120softmax_warp_forwardIN3c104HalfEffLi9ELb0ELb0ELi64EEEvPT0_PKT_iiiPKbib
; %bb.0:
	s_clause 0x1
	s_load_dword s0, s[4:5], 0x3c
	s_load_dwordx8 s[8:15], s[4:5], 0x0
	v_mov_b32_e32 v6, 0xff800000
	v_mov_b32_e32 v10, 0xff800000
	s_waitcnt lgkmcnt(0)
	s_lshr_b32 s0, s0, 16
	v_cmp_gt_i32_e32 vcc_lo, s14, v0
	v_mad_u64_u32 v[3:4], null, s6, s0, v[1:2]
	v_mad_u64_u32 v[1:2], null, v3, s13, v[0:1]
	v_sub_nc_u32_e32 v5, s12, v3
	v_cmp_lt_i32_e64 s7, 0, v5
	v_ashrrev_i32_e32 v2, 31, v1
	s_and_b32 s1, s7, vcc_lo
	v_lshlrev_b64 v[3:4], 1, v[1:2]
	v_add_co_u32 v3, s0, s10, v3
	v_add_co_ci_u32_e64 v4, null, s11, v4, s0
	s_and_saveexec_b32 s0, s1
	s_cbranch_execz .LBB450_2
; %bb.1:
	global_load_ushort v7, v[3:4], off
	s_waitcnt vmcnt(0)
	v_cvt_f32_f16_e32 v10, v7
.LBB450_2:
	s_or_b32 exec_lo, exec_lo, s0
	v_add_nc_u32_e32 v7, 64, v0
	v_cmp_gt_i32_e64 s6, s14, v7
	s_and_b32 s1, s7, s6
	s_and_saveexec_b32 s0, s1
	s_cbranch_execz .LBB450_4
; %bb.3:
	global_load_ushort v6, v[3:4], off offset:128
	s_waitcnt vmcnt(0)
	v_cvt_f32_f16_e32 v6, v6
.LBB450_4:
	s_or_b32 exec_lo, exec_lo, s0
	v_add_nc_u32_e32 v7, 0x80, v0
	v_mov_b32_e32 v11, 0xff800000
	v_cmp_gt_i32_e64 s5, s14, v7
	v_mov_b32_e32 v7, 0xff800000
	s_and_b32 s1, s7, s5
	s_and_saveexec_b32 s0, s1
	s_cbranch_execz .LBB450_6
; %bb.5:
	global_load_ushort v8, v[3:4], off offset:256
	s_waitcnt vmcnt(0)
	v_cvt_f32_f16_e32 v11, v8
.LBB450_6:
	s_or_b32 exec_lo, exec_lo, s0
	v_add_nc_u32_e32 v8, 0xc0, v0
	v_cmp_gt_i32_e64 s4, s14, v8
	s_and_b32 s1, s7, s4
	s_and_saveexec_b32 s0, s1
	s_cbranch_execz .LBB450_8
; %bb.7:
	global_load_ushort v7, v[3:4], off offset:384
	s_waitcnt vmcnt(0)
	v_cvt_f32_f16_e32 v7, v7
.LBB450_8:
	s_or_b32 exec_lo, exec_lo, s0
	v_add_nc_u32_e32 v8, 0x100, v0
	v_mov_b32_e32 v12, 0xff800000
	v_cmp_gt_i32_e64 s3, s14, v8
	v_mov_b32_e32 v8, 0xff800000
	s_and_b32 s1, s7, s3
	s_and_saveexec_b32 s0, s1
	s_cbranch_execz .LBB450_10
; %bb.9:
	global_load_ushort v9, v[3:4], off offset:512
	s_waitcnt vmcnt(0)
	v_cvt_f32_f16_e32 v12, v9
.LBB450_10:
	;; [unrolled: 24-line block ×3, first 2 shown]
	s_or_b32 exec_lo, exec_lo, s0
	v_add_nc_u32_e32 v0, 0x1c0, v0
	v_cmp_gt_i32_e64 s0, s14, v0
	s_and_b32 s10, s7, s0
	s_and_saveexec_b32 s7, s10
	s_cbranch_execz .LBB450_16
; %bb.15:
	global_load_ushort v0, v[3:4], off offset:896
	s_waitcnt vmcnt(0)
	v_cvt_f32_f16_e32 v9, v0
.LBB450_16:
	s_or_b32 exec_lo, exec_lo, s7
	v_cmp_gt_f32_e64 s7, v10, v6
	v_mbcnt_lo_u32_b32 v14, -1, 0
	s_mov_b32 s10, exec_lo
	v_cndmask_b32_e64 v0, v6, v10, s7
	v_or_b32_e32 v3, 32, v14
	v_xor_b32_e32 v17, 4, v14
	v_xor_b32_e32 v18, 2, v14
	;; [unrolled: 1-line block ×3, first 2 shown]
	v_cmp_gt_f32_e64 s7, v0, v11
	v_cndmask_b32_e64 v0, v11, v0, s7
	v_cmp_gt_f32_e64 s7, v0, v7
	v_cndmask_b32_e64 v0, v7, v0, s7
	;; [unrolled: 2-line block ×4, first 2 shown]
	v_cmp_gt_i32_e64 s7, 64, v3
	v_cndmask_b32_e64 v3, v14, v3, s7
	v_cmp_gt_f32_e64 s7, v0, v13
	v_cndmask_b32_e64 v4, v13, v0, s7
	v_lshlrev_b32_e32 v0, 2, v3
	v_xor_b32_e32 v3, 16, v14
	v_cmp_gt_f32_e64 s7, v4, v9
	v_cndmask_b32_e64 v4, v9, v4, s7
	v_cmp_gt_i32_e64 s7, 64, v3
	ds_bpermute_b32 v15, v0, v4
	v_cndmask_b32_e64 v3, v14, v3, s7
	v_lshlrev_b32_e32 v3, 2, v3
	s_waitcnt lgkmcnt(0)
	v_cmp_lt_f32_e64 s7, v4, v15
	v_cndmask_b32_e64 v15, v4, v15, s7
	v_xor_b32_e32 v4, 8, v14
	ds_bpermute_b32 v16, v3, v15
	v_cmp_gt_i32_e64 s7, 64, v4
	v_cndmask_b32_e64 v4, v14, v4, s7
	v_lshlrev_b32_e32 v4, 2, v4
	s_waitcnt lgkmcnt(0)
	v_cmp_lt_f32_e64 s7, v15, v16
	v_cndmask_b32_e64 v15, v15, v16, s7
	v_cmp_gt_i32_e64 s7, 64, v17
	ds_bpermute_b32 v16, v4, v15
	v_cndmask_b32_e64 v17, v14, v17, s7
	v_lshlrev_b32_e32 v17, 2, v17
	s_waitcnt lgkmcnt(0)
	v_cmp_lt_f32_e64 s7, v15, v16
	v_cndmask_b32_e64 v15, v15, v16, s7
	v_cmp_gt_i32_e64 s7, 64, v18
	ds_bpermute_b32 v16, v17, v15
	;; [unrolled: 7-line block ×3, first 2 shown]
	v_cndmask_b32_e64 v14, v14, v19, s7
	v_lshlrev_b32_e32 v14, 2, v14
	s_waitcnt lgkmcnt(0)
	v_cmp_lt_f32_e64 s7, v15, v16
	v_cndmask_b32_e64 v15, v15, v16, s7
	ds_bpermute_b32 v16, v14, v15
	s_waitcnt lgkmcnt(0)
	v_cmp_lt_f32_e64 s7, v15, v16
	v_cndmask_b32_e64 v15, v15, v16, s7
	v_sub_f32_e32 v10, v10, v15
	v_sub_f32_e32 v6, v6, v15
	v_sub_f32_e32 v11, v11, v15
	v_sub_f32_e32 v7, v7, v15
	v_sub_f32_e32 v16, v12, v15
	v_sub_f32_e32 v8, v8, v15
	v_sub_f32_e32 v19, v13, v15
	v_sub_f32_e32 v15, v9, v15
	v_mul_f32_e32 v9, 0x3fb8aa3b, v10
	v_mul_f32_e32 v12, 0x3fb8aa3b, v6
	v_mul_f32_e32 v13, 0x3fb8aa3b, v11
	v_mul_f32_e32 v23, 0x3fb8aa3b, v19
	v_mul_f32_e32 v20, 0x3fb8aa3b, v7
	v_fma_f32 v25, 0x3fb8aa3b, v10, -v9
	v_rndne_f32_e32 v26, v9
	v_fma_f32 v27, 0x3fb8aa3b, v6, -v12
	v_rndne_f32_e32 v28, v12
	v_fma_f32 v29, 0x3fb8aa3b, v11, -v13
	v_fmac_f32_e32 v25, 0x32a5705f, v10
	v_sub_f32_e32 v9, v9, v26
	v_rndne_f32_e32 v30, v13
	v_fmac_f32_e32 v27, 0x32a5705f, v6
	v_sub_f32_e32 v12, v12, v28
	v_fma_f32 v37, 0x3fb8aa3b, v19, -v23
	v_add_f32_e32 v9, v9, v25
	v_rndne_f32_e32 v38, v23
	v_fmac_f32_e32 v29, 0x32a5705f, v11
	v_sub_f32_e32 v13, v13, v30
	v_add_f32_e32 v12, v12, v27
	v_exp_f32_e32 v9, v9
	v_cvt_i32_f32_e32 v26, v26
	v_fmac_f32_e32 v37, 0x32a5705f, v19
	v_sub_f32_e32 v23, v23, v38
	v_add_f32_e32 v13, v13, v29
	v_exp_f32_e32 v12, v12
	v_fma_f32 v31, 0x3fb8aa3b, v7, -v20
	v_rndne_f32_e32 v32, v20
	v_cvt_i32_f32_e32 v28, v28
	v_add_f32_e32 v23, v23, v37
	v_exp_f32_e32 v13, v13
	v_ldexp_f32 v9, v9, v26
	v_cmp_ngt_f32_e64 s7, 0xc2ce8ed0, v10
	v_mul_f32_e32 v21, 0x3fb8aa3b, v16
	v_cvt_i32_f32_e32 v30, v30
	v_fmac_f32_e32 v31, 0x32a5705f, v7
	v_sub_f32_e32 v20, v20, v32
	v_exp_f32_e32 v23, v23
	v_ldexp_f32 v12, v12, v28
	v_cndmask_b32_e64 v9, 0, v9, s7
	v_cmp_ngt_f32_e64 s7, 0xc2ce8ed0, v6
	v_fma_f32 v33, 0x3fb8aa3b, v16, -v21
	v_rndne_f32_e32 v34, v21
	v_add_f32_e32 v20, v20, v31
	v_cvt_i32_f32_e32 v25, v38
	v_ldexp_f32 v13, v13, v30
	v_cndmask_b32_e64 v12, 0, v12, s7
	v_cmp_ngt_f32_e64 s7, 0xc2ce8ed0, v11
	v_mul_f32_e32 v22, 0x3fb8aa3b, v8
	v_fmac_f32_e32 v33, 0x32a5705f, v16
	v_sub_f32_e32 v21, v21, v34
	v_exp_f32_e32 v20, v20
	v_ldexp_f32 v23, v23, v25
	v_cndmask_b32_e64 v25, 0, v13, s7
	v_cmp_nlt_f32_e64 s7, 0x42b17218, v10
	v_fma_f32 v35, 0x3fb8aa3b, v8, -v22
	v_rndne_f32_e32 v36, v22
	v_cvt_i32_f32_e32 v32, v32
	v_add_f32_e32 v21, v21, v33
	v_cndmask_b32_e64 v13, 0x7f800000, v9, s7
	v_cmp_nlt_f32_e64 s7, 0x42b17218, v6
	v_fmac_f32_e32 v35, 0x32a5705f, v8
	v_sub_f32_e32 v22, v22, v36
	v_exp_f32_e32 v21, v21
	v_ldexp_f32 v20, v20, v32
	v_cndmask_b32_e64 v12, 0x7f800000, v12, s7
	v_cmp_ngt_f32_e64 s7, 0xc2ce8ed0, v7
	v_cvt_i32_f32_e32 v34, v34
	v_add_f32_e32 v22, v22, v35
	v_mul_f32_e32 v24, 0x3fb8aa3b, v15
	v_cvt_i32_f32_e32 v36, v36
	v_cndmask_b32_e64 v6, 0, v20, s7
	v_cmp_nlt_f32_e64 s7, 0x42b17218, v11
	v_exp_f32_e32 v22, v22
	v_ldexp_f32 v21, v21, v34
	v_fma_f32 v39, 0x3fb8aa3b, v15, -v24
	v_rndne_f32_e32 v40, v24
	v_cndmask_b32_e64 v11, 0x7f800000, v25, s7
	v_cmp_ngt_f32_e64 s7, 0xc2ce8ed0, v16
	v_add_f32_e32 v9, v13, v12
	v_fmac_f32_e32 v39, 0x32a5705f, v15
	v_sub_f32_e32 v24, v24, v40
	v_cvt_i32_f32_e32 v27, v40
	v_cndmask_b32_e64 v20, 0, v21, s7
	v_cmp_nlt_f32_e64 s7, 0x42b17218, v7
	v_ldexp_f32 v22, v22, v36
	v_add_f32_e32 v24, v24, v39
	v_cndmask_b32_e64 v10, 0x7f800000, v6, s7
	v_cmp_ngt_f32_e64 s7, 0xc2ce8ed0, v8
	v_add_f32_e32 v6, v9, v11
	v_exp_f32_e32 v24, v24
	v_cndmask_b32_e64 v7, 0, v22, s7
	v_cmp_nlt_f32_e64 s7, 0x42b17218, v16
	v_add_f32_e32 v6, v6, v10
	v_cndmask_b32_e64 v9, 0x7f800000, v20, s7
	v_cmp_ngt_f32_e64 s7, 0xc2ce8ed0, v19
	v_ldexp_f32 v20, v24, v27
	v_add_f32_e32 v6, v6, v9
	v_cndmask_b32_e64 v16, 0, v23, s7
	v_cmp_nlt_f32_e64 s7, 0x42b17218, v8
	v_cndmask_b32_e64 v8, 0x7f800000, v7, s7
	v_cmp_nlt_f32_e64 s7, 0x42b17218, v19
	v_add_f32_e32 v6, v6, v8
	v_cndmask_b32_e64 v7, 0x7f800000, v16, s7
	v_cmp_ngt_f32_e64 s7, 0xc2ce8ed0, v15
	v_add_f32_e32 v19, v6, v7
	v_cndmask_b32_e64 v16, 0, v20, s7
	v_cmp_nlt_f32_e64 s7, 0x42b17218, v15
	v_cndmask_b32_e64 v6, 0x7f800000, v16, s7
	v_add_f32_e32 v15, v19, v6
	ds_bpermute_b32 v0, v0, v15
	s_waitcnt lgkmcnt(0)
	v_add_f32_e32 v0, v15, v0
	ds_bpermute_b32 v3, v3, v0
	s_waitcnt lgkmcnt(0)
	;; [unrolled: 3-line block ×5, first 2 shown]
	v_add_f32_e32 v0, v0, v3
	ds_bpermute_b32 v3, v14, v0
	v_cmpx_lt_i32_e32 0, v5
	s_cbranch_execz .LBB450_26
; %bb.17:
	s_and_b32 exec_lo, exec_lo, vcc_lo
	s_cbranch_execz .LBB450_26
; %bb.18:
	s_waitcnt lgkmcnt(0)
	v_add_f32_e32 v3, v0, v3
	v_div_scale_f32 v0, null, v3, v3, v13
	v_div_scale_f32 v14, vcc_lo, v13, v3, v13
	v_cmp_eq_f32_e64 s7, 0, v3
	v_rcp_f32_e32 v4, v0
	v_fma_f32 v5, -v0, v4, 1.0
	v_fmac_f32_e32 v4, v5, v4
	v_mul_f32_e32 v5, v14, v4
	v_fma_f32 v15, -v0, v5, v14
	v_fmac_f32_e32 v5, v15, v4
	v_fma_f32 v0, -v0, v5, v14
	v_div_fmas_f32 v4, v0, v4, v5
	v_lshlrev_b64 v[0:1], 2, v[1:2]
	v_div_fixup_f32 v2, v4, v3, v13
	v_add_co_u32 v0, vcc_lo, s8, v0
	v_add_co_ci_u32_e64 v1, null, s9, v1, vcc_lo
	v_cndmask_b32_e64 v2, v2, 0x7fc00000, s7
	global_store_dword v[0:1], v2, off
	s_and_b32 exec_lo, exec_lo, s6
	s_cbranch_execz .LBB450_26
; %bb.19:
	v_div_scale_f32 v2, null, v3, v3, v12
	v_rcp_f32_e32 v4, v2
	v_fma_f32 v5, -v2, v4, 1.0
	v_fmac_f32_e32 v4, v5, v4
	v_div_scale_f32 v5, vcc_lo, v12, v3, v12
	v_mul_f32_e32 v13, v5, v4
	v_fma_f32 v14, -v2, v13, v5
	v_fmac_f32_e32 v13, v14, v4
	v_fma_f32 v2, -v2, v13, v5
	v_div_fmas_f32 v2, v2, v4, v13
	v_div_fixup_f32 v2, v2, v3, v12
	v_cndmask_b32_e64 v2, v2, 0x7fc00000, s7
	global_store_dword v[0:1], v2, off offset:256
	s_and_b32 exec_lo, exec_lo, s5
	s_cbranch_execz .LBB450_26
; %bb.20:
	v_div_scale_f32 v2, null, v3, v3, v11
	v_rcp_f32_e32 v4, v2
	v_fma_f32 v5, -v2, v4, 1.0
	v_fmac_f32_e32 v4, v5, v4
	v_div_scale_f32 v5, vcc_lo, v11, v3, v11
	v_mul_f32_e32 v12, v5, v4
	v_fma_f32 v13, -v2, v12, v5
	v_fmac_f32_e32 v12, v13, v4
	v_fma_f32 v2, -v2, v12, v5
	v_div_fmas_f32 v2, v2, v4, v12
	v_div_fixup_f32 v2, v2, v3, v11
	v_cndmask_b32_e64 v2, v2, 0x7fc00000, s7
	global_store_dword v[0:1], v2, off offset:512
	;; [unrolled: 16-line block ×7, first 2 shown]
.LBB450_26:
	s_endpgm
	.section	.rodata,"a",@progbits
	.p2align	6, 0x0
	.amdhsa_kernel _ZN12_GLOBAL__N_120softmax_warp_forwardIN3c104HalfEffLi9ELb0ELb0ELi64EEEvPT0_PKT_iiiPKbib
		.amdhsa_group_segment_fixed_size 0
		.amdhsa_private_segment_fixed_size 0
		.amdhsa_kernarg_size 304
		.amdhsa_user_sgpr_count 6
		.amdhsa_user_sgpr_private_segment_buffer 1
		.amdhsa_user_sgpr_dispatch_ptr 0
		.amdhsa_user_sgpr_queue_ptr 0
		.amdhsa_user_sgpr_kernarg_segment_ptr 1
		.amdhsa_user_sgpr_dispatch_id 0
		.amdhsa_user_sgpr_flat_scratch_init 0
		.amdhsa_user_sgpr_private_segment_size 0
		.amdhsa_wavefront_size32 1
		.amdhsa_uses_dynamic_stack 0
		.amdhsa_system_sgpr_private_segment_wavefront_offset 0
		.amdhsa_system_sgpr_workgroup_id_x 1
		.amdhsa_system_sgpr_workgroup_id_y 0
		.amdhsa_system_sgpr_workgroup_id_z 0
		.amdhsa_system_sgpr_workgroup_info 0
		.amdhsa_system_vgpr_workitem_id 1
		.amdhsa_next_free_vgpr 41
		.amdhsa_next_free_sgpr 16
		.amdhsa_reserve_vcc 1
		.amdhsa_reserve_flat_scratch 0
		.amdhsa_float_round_mode_32 0
		.amdhsa_float_round_mode_16_64 0
		.amdhsa_float_denorm_mode_32 3
		.amdhsa_float_denorm_mode_16_64 3
		.amdhsa_dx10_clamp 1
		.amdhsa_ieee_mode 1
		.amdhsa_fp16_overflow 0
		.amdhsa_workgroup_processor_mode 1
		.amdhsa_memory_ordered 1
		.amdhsa_forward_progress 1
		.amdhsa_shared_vgpr_count 0
		.amdhsa_exception_fp_ieee_invalid_op 0
		.amdhsa_exception_fp_denorm_src 0
		.amdhsa_exception_fp_ieee_div_zero 0
		.amdhsa_exception_fp_ieee_overflow 0
		.amdhsa_exception_fp_ieee_underflow 0
		.amdhsa_exception_fp_ieee_inexact 0
		.amdhsa_exception_int_div_zero 0
	.end_amdhsa_kernel
	.section	.text._ZN12_GLOBAL__N_120softmax_warp_forwardIN3c104HalfEffLi9ELb0ELb0ELi64EEEvPT0_PKT_iiiPKbib,"axG",@progbits,_ZN12_GLOBAL__N_120softmax_warp_forwardIN3c104HalfEffLi9ELb0ELb0ELi64EEEvPT0_PKT_iiiPKbib,comdat
.Lfunc_end450:
	.size	_ZN12_GLOBAL__N_120softmax_warp_forwardIN3c104HalfEffLi9ELb0ELb0ELi64EEEvPT0_PKT_iiiPKbib, .Lfunc_end450-_ZN12_GLOBAL__N_120softmax_warp_forwardIN3c104HalfEffLi9ELb0ELb0ELi64EEEvPT0_PKT_iiiPKbib
                                        ; -- End function
	.set _ZN12_GLOBAL__N_120softmax_warp_forwardIN3c104HalfEffLi9ELb0ELb0ELi64EEEvPT0_PKT_iiiPKbib.num_vgpr, 41
	.set _ZN12_GLOBAL__N_120softmax_warp_forwardIN3c104HalfEffLi9ELb0ELb0ELi64EEEvPT0_PKT_iiiPKbib.num_agpr, 0
	.set _ZN12_GLOBAL__N_120softmax_warp_forwardIN3c104HalfEffLi9ELb0ELb0ELi64EEEvPT0_PKT_iiiPKbib.numbered_sgpr, 16
	.set _ZN12_GLOBAL__N_120softmax_warp_forwardIN3c104HalfEffLi9ELb0ELb0ELi64EEEvPT0_PKT_iiiPKbib.num_named_barrier, 0
	.set _ZN12_GLOBAL__N_120softmax_warp_forwardIN3c104HalfEffLi9ELb0ELb0ELi64EEEvPT0_PKT_iiiPKbib.private_seg_size, 0
	.set _ZN12_GLOBAL__N_120softmax_warp_forwardIN3c104HalfEffLi9ELb0ELb0ELi64EEEvPT0_PKT_iiiPKbib.uses_vcc, 1
	.set _ZN12_GLOBAL__N_120softmax_warp_forwardIN3c104HalfEffLi9ELb0ELb0ELi64EEEvPT0_PKT_iiiPKbib.uses_flat_scratch, 0
	.set _ZN12_GLOBAL__N_120softmax_warp_forwardIN3c104HalfEffLi9ELb0ELb0ELi64EEEvPT0_PKT_iiiPKbib.has_dyn_sized_stack, 0
	.set _ZN12_GLOBAL__N_120softmax_warp_forwardIN3c104HalfEffLi9ELb0ELb0ELi64EEEvPT0_PKT_iiiPKbib.has_recursion, 0
	.set _ZN12_GLOBAL__N_120softmax_warp_forwardIN3c104HalfEffLi9ELb0ELb0ELi64EEEvPT0_PKT_iiiPKbib.has_indirect_call, 0
	.section	.AMDGPU.csdata,"",@progbits
; Kernel info:
; codeLenInByte = 2752
; TotalNumSgprs: 18
; NumVgprs: 41
; ScratchSize: 0
; MemoryBound: 0
; FloatMode: 240
; IeeeMode: 1
; LDSByteSize: 0 bytes/workgroup (compile time only)
; SGPRBlocks: 0
; VGPRBlocks: 5
; NumSGPRsForWavesPerEU: 18
; NumVGPRsForWavesPerEU: 41
; Occupancy: 16
; WaveLimiterHint : 0
; COMPUTE_PGM_RSRC2:SCRATCH_EN: 0
; COMPUTE_PGM_RSRC2:USER_SGPR: 6
; COMPUTE_PGM_RSRC2:TRAP_HANDLER: 0
; COMPUTE_PGM_RSRC2:TGID_X_EN: 1
; COMPUTE_PGM_RSRC2:TGID_Y_EN: 0
; COMPUTE_PGM_RSRC2:TGID_Z_EN: 0
; COMPUTE_PGM_RSRC2:TIDIG_COMP_CNT: 1
	.section	.text._ZN12_GLOBAL__N_120softmax_warp_forwardIN3c104HalfEffLi9ELb0ELb0ELi32EEEvPT0_PKT_iiiPKbib,"axG",@progbits,_ZN12_GLOBAL__N_120softmax_warp_forwardIN3c104HalfEffLi9ELb0ELb0ELi32EEEvPT0_PKT_iiiPKbib,comdat
	.globl	_ZN12_GLOBAL__N_120softmax_warp_forwardIN3c104HalfEffLi9ELb0ELb0ELi32EEEvPT0_PKT_iiiPKbib ; -- Begin function _ZN12_GLOBAL__N_120softmax_warp_forwardIN3c104HalfEffLi9ELb0ELb0ELi32EEEvPT0_PKT_iiiPKbib
	.p2align	8
	.type	_ZN12_GLOBAL__N_120softmax_warp_forwardIN3c104HalfEffLi9ELb0ELb0ELi32EEEvPT0_PKT_iiiPKbib,@function
_ZN12_GLOBAL__N_120softmax_warp_forwardIN3c104HalfEffLi9ELb0ELb0ELi32EEEvPT0_PKT_iiiPKbib: ; @_ZN12_GLOBAL__N_120softmax_warp_forwardIN3c104HalfEffLi9ELb0ELb0ELi32EEEvPT0_PKT_iiiPKbib
; %bb.0:
	s_clause 0x1
	s_load_dword s0, s[4:5], 0x3c
	s_load_dwordx8 s[16:23], s[4:5], 0x0
	v_mov_b32_e32 v9, 0xff800000
	v_mov_b32_e32 v8, 0xff800000
	s_waitcnt lgkmcnt(0)
	s_lshr_b32 s0, s0, 16
	v_cmp_gt_i32_e32 vcc_lo, s22, v0
	v_mad_u64_u32 v[3:4], null, s6, s0, v[1:2]
	v_mad_u64_u32 v[1:2], null, v3, s21, v[0:1]
	v_sub_nc_u32_e32 v5, s20, v3
	v_cmp_lt_i32_e64 s15, 0, v5
	v_ashrrev_i32_e32 v2, 31, v1
	s_and_b32 s1, s15, vcc_lo
	v_lshlrev_b64 v[3:4], 1, v[1:2]
	v_add_co_u32 v3, s0, s18, v3
	v_add_co_ci_u32_e64 v4, null, s19, v4, s0
	s_and_saveexec_b32 s0, s1
	s_cbranch_execz .LBB451_2
; %bb.1:
	global_load_ushort v6, v[3:4], off
	s_waitcnt vmcnt(0)
	v_cvt_f32_f16_e32 v8, v6
.LBB451_2:
	s_or_b32 exec_lo, exec_lo, s0
	v_add_nc_u32_e32 v6, 32, v0
	v_cmp_gt_i32_e64 s14, s22, v6
	s_and_b32 s1, s15, s14
	s_and_saveexec_b32 s0, s1
	s_cbranch_execz .LBB451_4
; %bb.3:
	global_load_ushort v6, v[3:4], off offset:64
	s_waitcnt vmcnt(0)
	v_cvt_f32_f16_e32 v9, v6
.LBB451_4:
	s_or_b32 exec_lo, exec_lo, s0
	v_add_nc_u32_e32 v6, 64, v0
	v_mov_b32_e32 v11, 0xff800000
	v_mov_b32_e32 v10, 0xff800000
	v_cmp_gt_i32_e64 s13, s22, v6
	s_and_b32 s1, s15, s13
	s_and_saveexec_b32 s0, s1
	s_cbranch_execz .LBB451_6
; %bb.5:
	global_load_ushort v6, v[3:4], off offset:128
	s_waitcnt vmcnt(0)
	v_cvt_f32_f16_e32 v10, v6
.LBB451_6:
	s_or_b32 exec_lo, exec_lo, s0
	v_add_nc_u32_e32 v6, 0x60, v0
	v_cmp_gt_i32_e64 s12, s22, v6
	s_and_b32 s1, s15, s12
	s_and_saveexec_b32 s0, s1
	s_cbranch_execz .LBB451_8
; %bb.7:
	global_load_ushort v6, v[3:4], off offset:192
	s_waitcnt vmcnt(0)
	v_cvt_f32_f16_e32 v11, v6
.LBB451_8:
	s_or_b32 exec_lo, exec_lo, s0
	v_add_nc_u32_e32 v6, 0x80, v0
	v_mov_b32_e32 v12, 0xff800000
	v_mov_b32_e32 v18, 0xff800000
	v_cmp_gt_i32_e64 s11, s22, v6
	s_and_b32 s1, s15, s11
	s_and_saveexec_b32 s0, s1
	s_cbranch_execz .LBB451_10
; %bb.9:
	global_load_ushort v6, v[3:4], off offset:256
	s_waitcnt vmcnt(0)
	v_cvt_f32_f16_e32 v18, v6
.LBB451_10:
	;; [unrolled: 24-line block ×7, first 2 shown]
	s_or_b32 exec_lo, exec_lo, s0
	v_add_nc_u32_e32 v0, 0x1e0, v0
	v_cmp_gt_i32_e64 s0, s22, v0
	s_and_b32 s18, s15, s0
	s_and_saveexec_b32 s15, s18
	s_cbranch_execz .LBB451_32
; %bb.31:
	global_load_ushort v0, v[3:4], off offset:960
	s_waitcnt vmcnt(0)
	v_cvt_f32_f16_e32 v17, v0
.LBB451_32:
	s_or_b32 exec_lo, exec_lo, s15
	v_cmp_gt_f32_e64 s15, v8, v9
	v_mbcnt_lo_u32_b32 v7, -1, 0
	s_mov_b32 s18, exec_lo
	v_cndmask_b32_e64 v0, v9, v8, s15
	v_xor_b32_e32 v3, 16, v7
	v_xor_b32_e32 v26, 1, v7
	v_cmp_gt_f32_e64 s15, v0, v10
	v_cndmask_b32_e64 v0, v10, v0, s15
	v_cmp_gt_f32_e64 s15, v0, v11
	v_cndmask_b32_e64 v0, v11, v0, s15
	;; [unrolled: 2-line block ×12, first 2 shown]
	v_cmp_gt_i32_e64 s15, 32, v3
	v_cndmask_b32_e64 v3, v7, v3, s15
	v_cmp_gt_f32_e64 s15, v0, v23
	v_cndmask_b32_e64 v4, v23, v0, s15
	v_lshlrev_b32_e32 v0, 2, v3
	v_xor_b32_e32 v3, 8, v7
	v_cmp_gt_f32_e64 s15, v4, v17
	v_cndmask_b32_e64 v4, v17, v4, s15
	v_cmp_gt_i32_e64 s15, 32, v3
	ds_bpermute_b32 v6, v0, v4
	v_cndmask_b32_e64 v3, v7, v3, s15
	v_lshlrev_b32_e32 v3, 2, v3
	s_waitcnt lgkmcnt(0)
	v_cmp_lt_f32_e64 s15, v4, v6
	v_cndmask_b32_e64 v6, v4, v6, s15
	v_xor_b32_e32 v4, 4, v7
	ds_bpermute_b32 v24, v3, v6
	v_cmp_gt_i32_e64 s15, 32, v4
	v_cndmask_b32_e64 v4, v7, v4, s15
	v_lshlrev_b32_e32 v4, 2, v4
	s_waitcnt lgkmcnt(0)
	v_cmp_lt_f32_e64 s15, v6, v24
	v_cndmask_b32_e64 v24, v6, v24, s15
	v_xor_b32_e32 v6, 2, v7
	ds_bpermute_b32 v25, v4, v24
	v_cmp_gt_i32_e64 s15, 32, v6
	v_cndmask_b32_e64 v6, v7, v6, s15
	v_lshlrev_b32_e32 v6, 2, v6
	s_waitcnt lgkmcnt(0)
	v_cmp_lt_f32_e64 s15, v24, v25
	v_cndmask_b32_e64 v24, v24, v25, s15
	v_cmp_gt_i32_e64 s15, 32, v26
	ds_bpermute_b32 v25, v6, v24
	v_cndmask_b32_e64 v7, v7, v26, s15
	v_lshlrev_b32_e32 v7, 2, v7
	s_waitcnt lgkmcnt(0)
	v_cmp_lt_f32_e64 s15, v24, v25
	v_cndmask_b32_e64 v24, v24, v25, s15
	ds_bpermute_b32 v25, v7, v24
	s_waitcnt lgkmcnt(0)
	v_cmp_lt_f32_e64 s15, v24, v25
	v_cndmask_b32_e64 v24, v24, v25, s15
	v_sub_f32_e32 v8, v8, v24
	v_sub_f32_e32 v9, v9, v24
	;; [unrolled: 1-line block ×5, first 2 shown]
	v_mul_f32_e32 v16, 0x3fb8aa3b, v8
	v_mul_f32_e32 v17, 0x3fb8aa3b, v9
	v_sub_f32_e32 v30, v23, v24
	v_mul_f32_e32 v23, 0x3fb8aa3b, v10
	v_sub_f32_e32 v13, v13, v24
	v_fma_f32 v40, 0x3fb8aa3b, v8, -v16
	v_rndne_f32_e32 v41, v16
	v_fma_f32 v42, 0x3fb8aa3b, v9, -v17
	v_rndne_f32_e32 v43, v17
	v_fma_f32 v44, 0x3fb8aa3b, v10, -v23
	v_fmac_f32_e32 v40, 0x32a5705f, v8
	v_sub_f32_e32 v16, v16, v41
	v_rndne_f32_e32 v45, v23
	v_fmac_f32_e32 v42, 0x32a5705f, v9
	v_sub_f32_e32 v17, v17, v43
	v_sub_f32_e32 v11, v11, v24
	v_add_f32_e32 v16, v16, v40
	v_sub_f32_e32 v19, v19, v24
	v_mul_f32_e32 v28, 0x3fb8aa3b, v13
	v_fmac_f32_e32 v44, 0x32a5705f, v10
	v_sub_f32_e32 v23, v23, v45
	v_add_f32_e32 v17, v17, v42
	v_exp_f32_e32 v16, v16
	v_sub_f32_e32 v18, v18, v24
	v_sub_f32_e32 v12, v12, v24
	;; [unrolled: 1-line block ×7, first 2 shown]
	v_mul_f32_e32 v24, 0x3fb8aa3b, v11
	v_mul_f32_e32 v27, 0x3fb8aa3b, v19
	v_fma_f32 v54, 0x3fb8aa3b, v13, -v28
	v_rndne_f32_e32 v55, v28
	v_add_f32_e32 v23, v23, v44
	v_cvt_i32_f32_e32 v41, v41
	v_exp_f32_e32 v17, v17
	v_fma_f32 v46, 0x3fb8aa3b, v11, -v24
	v_rndne_f32_e32 v47, v24
	v_fma_f32 v52, 0x3fb8aa3b, v19, -v27
	v_rndne_f32_e32 v53, v27
	v_fmac_f32_e32 v54, 0x32a5705f, v13
	v_sub_f32_e32 v28, v28, v55
	v_cvt_i32_f32_e32 v43, v43
	v_exp_f32_e32 v23, v23
	v_ldexp_f32 v16, v16, v41
	v_cmp_ngt_f32_e64 s15, 0xc2ce8ed0, v8
	v_mul_f32_e32 v25, 0x3fb8aa3b, v18
	v_mul_f32_e32 v26, 0x3fb8aa3b, v12
	v_fmac_f32_e32 v46, 0x32a5705f, v11
	v_sub_f32_e32 v24, v24, v47
	v_fmac_f32_e32 v52, 0x32a5705f, v19
	v_sub_f32_e32 v27, v27, v53
	v_add_f32_e32 v28, v28, v54
	v_cvt_i32_f32_e32 v45, v45
	v_ldexp_f32 v17, v17, v43
	v_cndmask_b32_e64 v16, 0, v16, s15
	v_cmp_ngt_f32_e64 s15, 0xc2ce8ed0, v9
	v_fma_f32 v48, 0x3fb8aa3b, v18, -v25
	v_rndne_f32_e32 v49, v25
	v_fma_f32 v50, 0x3fb8aa3b, v12, -v26
	v_rndne_f32_e32 v51, v26
	v_add_f32_e32 v24, v24, v46
	v_add_f32_e32 v27, v27, v52
	v_exp_f32_e32 v28, v28
	v_ldexp_f32 v23, v23, v45
	v_cndmask_b32_e64 v17, 0, v17, s15
	v_cmp_ngt_f32_e64 s15, 0xc2ce8ed0, v10
	v_fmac_f32_e32 v48, 0x32a5705f, v18
	v_sub_f32_e32 v25, v25, v49
	v_fmac_f32_e32 v50, 0x32a5705f, v12
	v_sub_f32_e32 v26, v26, v51
	v_cvt_i32_f32_e32 v55, v55
	v_exp_f32_e32 v24, v24
	v_exp_f32_e32 v27, v27
	v_cndmask_b32_e64 v23, 0, v23, s15
	v_cmp_nlt_f32_e64 s15, 0x42b17218, v8
	v_mul_f32_e32 v35, 0x3fb8aa3b, v15
	v_add_f32_e32 v25, v25, v48
	v_add_f32_e32 v26, v26, v50
	v_cvt_i32_f32_e32 v47, v47
	v_cvt_i32_f32_e32 v53, v53
	v_ldexp_f32 v43, v28, v55
	v_cndmask_b32_e64 v28, 0x7f800000, v16, s15
	v_cmp_nlt_f32_e64 s15, 0x42b17218, v9
	v_fma_f32 v40, 0x3fb8aa3b, v15, -v35
	v_rndne_f32_e32 v42, v35
	v_exp_f32_e32 v25, v25
	v_exp_f32_e32 v26, v26
	v_ldexp_f32 v24, v24, v47
	v_ldexp_f32 v41, v27, v53
	v_cndmask_b32_e64 v27, 0x7f800000, v17, s15
	v_cmp_ngt_f32_e64 s15, 0xc2ce8ed0, v11
	v_cvt_i32_f32_e32 v49, v49
	v_cvt_i32_f32_e32 v51, v51
	v_fmac_f32_e32 v40, 0x32a5705f, v15
	v_sub_f32_e32 v35, v35, v42
	v_cndmask_b32_e64 v8, 0, v24, s15
	v_cmp_nlt_f32_e64 s15, 0x42b17218, v10
	v_ldexp_f32 v25, v25, v49
	v_mul_f32_e32 v32, 0x3fb8aa3b, v20
	v_add_f32_e32 v35, v35, v40
	v_ldexp_f32 v40, v26, v51
	v_cndmask_b32_e64 v26, 0x7f800000, v23, s15
	v_cmp_ngt_f32_e64 s15, 0xc2ce8ed0, v18
	v_add_f32_e32 v9, v28, v27
	v_fma_f32 v56, 0x3fb8aa3b, v20, -v32
	v_rndne_f32_e32 v57, v32
	v_mul_f32_e32 v33, 0x3fb8aa3b, v14
	v_cndmask_b32_e64 v10, 0, v25, s15
	v_cmp_nlt_f32_e64 s15, 0x42b17218, v11
	v_fmac_f32_e32 v56, 0x32a5705f, v20
	v_sub_f32_e32 v32, v32, v57
	v_fma_f32 v58, 0x3fb8aa3b, v14, -v33
	v_rndne_f32_e32 v59, v33
	v_cndmask_b32_e64 v25, 0x7f800000, v8, s15
	v_cmp_ngt_f32_e64 s15, 0xc2ce8ed0, v12
	v_add_f32_e32 v8, v9, v26
	v_add_f32_e32 v32, v32, v56
	v_mul_f32_e32 v34, 0x3fb8aa3b, v21
	v_fmac_f32_e32 v58, 0x32a5705f, v14
	v_cndmask_b32_e64 v9, 0, v40, s15
	v_cmp_nlt_f32_e64 s15, 0x42b17218, v18
	v_sub_f32_e32 v33, v33, v59
	v_exp_f32_e32 v32, v32
	v_fma_f32 v60, 0x3fb8aa3b, v21, -v34
	v_rndne_f32_e32 v61, v34
	v_cndmask_b32_e64 v24, 0x7f800000, v10, s15
	v_cmp_ngt_f32_e64 s15, 0xc2ce8ed0, v19
	v_add_f32_e32 v33, v33, v58
	v_cvt_i32_f32_e32 v57, v57
	v_fmac_f32_e32 v60, 0x32a5705f, v21
	v_sub_f32_e32 v34, v34, v61
	v_cndmask_b32_e64 v10, 0, v41, s15
	v_cmp_nlt_f32_e64 s15, 0x42b17218, v12
	v_exp_f32_e32 v33, v33
	v_ldexp_f32 v32, v32, v57
	v_cvt_i32_f32_e32 v59, v59
	v_add_f32_e32 v34, v34, v60
	v_cndmask_b32_e64 v23, 0x7f800000, v9, s15
	v_cmp_ngt_f32_e64 s15, 0xc2ce8ed0, v13
	v_mul_f32_e32 v36, 0x3fb8aa3b, v22
	v_cvt_i32_f32_e32 v61, v61
	v_exp_f32_e32 v34, v34
	v_mul_f32_e32 v37, 0x3fb8aa3b, v29
	v_cndmask_b32_e64 v9, 0, v43, s15
	v_cmp_nlt_f32_e64 s15, 0x42b17218, v19
	v_ldexp_f32 v33, v33, v59
	v_fma_f32 v44, 0x3fb8aa3b, v22, -v36
	v_rndne_f32_e32 v46, v36
	v_exp_f32_e32 v35, v35
	v_cndmask_b32_e64 v18, 0x7f800000, v10, s15
	v_cmp_ngt_f32_e64 s15, 0xc2ce8ed0, v20
	v_fmac_f32_e32 v44, 0x32a5705f, v22
	v_sub_f32_e32 v36, v36, v46
	v_ldexp_f32 v34, v34, v61
	v_fma_f32 v48, 0x3fb8aa3b, v29, -v37
	v_cndmask_b32_e64 v10, 0, v32, s15
	v_cmp_nlt_f32_e64 s15, 0x42b17218, v13
	v_rndne_f32_e32 v50, v37
	v_cvt_i32_f32_e32 v42, v42
	v_add_f32_e32 v36, v36, v44
	v_mul_f32_e32 v38, 0x3fb8aa3b, v30
	v_cndmask_b32_e64 v17, 0x7f800000, v9, s15
	v_cmp_ngt_f32_e64 s15, 0xc2ce8ed0, v14
	v_fmac_f32_e32 v48, 0x32a5705f, v29
	v_sub_f32_e32 v37, v37, v50
	v_exp_f32_e32 v36, v36
	v_ldexp_f32 v35, v35, v42
	v_cndmask_b32_e64 v9, 0, v33, s15
	v_cmp_nlt_f32_e64 s15, 0x42b17218, v20
	v_add_f32_e32 v8, v8, v25
	v_fma_f32 v52, 0x3fb8aa3b, v30, -v38
	v_rndne_f32_e32 v54, v38
	v_cvt_i32_f32_e32 v46, v46
	v_cndmask_b32_e64 v16, 0x7f800000, v10, s15
	v_cmp_ngt_f32_e64 s15, 0xc2ce8ed0, v21
	v_add_f32_e32 v37, v37, v48
	v_add_f32_e32 v8, v8, v24
	v_fmac_f32_e32 v52, 0x32a5705f, v30
	v_sub_f32_e32 v38, v38, v54
	v_cndmask_b32_e64 v10, 0, v34, s15
	v_cmp_nlt_f32_e64 s15, 0x42b17218, v14
	v_exp_f32_e32 v37, v37
	v_ldexp_f32 v36, v36, v46
	v_add_f32_e32 v8, v8, v23
	v_mul_f32_e32 v39, 0x3fb8aa3b, v31
	v_cndmask_b32_e64 v14, 0x7f800000, v9, s15
	v_cmp_ngt_f32_e64 s15, 0xc2ce8ed0, v15
	v_cvt_i32_f32_e32 v50, v50
	v_add_f32_e32 v38, v38, v52
	v_add_f32_e32 v8, v8, v18
	v_fma_f32 v56, 0x3fb8aa3b, v31, -v39
	v_cndmask_b32_e64 v9, 0, v35, s15
	v_cmp_nlt_f32_e64 s15, 0x42b17218, v21
	v_rndne_f32_e32 v58, v39
	v_exp_f32_e32 v38, v38
	v_ldexp_f32 v37, v37, v50
	v_add_f32_e32 v8, v8, v17
	v_cndmask_b32_e64 v13, 0x7f800000, v10, s15
	v_cmp_ngt_f32_e64 s15, 0xc2ce8ed0, v22
	v_cvt_i32_f32_e32 v54, v54
	v_fmac_f32_e32 v56, 0x32a5705f, v31
	v_sub_f32_e32 v39, v39, v58
	v_add_f32_e32 v8, v8, v16
	v_cndmask_b32_e64 v10, 0, v36, s15
	v_cmp_nlt_f32_e64 s15, 0x42b17218, v15
	v_ldexp_f32 v38, v38, v54
	v_add_f32_e32 v39, v39, v56
	v_add_f32_e32 v8, v8, v14
	v_cvt_i32_f32_e32 v58, v58
	v_cndmask_b32_e64 v12, 0x7f800000, v9, s15
	v_cmp_ngt_f32_e64 s15, 0xc2ce8ed0, v29
	v_exp_f32_e32 v39, v39
	v_add_f32_e32 v8, v8, v13
	v_cndmask_b32_e64 v9, 0, v37, s15
	v_cmp_nlt_f32_e64 s15, 0x42b17218, v22
	v_add_f32_e32 v8, v8, v12
	v_cndmask_b32_e64 v11, 0x7f800000, v10, s15
	v_cmp_ngt_f32_e64 s15, 0xc2ce8ed0, v30
	v_ldexp_f32 v19, v39, v58
	v_add_f32_e32 v8, v8, v11
	v_cndmask_b32_e64 v15, 0, v38, s15
	v_cmp_nlt_f32_e64 s15, 0x42b17218, v29
	v_cndmask_b32_e64 v10, 0x7f800000, v9, s15
	v_cmp_nlt_f32_e64 s15, 0x42b17218, v30
	v_add_f32_e32 v8, v8, v10
	v_cndmask_b32_e64 v9, 0x7f800000, v15, s15
	v_cmp_ngt_f32_e64 s15, 0xc2ce8ed0, v31
	v_cndmask_b32_e64 v15, 0, v19, s15
	v_cmp_nlt_f32_e64 s15, 0x42b17218, v31
	v_add_f32_e32 v19, v8, v9
	v_cndmask_b32_e64 v8, 0x7f800000, v15, s15
	v_add_f32_e32 v15, v19, v8
	ds_bpermute_b32 v0, v0, v15
	s_waitcnt lgkmcnt(0)
	v_add_f32_e32 v0, v15, v0
	ds_bpermute_b32 v3, v3, v0
	s_waitcnt lgkmcnt(0)
	;; [unrolled: 3-line block ×4, first 2 shown]
	v_add_f32_e32 v0, v0, v3
	ds_bpermute_b32 v3, v7, v0
	v_cmpx_lt_i32_e32 0, v5
	s_cbranch_execz .LBB451_50
; %bb.33:
	s_and_b32 exec_lo, exec_lo, vcc_lo
	s_cbranch_execz .LBB451_50
; %bb.34:
	s_waitcnt lgkmcnt(0)
	v_add_f32_e32 v3, v0, v3
	v_div_scale_f32 v0, null, v3, v3, v28
	v_div_scale_f32 v6, vcc_lo, v28, v3, v28
	v_cmp_eq_f32_e64 s15, 0, v3
	v_rcp_f32_e32 v4, v0
	v_fma_f32 v5, -v0, v4, 1.0
	v_fmac_f32_e32 v4, v5, v4
	v_mul_f32_e32 v5, v6, v4
	v_fma_f32 v7, -v0, v5, v6
	v_fmac_f32_e32 v5, v7, v4
	v_fma_f32 v0, -v0, v5, v6
	v_div_fmas_f32 v4, v0, v4, v5
	v_lshlrev_b64 v[0:1], 2, v[1:2]
	v_div_fixup_f32 v2, v4, v3, v28
	v_add_co_u32 v0, vcc_lo, s16, v0
	v_add_co_ci_u32_e64 v1, null, s17, v1, vcc_lo
	v_cndmask_b32_e64 v2, v2, 0x7fc00000, s15
	global_store_dword v[0:1], v2, off
	s_and_b32 exec_lo, exec_lo, s14
	s_cbranch_execz .LBB451_50
; %bb.35:
	v_div_scale_f32 v2, null, v3, v3, v27
	v_rcp_f32_e32 v4, v2
	v_fma_f32 v5, -v2, v4, 1.0
	v_fmac_f32_e32 v4, v5, v4
	v_div_scale_f32 v5, vcc_lo, v27, v3, v27
	v_mul_f32_e32 v6, v5, v4
	v_fma_f32 v7, -v2, v6, v5
	v_fmac_f32_e32 v6, v7, v4
	v_fma_f32 v2, -v2, v6, v5
	v_div_fmas_f32 v2, v2, v4, v6
	v_div_fixup_f32 v2, v2, v3, v27
	v_cndmask_b32_e64 v2, v2, 0x7fc00000, s15
	global_store_dword v[0:1], v2, off offset:128
	s_and_b32 exec_lo, exec_lo, s13
	s_cbranch_execz .LBB451_50
; %bb.36:
	v_div_scale_f32 v2, null, v3, v3, v26
	v_rcp_f32_e32 v4, v2
	v_fma_f32 v5, -v2, v4, 1.0
	v_fmac_f32_e32 v4, v5, v4
	v_div_scale_f32 v5, vcc_lo, v26, v3, v26
	v_mul_f32_e32 v6, v5, v4
	v_fma_f32 v7, -v2, v6, v5
	v_fmac_f32_e32 v6, v7, v4
	v_fma_f32 v2, -v2, v6, v5
	v_div_fmas_f32 v2, v2, v4, v6
	v_div_fixup_f32 v2, v2, v3, v26
	v_cndmask_b32_e64 v2, v2, 0x7fc00000, s15
	global_store_dword v[0:1], v2, off offset:256
	;; [unrolled: 16-line block ×15, first 2 shown]
.LBB451_50:
	s_endpgm
	.section	.rodata,"a",@progbits
	.p2align	6, 0x0
	.amdhsa_kernel _ZN12_GLOBAL__N_120softmax_warp_forwardIN3c104HalfEffLi9ELb0ELb0ELi32EEEvPT0_PKT_iiiPKbib
		.amdhsa_group_segment_fixed_size 0
		.amdhsa_private_segment_fixed_size 0
		.amdhsa_kernarg_size 304
		.amdhsa_user_sgpr_count 6
		.amdhsa_user_sgpr_private_segment_buffer 1
		.amdhsa_user_sgpr_dispatch_ptr 0
		.amdhsa_user_sgpr_queue_ptr 0
		.amdhsa_user_sgpr_kernarg_segment_ptr 1
		.amdhsa_user_sgpr_dispatch_id 0
		.amdhsa_user_sgpr_flat_scratch_init 0
		.amdhsa_user_sgpr_private_segment_size 0
		.amdhsa_wavefront_size32 1
		.amdhsa_uses_dynamic_stack 0
		.amdhsa_system_sgpr_private_segment_wavefront_offset 0
		.amdhsa_system_sgpr_workgroup_id_x 1
		.amdhsa_system_sgpr_workgroup_id_y 0
		.amdhsa_system_sgpr_workgroup_id_z 0
		.amdhsa_system_sgpr_workgroup_info 0
		.amdhsa_system_vgpr_workitem_id 1
		.amdhsa_next_free_vgpr 62
		.amdhsa_next_free_sgpr 24
		.amdhsa_reserve_vcc 1
		.amdhsa_reserve_flat_scratch 0
		.amdhsa_float_round_mode_32 0
		.amdhsa_float_round_mode_16_64 0
		.amdhsa_float_denorm_mode_32 3
		.amdhsa_float_denorm_mode_16_64 3
		.amdhsa_dx10_clamp 1
		.amdhsa_ieee_mode 1
		.amdhsa_fp16_overflow 0
		.amdhsa_workgroup_processor_mode 1
		.amdhsa_memory_ordered 1
		.amdhsa_forward_progress 1
		.amdhsa_shared_vgpr_count 0
		.amdhsa_exception_fp_ieee_invalid_op 0
		.amdhsa_exception_fp_denorm_src 0
		.amdhsa_exception_fp_ieee_div_zero 0
		.amdhsa_exception_fp_ieee_overflow 0
		.amdhsa_exception_fp_ieee_underflow 0
		.amdhsa_exception_fp_ieee_inexact 0
		.amdhsa_exception_int_div_zero 0
	.end_amdhsa_kernel
	.section	.text._ZN12_GLOBAL__N_120softmax_warp_forwardIN3c104HalfEffLi9ELb0ELb0ELi32EEEvPT0_PKT_iiiPKbib,"axG",@progbits,_ZN12_GLOBAL__N_120softmax_warp_forwardIN3c104HalfEffLi9ELb0ELb0ELi32EEEvPT0_PKT_iiiPKbib,comdat
.Lfunc_end451:
	.size	_ZN12_GLOBAL__N_120softmax_warp_forwardIN3c104HalfEffLi9ELb0ELb0ELi32EEEvPT0_PKT_iiiPKbib, .Lfunc_end451-_ZN12_GLOBAL__N_120softmax_warp_forwardIN3c104HalfEffLi9ELb0ELb0ELi32EEEvPT0_PKT_iiiPKbib
                                        ; -- End function
	.set _ZN12_GLOBAL__N_120softmax_warp_forwardIN3c104HalfEffLi9ELb0ELb0ELi32EEEvPT0_PKT_iiiPKbib.num_vgpr, 62
	.set _ZN12_GLOBAL__N_120softmax_warp_forwardIN3c104HalfEffLi9ELb0ELb0ELi32EEEvPT0_PKT_iiiPKbib.num_agpr, 0
	.set _ZN12_GLOBAL__N_120softmax_warp_forwardIN3c104HalfEffLi9ELb0ELb0ELi32EEEvPT0_PKT_iiiPKbib.numbered_sgpr, 24
	.set _ZN12_GLOBAL__N_120softmax_warp_forwardIN3c104HalfEffLi9ELb0ELb0ELi32EEEvPT0_PKT_iiiPKbib.num_named_barrier, 0
	.set _ZN12_GLOBAL__N_120softmax_warp_forwardIN3c104HalfEffLi9ELb0ELb0ELi32EEEvPT0_PKT_iiiPKbib.private_seg_size, 0
	.set _ZN12_GLOBAL__N_120softmax_warp_forwardIN3c104HalfEffLi9ELb0ELb0ELi32EEEvPT0_PKT_iiiPKbib.uses_vcc, 1
	.set _ZN12_GLOBAL__N_120softmax_warp_forwardIN3c104HalfEffLi9ELb0ELb0ELi32EEEvPT0_PKT_iiiPKbib.uses_flat_scratch, 0
	.set _ZN12_GLOBAL__N_120softmax_warp_forwardIN3c104HalfEffLi9ELb0ELb0ELi32EEEvPT0_PKT_iiiPKbib.has_dyn_sized_stack, 0
	.set _ZN12_GLOBAL__N_120softmax_warp_forwardIN3c104HalfEffLi9ELb0ELb0ELi32EEEvPT0_PKT_iiiPKbib.has_recursion, 0
	.set _ZN12_GLOBAL__N_120softmax_warp_forwardIN3c104HalfEffLi9ELb0ELb0ELi32EEEvPT0_PKT_iiiPKbib.has_indirect_call, 0
	.section	.AMDGPU.csdata,"",@progbits
; Kernel info:
; codeLenInByte = 4920
; TotalNumSgprs: 26
; NumVgprs: 62
; ScratchSize: 0
; MemoryBound: 0
; FloatMode: 240
; IeeeMode: 1
; LDSByteSize: 0 bytes/workgroup (compile time only)
; SGPRBlocks: 0
; VGPRBlocks: 7
; NumSGPRsForWavesPerEU: 26
; NumVGPRsForWavesPerEU: 62
; Occupancy: 16
; WaveLimiterHint : 0
; COMPUTE_PGM_RSRC2:SCRATCH_EN: 0
; COMPUTE_PGM_RSRC2:USER_SGPR: 6
; COMPUTE_PGM_RSRC2:TRAP_HANDLER: 0
; COMPUTE_PGM_RSRC2:TGID_X_EN: 1
; COMPUTE_PGM_RSRC2:TGID_Y_EN: 0
; COMPUTE_PGM_RSRC2:TGID_Z_EN: 0
; COMPUTE_PGM_RSRC2:TIDIG_COMP_CNT: 1
	.section	.text._ZN12_GLOBAL__N_120softmax_warp_forwardIN3c104HalfEffLi10ELb0ELb0ELi64EEEvPT0_PKT_iiiPKbib,"axG",@progbits,_ZN12_GLOBAL__N_120softmax_warp_forwardIN3c104HalfEffLi10ELb0ELb0ELi64EEEvPT0_PKT_iiiPKbib,comdat
	.globl	_ZN12_GLOBAL__N_120softmax_warp_forwardIN3c104HalfEffLi10ELb0ELb0ELi64EEEvPT0_PKT_iiiPKbib ; -- Begin function _ZN12_GLOBAL__N_120softmax_warp_forwardIN3c104HalfEffLi10ELb0ELb0ELi64EEEvPT0_PKT_iiiPKbib
	.p2align	8
	.type	_ZN12_GLOBAL__N_120softmax_warp_forwardIN3c104HalfEffLi10ELb0ELb0ELi64EEEvPT0_PKT_iiiPKbib,@function
_ZN12_GLOBAL__N_120softmax_warp_forwardIN3c104HalfEffLi10ELb0ELb0ELi64EEEvPT0_PKT_iiiPKbib: ; @_ZN12_GLOBAL__N_120softmax_warp_forwardIN3c104HalfEffLi10ELb0ELb0ELi64EEEvPT0_PKT_iiiPKbib
; %bb.0:
	s_clause 0x1
	s_load_dword s0, s[4:5], 0x3c
	s_load_dwordx8 s[16:23], s[4:5], 0x0
	v_mov_b32_e32 v10, 0xff800000
	v_mov_b32_e32 v9, 0xff800000
	s_waitcnt lgkmcnt(0)
	s_lshr_b32 s0, s0, 16
	v_cmp_gt_i32_e32 vcc_lo, s22, v0
	v_mad_u64_u32 v[3:4], null, s6, s0, v[1:2]
	v_mad_u64_u32 v[1:2], null, v3, s21, v[0:1]
	v_sub_nc_u32_e32 v5, s20, v3
	v_cmp_lt_i32_e64 s15, 0, v5
	v_ashrrev_i32_e32 v2, 31, v1
	s_and_b32 s1, s15, vcc_lo
	v_lshlrev_b64 v[3:4], 1, v[1:2]
	v_add_co_u32 v3, s0, s18, v3
	v_add_co_ci_u32_e64 v4, null, s19, v4, s0
	s_and_saveexec_b32 s0, s1
	s_cbranch_execz .LBB452_2
; %bb.1:
	global_load_ushort v6, v[3:4], off
	s_waitcnt vmcnt(0)
	v_cvt_f32_f16_e32 v9, v6
.LBB452_2:
	s_or_b32 exec_lo, exec_lo, s0
	v_add_nc_u32_e32 v6, 64, v0
	v_cmp_gt_i32_e64 s14, s22, v6
	s_and_b32 s1, s15, s14
	s_and_saveexec_b32 s0, s1
	s_cbranch_execz .LBB452_4
; %bb.3:
	global_load_ushort v6, v[3:4], off offset:128
	s_waitcnt vmcnt(0)
	v_cvt_f32_f16_e32 v10, v6
.LBB452_4:
	s_or_b32 exec_lo, exec_lo, s0
	v_add_nc_u32_e32 v6, 0x80, v0
	v_mov_b32_e32 v11, 0xff800000
	v_mov_b32_e32 v13, 0xff800000
	v_cmp_gt_i32_e64 s13, s22, v6
	s_and_b32 s1, s15, s13
	s_and_saveexec_b32 s0, s1
	s_cbranch_execz .LBB452_6
; %bb.5:
	global_load_ushort v6, v[3:4], off offset:256
	s_waitcnt vmcnt(0)
	v_cvt_f32_f16_e32 v13, v6
.LBB452_6:
	s_or_b32 exec_lo, exec_lo, s0
	v_add_nc_u32_e32 v6, 0xc0, v0
	v_cmp_gt_i32_e64 s12, s22, v6
	s_and_b32 s1, s15, s12
	s_and_saveexec_b32 s0, s1
	s_cbranch_execz .LBB452_8
; %bb.7:
	global_load_ushort v6, v[3:4], off offset:384
	s_waitcnt vmcnt(0)
	v_cvt_f32_f16_e32 v11, v6
.LBB452_8:
	s_or_b32 exec_lo, exec_lo, s0
	v_add_nc_u32_e32 v6, 0x100, v0
	v_mov_b32_e32 v12, 0xff800000
	v_mov_b32_e32 v19, 0xff800000
	v_cmp_gt_i32_e64 s11, s22, v6
	s_and_b32 s1, s15, s11
	s_and_saveexec_b32 s0, s1
	s_cbranch_execz .LBB452_10
; %bb.9:
	global_load_ushort v6, v[3:4], off offset:512
	s_waitcnt vmcnt(0)
	v_cvt_f32_f16_e32 v19, v6
.LBB452_10:
	;; [unrolled: 24-line block ×7, first 2 shown]
	s_or_b32 exec_lo, exec_lo, s0
	v_add_nc_u32_e32 v0, 0x3c0, v0
	v_cmp_gt_i32_e64 s0, s22, v0
	s_and_b32 s18, s15, s0
	s_and_saveexec_b32 s15, s18
	s_cbranch_execz .LBB452_32
; %bb.31:
	global_load_ushort v0, v[3:4], off offset:1920
	s_waitcnt vmcnt(0)
	v_cvt_f32_f16_e32 v18, v0
.LBB452_32:
	s_or_b32 exec_lo, exec_lo, s15
	v_cmp_gt_f32_e64 s15, v9, v10
	v_mbcnt_lo_u32_b32 v8, -1, 0
	s_mov_b32 s18, exec_lo
	v_cndmask_b32_e64 v0, v10, v9, s15
	v_or_b32_e32 v3, 32, v8
	v_xor_b32_e32 v27, 1, v8
	v_cmp_gt_f32_e64 s15, v0, v13
	v_cndmask_b32_e64 v0, v13, v0, s15
	v_cmp_gt_f32_e64 s15, v0, v11
	v_cndmask_b32_e64 v0, v11, v0, s15
	;; [unrolled: 2-line block ×12, first 2 shown]
	v_cmp_gt_i32_e64 s15, 64, v3
	v_cndmask_b32_e64 v3, v8, v3, s15
	v_cmp_gt_f32_e64 s15, v0, v24
	v_cndmask_b32_e64 v4, v24, v0, s15
	v_lshlrev_b32_e32 v0, 2, v3
	v_xor_b32_e32 v3, 16, v8
	v_cmp_gt_f32_e64 s15, v4, v18
	v_cndmask_b32_e64 v4, v18, v4, s15
	v_cmp_gt_i32_e64 s15, 64, v3
	ds_bpermute_b32 v6, v0, v4
	v_cndmask_b32_e64 v3, v8, v3, s15
	v_lshlrev_b32_e32 v3, 2, v3
	s_waitcnt lgkmcnt(0)
	v_cmp_lt_f32_e64 s15, v4, v6
	v_cndmask_b32_e64 v6, v4, v6, s15
	v_xor_b32_e32 v4, 8, v8
	ds_bpermute_b32 v7, v3, v6
	v_cmp_gt_i32_e64 s15, 64, v4
	v_cndmask_b32_e64 v4, v8, v4, s15
	v_lshlrev_b32_e32 v4, 2, v4
	s_waitcnt lgkmcnt(0)
	v_cmp_lt_f32_e64 s15, v6, v7
	v_cndmask_b32_e64 v7, v6, v7, s15
	v_xor_b32_e32 v6, 4, v8
	ds_bpermute_b32 v25, v4, v7
	v_cmp_gt_i32_e64 s15, 64, v6
	;; [unrolled: 8-line block ×3, first 2 shown]
	v_cndmask_b32_e64 v7, v8, v7, s15
	v_lshlrev_b32_e32 v7, 2, v7
	s_waitcnt lgkmcnt(0)
	v_cmp_lt_f32_e64 s15, v25, v26
	v_cndmask_b32_e64 v25, v25, v26, s15
	v_cmp_gt_i32_e64 s15, 64, v27
	ds_bpermute_b32 v26, v7, v25
	v_cndmask_b32_e64 v8, v8, v27, s15
	v_lshlrev_b32_e32 v8, 2, v8
	s_waitcnt lgkmcnt(0)
	v_cmp_lt_f32_e64 s15, v25, v26
	v_cndmask_b32_e64 v25, v25, v26, s15
	ds_bpermute_b32 v26, v8, v25
	s_waitcnt lgkmcnt(0)
	v_cmp_lt_f32_e64 s15, v25, v26
	v_cndmask_b32_e64 v25, v25, v26, s15
	v_sub_f32_e32 v9, v9, v25
	v_sub_f32_e32 v10, v10, v25
	;; [unrolled: 1-line block ×5, first 2 shown]
	v_mul_f32_e32 v17, 0x3fb8aa3b, v9
	v_mul_f32_e32 v18, 0x3fb8aa3b, v10
	v_sub_f32_e32 v31, v24, v25
	v_mul_f32_e32 v24, 0x3fb8aa3b, v13
	v_sub_f32_e32 v14, v14, v25
	v_fma_f32 v41, 0x3fb8aa3b, v9, -v17
	v_rndne_f32_e32 v42, v17
	v_fma_f32 v43, 0x3fb8aa3b, v10, -v18
	v_rndne_f32_e32 v44, v18
	v_fma_f32 v45, 0x3fb8aa3b, v13, -v24
	v_fmac_f32_e32 v41, 0x32a5705f, v9
	v_sub_f32_e32 v17, v17, v42
	v_rndne_f32_e32 v46, v24
	v_fmac_f32_e32 v43, 0x32a5705f, v10
	v_sub_f32_e32 v18, v18, v44
	v_sub_f32_e32 v11, v11, v25
	v_add_f32_e32 v17, v17, v41
	v_sub_f32_e32 v20, v20, v25
	v_mul_f32_e32 v29, 0x3fb8aa3b, v14
	v_add_f32_e32 v18, v18, v43
	v_fmac_f32_e32 v45, 0x32a5705f, v13
	v_sub_f32_e32 v24, v24, v46
	v_exp_f32_e32 v17, v17
	v_sub_f32_e32 v19, v19, v25
	v_sub_f32_e32 v12, v12, v25
	;; [unrolled: 1-line block ×7, first 2 shown]
	v_mul_f32_e32 v25, 0x3fb8aa3b, v11
	v_mul_f32_e32 v28, 0x3fb8aa3b, v20
	v_fma_f32 v55, 0x3fb8aa3b, v14, -v29
	v_rndne_f32_e32 v56, v29
	v_add_f32_e32 v24, v24, v45
	v_cvt_i32_f32_e32 v42, v42
	v_exp_f32_e32 v18, v18
	v_fma_f32 v47, 0x3fb8aa3b, v11, -v25
	v_rndne_f32_e32 v48, v25
	v_fma_f32 v53, 0x3fb8aa3b, v20, -v28
	v_rndne_f32_e32 v54, v28
	v_fmac_f32_e32 v55, 0x32a5705f, v14
	v_sub_f32_e32 v29, v29, v56
	v_cvt_i32_f32_e32 v44, v44
	v_exp_f32_e32 v24, v24
	v_ldexp_f32 v17, v17, v42
	v_cmp_ngt_f32_e64 s15, 0xc2ce8ed0, v9
	v_mul_f32_e32 v26, 0x3fb8aa3b, v19
	v_mul_f32_e32 v27, 0x3fb8aa3b, v12
	v_fmac_f32_e32 v47, 0x32a5705f, v11
	v_sub_f32_e32 v25, v25, v48
	v_fmac_f32_e32 v53, 0x32a5705f, v20
	v_sub_f32_e32 v28, v28, v54
	v_add_f32_e32 v29, v29, v55
	v_cvt_i32_f32_e32 v46, v46
	v_ldexp_f32 v18, v18, v44
	v_cndmask_b32_e64 v17, 0, v17, s15
	v_cmp_ngt_f32_e64 s15, 0xc2ce8ed0, v10
	v_mul_f32_e32 v36, 0x3fb8aa3b, v16
	v_fma_f32 v49, 0x3fb8aa3b, v19, -v26
	v_rndne_f32_e32 v50, v26
	v_fma_f32 v51, 0x3fb8aa3b, v12, -v27
	v_rndne_f32_e32 v52, v27
	v_add_f32_e32 v25, v25, v47
	v_add_f32_e32 v28, v28, v53
	v_exp_f32_e32 v29, v29
	v_ldexp_f32 v24, v24, v46
	v_cndmask_b32_e64 v18, 0, v18, s15
	v_cmp_ngt_f32_e64 s15, 0xc2ce8ed0, v13
	v_fma_f32 v43, 0x3fb8aa3b, v16, -v36
	v_fmac_f32_e32 v49, 0x32a5705f, v19
	v_sub_f32_e32 v26, v26, v50
	v_rndne_f32_e32 v45, v36
	v_fmac_f32_e32 v51, 0x32a5705f, v12
	v_sub_f32_e32 v27, v27, v52
	v_cvt_i32_f32_e32 v56, v56
	v_exp_f32_e32 v25, v25
	v_exp_f32_e32 v28, v28
	v_cndmask_b32_e64 v24, 0, v24, s15
	v_cmp_nlt_f32_e64 s15, 0x42b17218, v9
	v_add_f32_e32 v26, v26, v49
	v_add_f32_e32 v27, v27, v51
	v_cvt_i32_f32_e32 v48, v48
	v_cvt_i32_f32_e32 v54, v54
	v_fmac_f32_e32 v43, 0x32a5705f, v16
	v_sub_f32_e32 v36, v36, v45
	v_ldexp_f32 v44, v29, v56
	v_cndmask_b32_e64 v29, 0x7f800000, v17, s15
	v_cmp_nlt_f32_e64 s15, 0x42b17218, v10
	v_exp_f32_e32 v26, v26
	v_add_f32_e32 v36, v36, v43
	v_exp_f32_e32 v27, v27
	v_ldexp_f32 v25, v25, v48
	v_ldexp_f32 v43, v28, v54
	v_cndmask_b32_e64 v28, 0x7f800000, v18, s15
	v_cmp_ngt_f32_e64 s15, 0xc2ce8ed0, v11
	v_cvt_i32_f32_e32 v50, v50
	v_cvt_i32_f32_e32 v52, v52
	v_mul_f32_e32 v33, 0x3fb8aa3b, v21
	v_add_f32_e32 v10, v29, v28
	v_cndmask_b32_e64 v9, 0, v25, s15
	v_cmp_nlt_f32_e64 s15, 0x42b17218, v13
	v_ldexp_f32 v26, v26, v50
	v_ldexp_f32 v42, v27, v52
	v_fma_f32 v57, 0x3fb8aa3b, v21, -v33
	v_rndne_f32_e32 v58, v33
	v_cndmask_b32_e64 v27, 0x7f800000, v24, s15
	v_cmp_ngt_f32_e64 s15, 0xc2ce8ed0, v19
	v_mul_f32_e32 v34, 0x3fb8aa3b, v15
	v_fmac_f32_e32 v57, 0x32a5705f, v21
	v_sub_f32_e32 v33, v33, v58
	v_mul_f32_e32 v35, 0x3fb8aa3b, v22
	v_cndmask_b32_e64 v13, 0, v26, s15
	v_cmp_nlt_f32_e64 s15, 0x42b17218, v11
	v_fma_f32 v59, 0x3fb8aa3b, v15, -v34
	v_rndne_f32_e32 v60, v34
	v_add_f32_e32 v33, v33, v57
	v_fma_f32 v61, 0x3fb8aa3b, v22, -v35
	v_cndmask_b32_e64 v26, 0x7f800000, v9, s15
	v_cmp_ngt_f32_e64 s15, 0xc2ce8ed0, v12
	v_add_f32_e32 v9, v10, v27
	v_fmac_f32_e32 v59, 0x32a5705f, v15
	v_sub_f32_e32 v34, v34, v60
	v_exp_f32_e32 v33, v33
	v_cndmask_b32_e64 v10, 0, v42, s15
	v_cmp_nlt_f32_e64 s15, 0x42b17218, v19
	v_rndne_f32_e32 v41, v35
	v_add_f32_e32 v34, v34, v59
	v_cvt_i32_f32_e32 v58, v58
	v_fmac_f32_e32 v61, 0x32a5705f, v22
	v_cndmask_b32_e64 v25, 0x7f800000, v13, s15
	v_cmp_ngt_f32_e64 s15, 0xc2ce8ed0, v20
	v_sub_f32_e32 v35, v35, v41
	v_exp_f32_e32 v34, v34
	v_ldexp_f32 v33, v33, v58
	v_cvt_i32_f32_e32 v60, v60
	v_cndmask_b32_e64 v11, 0, v43, s15
	v_cmp_nlt_f32_e64 s15, 0x42b17218, v12
	v_add_f32_e32 v35, v35, v61
	v_mul_f32_e32 v37, 0x3fb8aa3b, v23
	v_cvt_i32_f32_e32 v41, v41
	v_mul_f32_e32 v38, 0x3fb8aa3b, v30
	v_cndmask_b32_e64 v24, 0x7f800000, v10, s15
	v_cmp_ngt_f32_e64 s15, 0xc2ce8ed0, v14
	v_exp_f32_e32 v35, v35
	v_ldexp_f32 v34, v34, v60
	v_fma_f32 v47, 0x3fb8aa3b, v23, -v37
	v_rndne_f32_e32 v49, v37
	v_cndmask_b32_e64 v10, 0, v44, s15
	v_cmp_nlt_f32_e64 s15, 0x42b17218, v20
	v_exp_f32_e32 v36, v36
	v_fmac_f32_e32 v47, 0x32a5705f, v23
	v_sub_f32_e32 v37, v37, v49
	v_fma_f32 v51, 0x3fb8aa3b, v30, -v38
	v_cndmask_b32_e64 v19, 0x7f800000, v11, s15
	v_cmp_ngt_f32_e64 s15, 0xc2ce8ed0, v21
	v_ldexp_f32 v35, v35, v41
	v_rndne_f32_e32 v53, v38
	v_cvt_i32_f32_e32 v45, v45
	v_add_f32_e32 v37, v37, v47
	v_cndmask_b32_e64 v11, 0, v33, s15
	v_cmp_nlt_f32_e64 s15, 0x42b17218, v14
	v_mul_f32_e32 v39, 0x3fb8aa3b, v31
	v_fmac_f32_e32 v51, 0x32a5705f, v30
	v_sub_f32_e32 v38, v38, v53
	v_exp_f32_e32 v37, v37
	v_cndmask_b32_e64 v18, 0x7f800000, v10, s15
	v_cmp_ngt_f32_e64 s15, 0xc2ce8ed0, v15
	v_ldexp_f32 v36, v36, v45
	v_add_f32_e32 v9, v9, v26
	v_fma_f32 v55, 0x3fb8aa3b, v31, -v39
	v_rndne_f32_e32 v57, v39
	v_cndmask_b32_e64 v10, 0, v34, s15
	v_cmp_nlt_f32_e64 s15, 0x42b17218, v21
	v_cvt_i32_f32_e32 v49, v49
	v_add_f32_e32 v38, v38, v51
	v_add_f32_e32 v9, v9, v25
	v_fmac_f32_e32 v55, 0x32a5705f, v31
	v_cndmask_b32_e64 v17, 0x7f800000, v11, s15
	v_cmp_ngt_f32_e64 s15, 0xc2ce8ed0, v22
	v_sub_f32_e32 v39, v39, v57
	v_exp_f32_e32 v38, v38
	v_ldexp_f32 v37, v37, v49
	v_add_f32_e32 v9, v9, v24
	v_cndmask_b32_e64 v11, 0, v35, s15
	v_cmp_nlt_f32_e64 s15, 0x42b17218, v15
	v_mul_f32_e32 v40, 0x3fb8aa3b, v32
	v_cvt_i32_f32_e32 v53, v53
	v_add_f32_e32 v39, v39, v55
	v_add_f32_e32 v9, v9, v19
	v_cndmask_b32_e64 v15, 0x7f800000, v10, s15
	v_cmp_ngt_f32_e64 s15, 0xc2ce8ed0, v16
	v_fma_f32 v59, 0x3fb8aa3b, v32, -v40
	v_rndne_f32_e32 v61, v40
	v_exp_f32_e32 v39, v39
	v_ldexp_f32 v38, v38, v53
	v_cndmask_b32_e64 v10, 0, v36, s15
	v_cmp_nlt_f32_e64 s15, 0x42b17218, v22
	v_add_f32_e32 v9, v9, v18
	v_cvt_i32_f32_e32 v57, v57
	v_fmac_f32_e32 v59, 0x32a5705f, v32
	v_sub_f32_e32 v40, v40, v61
	v_cndmask_b32_e64 v14, 0x7f800000, v11, s15
	v_cmp_ngt_f32_e64 s15, 0xc2ce8ed0, v23
	v_add_f32_e32 v9, v9, v17
	v_ldexp_f32 v39, v39, v57
	v_add_f32_e32 v40, v40, v59
	v_cvt_i32_f32_e32 v61, v61
	v_cndmask_b32_e64 v11, 0, v37, s15
	v_cmp_nlt_f32_e64 s15, 0x42b17218, v16
	v_add_f32_e32 v9, v9, v15
	v_exp_f32_e32 v40, v40
	v_cndmask_b32_e64 v13, 0x7f800000, v10, s15
	v_cmp_ngt_f32_e64 s15, 0xc2ce8ed0, v30
	v_add_f32_e32 v9, v9, v14
	v_cndmask_b32_e64 v10, 0, v38, s15
	v_cmp_nlt_f32_e64 s15, 0x42b17218, v23
	v_add_f32_e32 v9, v9, v13
	v_ldexp_f32 v20, v40, v61
	v_cndmask_b32_e64 v12, 0x7f800000, v11, s15
	v_cmp_ngt_f32_e64 s15, 0xc2ce8ed0, v31
	v_add_f32_e32 v9, v9, v12
	v_cndmask_b32_e64 v16, 0, v39, s15
	v_cmp_nlt_f32_e64 s15, 0x42b17218, v30
	v_cndmask_b32_e64 v11, 0x7f800000, v10, s15
	v_cmp_nlt_f32_e64 s15, 0x42b17218, v31
	v_add_f32_e32 v9, v9, v11
	v_cndmask_b32_e64 v10, 0x7f800000, v16, s15
	v_cmp_ngt_f32_e64 s15, 0xc2ce8ed0, v32
	v_cndmask_b32_e64 v16, 0, v20, s15
	v_cmp_nlt_f32_e64 s15, 0x42b17218, v32
	v_add_f32_e32 v20, v9, v10
	v_cndmask_b32_e64 v9, 0x7f800000, v16, s15
	v_add_f32_e32 v16, v20, v9
	ds_bpermute_b32 v0, v0, v16
	s_waitcnt lgkmcnt(0)
	v_add_f32_e32 v0, v16, v0
	ds_bpermute_b32 v3, v3, v0
	s_waitcnt lgkmcnt(0)
	;; [unrolled: 3-line block ×5, first 2 shown]
	v_add_f32_e32 v0, v0, v3
	ds_bpermute_b32 v3, v8, v0
	v_cmpx_lt_i32_e32 0, v5
	s_cbranch_execz .LBB452_50
; %bb.33:
	s_and_b32 exec_lo, exec_lo, vcc_lo
	s_cbranch_execz .LBB452_50
; %bb.34:
	s_waitcnt lgkmcnt(0)
	v_add_f32_e32 v3, v0, v3
	v_div_scale_f32 v0, null, v3, v3, v29
	v_div_scale_f32 v6, vcc_lo, v29, v3, v29
	v_cmp_eq_f32_e64 s15, 0, v3
	v_rcp_f32_e32 v4, v0
	v_fma_f32 v5, -v0, v4, 1.0
	v_fmac_f32_e32 v4, v5, v4
	v_mul_f32_e32 v5, v6, v4
	v_fma_f32 v7, -v0, v5, v6
	v_fmac_f32_e32 v5, v7, v4
	v_fma_f32 v0, -v0, v5, v6
	v_div_fmas_f32 v4, v0, v4, v5
	v_lshlrev_b64 v[0:1], 2, v[1:2]
	v_div_fixup_f32 v2, v4, v3, v29
	v_add_co_u32 v0, vcc_lo, s16, v0
	v_add_co_ci_u32_e64 v1, null, s17, v1, vcc_lo
	v_cndmask_b32_e64 v2, v2, 0x7fc00000, s15
	global_store_dword v[0:1], v2, off
	s_and_b32 exec_lo, exec_lo, s14
	s_cbranch_execz .LBB452_50
; %bb.35:
	v_div_scale_f32 v2, null, v3, v3, v28
	v_rcp_f32_e32 v4, v2
	v_fma_f32 v5, -v2, v4, 1.0
	v_fmac_f32_e32 v4, v5, v4
	v_div_scale_f32 v5, vcc_lo, v28, v3, v28
	v_mul_f32_e32 v6, v5, v4
	v_fma_f32 v7, -v2, v6, v5
	v_fmac_f32_e32 v6, v7, v4
	v_fma_f32 v2, -v2, v6, v5
	v_div_fmas_f32 v2, v2, v4, v6
	v_div_fixup_f32 v2, v2, v3, v28
	v_cndmask_b32_e64 v2, v2, 0x7fc00000, s15
	global_store_dword v[0:1], v2, off offset:256
	s_and_b32 exec_lo, exec_lo, s13
	s_cbranch_execz .LBB452_50
; %bb.36:
	v_div_scale_f32 v2, null, v3, v3, v27
	v_rcp_f32_e32 v4, v2
	v_fma_f32 v5, -v2, v4, 1.0
	v_fmac_f32_e32 v4, v5, v4
	v_div_scale_f32 v5, vcc_lo, v27, v3, v27
	v_mul_f32_e32 v6, v5, v4
	v_fma_f32 v7, -v2, v6, v5
	v_fmac_f32_e32 v6, v7, v4
	v_fma_f32 v2, -v2, v6, v5
	v_div_fmas_f32 v2, v2, v4, v6
	v_div_fixup_f32 v2, v2, v3, v27
	v_cndmask_b32_e64 v2, v2, 0x7fc00000, s15
	global_store_dword v[0:1], v2, off offset:512
	;; [unrolled: 16-line block ×7, first 2 shown]
	s_and_b32 exec_lo, exec_lo, s7
	s_cbranch_execz .LBB452_50
; %bb.42:
	v_div_scale_f32 v2, null, v3, v3, v17
	v_div_scale_f32 v6, vcc_lo, v17, v3, v17
	v_rcp_f32_e32 v4, v2
	v_fma_f32 v5, -v2, v4, 1.0
	v_fmac_f32_e32 v4, v5, v4
	v_mul_f32_e32 v5, v6, v4
	v_fma_f32 v7, -v2, v5, v6
	v_fmac_f32_e32 v5, v7, v4
	v_fma_f32 v2, -v2, v5, v6
	v_div_fmas_f32 v2, v2, v4, v5
	v_add_co_u32 v0, vcc_lo, 0x800, v0
	v_add_co_ci_u32_e64 v1, null, 0, v1, vcc_lo
	v_div_fixup_f32 v2, v2, v3, v17
	v_cndmask_b32_e64 v2, v2, 0x7fc00000, s15
	global_store_dword v[0:1], v2, off
	s_and_b32 exec_lo, exec_lo, s6
	s_cbranch_execz .LBB452_50
; %bb.43:
	v_div_scale_f32 v2, null, v3, v3, v15
	v_rcp_f32_e32 v4, v2
	v_fma_f32 v5, -v2, v4, 1.0
	v_fmac_f32_e32 v4, v5, v4
	v_div_scale_f32 v5, vcc_lo, v15, v3, v15
	v_mul_f32_e32 v6, v5, v4
	v_fma_f32 v7, -v2, v6, v5
	v_fmac_f32_e32 v6, v7, v4
	v_fma_f32 v2, -v2, v6, v5
	v_div_fmas_f32 v2, v2, v4, v6
	v_div_fixup_f32 v2, v2, v3, v15
	v_cndmask_b32_e64 v2, v2, 0x7fc00000, s15
	global_store_dword v[0:1], v2, off offset:256
	s_and_b32 exec_lo, exec_lo, s5
	s_cbranch_execz .LBB452_50
; %bb.44:
	v_div_scale_f32 v2, null, v3, v3, v14
	v_rcp_f32_e32 v4, v2
	v_fma_f32 v5, -v2, v4, 1.0
	v_fmac_f32_e32 v4, v5, v4
	v_div_scale_f32 v5, vcc_lo, v14, v3, v14
	v_mul_f32_e32 v6, v5, v4
	v_fma_f32 v7, -v2, v6, v5
	v_fmac_f32_e32 v6, v7, v4
	v_fma_f32 v2, -v2, v6, v5
	v_div_fmas_f32 v2, v2, v4, v6
	v_div_fixup_f32 v2, v2, v3, v14
	v_cndmask_b32_e64 v2, v2, 0x7fc00000, s15
	global_store_dword v[0:1], v2, off offset:512
	;; [unrolled: 16-line block ×7, first 2 shown]
.LBB452_50:
	s_endpgm
	.section	.rodata,"a",@progbits
	.p2align	6, 0x0
	.amdhsa_kernel _ZN12_GLOBAL__N_120softmax_warp_forwardIN3c104HalfEffLi10ELb0ELb0ELi64EEEvPT0_PKT_iiiPKbib
		.amdhsa_group_segment_fixed_size 0
		.amdhsa_private_segment_fixed_size 0
		.amdhsa_kernarg_size 304
		.amdhsa_user_sgpr_count 6
		.amdhsa_user_sgpr_private_segment_buffer 1
		.amdhsa_user_sgpr_dispatch_ptr 0
		.amdhsa_user_sgpr_queue_ptr 0
		.amdhsa_user_sgpr_kernarg_segment_ptr 1
		.amdhsa_user_sgpr_dispatch_id 0
		.amdhsa_user_sgpr_flat_scratch_init 0
		.amdhsa_user_sgpr_private_segment_size 0
		.amdhsa_wavefront_size32 1
		.amdhsa_uses_dynamic_stack 0
		.amdhsa_system_sgpr_private_segment_wavefront_offset 0
		.amdhsa_system_sgpr_workgroup_id_x 1
		.amdhsa_system_sgpr_workgroup_id_y 0
		.amdhsa_system_sgpr_workgroup_id_z 0
		.amdhsa_system_sgpr_workgroup_info 0
		.amdhsa_system_vgpr_workitem_id 1
		.amdhsa_next_free_vgpr 62
		.amdhsa_next_free_sgpr 24
		.amdhsa_reserve_vcc 1
		.amdhsa_reserve_flat_scratch 0
		.amdhsa_float_round_mode_32 0
		.amdhsa_float_round_mode_16_64 0
		.amdhsa_float_denorm_mode_32 3
		.amdhsa_float_denorm_mode_16_64 3
		.amdhsa_dx10_clamp 1
		.amdhsa_ieee_mode 1
		.amdhsa_fp16_overflow 0
		.amdhsa_workgroup_processor_mode 1
		.amdhsa_memory_ordered 1
		.amdhsa_forward_progress 1
		.amdhsa_shared_vgpr_count 0
		.amdhsa_exception_fp_ieee_invalid_op 0
		.amdhsa_exception_fp_denorm_src 0
		.amdhsa_exception_fp_ieee_div_zero 0
		.amdhsa_exception_fp_ieee_overflow 0
		.amdhsa_exception_fp_ieee_underflow 0
		.amdhsa_exception_fp_ieee_inexact 0
		.amdhsa_exception_int_div_zero 0
	.end_amdhsa_kernel
	.section	.text._ZN12_GLOBAL__N_120softmax_warp_forwardIN3c104HalfEffLi10ELb0ELb0ELi64EEEvPT0_PKT_iiiPKbib,"axG",@progbits,_ZN12_GLOBAL__N_120softmax_warp_forwardIN3c104HalfEffLi10ELb0ELb0ELi64EEEvPT0_PKT_iiiPKbib,comdat
.Lfunc_end452:
	.size	_ZN12_GLOBAL__N_120softmax_warp_forwardIN3c104HalfEffLi10ELb0ELb0ELi64EEEvPT0_PKT_iiiPKbib, .Lfunc_end452-_ZN12_GLOBAL__N_120softmax_warp_forwardIN3c104HalfEffLi10ELb0ELb0ELi64EEEvPT0_PKT_iiiPKbib
                                        ; -- End function
	.set _ZN12_GLOBAL__N_120softmax_warp_forwardIN3c104HalfEffLi10ELb0ELb0ELi64EEEvPT0_PKT_iiiPKbib.num_vgpr, 62
	.set _ZN12_GLOBAL__N_120softmax_warp_forwardIN3c104HalfEffLi10ELb0ELb0ELi64EEEvPT0_PKT_iiiPKbib.num_agpr, 0
	.set _ZN12_GLOBAL__N_120softmax_warp_forwardIN3c104HalfEffLi10ELb0ELb0ELi64EEEvPT0_PKT_iiiPKbib.numbered_sgpr, 24
	.set _ZN12_GLOBAL__N_120softmax_warp_forwardIN3c104HalfEffLi10ELb0ELb0ELi64EEEvPT0_PKT_iiiPKbib.num_named_barrier, 0
	.set _ZN12_GLOBAL__N_120softmax_warp_forwardIN3c104HalfEffLi10ELb0ELb0ELi64EEEvPT0_PKT_iiiPKbib.private_seg_size, 0
	.set _ZN12_GLOBAL__N_120softmax_warp_forwardIN3c104HalfEffLi10ELb0ELb0ELi64EEEvPT0_PKT_iiiPKbib.uses_vcc, 1
	.set _ZN12_GLOBAL__N_120softmax_warp_forwardIN3c104HalfEffLi10ELb0ELb0ELi64EEEvPT0_PKT_iiiPKbib.uses_flat_scratch, 0
	.set _ZN12_GLOBAL__N_120softmax_warp_forwardIN3c104HalfEffLi10ELb0ELb0ELi64EEEvPT0_PKT_iiiPKbib.has_dyn_sized_stack, 0
	.set _ZN12_GLOBAL__N_120softmax_warp_forwardIN3c104HalfEffLi10ELb0ELb0ELi64EEEvPT0_PKT_iiiPKbib.has_recursion, 0
	.set _ZN12_GLOBAL__N_120softmax_warp_forwardIN3c104HalfEffLi10ELb0ELb0ELi64EEEvPT0_PKT_iiiPKbib.has_indirect_call, 0
	.section	.AMDGPU.csdata,"",@progbits
; Kernel info:
; codeLenInByte = 5012
; TotalNumSgprs: 26
; NumVgprs: 62
; ScratchSize: 0
; MemoryBound: 0
; FloatMode: 240
; IeeeMode: 1
; LDSByteSize: 0 bytes/workgroup (compile time only)
; SGPRBlocks: 0
; VGPRBlocks: 7
; NumSGPRsForWavesPerEU: 26
; NumVGPRsForWavesPerEU: 62
; Occupancy: 16
; WaveLimiterHint : 0
; COMPUTE_PGM_RSRC2:SCRATCH_EN: 0
; COMPUTE_PGM_RSRC2:USER_SGPR: 6
; COMPUTE_PGM_RSRC2:TRAP_HANDLER: 0
; COMPUTE_PGM_RSRC2:TGID_X_EN: 1
; COMPUTE_PGM_RSRC2:TGID_Y_EN: 0
; COMPUTE_PGM_RSRC2:TGID_Z_EN: 0
; COMPUTE_PGM_RSRC2:TIDIG_COMP_CNT: 1
	.section	.text._ZN12_GLOBAL__N_120softmax_warp_forwardIN3c104HalfEffLi10ELb0ELb0ELi32EEEvPT0_PKT_iiiPKbib,"axG",@progbits,_ZN12_GLOBAL__N_120softmax_warp_forwardIN3c104HalfEffLi10ELb0ELb0ELi32EEEvPT0_PKT_iiiPKbib,comdat
	.globl	_ZN12_GLOBAL__N_120softmax_warp_forwardIN3c104HalfEffLi10ELb0ELb0ELi32EEEvPT0_PKT_iiiPKbib ; -- Begin function _ZN12_GLOBAL__N_120softmax_warp_forwardIN3c104HalfEffLi10ELb0ELb0ELi32EEEvPT0_PKT_iiiPKbib
	.p2align	8
	.type	_ZN12_GLOBAL__N_120softmax_warp_forwardIN3c104HalfEffLi10ELb0ELb0ELi32EEEvPT0_PKT_iiiPKbib,@function
_ZN12_GLOBAL__N_120softmax_warp_forwardIN3c104HalfEffLi10ELb0ELb0ELi32EEEvPT0_PKT_iiiPKbib: ; @_ZN12_GLOBAL__N_120softmax_warp_forwardIN3c104HalfEffLi10ELb0ELb0ELi32EEEvPT0_PKT_iiiPKbib
; %bb.0:
	s_clause 0x1
	s_load_dword s0, s[4:5], 0x3c
	s_load_dwordx8 s[36:43], s[4:5], 0x0
	v_mov_b32_e32 v11, 0xff800000
	v_mov_b32_e32 v10, 0xff800000
	s_waitcnt lgkmcnt(0)
	s_lshr_b32 s0, s0, 16
	v_cmp_gt_i32_e32 vcc_lo, s42, v0
	v_mad_u64_u32 v[3:4], null, s6, s0, v[1:2]
	v_mad_u64_u32 v[1:2], null, v3, s41, v[0:1]
	v_sub_nc_u32_e32 v5, s40, v3
	v_cmp_lt_i32_e64 s31, 0, v5
	v_ashrrev_i32_e32 v2, 31, v1
	s_and_b32 s1, s31, vcc_lo
	v_lshlrev_b64 v[3:4], 1, v[1:2]
	v_add_co_u32 v3, s0, s38, v3
	v_add_co_ci_u32_e64 v4, null, s39, v4, s0
	s_and_saveexec_b32 s0, s1
	s_cbranch_execz .LBB453_2
; %bb.1:
	global_load_ushort v6, v[3:4], off
	s_waitcnt vmcnt(0)
	v_cvt_f32_f16_e32 v10, v6
.LBB453_2:
	s_or_b32 exec_lo, exec_lo, s0
	v_add_nc_u32_e32 v6, 32, v0
	v_cmp_gt_i32_e64 s30, s42, v6
	s_and_b32 s1, s31, s30
	s_and_saveexec_b32 s0, s1
	s_cbranch_execz .LBB453_4
; %bb.3:
	global_load_ushort v6, v[3:4], off offset:64
	s_waitcnt vmcnt(0)
	v_cvt_f32_f16_e32 v11, v6
.LBB453_4:
	s_or_b32 exec_lo, exec_lo, s0
	v_add_nc_u32_e32 v6, 64, v0
	v_mov_b32_e32 v16, 0xff800000
	v_mov_b32_e32 v14, 0xff800000
	v_cmp_gt_i32_e64 s29, s42, v6
	s_and_b32 s1, s31, s29
	s_and_saveexec_b32 s0, s1
	s_cbranch_execz .LBB453_6
; %bb.5:
	global_load_ushort v6, v[3:4], off offset:128
	s_waitcnt vmcnt(0)
	v_cvt_f32_f16_e32 v14, v6
.LBB453_6:
	s_or_b32 exec_lo, exec_lo, s0
	v_add_nc_u32_e32 v6, 0x60, v0
	v_cmp_gt_i32_e64 s28, s42, v6
	s_and_b32 s1, s31, s28
	s_and_saveexec_b32 s0, s1
	s_cbranch_execz .LBB453_8
; %bb.7:
	global_load_ushort v6, v[3:4], off offset:192
	s_waitcnt vmcnt(0)
	v_cvt_f32_f16_e32 v16, v6
.LBB453_8:
	s_or_b32 exec_lo, exec_lo, s0
	v_add_nc_u32_e32 v6, 0x80, v0
	v_mov_b32_e32 v18, 0xff800000
	v_mov_b32_e32 v17, 0xff800000
	v_cmp_gt_i32_e64 s27, s42, v6
	s_and_b32 s1, s31, s27
	s_and_saveexec_b32 s0, s1
	s_cbranch_execz .LBB453_10
; %bb.9:
	global_load_ushort v6, v[3:4], off offset:256
	s_waitcnt vmcnt(0)
	v_cvt_f32_f16_e32 v17, v6
.LBB453_10:
	;; [unrolled: 24-line block ×14, first 2 shown]
	s_or_b32 exec_lo, exec_lo, s0
	v_add_nc_u32_e32 v6, 0x3a0, v0
	v_cmp_gt_i32_e64 s2, s42, v6
	s_and_b32 s1, s31, s2
	s_and_saveexec_b32 s0, s1
	s_cbranch_execz .LBB453_60
; %bb.59:
	global_load_ushort v6, v[3:4], off offset:1856
	s_waitcnt vmcnt(0)
	v_cvt_f32_f16_e32 v7, v6
.LBB453_60:
	s_or_b32 exec_lo, exec_lo, s0
	v_add_nc_u32_e32 v6, 0x3c0, v0
	v_mov_b32_e32 v8, 0xff800000
	v_cmp_gt_i32_e64 s1, s42, v6
	v_mov_b32_e32 v6, 0xff800000
	s_and_b32 s33, s31, s1
	s_and_saveexec_b32 s0, s33
	s_cbranch_execz .LBB453_62
; %bb.61:
	global_load_ushort v8, v[3:4], off offset:1920
	s_waitcnt vmcnt(0)
	v_cvt_f32_f16_e32 v8, v8
.LBB453_62:
	s_or_b32 exec_lo, exec_lo, s0
	v_add_nc_u32_e32 v0, 0x3e0, v0
	v_cmp_gt_i32_e64 s0, s42, v0
	s_and_b32 s33, s31, s0
	s_and_saveexec_b32 s31, s33
	s_cbranch_execz .LBB453_64
; %bb.63:
	global_load_ushort v0, v[3:4], off offset:1984
	s_waitcnt vmcnt(0)
	v_cvt_f32_f16_e32 v6, v0
.LBB453_64:
	s_or_b32 exec_lo, exec_lo, s31
	v_cmp_gt_f32_e64 s31, v10, v11
	v_mbcnt_lo_u32_b32 v15, -1, 0
	s_mov_b32 s33, exec_lo
	v_cndmask_b32_e64 v0, v11, v10, s31
	v_cmp_gt_f32_e64 s31, v0, v14
	v_cndmask_b32_e64 v0, v14, v0, s31
	v_cmp_gt_f32_e64 s31, v0, v16
	;; [unrolled: 2-line block ×30, first 2 shown]
	v_cndmask_b32_e64 v3, v6, v0, s31
	v_xor_b32_e32 v0, 16, v15
	v_cmp_gt_i32_e64 s31, 32, v0
	v_cndmask_b32_e64 v0, v15, v0, s31
	v_lshlrev_b32_e32 v0, 2, v0
	ds_bpermute_b32 v4, v0, v3
	s_waitcnt lgkmcnt(0)
	v_cmp_lt_f32_e64 s31, v3, v4
	v_cndmask_b32_e64 v4, v3, v4, s31
	v_xor_b32_e32 v3, 8, v15
	v_cmp_gt_i32_e64 s31, 32, v3
	v_cndmask_b32_e64 v3, v15, v3, s31
	v_lshlrev_b32_e32 v3, 2, v3
	ds_bpermute_b32 v13, v3, v4
	s_waitcnt lgkmcnt(0)
	v_cmp_lt_f32_e64 s31, v4, v13
	;; [unrolled: 8-line block ×5, first 2 shown]
	v_cndmask_b32_e64 v25, v25, v41, s31
	v_sub_f32_e32 v10, v10, v25
	v_sub_f32_e32 v11, v11, v25
	;; [unrolled: 1-line block ×5, first 2 shown]
	v_mul_f32_e32 v41, 0x3fb8aa3b, v10
	v_cmp_ngt_f32_e64 s31, 0xc2ce8ed0, v10
	v_sub_f32_e32 v18, v18, v25
	v_sub_f32_e32 v21, v21, v25
	;; [unrolled: 1-line block ×3, first 2 shown]
	v_fma_f32 v42, 0x3fb8aa3b, v10, -v41
	v_rndne_f32_e32 v43, v41
	v_sub_f32_e32 v23, v23, v25
	v_sub_f32_e32 v27, v27, v25
	;; [unrolled: 1-line block ×3, first 2 shown]
	v_fmac_f32_e32 v42, 0x32a5705f, v10
	v_sub_f32_e32 v41, v41, v43
	v_sub_f32_e32 v29, v29, v25
	;; [unrolled: 1-line block ×5, first 2 shown]
	v_add_f32_e32 v41, v41, v42
	v_cvt_i32_f32_e32 v42, v43
	v_sub_f32_e32 v34, v34, v25
	v_sub_f32_e32 v35, v35, v25
	;; [unrolled: 1-line block ×3, first 2 shown]
	v_exp_f32_e32 v41, v41
	v_sub_f32_e32 v36, v36, v25
	v_sub_f32_e32 v37, v37, v25
	;; [unrolled: 1-line block ×9, first 2 shown]
	v_ldexp_f32 v41, v41, v42
	v_sub_f32_e32 v12, v12, v25
	v_sub_f32_e32 v9, v9, v25
	;; [unrolled: 1-line block ×4, first 2 shown]
	v_cndmask_b32_e64 v41, 0, v41, s31
	v_cmp_nlt_f32_e64 s31, 0x42b17218, v10
	v_sub_f32_e32 v6, v6, v25
	v_cndmask_b32_e64 v10, 0x7f800000, v41, s31
	v_mul_f32_e32 v41, 0x3fb8aa3b, v11
	v_cmp_ngt_f32_e64 s31, 0xc2ce8ed0, v11
	v_mul_f32_e32 v25, 0x3fb8aa3b, v6
	v_fma_f32 v42, 0x3fb8aa3b, v11, -v41
	v_rndne_f32_e32 v43, v41
	v_fmac_f32_e32 v42, 0x32a5705f, v11
	v_sub_f32_e32 v41, v41, v43
	v_add_f32_e32 v41, v41, v42
	v_cvt_i32_f32_e32 v42, v43
	v_exp_f32_e32 v41, v41
	v_ldexp_f32 v41, v41, v42
	v_mul_f32_e32 v42, 0x3fb8aa3b, v14
	v_cndmask_b32_e64 v41, 0, v41, s31
	v_fma_f32 v43, 0x3fb8aa3b, v14, -v42
	v_rndne_f32_e32 v44, v42
	v_cmp_nlt_f32_e64 s31, 0x42b17218, v11
	v_fmac_f32_e32 v43, 0x32a5705f, v14
	v_sub_f32_e32 v42, v42, v44
	v_cndmask_b32_e64 v11, 0x7f800000, v41, s31
	v_cmp_ngt_f32_e64 s31, 0xc2ce8ed0, v14
	v_add_f32_e32 v42, v42, v43
	v_cvt_i32_f32_e32 v43, v44
	v_add_f32_e32 v41, v10, v11
	v_exp_f32_e32 v42, v42
	v_ldexp_f32 v42, v42, v43
	v_cndmask_b32_e64 v42, 0, v42, s31
	v_cmp_nlt_f32_e64 s31, 0x42b17218, v14
	v_cndmask_b32_e64 v14, 0x7f800000, v42, s31
	v_mul_f32_e32 v42, 0x3fb8aa3b, v16
	v_cmp_ngt_f32_e64 s31, 0xc2ce8ed0, v16
	v_add_f32_e32 v41, v41, v14
	v_fma_f32 v43, 0x3fb8aa3b, v16, -v42
	v_rndne_f32_e32 v44, v42
	v_fmac_f32_e32 v43, 0x32a5705f, v16
	v_sub_f32_e32 v42, v42, v44
	v_add_f32_e32 v42, v42, v43
	v_cvt_i32_f32_e32 v43, v44
	v_exp_f32_e32 v42, v42
	v_ldexp_f32 v42, v42, v43
	v_cndmask_b32_e64 v42, 0, v42, s31
	v_cmp_nlt_f32_e64 s31, 0x42b17218, v16
	v_cndmask_b32_e64 v16, 0x7f800000, v42, s31
	v_mul_f32_e32 v42, 0x3fb8aa3b, v17
	v_cmp_ngt_f32_e64 s31, 0xc2ce8ed0, v17
	v_add_f32_e32 v41, v41, v16
	v_fma_f32 v43, 0x3fb8aa3b, v17, -v42
	v_rndne_f32_e32 v44, v42
	v_fmac_f32_e32 v43, 0x32a5705f, v17
	v_sub_f32_e32 v42, v42, v44
	v_add_f32_e32 v42, v42, v43
	v_cvt_i32_f32_e32 v43, v44
	;; [unrolled: 14-line block ×28, first 2 shown]
	v_exp_f32_e32 v42, v42
	v_ldexp_f32 v42, v42, v43
	v_rndne_f32_e32 v43, v25
	v_cndmask_b32_e64 v42, 0, v42, s31
	v_cmp_nlt_f32_e64 s31, 0x42b17218, v8
	v_cndmask_b32_e64 v8, 0x7f800000, v42, s31
	v_fma_f32 v42, 0x3fb8aa3b, v6, -v25
	v_sub_f32_e32 v25, v25, v43
	v_cmp_ngt_f32_e64 s31, 0xc2ce8ed0, v6
	v_add_f32_e32 v41, v41, v8
	v_fmac_f32_e32 v42, 0x32a5705f, v6
	v_add_f32_e32 v25, v25, v42
	v_cvt_i32_f32_e32 v42, v43
	v_exp_f32_e32 v25, v25
	v_ldexp_f32 v25, v25, v42
	v_cndmask_b32_e64 v25, 0, v25, s31
	v_cmp_nlt_f32_e64 s31, 0x42b17218, v6
	v_cndmask_b32_e64 v6, 0x7f800000, v25, s31
	v_add_f32_e32 v25, v41, v6
	ds_bpermute_b32 v0, v0, v25
	s_waitcnt lgkmcnt(0)
	v_add_f32_e32 v0, v25, v0
	ds_bpermute_b32 v3, v3, v0
	s_waitcnt lgkmcnt(0)
	;; [unrolled: 3-line block ×4, first 2 shown]
	v_add_f32_e32 v0, v0, v3
	ds_bpermute_b32 v3, v15, v0
	v_cmpx_lt_i32_e32 0, v5
	s_cbranch_execz .LBB453_98
; %bb.65:
	s_and_b32 exec_lo, exec_lo, vcc_lo
	s_cbranch_execz .LBB453_98
; %bb.66:
	s_waitcnt lgkmcnt(0)
	v_add_f32_e32 v3, v0, v3
	v_div_scale_f32 v0, null, v3, v3, v10
	v_div_scale_f32 v13, vcc_lo, v10, v3, v10
	v_cmp_eq_f32_e64 s31, 0, v3
	v_rcp_f32_e32 v4, v0
	v_fma_f32 v5, -v0, v4, 1.0
	v_fmac_f32_e32 v4, v5, v4
	v_mul_f32_e32 v5, v13, v4
	v_fma_f32 v15, -v0, v5, v13
	v_fmac_f32_e32 v5, v15, v4
	v_fma_f32 v0, -v0, v5, v13
	v_div_fmas_f32 v4, v0, v4, v5
	v_lshlrev_b64 v[0:1], 2, v[1:2]
	v_div_fixup_f32 v2, v4, v3, v10
	v_add_co_u32 v0, vcc_lo, s36, v0
	v_add_co_ci_u32_e64 v1, null, s37, v1, vcc_lo
	v_cndmask_b32_e64 v2, v2, 0x7fc00000, s31
	global_store_dword v[0:1], v2, off
	s_and_b32 exec_lo, exec_lo, s30
	s_cbranch_execz .LBB453_98
; %bb.67:
	v_div_scale_f32 v2, null, v3, v3, v11
	v_rcp_f32_e32 v4, v2
	v_fma_f32 v5, -v2, v4, 1.0
	v_fmac_f32_e32 v4, v5, v4
	v_div_scale_f32 v5, vcc_lo, v11, v3, v11
	v_mul_f32_e32 v10, v5, v4
	v_fma_f32 v13, -v2, v10, v5
	v_fmac_f32_e32 v10, v13, v4
	v_fma_f32 v2, -v2, v10, v5
	v_div_fmas_f32 v2, v2, v4, v10
	v_div_fixup_f32 v2, v2, v3, v11
	v_cndmask_b32_e64 v2, v2, 0x7fc00000, s31
	global_store_dword v[0:1], v2, off offset:128
	s_and_b32 exec_lo, exec_lo, s29
	s_cbranch_execz .LBB453_98
; %bb.68:
	v_div_scale_f32 v2, null, v3, v3, v14
	v_rcp_f32_e32 v4, v2
	v_fma_f32 v5, -v2, v4, 1.0
	v_fmac_f32_e32 v4, v5, v4
	v_div_scale_f32 v5, vcc_lo, v14, v3, v14
	v_mul_f32_e32 v10, v5, v4
	v_fma_f32 v11, -v2, v10, v5
	v_fmac_f32_e32 v10, v11, v4
	v_fma_f32 v2, -v2, v10, v5
	v_div_fmas_f32 v2, v2, v4, v10
	v_div_fixup_f32 v2, v2, v3, v14
	v_cndmask_b32_e64 v2, v2, 0x7fc00000, s31
	global_store_dword v[0:1], v2, off offset:256
	;; [unrolled: 16-line block ×15, first 2 shown]
	s_and_b32 exec_lo, exec_lo, s15
	s_cbranch_execz .LBB453_98
; %bb.82:
	v_div_scale_f32 v2, null, v3, v3, v35
	v_div_scale_f32 v10, vcc_lo, v35, v3, v35
	v_rcp_f32_e32 v4, v2
	v_fma_f32 v5, -v2, v4, 1.0
	v_fmac_f32_e32 v4, v5, v4
	v_mul_f32_e32 v5, v10, v4
	v_fma_f32 v11, -v2, v5, v10
	v_fmac_f32_e32 v5, v11, v4
	v_fma_f32 v2, -v2, v5, v10
	v_div_fmas_f32 v2, v2, v4, v5
	v_add_co_u32 v0, vcc_lo, 0x800, v0
	v_add_co_ci_u32_e64 v1, null, 0, v1, vcc_lo
	v_div_fixup_f32 v2, v2, v3, v35
	v_cndmask_b32_e64 v2, v2, 0x7fc00000, s31
	global_store_dword v[0:1], v2, off
	s_and_b32 exec_lo, exec_lo, s14
	s_cbranch_execz .LBB453_98
; %bb.83:
	v_div_scale_f32 v2, null, v3, v3, v33
	v_rcp_f32_e32 v4, v2
	v_fma_f32 v5, -v2, v4, 1.0
	v_fmac_f32_e32 v4, v5, v4
	v_div_scale_f32 v5, vcc_lo, v33, v3, v33
	v_mul_f32_e32 v10, v5, v4
	v_fma_f32 v11, -v2, v10, v5
	v_fmac_f32_e32 v10, v11, v4
	v_fma_f32 v2, -v2, v10, v5
	v_div_fmas_f32 v2, v2, v4, v10
	v_div_fixup_f32 v2, v2, v3, v33
	v_cndmask_b32_e64 v2, v2, 0x7fc00000, s31
	global_store_dword v[0:1], v2, off offset:128
	s_and_b32 exec_lo, exec_lo, s13
	s_cbranch_execz .LBB453_98
; %bb.84:
	v_div_scale_f32 v2, null, v3, v3, v36
	v_rcp_f32_e32 v4, v2
	v_fma_f32 v5, -v2, v4, 1.0
	v_fmac_f32_e32 v4, v5, v4
	v_div_scale_f32 v5, vcc_lo, v36, v3, v36
	v_mul_f32_e32 v10, v5, v4
	v_fma_f32 v11, -v2, v10, v5
	v_fmac_f32_e32 v10, v11, v4
	v_fma_f32 v2, -v2, v10, v5
	v_div_fmas_f32 v2, v2, v4, v10
	v_div_fixup_f32 v2, v2, v3, v36
	v_cndmask_b32_e64 v2, v2, 0x7fc00000, s31
	global_store_dword v[0:1], v2, off offset:256
	;; [unrolled: 16-line block ×15, first 2 shown]
.LBB453_98:
	s_endpgm
	.section	.rodata,"a",@progbits
	.p2align	6, 0x0
	.amdhsa_kernel _ZN12_GLOBAL__N_120softmax_warp_forwardIN3c104HalfEffLi10ELb0ELb0ELi32EEEvPT0_PKT_iiiPKbib
		.amdhsa_group_segment_fixed_size 0
		.amdhsa_private_segment_fixed_size 0
		.amdhsa_kernarg_size 304
		.amdhsa_user_sgpr_count 6
		.amdhsa_user_sgpr_private_segment_buffer 1
		.amdhsa_user_sgpr_dispatch_ptr 0
		.amdhsa_user_sgpr_queue_ptr 0
		.amdhsa_user_sgpr_kernarg_segment_ptr 1
		.amdhsa_user_sgpr_dispatch_id 0
		.amdhsa_user_sgpr_flat_scratch_init 0
		.amdhsa_user_sgpr_private_segment_size 0
		.amdhsa_wavefront_size32 1
		.amdhsa_uses_dynamic_stack 0
		.amdhsa_system_sgpr_private_segment_wavefront_offset 0
		.amdhsa_system_sgpr_workgroup_id_x 1
		.amdhsa_system_sgpr_workgroup_id_y 0
		.amdhsa_system_sgpr_workgroup_id_z 0
		.amdhsa_system_sgpr_workgroup_info 0
		.amdhsa_system_vgpr_workitem_id 1
		.amdhsa_next_free_vgpr 45
		.amdhsa_next_free_sgpr 44
		.amdhsa_reserve_vcc 1
		.amdhsa_reserve_flat_scratch 0
		.amdhsa_float_round_mode_32 0
		.amdhsa_float_round_mode_16_64 0
		.amdhsa_float_denorm_mode_32 3
		.amdhsa_float_denorm_mode_16_64 3
		.amdhsa_dx10_clamp 1
		.amdhsa_ieee_mode 1
		.amdhsa_fp16_overflow 0
		.amdhsa_workgroup_processor_mode 1
		.amdhsa_memory_ordered 1
		.amdhsa_forward_progress 1
		.amdhsa_shared_vgpr_count 0
		.amdhsa_exception_fp_ieee_invalid_op 0
		.amdhsa_exception_fp_denorm_src 0
		.amdhsa_exception_fp_ieee_div_zero 0
		.amdhsa_exception_fp_ieee_overflow 0
		.amdhsa_exception_fp_ieee_underflow 0
		.amdhsa_exception_fp_ieee_inexact 0
		.amdhsa_exception_int_div_zero 0
	.end_amdhsa_kernel
	.section	.text._ZN12_GLOBAL__N_120softmax_warp_forwardIN3c104HalfEffLi10ELb0ELb0ELi32EEEvPT0_PKT_iiiPKbib,"axG",@progbits,_ZN12_GLOBAL__N_120softmax_warp_forwardIN3c104HalfEffLi10ELb0ELb0ELi32EEEvPT0_PKT_iiiPKbib,comdat
.Lfunc_end453:
	.size	_ZN12_GLOBAL__N_120softmax_warp_forwardIN3c104HalfEffLi10ELb0ELb0ELi32EEEvPT0_PKT_iiiPKbib, .Lfunc_end453-_ZN12_GLOBAL__N_120softmax_warp_forwardIN3c104HalfEffLi10ELb0ELb0ELi32EEEvPT0_PKT_iiiPKbib
                                        ; -- End function
	.set _ZN12_GLOBAL__N_120softmax_warp_forwardIN3c104HalfEffLi10ELb0ELb0ELi32EEEvPT0_PKT_iiiPKbib.num_vgpr, 45
	.set _ZN12_GLOBAL__N_120softmax_warp_forwardIN3c104HalfEffLi10ELb0ELb0ELi32EEEvPT0_PKT_iiiPKbib.num_agpr, 0
	.set _ZN12_GLOBAL__N_120softmax_warp_forwardIN3c104HalfEffLi10ELb0ELb0ELi32EEEvPT0_PKT_iiiPKbib.numbered_sgpr, 44
	.set _ZN12_GLOBAL__N_120softmax_warp_forwardIN3c104HalfEffLi10ELb0ELb0ELi32EEEvPT0_PKT_iiiPKbib.num_named_barrier, 0
	.set _ZN12_GLOBAL__N_120softmax_warp_forwardIN3c104HalfEffLi10ELb0ELb0ELi32EEEvPT0_PKT_iiiPKbib.private_seg_size, 0
	.set _ZN12_GLOBAL__N_120softmax_warp_forwardIN3c104HalfEffLi10ELb0ELb0ELi32EEEvPT0_PKT_iiiPKbib.uses_vcc, 1
	.set _ZN12_GLOBAL__N_120softmax_warp_forwardIN3c104HalfEffLi10ELb0ELb0ELi32EEEvPT0_PKT_iiiPKbib.uses_flat_scratch, 0
	.set _ZN12_GLOBAL__N_120softmax_warp_forwardIN3c104HalfEffLi10ELb0ELb0ELi32EEEvPT0_PKT_iiiPKbib.has_dyn_sized_stack, 0
	.set _ZN12_GLOBAL__N_120softmax_warp_forwardIN3c104HalfEffLi10ELb0ELb0ELi32EEEvPT0_PKT_iiiPKbib.has_recursion, 0
	.set _ZN12_GLOBAL__N_120softmax_warp_forwardIN3c104HalfEffLi10ELb0ELb0ELi32EEEvPT0_PKT_iiiPKbib.has_indirect_call, 0
	.section	.AMDGPU.csdata,"",@progbits
; Kernel info:
; codeLenInByte = 9420
; TotalNumSgprs: 46
; NumVgprs: 45
; ScratchSize: 0
; MemoryBound: 0
; FloatMode: 240
; IeeeMode: 1
; LDSByteSize: 0 bytes/workgroup (compile time only)
; SGPRBlocks: 0
; VGPRBlocks: 5
; NumSGPRsForWavesPerEU: 46
; NumVGPRsForWavesPerEU: 45
; Occupancy: 16
; WaveLimiterHint : 0
; COMPUTE_PGM_RSRC2:SCRATCH_EN: 0
; COMPUTE_PGM_RSRC2:USER_SGPR: 6
; COMPUTE_PGM_RSRC2:TRAP_HANDLER: 0
; COMPUTE_PGM_RSRC2:TGID_X_EN: 1
; COMPUTE_PGM_RSRC2:TGID_Y_EN: 0
; COMPUTE_PGM_RSRC2:TGID_Z_EN: 0
; COMPUTE_PGM_RSRC2:TIDIG_COMP_CNT: 1
	.section	.text._ZN12_GLOBAL__N_120softmax_warp_forwardIN3c104HalfEffLi11ELb0ELb0ELi64EEEvPT0_PKT_iiiPKbib,"axG",@progbits,_ZN12_GLOBAL__N_120softmax_warp_forwardIN3c104HalfEffLi11ELb0ELb0ELi64EEEvPT0_PKT_iiiPKbib,comdat
	.globl	_ZN12_GLOBAL__N_120softmax_warp_forwardIN3c104HalfEffLi11ELb0ELb0ELi64EEEvPT0_PKT_iiiPKbib ; -- Begin function _ZN12_GLOBAL__N_120softmax_warp_forwardIN3c104HalfEffLi11ELb0ELb0ELi64EEEvPT0_PKT_iiiPKbib
	.p2align	8
	.type	_ZN12_GLOBAL__N_120softmax_warp_forwardIN3c104HalfEffLi11ELb0ELb0ELi64EEEvPT0_PKT_iiiPKbib,@function
_ZN12_GLOBAL__N_120softmax_warp_forwardIN3c104HalfEffLi11ELb0ELb0ELi64EEEvPT0_PKT_iiiPKbib: ; @_ZN12_GLOBAL__N_120softmax_warp_forwardIN3c104HalfEffLi11ELb0ELb0ELi64EEEvPT0_PKT_iiiPKbib
; %bb.0:
	s_clause 0x1
	s_load_dword s0, s[4:5], 0x3c
	s_load_dwordx8 s[36:43], s[4:5], 0x0
	v_mov_b32_e32 v13, 0xff800000
	v_mov_b32_e32 v12, 0xff800000
	s_waitcnt lgkmcnt(0)
	s_lshr_b32 s0, s0, 16
	v_cmp_gt_i32_e32 vcc_lo, s42, v0
	v_mad_u64_u32 v[3:4], null, s6, s0, v[1:2]
	v_mad_u64_u32 v[1:2], null, v3, s41, v[0:1]
	v_sub_nc_u32_e32 v5, s40, v3
	v_cmp_lt_i32_e64 s31, 0, v5
	v_ashrrev_i32_e32 v2, 31, v1
	s_and_b32 s1, s31, vcc_lo
	v_lshlrev_b64 v[3:4], 1, v[1:2]
	v_add_co_u32 v3, s0, s38, v3
	v_add_co_ci_u32_e64 v4, null, s39, v4, s0
	s_and_saveexec_b32 s0, s1
	s_cbranch_execz .LBB454_2
; %bb.1:
	global_load_ushort v6, v[3:4], off
	s_waitcnt vmcnt(0)
	v_cvt_f32_f16_e32 v12, v6
.LBB454_2:
	s_or_b32 exec_lo, exec_lo, s0
	v_add_nc_u32_e32 v6, 64, v0
	v_cmp_gt_i32_e64 s30, s42, v6
	s_and_b32 s1, s31, s30
	s_and_saveexec_b32 s0, s1
	s_cbranch_execz .LBB454_4
; %bb.3:
	global_load_ushort v6, v[3:4], off offset:128
	s_waitcnt vmcnt(0)
	v_cvt_f32_f16_e32 v13, v6
.LBB454_4:
	s_or_b32 exec_lo, exec_lo, s0
	v_add_nc_u32_e32 v6, 0x80, v0
	v_mov_b32_e32 v19, 0xff800000
	v_mov_b32_e32 v16, 0xff800000
	v_cmp_gt_i32_e64 s29, s42, v6
	s_and_b32 s1, s31, s29
	s_and_saveexec_b32 s0, s1
	s_cbranch_execz .LBB454_6
; %bb.5:
	global_load_ushort v6, v[3:4], off offset:256
	s_waitcnt vmcnt(0)
	v_cvt_f32_f16_e32 v16, v6
.LBB454_6:
	s_or_b32 exec_lo, exec_lo, s0
	v_add_nc_u32_e32 v6, 0xc0, v0
	v_cmp_gt_i32_e64 s28, s42, v6
	s_and_b32 s1, s31, s28
	s_and_saveexec_b32 s0, s1
	s_cbranch_execz .LBB454_8
; %bb.7:
	global_load_ushort v6, v[3:4], off offset:384
	s_waitcnt vmcnt(0)
	v_cvt_f32_f16_e32 v19, v6
.LBB454_8:
	s_or_b32 exec_lo, exec_lo, s0
	v_add_nc_u32_e32 v6, 0x100, v0
	v_mov_b32_e32 v21, 0xff800000
	v_mov_b32_e32 v20, 0xff800000
	v_cmp_gt_i32_e64 s27, s42, v6
	s_and_b32 s1, s31, s27
	s_and_saveexec_b32 s0, s1
	s_cbranch_execz .LBB454_10
; %bb.9:
	global_load_ushort v6, v[3:4], off offset:512
	s_waitcnt vmcnt(0)
	v_cvt_f32_f16_e32 v20, v6
.LBB454_10:
	;; [unrolled: 24-line block ×7, first 2 shown]
	s_or_b32 exec_lo, exec_lo, s0
	v_add_nc_u32_e32 v6, 0x3c0, v0
	v_cmp_gt_i32_e64 s16, s42, v6
	s_and_b32 s1, s31, s16
	s_and_saveexec_b32 s0, s1
	s_cbranch_execz .LBB454_32
; %bb.31:
	global_load_ushort v6, v[3:4], off offset:1920
	s_waitcnt vmcnt(0)
	v_cvt_f32_f16_e32 v33, v6
.LBB454_32:
	s_or_b32 exec_lo, exec_lo, s0
	v_or_b32_e32 v6, 0x400, v0
	v_mov_b32_e32 v31, 0xff800000
	v_mov_b32_e32 v34, 0xff800000
	v_cmp_gt_i32_e64 s15, s42, v6
	s_and_b32 s0, s31, s15
	s_and_saveexec_b32 s1, s0
	s_cbranch_execz .LBB454_34
; %bb.33:
	v_add_co_u32 v6, s0, 0x800, v3
	v_add_co_ci_u32_e64 v7, null, 0, v4, s0
	global_load_ushort v6, v[6:7], off
	s_waitcnt vmcnt(0)
	v_cvt_f32_f16_e32 v34, v6
.LBB454_34:
	s_or_b32 exec_lo, exec_lo, s1
	v_add_nc_u32_e32 v6, 0x440, v0
	v_cmp_gt_i32_e64 s14, s42, v6
	s_and_b32 s0, s31, s14
	s_and_saveexec_b32 s1, s0
	s_cbranch_execz .LBB454_36
; %bb.35:
	v_add_co_u32 v6, s0, 0x800, v3
	v_add_co_ci_u32_e64 v7, null, 0, v4, s0
	global_load_ushort v6, v[6:7], off offset:128
	s_waitcnt vmcnt(0)
	v_cvt_f32_f16_e32 v31, v6
.LBB454_36:
	s_or_b32 exec_lo, exec_lo, s1
	v_add_nc_u32_e32 v6, 0x480, v0
	v_mov_b32_e32 v36, 0xff800000
	v_mov_b32_e32 v35, 0xff800000
	v_cmp_gt_i32_e64 s13, s42, v6
	s_and_b32 s0, s31, s13
	s_and_saveexec_b32 s1, s0
	s_cbranch_execz .LBB454_38
; %bb.37:
	v_add_co_u32 v6, s0, 0x800, v3
	v_add_co_ci_u32_e64 v7, null, 0, v4, s0
	global_load_ushort v6, v[6:7], off offset:256
	s_waitcnt vmcnt(0)
	v_cvt_f32_f16_e32 v35, v6
.LBB454_38:
	s_or_b32 exec_lo, exec_lo, s1
	v_add_nc_u32_e32 v6, 0x4c0, v0
	v_cmp_gt_i32_e64 s12, s42, v6
	s_and_b32 s0, s31, s12
	s_and_saveexec_b32 s1, s0
	s_cbranch_execz .LBB454_40
; %bb.39:
	v_add_co_u32 v6, s0, 0x800, v3
	v_add_co_ci_u32_e64 v7, null, 0, v4, s0
	global_load_ushort v6, v[6:7], off offset:384
	s_waitcnt vmcnt(0)
	v_cvt_f32_f16_e32 v36, v6
.LBB454_40:
	s_or_b32 exec_lo, exec_lo, s1
	v_add_nc_u32_e32 v6, 0x500, v0
	v_mov_b32_e32 v38, 0xff800000
	v_mov_b32_e32 v37, 0xff800000
	v_cmp_gt_i32_e64 s11, s42, v6
	s_and_b32 s0, s31, s11
	s_and_saveexec_b32 s1, s0
	s_cbranch_execz .LBB454_42
; %bb.41:
	v_add_co_u32 v6, s0, 0x800, v3
	v_add_co_ci_u32_e64 v7, null, 0, v4, s0
	global_load_ushort v6, v[6:7], off offset:512
	s_waitcnt vmcnt(0)
	v_cvt_f32_f16_e32 v37, v6
.LBB454_42:
	;; [unrolled: 28-line block ×6, first 2 shown]
	s_or_b32 exec_lo, exec_lo, s1
	v_add_nc_u32_e32 v6, 0x740, v0
	v_cmp_gt_i32_e64 s2, s42, v6
	s_and_b32 s0, s31, s2
	s_and_saveexec_b32 s1, s0
	s_cbranch_execz .LBB454_60
; %bb.59:
	v_add_co_u32 v6, s0, 0x800, v3
	v_add_co_ci_u32_e64 v7, null, 0, v4, s0
	global_load_ushort v6, v[6:7], off offset:1664
	s_waitcnt vmcnt(0)
	v_cvt_f32_f16_e32 v7, v6
.LBB454_60:
	s_or_b32 exec_lo, exec_lo, s1
	v_add_nc_u32_e32 v6, 0x780, v0
	v_mov_b32_e32 v8, 0xff800000
	v_cmp_gt_i32_e64 s1, s42, v6
	v_mov_b32_e32 v6, 0xff800000
	s_and_b32 s0, s31, s1
	s_and_saveexec_b32 s33, s0
	s_cbranch_execz .LBB454_62
; %bb.61:
	v_add_co_u32 v42, s0, 0x800, v3
	v_add_co_ci_u32_e64 v43, null, 0, v4, s0
	global_load_ushort v8, v[42:43], off offset:1792
	s_waitcnt vmcnt(0)
	v_cvt_f32_f16_e32 v8, v8
.LBB454_62:
	s_or_b32 exec_lo, exec_lo, s33
	v_add_nc_u32_e32 v0, 0x7c0, v0
	v_cmp_gt_i32_e64 s0, s42, v0
	s_and_b32 s31, s31, s0
	s_and_saveexec_b32 s33, s31
	s_cbranch_execz .LBB454_64
; %bb.63:
	v_add_co_u32 v3, s31, 0x800, v3
	v_add_co_ci_u32_e64 v4, null, 0, v4, s31
	global_load_ushort v0, v[3:4], off offset:1920
	s_waitcnt vmcnt(0)
	v_cvt_f32_f16_e32 v6, v0
.LBB454_64:
	s_or_b32 exec_lo, exec_lo, s33
	v_cmp_gt_f32_e64 s31, v12, v13
	v_mbcnt_lo_u32_b32 v18, -1, 0
	s_mov_b32 s33, exec_lo
	v_cndmask_b32_e64 v0, v13, v12, s31
	v_cmp_gt_f32_e64 s31, v0, v16
	v_cndmask_b32_e64 v0, v16, v0, s31
	v_cmp_gt_f32_e64 s31, v0, v19
	;; [unrolled: 2-line block ×30, first 2 shown]
	v_cndmask_b32_e64 v3, v6, v0, s31
	v_or_b32_e32 v0, 32, v18
	v_cmp_gt_i32_e64 s31, 64, v0
	v_cndmask_b32_e64 v0, v18, v0, s31
	v_lshlrev_b32_e32 v0, 2, v0
	ds_bpermute_b32 v4, v0, v3
	s_waitcnt lgkmcnt(0)
	v_cmp_lt_f32_e64 s31, v3, v4
	v_cndmask_b32_e64 v4, v3, v4, s31
	v_xor_b32_e32 v3, 16, v18
	v_cmp_gt_i32_e64 s31, 64, v3
	v_cndmask_b32_e64 v3, v18, v3, s31
	v_lshlrev_b32_e32 v3, 2, v3
	ds_bpermute_b32 v11, v3, v4
	s_waitcnt lgkmcnt(0)
	v_cmp_lt_f32_e64 s31, v4, v11
	v_cndmask_b32_e64 v11, v4, v11, s31
	v_xor_b32_e32 v4, 8, v18
	;; [unrolled: 8-line block ×5, first 2 shown]
	v_cmp_gt_i32_e64 s31, 64, v42
	v_cndmask_b32_e64 v18, v18, v42, s31
	v_lshlrev_b32_e32 v18, 2, v18
	ds_bpermute_b32 v42, v18, v24
	s_waitcnt lgkmcnt(0)
	v_cmp_lt_f32_e64 s31, v24, v42
	v_cndmask_b32_e64 v24, v24, v42, s31
	v_sub_f32_e32 v12, v12, v24
	v_sub_f32_e32 v13, v13, v24
	;; [unrolled: 1-line block ×5, first 2 shown]
	v_mul_f32_e32 v42, 0x3fb8aa3b, v12
	v_cmp_ngt_f32_e64 s31, 0xc2ce8ed0, v12
	v_sub_f32_e32 v21, v21, v24
	v_sub_f32_e32 v22, v22, v24
	;; [unrolled: 1-line block ×3, first 2 shown]
	v_fma_f32 v43, 0x3fb8aa3b, v12, -v42
	v_rndne_f32_e32 v44, v42
	v_sub_f32_e32 v25, v25, v24
	v_sub_f32_e32 v26, v26, v24
	v_sub_f32_e32 v27, v27, v24
	v_fmac_f32_e32 v43, 0x32a5705f, v12
	v_sub_f32_e32 v42, v42, v44
	v_sub_f32_e32 v28, v28, v24
	;; [unrolled: 1-line block ×5, first 2 shown]
	v_add_f32_e32 v42, v42, v43
	v_cvt_i32_f32_e32 v43, v44
	v_sub_f32_e32 v33, v33, v24
	v_sub_f32_e32 v34, v34, v24
	;; [unrolled: 1-line block ×3, first 2 shown]
	v_exp_f32_e32 v42, v42
	v_sub_f32_e32 v35, v35, v24
	v_sub_f32_e32 v36, v36, v24
	;; [unrolled: 1-line block ×9, first 2 shown]
	v_ldexp_f32 v42, v42, v43
	v_sub_f32_e32 v10, v10, v24
	v_sub_f32_e32 v9, v9, v24
	v_sub_f32_e32 v7, v7, v24
	v_sub_f32_e32 v8, v8, v24
	v_cndmask_b32_e64 v42, 0, v42, s31
	v_cmp_nlt_f32_e64 s31, 0x42b17218, v12
	v_sub_f32_e32 v6, v6, v24
	v_cndmask_b32_e64 v12, 0x7f800000, v42, s31
	v_mul_f32_e32 v42, 0x3fb8aa3b, v13
	v_cmp_ngt_f32_e64 s31, 0xc2ce8ed0, v13
	v_mul_f32_e32 v24, 0x3fb8aa3b, v6
	v_fma_f32 v43, 0x3fb8aa3b, v13, -v42
	v_rndne_f32_e32 v44, v42
	v_fmac_f32_e32 v43, 0x32a5705f, v13
	v_sub_f32_e32 v42, v42, v44
	v_add_f32_e32 v42, v42, v43
	v_cvt_i32_f32_e32 v43, v44
	v_exp_f32_e32 v42, v42
	v_ldexp_f32 v42, v42, v43
	v_mul_f32_e32 v43, 0x3fb8aa3b, v16
	v_cndmask_b32_e64 v42, 0, v42, s31
	v_fma_f32 v44, 0x3fb8aa3b, v16, -v43
	v_rndne_f32_e32 v45, v43
	v_cmp_nlt_f32_e64 s31, 0x42b17218, v13
	v_fmac_f32_e32 v44, 0x32a5705f, v16
	v_sub_f32_e32 v43, v43, v45
	v_cndmask_b32_e64 v13, 0x7f800000, v42, s31
	v_cmp_ngt_f32_e64 s31, 0xc2ce8ed0, v16
	v_add_f32_e32 v43, v43, v44
	v_cvt_i32_f32_e32 v44, v45
	v_add_f32_e32 v42, v12, v13
	v_exp_f32_e32 v43, v43
	v_ldexp_f32 v43, v43, v44
	v_cndmask_b32_e64 v43, 0, v43, s31
	v_cmp_nlt_f32_e64 s31, 0x42b17218, v16
	v_cndmask_b32_e64 v16, 0x7f800000, v43, s31
	v_mul_f32_e32 v43, 0x3fb8aa3b, v19
	v_cmp_ngt_f32_e64 s31, 0xc2ce8ed0, v19
	v_add_f32_e32 v42, v42, v16
	v_fma_f32 v44, 0x3fb8aa3b, v19, -v43
	v_rndne_f32_e32 v45, v43
	v_fmac_f32_e32 v44, 0x32a5705f, v19
	v_sub_f32_e32 v43, v43, v45
	v_add_f32_e32 v43, v43, v44
	v_cvt_i32_f32_e32 v44, v45
	v_exp_f32_e32 v43, v43
	v_ldexp_f32 v43, v43, v44
	v_cndmask_b32_e64 v43, 0, v43, s31
	v_cmp_nlt_f32_e64 s31, 0x42b17218, v19
	v_cndmask_b32_e64 v19, 0x7f800000, v43, s31
	v_mul_f32_e32 v43, 0x3fb8aa3b, v20
	v_cmp_ngt_f32_e64 s31, 0xc2ce8ed0, v20
	v_add_f32_e32 v42, v42, v19
	v_fma_f32 v44, 0x3fb8aa3b, v20, -v43
	v_rndne_f32_e32 v45, v43
	v_fmac_f32_e32 v44, 0x32a5705f, v20
	v_sub_f32_e32 v43, v43, v45
	v_add_f32_e32 v43, v43, v44
	v_cvt_i32_f32_e32 v44, v45
	;; [unrolled: 14-line block ×28, first 2 shown]
	v_exp_f32_e32 v43, v43
	v_ldexp_f32 v43, v43, v44
	v_rndne_f32_e32 v44, v24
	v_cndmask_b32_e64 v43, 0, v43, s31
	v_cmp_nlt_f32_e64 s31, 0x42b17218, v8
	v_cndmask_b32_e64 v8, 0x7f800000, v43, s31
	v_fma_f32 v43, 0x3fb8aa3b, v6, -v24
	v_sub_f32_e32 v24, v24, v44
	v_cmp_ngt_f32_e64 s31, 0xc2ce8ed0, v6
	v_add_f32_e32 v42, v42, v8
	v_fmac_f32_e32 v43, 0x32a5705f, v6
	v_add_f32_e32 v24, v24, v43
	v_cvt_i32_f32_e32 v43, v44
	v_exp_f32_e32 v24, v24
	v_ldexp_f32 v24, v24, v43
	v_cndmask_b32_e64 v24, 0, v24, s31
	v_cmp_nlt_f32_e64 s31, 0x42b17218, v6
	v_cndmask_b32_e64 v6, 0x7f800000, v24, s31
	v_add_f32_e32 v24, v42, v6
	ds_bpermute_b32 v0, v0, v24
	s_waitcnt lgkmcnt(0)
	v_add_f32_e32 v0, v24, v0
	ds_bpermute_b32 v3, v3, v0
	s_waitcnt lgkmcnt(0)
	;; [unrolled: 3-line block ×5, first 2 shown]
	v_add_f32_e32 v0, v0, v3
	ds_bpermute_b32 v3, v18, v0
	v_cmpx_lt_i32_e32 0, v5
	s_cbranch_execz .LBB454_98
; %bb.65:
	s_and_b32 exec_lo, exec_lo, vcc_lo
	s_cbranch_execz .LBB454_98
; %bb.66:
	s_waitcnt lgkmcnt(0)
	v_add_f32_e32 v4, v0, v3
	v_div_scale_f32 v0, null, v4, v4, v12
	v_div_scale_f32 v11, vcc_lo, v12, v4, v12
	v_cmp_eq_f32_e64 s31, 0, v4
	v_rcp_f32_e32 v3, v0
	v_fma_f32 v5, -v0, v3, 1.0
	v_fmac_f32_e32 v3, v5, v3
	v_mul_f32_e32 v5, v11, v3
	v_fma_f32 v15, -v0, v5, v11
	v_fmac_f32_e32 v5, v15, v3
	v_fma_f32 v0, -v0, v5, v11
	v_div_fmas_f32 v3, v0, v3, v5
	v_lshlrev_b64 v[0:1], 2, v[1:2]
	v_div_fixup_f32 v2, v3, v4, v12
	v_add_co_u32 v0, vcc_lo, s36, v0
	v_add_co_ci_u32_e64 v1, null, s37, v1, vcc_lo
	v_cndmask_b32_e64 v2, v2, 0x7fc00000, s31
	global_store_dword v[0:1], v2, off
	s_and_b32 exec_lo, exec_lo, s30
	s_cbranch_execz .LBB454_98
; %bb.67:
	v_div_scale_f32 v2, null, v4, v4, v13
	v_rcp_f32_e32 v3, v2
	v_fma_f32 v5, -v2, v3, 1.0
	v_fmac_f32_e32 v3, v5, v3
	v_div_scale_f32 v5, vcc_lo, v13, v4, v13
	v_mul_f32_e32 v11, v5, v3
	v_fma_f32 v12, -v2, v11, v5
	v_fmac_f32_e32 v11, v12, v3
	v_fma_f32 v2, -v2, v11, v5
	v_div_fmas_f32 v2, v2, v3, v11
	v_div_fixup_f32 v2, v2, v4, v13
	v_cndmask_b32_e64 v2, v2, 0x7fc00000, s31
	global_store_dword v[0:1], v2, off offset:256
	s_and_b32 exec_lo, exec_lo, s29
	s_cbranch_execz .LBB454_98
; %bb.68:
	v_div_scale_f32 v2, null, v4, v4, v16
	v_rcp_f32_e32 v3, v2
	v_fma_f32 v5, -v2, v3, 1.0
	v_fmac_f32_e32 v3, v5, v3
	v_div_scale_f32 v5, vcc_lo, v16, v4, v16
	v_mul_f32_e32 v11, v5, v3
	v_fma_f32 v12, -v2, v11, v5
	v_fmac_f32_e32 v11, v12, v3
	v_fma_f32 v2, -v2, v11, v5
	v_div_fmas_f32 v2, v2, v3, v11
	v_div_fixup_f32 v2, v2, v4, v16
	v_cndmask_b32_e64 v2, v2, 0x7fc00000, s31
	global_store_dword v[0:1], v2, off offset:512
	;; [unrolled: 16-line block ×7, first 2 shown]
	s_and_b32 exec_lo, exec_lo, s23
	s_cbranch_execz .LBB454_98
; %bb.74:
	v_div_scale_f32 v2, null, v4, v4, v25
	v_div_scale_f32 v11, vcc_lo, v25, v4, v25
	v_rcp_f32_e32 v3, v2
	v_fma_f32 v5, -v2, v3, 1.0
	v_fmac_f32_e32 v3, v5, v3
	v_mul_f32_e32 v5, v11, v3
	v_fma_f32 v12, -v2, v5, v11
	v_fmac_f32_e32 v5, v12, v3
	v_fma_f32 v2, -v2, v5, v11
	v_div_fmas_f32 v2, v2, v3, v5
	v_div_fixup_f32 v2, v2, v4, v25
	v_cndmask_b32_e64 v5, v2, 0x7fc00000, s31
	v_add_co_u32 v2, vcc_lo, 0x800, v0
	v_add_co_ci_u32_e64 v3, null, 0, v1, vcc_lo
	global_store_dword v[2:3], v5, off
	s_and_b32 exec_lo, exec_lo, s22
	s_cbranch_execz .LBB454_98
; %bb.75:
	v_div_scale_f32 v5, null, v4, v4, v26
	v_rcp_f32_e32 v11, v5
	v_fma_f32 v12, -v5, v11, 1.0
	v_fmac_f32_e32 v11, v12, v11
	v_div_scale_f32 v12, vcc_lo, v26, v4, v26
	v_mul_f32_e32 v13, v12, v11
	v_fma_f32 v15, -v5, v13, v12
	v_fmac_f32_e32 v13, v15, v11
	v_fma_f32 v5, -v5, v13, v12
	v_div_fmas_f32 v5, v5, v11, v13
	v_div_fixup_f32 v5, v5, v4, v26
	v_cndmask_b32_e64 v5, v5, 0x7fc00000, s31
	global_store_dword v[2:3], v5, off offset:256
	s_and_b32 exec_lo, exec_lo, s21
	s_cbranch_execz .LBB454_98
; %bb.76:
	v_div_scale_f32 v5, null, v4, v4, v27
	v_rcp_f32_e32 v11, v5
	v_fma_f32 v12, -v5, v11, 1.0
	v_fmac_f32_e32 v11, v12, v11
	v_div_scale_f32 v12, vcc_lo, v27, v4, v27
	v_mul_f32_e32 v13, v12, v11
	v_fma_f32 v15, -v5, v13, v12
	v_fmac_f32_e32 v13, v15, v11
	v_fma_f32 v5, -v5, v13, v12
	v_div_fmas_f32 v5, v5, v11, v13
	v_div_fixup_f32 v5, v5, v4, v27
	v_cndmask_b32_e64 v5, v5, 0x7fc00000, s31
	global_store_dword v[2:3], v5, off offset:512
	;; [unrolled: 16-line block ×7, first 2 shown]
	s_and_b32 exec_lo, exec_lo, s15
	s_cbranch_execz .LBB454_98
; %bb.82:
	v_div_scale_f32 v2, null, v4, v4, v34
	v_div_scale_f32 v11, vcc_lo, v34, v4, v34
	v_rcp_f32_e32 v3, v2
	v_fma_f32 v5, -v2, v3, 1.0
	v_fmac_f32_e32 v3, v5, v3
	v_mul_f32_e32 v5, v11, v3
	v_fma_f32 v12, -v2, v5, v11
	v_fmac_f32_e32 v5, v12, v3
	v_fma_f32 v2, -v2, v5, v11
	v_div_fmas_f32 v2, v2, v3, v5
	v_div_fixup_f32 v2, v2, v4, v34
	v_cndmask_b32_e64 v5, v2, 0x7fc00000, s31
	v_add_co_u32 v2, vcc_lo, 0x1000, v0
	v_add_co_ci_u32_e64 v3, null, 0, v1, vcc_lo
	global_store_dword v[2:3], v5, off
	s_and_b32 exec_lo, exec_lo, s14
	s_cbranch_execz .LBB454_98
; %bb.83:
	v_div_scale_f32 v5, null, v4, v4, v31
	v_rcp_f32_e32 v11, v5
	v_fma_f32 v12, -v5, v11, 1.0
	v_fmac_f32_e32 v11, v12, v11
	v_div_scale_f32 v12, vcc_lo, v31, v4, v31
	v_mul_f32_e32 v13, v12, v11
	v_fma_f32 v15, -v5, v13, v12
	v_fmac_f32_e32 v13, v15, v11
	v_fma_f32 v5, -v5, v13, v12
	v_div_fmas_f32 v5, v5, v11, v13
	v_div_fixup_f32 v5, v5, v4, v31
	v_cndmask_b32_e64 v5, v5, 0x7fc00000, s31
	global_store_dword v[2:3], v5, off offset:256
	s_and_b32 exec_lo, exec_lo, s13
	s_cbranch_execz .LBB454_98
; %bb.84:
	v_div_scale_f32 v5, null, v4, v4, v35
	v_rcp_f32_e32 v11, v5
	v_fma_f32 v12, -v5, v11, 1.0
	v_fmac_f32_e32 v11, v12, v11
	v_div_scale_f32 v12, vcc_lo, v35, v4, v35
	v_mul_f32_e32 v13, v12, v11
	v_fma_f32 v15, -v5, v13, v12
	v_fmac_f32_e32 v13, v15, v11
	v_fma_f32 v5, -v5, v13, v12
	v_div_fmas_f32 v5, v5, v11, v13
	v_div_fixup_f32 v5, v5, v4, v35
	v_cndmask_b32_e64 v5, v5, 0x7fc00000, s31
	global_store_dword v[2:3], v5, off offset:512
	;; [unrolled: 16-line block ×7, first 2 shown]
	s_and_b32 exec_lo, exec_lo, s7
	s_cbranch_execz .LBB454_98
; %bb.90:
	v_div_scale_f32 v2, null, v4, v4, v41
	v_div_scale_f32 v11, vcc_lo, v41, v4, v41
	v_rcp_f32_e32 v3, v2
	v_fma_f32 v5, -v2, v3, 1.0
	v_fmac_f32_e32 v3, v5, v3
	v_mul_f32_e32 v5, v11, v3
	v_fma_f32 v12, -v2, v5, v11
	v_fmac_f32_e32 v5, v12, v3
	v_fma_f32 v2, -v2, v5, v11
	v_div_fmas_f32 v2, v2, v3, v5
	v_add_co_u32 v0, vcc_lo, 0x1800, v0
	v_add_co_ci_u32_e64 v1, null, 0, v1, vcc_lo
	v_div_fixup_f32 v2, v2, v4, v41
	v_cndmask_b32_e64 v2, v2, 0x7fc00000, s31
	global_store_dword v[0:1], v2, off
	s_and_b32 exec_lo, exec_lo, s6
	s_cbranch_execz .LBB454_98
; %bb.91:
	v_div_scale_f32 v2, null, v4, v4, v14
	v_rcp_f32_e32 v3, v2
	v_fma_f32 v5, -v2, v3, 1.0
	v_fmac_f32_e32 v3, v5, v3
	v_div_scale_f32 v5, vcc_lo, v14, v4, v14
	v_mul_f32_e32 v11, v5, v3
	v_fma_f32 v12, -v2, v11, v5
	v_fmac_f32_e32 v11, v12, v3
	v_fma_f32 v2, -v2, v11, v5
	v_div_fmas_f32 v2, v2, v3, v11
	v_div_fixup_f32 v2, v2, v4, v14
	v_cndmask_b32_e64 v2, v2, 0x7fc00000, s31
	global_store_dword v[0:1], v2, off offset:256
	s_and_b32 exec_lo, exec_lo, s5
	s_cbranch_execz .LBB454_98
; %bb.92:
	v_div_scale_f32 v2, null, v4, v4, v17
	v_rcp_f32_e32 v3, v2
	v_fma_f32 v5, -v2, v3, 1.0
	v_fmac_f32_e32 v3, v5, v3
	v_div_scale_f32 v5, vcc_lo, v17, v4, v17
	v_mul_f32_e32 v11, v5, v3
	v_fma_f32 v12, -v2, v11, v5
	v_fmac_f32_e32 v11, v12, v3
	v_fma_f32 v2, -v2, v11, v5
	v_div_fmas_f32 v2, v2, v3, v11
	v_div_fixup_f32 v2, v2, v4, v17
	v_cndmask_b32_e64 v2, v2, 0x7fc00000, s31
	global_store_dword v[0:1], v2, off offset:512
	;; [unrolled: 16-line block ×7, first 2 shown]
.LBB454_98:
	s_endpgm
	.section	.rodata,"a",@progbits
	.p2align	6, 0x0
	.amdhsa_kernel _ZN12_GLOBAL__N_120softmax_warp_forwardIN3c104HalfEffLi11ELb0ELb0ELi64EEEvPT0_PKT_iiiPKbib
		.amdhsa_group_segment_fixed_size 0
		.amdhsa_private_segment_fixed_size 0
		.amdhsa_kernarg_size 304
		.amdhsa_user_sgpr_count 6
		.amdhsa_user_sgpr_private_segment_buffer 1
		.amdhsa_user_sgpr_dispatch_ptr 0
		.amdhsa_user_sgpr_queue_ptr 0
		.amdhsa_user_sgpr_kernarg_segment_ptr 1
		.amdhsa_user_sgpr_dispatch_id 0
		.amdhsa_user_sgpr_flat_scratch_init 0
		.amdhsa_user_sgpr_private_segment_size 0
		.amdhsa_wavefront_size32 1
		.amdhsa_uses_dynamic_stack 0
		.amdhsa_system_sgpr_private_segment_wavefront_offset 0
		.amdhsa_system_sgpr_workgroup_id_x 1
		.amdhsa_system_sgpr_workgroup_id_y 0
		.amdhsa_system_sgpr_workgroup_id_z 0
		.amdhsa_system_sgpr_workgroup_info 0
		.amdhsa_system_vgpr_workitem_id 1
		.amdhsa_next_free_vgpr 46
		.amdhsa_next_free_sgpr 44
		.amdhsa_reserve_vcc 1
		.amdhsa_reserve_flat_scratch 0
		.amdhsa_float_round_mode_32 0
		.amdhsa_float_round_mode_16_64 0
		.amdhsa_float_denorm_mode_32 3
		.amdhsa_float_denorm_mode_16_64 3
		.amdhsa_dx10_clamp 1
		.amdhsa_ieee_mode 1
		.amdhsa_fp16_overflow 0
		.amdhsa_workgroup_processor_mode 1
		.amdhsa_memory_ordered 1
		.amdhsa_forward_progress 1
		.amdhsa_shared_vgpr_count 0
		.amdhsa_exception_fp_ieee_invalid_op 0
		.amdhsa_exception_fp_denorm_src 0
		.amdhsa_exception_fp_ieee_div_zero 0
		.amdhsa_exception_fp_ieee_overflow 0
		.amdhsa_exception_fp_ieee_underflow 0
		.amdhsa_exception_fp_ieee_inexact 0
		.amdhsa_exception_int_div_zero 0
	.end_amdhsa_kernel
	.section	.text._ZN12_GLOBAL__N_120softmax_warp_forwardIN3c104HalfEffLi11ELb0ELb0ELi64EEEvPT0_PKT_iiiPKbib,"axG",@progbits,_ZN12_GLOBAL__N_120softmax_warp_forwardIN3c104HalfEffLi11ELb0ELb0ELi64EEEvPT0_PKT_iiiPKbib,comdat
.Lfunc_end454:
	.size	_ZN12_GLOBAL__N_120softmax_warp_forwardIN3c104HalfEffLi11ELb0ELb0ELi64EEEvPT0_PKT_iiiPKbib, .Lfunc_end454-_ZN12_GLOBAL__N_120softmax_warp_forwardIN3c104HalfEffLi11ELb0ELb0ELi64EEEvPT0_PKT_iiiPKbib
                                        ; -- End function
	.set _ZN12_GLOBAL__N_120softmax_warp_forwardIN3c104HalfEffLi11ELb0ELb0ELi64EEEvPT0_PKT_iiiPKbib.num_vgpr, 46
	.set _ZN12_GLOBAL__N_120softmax_warp_forwardIN3c104HalfEffLi11ELb0ELb0ELi64EEEvPT0_PKT_iiiPKbib.num_agpr, 0
	.set _ZN12_GLOBAL__N_120softmax_warp_forwardIN3c104HalfEffLi11ELb0ELb0ELi64EEEvPT0_PKT_iiiPKbib.numbered_sgpr, 44
	.set _ZN12_GLOBAL__N_120softmax_warp_forwardIN3c104HalfEffLi11ELb0ELb0ELi64EEEvPT0_PKT_iiiPKbib.num_named_barrier, 0
	.set _ZN12_GLOBAL__N_120softmax_warp_forwardIN3c104HalfEffLi11ELb0ELb0ELi64EEEvPT0_PKT_iiiPKbib.private_seg_size, 0
	.set _ZN12_GLOBAL__N_120softmax_warp_forwardIN3c104HalfEffLi11ELb0ELb0ELi64EEEvPT0_PKT_iiiPKbib.uses_vcc, 1
	.set _ZN12_GLOBAL__N_120softmax_warp_forwardIN3c104HalfEffLi11ELb0ELb0ELi64EEEvPT0_PKT_iiiPKbib.uses_flat_scratch, 0
	.set _ZN12_GLOBAL__N_120softmax_warp_forwardIN3c104HalfEffLi11ELb0ELb0ELi64EEEvPT0_PKT_iiiPKbib.has_dyn_sized_stack, 0
	.set _ZN12_GLOBAL__N_120softmax_warp_forwardIN3c104HalfEffLi11ELb0ELb0ELi64EEEvPT0_PKT_iiiPKbib.has_recursion, 0
	.set _ZN12_GLOBAL__N_120softmax_warp_forwardIN3c104HalfEffLi11ELb0ELb0ELi64EEEvPT0_PKT_iiiPKbib.has_indirect_call, 0
	.section	.AMDGPU.csdata,"",@progbits
; Kernel info:
; codeLenInByte = 9852
; TotalNumSgprs: 46
; NumVgprs: 46
; ScratchSize: 0
; MemoryBound: 0
; FloatMode: 240
; IeeeMode: 1
; LDSByteSize: 0 bytes/workgroup (compile time only)
; SGPRBlocks: 0
; VGPRBlocks: 5
; NumSGPRsForWavesPerEU: 46
; NumVGPRsForWavesPerEU: 46
; Occupancy: 16
; WaveLimiterHint : 0
; COMPUTE_PGM_RSRC2:SCRATCH_EN: 0
; COMPUTE_PGM_RSRC2:USER_SGPR: 6
; COMPUTE_PGM_RSRC2:TRAP_HANDLER: 0
; COMPUTE_PGM_RSRC2:TGID_X_EN: 1
; COMPUTE_PGM_RSRC2:TGID_Y_EN: 0
; COMPUTE_PGM_RSRC2:TGID_Z_EN: 0
; COMPUTE_PGM_RSRC2:TIDIG_COMP_CNT: 1
	.section	.text._ZN12_GLOBAL__N_120softmax_warp_forwardIN3c104HalfEffLi11ELb0ELb0ELi32EEEvPT0_PKT_iiiPKbib,"axG",@progbits,_ZN12_GLOBAL__N_120softmax_warp_forwardIN3c104HalfEffLi11ELb0ELb0ELi32EEEvPT0_PKT_iiiPKbib,comdat
	.globl	_ZN12_GLOBAL__N_120softmax_warp_forwardIN3c104HalfEffLi11ELb0ELb0ELi32EEEvPT0_PKT_iiiPKbib ; -- Begin function _ZN12_GLOBAL__N_120softmax_warp_forwardIN3c104HalfEffLi11ELb0ELb0ELi32EEEvPT0_PKT_iiiPKbib
	.p2align	8
	.type	_ZN12_GLOBAL__N_120softmax_warp_forwardIN3c104HalfEffLi11ELb0ELb0ELi32EEEvPT0_PKT_iiiPKbib,@function
_ZN12_GLOBAL__N_120softmax_warp_forwardIN3c104HalfEffLi11ELb0ELb0ELi32EEEvPT0_PKT_iiiPKbib: ; @_ZN12_GLOBAL__N_120softmax_warp_forwardIN3c104HalfEffLi11ELb0ELb0ELi32EEEvPT0_PKT_iiiPKbib
; %bb.0:
	s_clause 0x1
	s_load_dword s0, s[4:5], 0x3c
	s_load_dwordx8 s[68:75], s[4:5], 0x0
	v_mov_b32_e32 v17, 0xff800000
	v_mov_b32_e32 v14, 0xff800000
	s_waitcnt lgkmcnt(0)
	s_lshr_b32 s0, s0, 16
	v_cmp_gt_i32_e32 vcc_lo, s74, v0
	v_mad_u64_u32 v[3:4], null, s6, s0, v[1:2]
	v_mad_u64_u32 v[1:2], null, v3, s73, v[0:1]
	v_sub_nc_u32_e32 v5, s72, v3
	v_cmp_lt_i32_e64 s64, 0, v5
	v_ashrrev_i32_e32 v2, 31, v1
	s_and_b32 s1, s64, vcc_lo
	v_lshlrev_b64 v[3:4], 1, v[1:2]
	v_add_co_u32 v3, s0, s70, v3
	v_add_co_ci_u32_e64 v4, null, s71, v4, s0
	s_and_saveexec_b32 s0, s1
	s_cbranch_execz .LBB455_2
; %bb.1:
	global_load_ushort v6, v[3:4], off
	s_waitcnt vmcnt(0)
	v_cvt_f32_f16_e32 v14, v6
.LBB455_2:
	s_or_b32 exec_lo, exec_lo, s0
	v_add_nc_u32_e32 v6, 32, v0
	v_cmp_gt_i32_e64 s63, s74, v6
	s_and_b32 s1, s64, s63
	s_and_saveexec_b32 s0, s1
	s_cbranch_execz .LBB455_4
; %bb.3:
	global_load_ushort v6, v[3:4], off offset:64
	s_waitcnt vmcnt(0)
	v_cvt_f32_f16_e32 v17, v6
.LBB455_4:
	s_or_b32 exec_lo, exec_lo, s0
	v_add_nc_u32_e32 v6, 64, v0
	v_mov_b32_e32 v19, 0xff800000
	v_mov_b32_e32 v18, 0xff800000
	v_cmp_gt_i32_e64 s62, s74, v6
	s_and_b32 s1, s64, s62
	s_and_saveexec_b32 s0, s1
	s_cbranch_execz .LBB455_6
; %bb.5:
	global_load_ushort v6, v[3:4], off offset:128
	s_waitcnt vmcnt(0)
	v_cvt_f32_f16_e32 v18, v6
.LBB455_6:
	s_or_b32 exec_lo, exec_lo, s0
	v_add_nc_u32_e32 v6, 0x60, v0
	v_cmp_gt_i32_e64 s61, s74, v6
	s_and_b32 s1, s64, s61
	s_and_saveexec_b32 s0, s1
	s_cbranch_execz .LBB455_8
; %bb.7:
	global_load_ushort v6, v[3:4], off offset:192
	s_waitcnt vmcnt(0)
	v_cvt_f32_f16_e32 v19, v6
.LBB455_8:
	s_or_b32 exec_lo, exec_lo, s0
	v_add_nc_u32_e32 v6, 0x80, v0
	v_mov_b32_e32 v21, 0xff800000
	v_mov_b32_e32 v20, 0xff800000
	v_cmp_gt_i32_e64 s60, s74, v6
	s_and_b32 s1, s64, s60
	s_and_saveexec_b32 s0, s1
	s_cbranch_execz .LBB455_10
; %bb.9:
	global_load_ushort v6, v[3:4], off offset:256
	s_waitcnt vmcnt(0)
	v_cvt_f32_f16_e32 v20, v6
.LBB455_10:
	;; [unrolled: 24-line block ×15, first 2 shown]
	s_or_b32 exec_lo, exec_lo, s0
	v_add_nc_u32_e32 v6, 0x3e0, v0
	v_cmp_gt_i32_e64 s33, s74, v6
	s_and_b32 s1, s64, s33
	s_and_saveexec_b32 s0, s1
	s_cbranch_execz .LBB455_64
; %bb.63:
	global_load_ushort v6, v[3:4], off offset:1984
	s_waitcnt vmcnt(0)
	v_cvt_f32_f16_e32 v72, v6
.LBB455_64:
	s_or_b32 exec_lo, exec_lo, s0
	v_or_b32_e32 v6, 0x400, v0
	v_mov_b32_e32 v68, 0xff800000
	v_mov_b32_e32 v70, 0xff800000
	v_cmp_gt_i32_e64 s31, s74, v6
	s_and_b32 s0, s64, s31
	s_and_saveexec_b32 s1, s0
	s_cbranch_execz .LBB455_66
; %bb.65:
	v_add_co_u32 v6, s0, 0x800, v3
	v_add_co_ci_u32_e64 v7, null, 0, v4, s0
	global_load_ushort v6, v[6:7], off
	s_waitcnt vmcnt(0)
	v_cvt_f32_f16_e32 v70, v6
.LBB455_66:
	s_or_b32 exec_lo, exec_lo, s1
	v_add_nc_u32_e32 v6, 0x420, v0
	v_cmp_gt_i32_e64 s30, s74, v6
	s_and_b32 s0, s64, s30
	s_and_saveexec_b32 s1, s0
	s_cbranch_execz .LBB455_68
; %bb.67:
	v_add_co_u32 v6, s0, 0x800, v3
	v_add_co_ci_u32_e64 v7, null, 0, v4, s0
	global_load_ushort v6, v[6:7], off offset:64
	s_waitcnt vmcnt(0)
	v_cvt_f32_f16_e32 v68, v6
.LBB455_68:
	s_or_b32 exec_lo, exec_lo, s1
	v_add_nc_u32_e32 v6, 0x440, v0
	v_mov_b32_e32 v63, 0xff800000
	v_mov_b32_e32 v66, 0xff800000
	v_cmp_gt_i32_e64 s29, s74, v6
	s_and_b32 s0, s64, s29
	s_and_saveexec_b32 s1, s0
	s_cbranch_execz .LBB455_70
; %bb.69:
	v_add_co_u32 v6, s0, 0x800, v3
	v_add_co_ci_u32_e64 v7, null, 0, v4, s0
	global_load_ushort v6, v[6:7], off offset:128
	s_waitcnt vmcnt(0)
	v_cvt_f32_f16_e32 v66, v6
.LBB455_70:
	s_or_b32 exec_lo, exec_lo, s1
	v_add_nc_u32_e32 v6, 0x460, v0
	v_cmp_gt_i32_e64 s28, s74, v6
	s_and_b32 s0, s64, s28
	s_and_saveexec_b32 s1, s0
	s_cbranch_execz .LBB455_72
; %bb.71:
	v_add_co_u32 v6, s0, 0x800, v3
	v_add_co_ci_u32_e64 v7, null, 0, v4, s0
	global_load_ushort v6, v[6:7], off offset:192
	s_waitcnt vmcnt(0)
	v_cvt_f32_f16_e32 v63, v6
.LBB455_72:
	s_or_b32 exec_lo, exec_lo, s1
	v_add_nc_u32_e32 v6, 0x480, v0
	v_mov_b32_e32 v60, 0xff800000
	v_mov_b32_e32 v61, 0xff800000
	v_cmp_gt_i32_e64 s27, s74, v6
	s_and_b32 s0, s64, s27
	s_and_saveexec_b32 s1, s0
	s_cbranch_execz .LBB455_74
; %bb.73:
	v_add_co_u32 v6, s0, 0x800, v3
	v_add_co_ci_u32_e64 v7, null, 0, v4, s0
	global_load_ushort v6, v[6:7], off offset:256
	s_waitcnt vmcnt(0)
	v_cvt_f32_f16_e32 v61, v6
.LBB455_74:
	;; [unrolled: 28-line block ×15, first 2 shown]
	s_or_b32 exec_lo, exec_lo, s65
	v_add_nc_u32_e32 v0, 0x7e0, v0
	v_cmp_gt_i32_e64 s0, s74, v0
	s_and_b32 s64, s64, s0
	s_and_saveexec_b32 s65, s64
	s_cbranch_execz .LBB455_128
; %bb.127:
	v_add_co_u32 v3, s64, 0x800, v3
	v_add_co_ci_u32_e64 v4, null, 0, v4, s64
	global_load_ushort v0, v[3:4], off offset:1984
	s_waitcnt vmcnt(0)
	v_cvt_f32_f16_e32 v7, v0
.LBB455_128:
	s_or_b32 exec_lo, exec_lo, s65
	v_cmp_gt_f32_e64 s64, v14, v17
	v_mbcnt_lo_u32_b32 v16, -1, 0
	s_mov_b32 s65, exec_lo
	v_cndmask_b32_e64 v0, v17, v14, s64
	v_cmp_gt_f32_e64 s64, v0, v18
	v_cndmask_b32_e64 v0, v18, v0, s64
	v_cmp_gt_f32_e64 s64, v0, v19
	;; [unrolled: 2-line block ×62, first 2 shown]
	v_cndmask_b32_e64 v3, v7, v0, s64
	v_xor_b32_e32 v0, 16, v16
	v_cmp_gt_i32_e64 s64, 32, v0
	v_cndmask_b32_e64 v0, v16, v0, s64
	v_lshlrev_b32_e32 v0, 2, v0
	ds_bpermute_b32 v4, v0, v3
	s_waitcnt lgkmcnt(0)
	v_cmp_lt_f32_e64 s64, v3, v4
	v_cndmask_b32_e64 v4, v3, v4, s64
	v_xor_b32_e32 v3, 8, v16
	v_cmp_gt_i32_e64 s64, 32, v3
	v_cndmask_b32_e64 v3, v16, v3, s64
	v_lshlrev_b32_e32 v3, 2, v3
	ds_bpermute_b32 v6, v3, v4
	s_waitcnt lgkmcnt(0)
	v_cmp_lt_f32_e64 s64, v4, v6
	;; [unrolled: 8-line block ×5, first 2 shown]
	v_cndmask_b32_e64 v52, v52, v73, s64
	v_sub_f32_e32 v14, v14, v52
	v_sub_f32_e32 v17, v17, v52
	;; [unrolled: 1-line block ×5, first 2 shown]
	v_mul_f32_e32 v73, 0x3fb8aa3b, v14
	v_cmp_ngt_f32_e64 s64, 0xc2ce8ed0, v14
	v_sub_f32_e32 v21, v21, v52
	v_sub_f32_e32 v22, v22, v52
	v_sub_f32_e32 v24, v24, v52
	v_fma_f32 v74, 0x3fb8aa3b, v14, -v73
	v_rndne_f32_e32 v75, v73
	v_sub_f32_e32 v25, v25, v52
	v_sub_f32_e32 v28, v28, v52
	;; [unrolled: 1-line block ×3, first 2 shown]
	v_fmac_f32_e32 v74, 0x32a5705f, v14
	v_sub_f32_e32 v73, v73, v75
	v_sub_f32_e32 v32, v32, v52
	;; [unrolled: 1-line block ×5, first 2 shown]
	v_add_f32_e32 v73, v73, v74
	v_cvt_i32_f32_e32 v74, v75
	v_sub_f32_e32 v38, v38, v52
	v_sub_f32_e32 v41, v41, v52
	;; [unrolled: 1-line block ×3, first 2 shown]
	v_exp_f32_e32 v73, v73
	v_sub_f32_e32 v45, v45, v52
	v_sub_f32_e32 v46, v46, v52
	;; [unrolled: 1-line block ×9, first 2 shown]
	v_ldexp_f32 v73, v73, v74
	v_sub_f32_e32 v65, v65, v52
	v_sub_f32_e32 v67, v67, v52
	;; [unrolled: 1-line block ×4, first 2 shown]
	v_cndmask_b32_e64 v73, 0, v73, s64
	v_cmp_nlt_f32_e64 s64, 0x42b17218, v14
	v_sub_f32_e32 v72, v72, v52
	v_sub_f32_e32 v70, v70, v52
	;; [unrolled: 1-line block ×4, first 2 shown]
	v_cndmask_b32_e64 v14, 0x7f800000, v73, s64
	v_mul_f32_e32 v73, 0x3fb8aa3b, v17
	v_cmp_ngt_f32_e64 s64, 0xc2ce8ed0, v17
	v_sub_f32_e32 v63, v63, v52
	v_sub_f32_e32 v61, v61, v52
	;; [unrolled: 1-line block ×3, first 2 shown]
	v_fma_f32 v74, 0x3fb8aa3b, v17, -v73
	v_rndne_f32_e32 v75, v73
	v_sub_f32_e32 v59, v59, v52
	v_sub_f32_e32 v58, v58, v52
	;; [unrolled: 1-line block ×3, first 2 shown]
	v_fmac_f32_e32 v74, 0x32a5705f, v17
	v_sub_f32_e32 v73, v73, v75
	v_sub_f32_e32 v56, v56, v52
	;; [unrolled: 1-line block ×5, first 2 shown]
	v_add_f32_e32 v73, v73, v74
	v_cvt_i32_f32_e32 v74, v75
	v_sub_f32_e32 v44, v44, v52
	v_sub_f32_e32 v43, v43, v52
	;; [unrolled: 1-line block ×3, first 2 shown]
	v_exp_f32_e32 v73, v73
	v_sub_f32_e32 v39, v39, v52
	v_sub_f32_e32 v36, v36, v52
	v_sub_f32_e32 v35, v35, v52
	v_sub_f32_e32 v31, v31, v52
	v_sub_f32_e32 v30, v30, v52
	v_sub_f32_e32 v27, v27, v52
	v_sub_f32_e32 v26, v26, v52
	v_sub_f32_e32 v23, v23, v52
	v_sub_f32_e32 v15, v15, v52
	v_ldexp_f32 v73, v73, v74
	v_mul_f32_e32 v74, 0x3fb8aa3b, v18
	v_sub_f32_e32 v13, v13, v52
	v_sub_f32_e32 v12, v12, v52
	;; [unrolled: 1-line block ×3, first 2 shown]
	v_cndmask_b32_e64 v73, 0, v73, s64
	v_fma_f32 v75, 0x3fb8aa3b, v18, -v74
	v_rndne_f32_e32 v76, v74
	v_cmp_nlt_f32_e64 s64, 0x42b17218, v17
	v_sub_f32_e32 v10, v10, v52
	v_sub_f32_e32 v9, v9, v52
	v_fmac_f32_e32 v75, 0x32a5705f, v18
	v_sub_f32_e32 v74, v74, v76
	v_cndmask_b32_e64 v17, 0x7f800000, v73, s64
	v_cmp_ngt_f32_e64 s64, 0xc2ce8ed0, v18
	v_sub_f32_e32 v8, v8, v52
	v_sub_f32_e32 v7, v7, v52
	v_add_f32_e32 v74, v74, v75
	v_cvt_i32_f32_e32 v75, v76
	v_add_f32_e32 v73, v14, v17
	v_mul_f32_e32 v52, 0x3fb8aa3b, v7
	v_exp_f32_e32 v74, v74
	v_ldexp_f32 v74, v74, v75
	v_cndmask_b32_e64 v74, 0, v74, s64
	v_cmp_nlt_f32_e64 s64, 0x42b17218, v18
	v_cndmask_b32_e64 v18, 0x7f800000, v74, s64
	v_mul_f32_e32 v74, 0x3fb8aa3b, v19
	v_cmp_ngt_f32_e64 s64, 0xc2ce8ed0, v19
	v_add_f32_e32 v73, v73, v18
	v_fma_f32 v75, 0x3fb8aa3b, v19, -v74
	v_rndne_f32_e32 v76, v74
	v_fmac_f32_e32 v75, 0x32a5705f, v19
	v_sub_f32_e32 v74, v74, v76
	v_add_f32_e32 v74, v74, v75
	v_cvt_i32_f32_e32 v75, v76
	v_exp_f32_e32 v74, v74
	v_ldexp_f32 v74, v74, v75
	v_cndmask_b32_e64 v74, 0, v74, s64
	v_cmp_nlt_f32_e64 s64, 0x42b17218, v19
	v_cndmask_b32_e64 v19, 0x7f800000, v74, s64
	v_mul_f32_e32 v74, 0x3fb8aa3b, v20
	v_cmp_ngt_f32_e64 s64, 0xc2ce8ed0, v20
	v_add_f32_e32 v73, v73, v19
	v_fma_f32 v75, 0x3fb8aa3b, v20, -v74
	v_rndne_f32_e32 v76, v74
	v_fmac_f32_e32 v75, 0x32a5705f, v20
	v_sub_f32_e32 v74, v74, v76
	v_add_f32_e32 v74, v74, v75
	v_cvt_i32_f32_e32 v75, v76
	;; [unrolled: 14-line block ×60, first 2 shown]
	v_exp_f32_e32 v74, v74
	v_ldexp_f32 v74, v74, v75
	v_rndne_f32_e32 v75, v52
	v_cndmask_b32_e64 v74, 0, v74, s64
	v_cmp_nlt_f32_e64 s64, 0x42b17218, v8
	v_cndmask_b32_e64 v8, 0x7f800000, v74, s64
	v_fma_f32 v74, 0x3fb8aa3b, v7, -v52
	v_sub_f32_e32 v52, v52, v75
	v_cmp_ngt_f32_e64 s64, 0xc2ce8ed0, v7
	v_add_f32_e32 v73, v73, v8
	v_fmac_f32_e32 v74, 0x32a5705f, v7
	v_add_f32_e32 v52, v52, v74
	v_cvt_i32_f32_e32 v74, v75
	v_exp_f32_e32 v52, v52
	v_ldexp_f32 v52, v52, v74
	v_cndmask_b32_e64 v52, 0, v52, s64
	v_cmp_nlt_f32_e64 s64, 0x42b17218, v7
	v_cndmask_b32_e64 v7, 0x7f800000, v52, s64
	v_add_f32_e32 v52, v73, v7
	ds_bpermute_b32 v0, v0, v52
	s_waitcnt lgkmcnt(0)
	v_add_f32_e32 v0, v52, v0
	ds_bpermute_b32 v3, v3, v0
	s_waitcnt lgkmcnt(0)
	;; [unrolled: 3-line block ×4, first 2 shown]
	v_add_f32_e32 v0, v0, v3
	ds_bpermute_b32 v3, v16, v0
	v_cmpx_lt_i32_e32 0, v5
	s_cbranch_execz .LBB455_194
; %bb.129:
	s_and_b32 exec_lo, exec_lo, vcc_lo
	s_cbranch_execz .LBB455_194
; %bb.130:
	s_waitcnt lgkmcnt(0)
	v_add_f32_e32 v4, v0, v3
	v_div_scale_f32 v0, null, v4, v4, v14
	v_div_scale_f32 v6, vcc_lo, v14, v4, v14
	v_cmp_eq_f32_e64 s64, 0, v4
	v_rcp_f32_e32 v3, v0
	v_fma_f32 v5, -v0, v3, 1.0
	v_fmac_f32_e32 v3, v5, v3
	v_mul_f32_e32 v5, v6, v3
	v_fma_f32 v16, -v0, v5, v6
	v_fmac_f32_e32 v5, v16, v3
	v_fma_f32 v0, -v0, v5, v6
	v_div_fmas_f32 v3, v0, v3, v5
	v_lshlrev_b64 v[0:1], 2, v[1:2]
	v_div_fixup_f32 v2, v3, v4, v14
	v_add_co_u32 v0, vcc_lo, s68, v0
	v_add_co_ci_u32_e64 v1, null, s69, v1, vcc_lo
	v_cndmask_b32_e64 v2, v2, 0x7fc00000, s64
	global_store_dword v[0:1], v2, off
	s_and_b32 exec_lo, exec_lo, s63
	s_cbranch_execz .LBB455_194
; %bb.131:
	v_div_scale_f32 v2, null, v4, v4, v17
	v_rcp_f32_e32 v3, v2
	v_fma_f32 v5, -v2, v3, 1.0
	v_fmac_f32_e32 v3, v5, v3
	v_div_scale_f32 v5, vcc_lo, v17, v4, v17
	v_mul_f32_e32 v6, v5, v3
	v_fma_f32 v14, -v2, v6, v5
	v_fmac_f32_e32 v6, v14, v3
	v_fma_f32 v2, -v2, v6, v5
	v_div_fmas_f32 v2, v2, v3, v6
	v_div_fixup_f32 v2, v2, v4, v17
	v_cndmask_b32_e64 v2, v2, 0x7fc00000, s64
	global_store_dword v[0:1], v2, off offset:128
	s_and_b32 exec_lo, exec_lo, s62
	s_cbranch_execz .LBB455_194
; %bb.132:
	v_div_scale_f32 v2, null, v4, v4, v18
	v_rcp_f32_e32 v3, v2
	v_fma_f32 v5, -v2, v3, 1.0
	v_fmac_f32_e32 v3, v5, v3
	v_div_scale_f32 v5, vcc_lo, v18, v4, v18
	v_mul_f32_e32 v6, v5, v3
	v_fma_f32 v14, -v2, v6, v5
	v_fmac_f32_e32 v6, v14, v3
	v_fma_f32 v2, -v2, v6, v5
	v_div_fmas_f32 v2, v2, v3, v6
	v_div_fixup_f32 v2, v2, v4, v18
	v_cndmask_b32_e64 v2, v2, 0x7fc00000, s64
	global_store_dword v[0:1], v2, off offset:256
	;; [unrolled: 16-line block ×15, first 2 shown]
	s_and_b32 exec_lo, exec_lo, s48
	s_cbranch_execz .LBB455_194
; %bb.146:
	v_div_scale_f32 v2, null, v4, v4, v41
	v_div_scale_f32 v6, vcc_lo, v41, v4, v41
	v_rcp_f32_e32 v3, v2
	v_fma_f32 v5, -v2, v3, 1.0
	v_fmac_f32_e32 v3, v5, v3
	v_mul_f32_e32 v5, v6, v3
	v_fma_f32 v14, -v2, v5, v6
	v_fmac_f32_e32 v5, v14, v3
	v_fma_f32 v2, -v2, v5, v6
	v_div_fmas_f32 v2, v2, v3, v5
	v_div_fixup_f32 v2, v2, v4, v41
	v_cndmask_b32_e64 v5, v2, 0x7fc00000, s64
	v_add_co_u32 v2, vcc_lo, 0x800, v0
	v_add_co_ci_u32_e64 v3, null, 0, v1, vcc_lo
	global_store_dword v[2:3], v5, off
	s_and_b32 exec_lo, exec_lo, s47
	s_cbranch_execz .LBB455_194
; %bb.147:
	v_div_scale_f32 v5, null, v4, v4, v42
	v_rcp_f32_e32 v6, v5
	v_fma_f32 v14, -v5, v6, 1.0
	v_fmac_f32_e32 v6, v14, v6
	v_div_scale_f32 v14, vcc_lo, v42, v4, v42
	v_mul_f32_e32 v16, v14, v6
	v_fma_f32 v17, -v5, v16, v14
	v_fmac_f32_e32 v16, v17, v6
	v_fma_f32 v5, -v5, v16, v14
	v_div_fmas_f32 v5, v5, v6, v16
	v_div_fixup_f32 v5, v5, v4, v42
	v_cndmask_b32_e64 v5, v5, 0x7fc00000, s64
	global_store_dword v[2:3], v5, off offset:128
	s_and_b32 exec_lo, exec_lo, s46
	s_cbranch_execz .LBB455_194
; %bb.148:
	v_div_scale_f32 v5, null, v4, v4, v45
	v_rcp_f32_e32 v6, v5
	v_fma_f32 v14, -v5, v6, 1.0
	v_fmac_f32_e32 v6, v14, v6
	v_div_scale_f32 v14, vcc_lo, v45, v4, v45
	v_mul_f32_e32 v16, v14, v6
	v_fma_f32 v17, -v5, v16, v14
	v_fmac_f32_e32 v16, v17, v6
	v_fma_f32 v5, -v5, v16, v14
	v_div_fmas_f32 v5, v5, v6, v16
	v_div_fixup_f32 v5, v5, v4, v45
	v_cndmask_b32_e64 v5, v5, 0x7fc00000, s64
	global_store_dword v[2:3], v5, off offset:256
	;; [unrolled: 16-line block ×15, first 2 shown]
	s_and_b32 exec_lo, exec_lo, s31
	s_cbranch_execz .LBB455_194
; %bb.162:
	v_div_scale_f32 v2, null, v4, v4, v70
	v_div_scale_f32 v6, vcc_lo, v70, v4, v70
	v_rcp_f32_e32 v3, v2
	v_fma_f32 v5, -v2, v3, 1.0
	v_fmac_f32_e32 v3, v5, v3
	v_mul_f32_e32 v5, v6, v3
	v_fma_f32 v14, -v2, v5, v6
	v_fmac_f32_e32 v5, v14, v3
	v_fma_f32 v2, -v2, v5, v6
	v_div_fmas_f32 v2, v2, v3, v5
	v_div_fixup_f32 v2, v2, v4, v70
	v_cndmask_b32_e64 v5, v2, 0x7fc00000, s64
	v_add_co_u32 v2, vcc_lo, 0x1000, v0
	v_add_co_ci_u32_e64 v3, null, 0, v1, vcc_lo
	global_store_dword v[2:3], v5, off
	s_and_b32 exec_lo, exec_lo, s30
	s_cbranch_execz .LBB455_194
; %bb.163:
	v_div_scale_f32 v5, null, v4, v4, v68
	v_rcp_f32_e32 v6, v5
	v_fma_f32 v14, -v5, v6, 1.0
	v_fmac_f32_e32 v6, v14, v6
	v_div_scale_f32 v14, vcc_lo, v68, v4, v68
	v_mul_f32_e32 v16, v14, v6
	v_fma_f32 v17, -v5, v16, v14
	v_fmac_f32_e32 v16, v17, v6
	v_fma_f32 v5, -v5, v16, v14
	v_div_fmas_f32 v5, v5, v6, v16
	v_div_fixup_f32 v5, v5, v4, v68
	v_cndmask_b32_e64 v5, v5, 0x7fc00000, s64
	global_store_dword v[2:3], v5, off offset:128
	s_and_b32 exec_lo, exec_lo, s29
	s_cbranch_execz .LBB455_194
; %bb.164:
	v_div_scale_f32 v5, null, v4, v4, v66
	v_rcp_f32_e32 v6, v5
	v_fma_f32 v14, -v5, v6, 1.0
	v_fmac_f32_e32 v6, v14, v6
	v_div_scale_f32 v14, vcc_lo, v66, v4, v66
	v_mul_f32_e32 v16, v14, v6
	v_fma_f32 v17, -v5, v16, v14
	v_fmac_f32_e32 v16, v17, v6
	v_fma_f32 v5, -v5, v16, v14
	v_div_fmas_f32 v5, v5, v6, v16
	v_div_fixup_f32 v5, v5, v4, v66
	v_cndmask_b32_e64 v5, v5, 0x7fc00000, s64
	global_store_dword v[2:3], v5, off offset:256
	;; [unrolled: 16-line block ×15, first 2 shown]
	s_and_b32 exec_lo, exec_lo, s15
	s_cbranch_execz .LBB455_194
; %bb.178:
	v_div_scale_f32 v2, null, v4, v4, v39
	v_div_scale_f32 v6, vcc_lo, v39, v4, v39
	v_rcp_f32_e32 v3, v2
	v_fma_f32 v5, -v2, v3, 1.0
	v_fmac_f32_e32 v3, v5, v3
	v_mul_f32_e32 v5, v6, v3
	v_fma_f32 v14, -v2, v5, v6
	v_fmac_f32_e32 v5, v14, v3
	v_fma_f32 v2, -v2, v5, v6
	v_div_fmas_f32 v2, v2, v3, v5
	v_add_co_u32 v0, vcc_lo, 0x1800, v0
	v_add_co_ci_u32_e64 v1, null, 0, v1, vcc_lo
	v_div_fixup_f32 v2, v2, v4, v39
	v_cndmask_b32_e64 v2, v2, 0x7fc00000, s64
	global_store_dword v[0:1], v2, off
	s_and_b32 exec_lo, exec_lo, s14
	s_cbranch_execz .LBB455_194
; %bb.179:
	v_div_scale_f32 v2, null, v4, v4, v36
	v_rcp_f32_e32 v3, v2
	v_fma_f32 v5, -v2, v3, 1.0
	v_fmac_f32_e32 v3, v5, v3
	v_div_scale_f32 v5, vcc_lo, v36, v4, v36
	v_mul_f32_e32 v6, v5, v3
	v_fma_f32 v14, -v2, v6, v5
	v_fmac_f32_e32 v6, v14, v3
	v_fma_f32 v2, -v2, v6, v5
	v_div_fmas_f32 v2, v2, v3, v6
	v_div_fixup_f32 v2, v2, v4, v36
	v_cndmask_b32_e64 v2, v2, 0x7fc00000, s64
	global_store_dword v[0:1], v2, off offset:128
	s_and_b32 exec_lo, exec_lo, s13
	s_cbranch_execz .LBB455_194
; %bb.180:
	v_div_scale_f32 v2, null, v4, v4, v35
	v_rcp_f32_e32 v3, v2
	v_fma_f32 v5, -v2, v3, 1.0
	v_fmac_f32_e32 v3, v5, v3
	v_div_scale_f32 v5, vcc_lo, v35, v4, v35
	v_mul_f32_e32 v6, v5, v3
	v_fma_f32 v14, -v2, v6, v5
	v_fmac_f32_e32 v6, v14, v3
	v_fma_f32 v2, -v2, v6, v5
	v_div_fmas_f32 v2, v2, v3, v6
	v_div_fixup_f32 v2, v2, v4, v35
	v_cndmask_b32_e64 v2, v2, 0x7fc00000, s64
	global_store_dword v[0:1], v2, off offset:256
	;; [unrolled: 16-line block ×15, first 2 shown]
.LBB455_194:
	s_endpgm
	.section	.rodata,"a",@progbits
	.p2align	6, 0x0
	.amdhsa_kernel _ZN12_GLOBAL__N_120softmax_warp_forwardIN3c104HalfEffLi11ELb0ELb0ELi32EEEvPT0_PKT_iiiPKbib
		.amdhsa_group_segment_fixed_size 0
		.amdhsa_private_segment_fixed_size 0
		.amdhsa_kernarg_size 304
		.amdhsa_user_sgpr_count 6
		.amdhsa_user_sgpr_private_segment_buffer 1
		.amdhsa_user_sgpr_dispatch_ptr 0
		.amdhsa_user_sgpr_queue_ptr 0
		.amdhsa_user_sgpr_kernarg_segment_ptr 1
		.amdhsa_user_sgpr_dispatch_id 0
		.amdhsa_user_sgpr_flat_scratch_init 0
		.amdhsa_user_sgpr_private_segment_size 0
		.amdhsa_wavefront_size32 1
		.amdhsa_uses_dynamic_stack 0
		.amdhsa_system_sgpr_private_segment_wavefront_offset 0
		.amdhsa_system_sgpr_workgroup_id_x 1
		.amdhsa_system_sgpr_workgroup_id_y 0
		.amdhsa_system_sgpr_workgroup_id_z 0
		.amdhsa_system_sgpr_workgroup_info 0
		.amdhsa_system_vgpr_workitem_id 1
		.amdhsa_next_free_vgpr 77
		.amdhsa_next_free_sgpr 76
		.amdhsa_reserve_vcc 1
		.amdhsa_reserve_flat_scratch 0
		.amdhsa_float_round_mode_32 0
		.amdhsa_float_round_mode_16_64 0
		.amdhsa_float_denorm_mode_32 3
		.amdhsa_float_denorm_mode_16_64 3
		.amdhsa_dx10_clamp 1
		.amdhsa_ieee_mode 1
		.amdhsa_fp16_overflow 0
		.amdhsa_workgroup_processor_mode 1
		.amdhsa_memory_ordered 1
		.amdhsa_forward_progress 1
		.amdhsa_shared_vgpr_count 0
		.amdhsa_exception_fp_ieee_invalid_op 0
		.amdhsa_exception_fp_denorm_src 0
		.amdhsa_exception_fp_ieee_div_zero 0
		.amdhsa_exception_fp_ieee_overflow 0
		.amdhsa_exception_fp_ieee_underflow 0
		.amdhsa_exception_fp_ieee_inexact 0
		.amdhsa_exception_int_div_zero 0
	.end_amdhsa_kernel
	.section	.text._ZN12_GLOBAL__N_120softmax_warp_forwardIN3c104HalfEffLi11ELb0ELb0ELi32EEEvPT0_PKT_iiiPKbib,"axG",@progbits,_ZN12_GLOBAL__N_120softmax_warp_forwardIN3c104HalfEffLi11ELb0ELb0ELi32EEEvPT0_PKT_iiiPKbib,comdat
.Lfunc_end455:
	.size	_ZN12_GLOBAL__N_120softmax_warp_forwardIN3c104HalfEffLi11ELb0ELb0ELi32EEEvPT0_PKT_iiiPKbib, .Lfunc_end455-_ZN12_GLOBAL__N_120softmax_warp_forwardIN3c104HalfEffLi11ELb0ELb0ELi32EEEvPT0_PKT_iiiPKbib
                                        ; -- End function
	.set _ZN12_GLOBAL__N_120softmax_warp_forwardIN3c104HalfEffLi11ELb0ELb0ELi32EEEvPT0_PKT_iiiPKbib.num_vgpr, 77
	.set _ZN12_GLOBAL__N_120softmax_warp_forwardIN3c104HalfEffLi11ELb0ELb0ELi32EEEvPT0_PKT_iiiPKbib.num_agpr, 0
	.set _ZN12_GLOBAL__N_120softmax_warp_forwardIN3c104HalfEffLi11ELb0ELb0ELi32EEEvPT0_PKT_iiiPKbib.numbered_sgpr, 76
	.set _ZN12_GLOBAL__N_120softmax_warp_forwardIN3c104HalfEffLi11ELb0ELb0ELi32EEEvPT0_PKT_iiiPKbib.num_named_barrier, 0
	.set _ZN12_GLOBAL__N_120softmax_warp_forwardIN3c104HalfEffLi11ELb0ELb0ELi32EEEvPT0_PKT_iiiPKbib.private_seg_size, 0
	.set _ZN12_GLOBAL__N_120softmax_warp_forwardIN3c104HalfEffLi11ELb0ELb0ELi32EEEvPT0_PKT_iiiPKbib.uses_vcc, 1
	.set _ZN12_GLOBAL__N_120softmax_warp_forwardIN3c104HalfEffLi11ELb0ELb0ELi32EEEvPT0_PKT_iiiPKbib.uses_flat_scratch, 0
	.set _ZN12_GLOBAL__N_120softmax_warp_forwardIN3c104HalfEffLi11ELb0ELb0ELi32EEEvPT0_PKT_iiiPKbib.has_dyn_sized_stack, 0
	.set _ZN12_GLOBAL__N_120softmax_warp_forwardIN3c104HalfEffLi11ELb0ELb0ELi32EEEvPT0_PKT_iiiPKbib.has_recursion, 0
	.set _ZN12_GLOBAL__N_120softmax_warp_forwardIN3c104HalfEffLi11ELb0ELb0ELi32EEEvPT0_PKT_iiiPKbib.has_indirect_call, 0
	.section	.AMDGPU.csdata,"",@progbits
; Kernel info:
; codeLenInByte = 19060
; TotalNumSgprs: 78
; NumVgprs: 77
; ScratchSize: 0
; MemoryBound: 0
; FloatMode: 240
; IeeeMode: 1
; LDSByteSize: 0 bytes/workgroup (compile time only)
; SGPRBlocks: 0
; VGPRBlocks: 9
; NumSGPRsForWavesPerEU: 78
; NumVGPRsForWavesPerEU: 77
; Occupancy: 12
; WaveLimiterHint : 0
; COMPUTE_PGM_RSRC2:SCRATCH_EN: 0
; COMPUTE_PGM_RSRC2:USER_SGPR: 6
; COMPUTE_PGM_RSRC2:TRAP_HANDLER: 0
; COMPUTE_PGM_RSRC2:TGID_X_EN: 1
; COMPUTE_PGM_RSRC2:TGID_Y_EN: 0
; COMPUTE_PGM_RSRC2:TGID_Z_EN: 0
; COMPUTE_PGM_RSRC2:TIDIG_COMP_CNT: 1
	.section	.text._ZN2at6native12_GLOBAL__N_123cunn_SoftMaxForwardGmemILi8EN3c104HalfEffNS1_29SoftMaxForwardWithMulEpilogueElEEvPT2_PKT0_T4_,"axG",@progbits,_ZN2at6native12_GLOBAL__N_123cunn_SoftMaxForwardGmemILi8EN3c104HalfEffNS1_29SoftMaxForwardWithMulEpilogueElEEvPT2_PKT0_T4_,comdat
	.globl	_ZN2at6native12_GLOBAL__N_123cunn_SoftMaxForwardGmemILi8EN3c104HalfEffNS1_29SoftMaxForwardWithMulEpilogueElEEvPT2_PKT0_T4_ ; -- Begin function _ZN2at6native12_GLOBAL__N_123cunn_SoftMaxForwardGmemILi8EN3c104HalfEffNS1_29SoftMaxForwardWithMulEpilogueElEEvPT2_PKT0_T4_
	.p2align	8
	.type	_ZN2at6native12_GLOBAL__N_123cunn_SoftMaxForwardGmemILi8EN3c104HalfEffNS1_29SoftMaxForwardWithMulEpilogueElEEvPT2_PKT0_T4_,@function
_ZN2at6native12_GLOBAL__N_123cunn_SoftMaxForwardGmemILi8EN3c104HalfEffNS1_29SoftMaxForwardWithMulEpilogueElEEvPT2_PKT0_T4_: ; @_ZN2at6native12_GLOBAL__N_123cunn_SoftMaxForwardGmemILi8EN3c104HalfEffNS1_29SoftMaxForwardWithMulEpilogueElEEvPT2_PKT0_T4_
; %bb.0:
	s_clause 0x1
	s_load_dwordx2 s[12:13], s[4:5], 0x10
	s_load_dwordx4 s[8:11], s[4:5], 0x0
	v_mov_b32_e32 v1, 0
	v_lshlrev_b32_e32 v2, 3, v0
	v_mov_b32_e32 v7, 0xff7fffff
	v_lshlrev_b32_e32 v6, 4, v0
	s_mov_b32 s2, 0
	v_mov_b32_e32 v3, v1
	s_waitcnt lgkmcnt(0)
	v_cmp_gt_i64_e64 s0, s[12:13], v[2:3]
	s_mul_i32 s14, s13, s6
	s_mul_hi_u32 s15, s12, s6
	s_mul_i32 s6, s12, s6
	s_and_saveexec_b32 s3, s0
	s_cbranch_execz .LBB456_4
; %bb.1:
	s_load_dword s1, s[4:5], 0x24
	s_add_i32 s7, s15, s14
	v_mov_b32_e32 v5, v1
	s_lshl_b64 s[16:17], s[6:7], 1
	v_mov_b32_e32 v7, 0xff7fffff
	v_mov_b32_e32 v4, v0
	s_waitcnt lgkmcnt(0)
	s_and_b32 s7, s1, 0xffff
	s_add_u32 s1, s10, s16
	s_addc_u32 s16, s11, s17
	v_add_co_u32 v2, s1, s1, v6
	v_add_co_ci_u32_e64 v3, null, s16, 0, s1
	s_lshl_b32 s16, s7, 4
	v_add_co_u32 v2, vcc_lo, v2, 14
	v_add_co_ci_u32_e64 v3, null, 0, v3, vcc_lo
	s_inst_prefetch 0x1
	.p2align	6
.LBB456_2:                              ; =>This Inner Loop Header: Depth=1
	global_load_dwordx4 v[8:11], v[2:3], off offset:-14
	v_add_co_u32 v4, vcc_lo, v4, s7
	v_add_co_ci_u32_e64 v5, null, 0, v5, vcc_lo
	v_add_co_u32 v2, s1, v2, s16
	v_add_co_ci_u32_e64 v3, null, 0, v3, s1
	s_waitcnt vmcnt(0)
	v_cvt_f32_f16_e32 v12, v8
	v_cvt_f32_f16_sdwa v8, v8 dst_sel:DWORD dst_unused:UNUSED_PAD src0_sel:WORD_1
	v_cvt_f32_f16_e32 v13, v9
	v_cvt_f32_f16_sdwa v9, v9 dst_sel:DWORD dst_unused:UNUSED_PAD src0_sel:WORD_1
	;; [unrolled: 2-line block ×3, first 2 shown]
	v_max3_f32 v12, v7, v12, v8
	v_lshlrev_b64 v[7:8], 3, v[4:5]
	v_max3_f32 v9, v12, v13, v9
	v_cmp_le_i64_e32 vcc_lo, s[12:13], v[7:8]
	v_cvt_f32_f16_e32 v7, v11
	v_cvt_f32_f16_sdwa v8, v11 dst_sel:DWORD dst_unused:UNUSED_PAD src0_sel:WORD_1
	v_max3_f32 v9, v9, v14, v10
	s_or_b32 s2, vcc_lo, s2
	v_max3_f32 v7, v9, v7, v8
	s_andn2_b32 exec_lo, exec_lo, s2
	s_cbranch_execnz .LBB456_2
; %bb.3:
	s_inst_prefetch 0x2
	s_or_b32 exec_lo, exec_lo, s2
.LBB456_4:
	s_or_b32 exec_lo, exec_lo, s3
	v_mbcnt_lo_u32_b32 v2, -1, 0
	v_lshrrev_b32_e32 v13, 3, v0
	s_barrier
	buffer_gl0_inv
	v_lshl_or_b32 v8, v2, 2, 64
	v_cmp_gt_u32_e32 vcc_lo, 24, v2
	ds_bpermute_b32 v3, v8, v7
	v_cndmask_b32_e64 v4, 0, 8, vcc_lo
	v_add_lshl_u32 v9, v4, v2, 2
	s_waitcnt lgkmcnt(0)
	v_cmp_lt_f32_e32 vcc_lo, v7, v3
	v_cndmask_b32_e32 v3, v7, v3, vcc_lo
	v_cmp_gt_u32_e32 vcc_lo, 28, v2
	ds_bpermute_b32 v4, v9, v3
	v_cndmask_b32_e64 v5, 0, 4, vcc_lo
	v_add_lshl_u32 v10, v5, v2, 2
	s_waitcnt lgkmcnt(0)
	v_cmp_lt_f32_e32 vcc_lo, v3, v4
	v_cndmask_b32_e32 v3, v3, v4, vcc_lo
	;; [unrolled: 7-line block ×3, first 2 shown]
	v_cmp_ne_u32_e32 vcc_lo, 31, v2
	ds_bpermute_b32 v4, v11, v3
	v_add_co_ci_u32_e64 v5, null, 0, v2, vcc_lo
	v_lshlrev_b32_e32 v12, 2, v5
	s_waitcnt lgkmcnt(0)
	v_cmp_lt_f32_e32 vcc_lo, v3, v4
	v_cndmask_b32_e32 v2, v3, v4, vcc_lo
	v_and_b32_e32 v3, 31, v0
	ds_bpermute_b32 v4, v12, v2
	v_cmp_eq_u32_e32 vcc_lo, 0, v3
	s_and_saveexec_b32 s2, vcc_lo
	s_cbranch_execz .LBB456_6
; %bb.5:
	s_waitcnt lgkmcnt(0)
	v_cmp_lt_f32_e64 s1, v2, v4
	v_add_nc_u32_e32 v5, 0, v13
	v_cndmask_b32_e64 v2, v2, v4, s1
	ds_write_b32 v5, v2
.LBB456_6:
	s_or_b32 exec_lo, exec_lo, s2
	s_waitcnt lgkmcnt(0)
	s_barrier
	buffer_gl0_inv
	s_load_dword s16, s[4:5], 0x24
	v_mov_b32_e32 v2, 0xff7fffff
	v_lshl_add_u32 v14, v3, 2, 0
	s_waitcnt lgkmcnt(0)
	s_bfe_u32 s1, s16, 0xb0005
	v_cmp_gt_u32_e64 s1, s1, v0
	s_and_saveexec_b32 s2, s1
	s_cbranch_execnz .LBB456_24
; %bb.7:
	s_or_b32 exec_lo, exec_lo, s2
	v_cmp_gt_u32_e64 s2, 32, v0
	s_and_saveexec_b32 s4, s2
	s_cbranch_execnz .LBB456_25
.LBB456_8:
	s_or_b32 exec_lo, exec_lo, s4
	v_cmp_eq_u32_e64 s3, 0, v0
	s_and_saveexec_b32 s4, s3
	s_cbranch_execz .LBB456_10
.LBB456_9:
	v_mov_b32_e32 v3, 0
	s_waitcnt lgkmcnt(0)
	ds_write_b32 v3, v2
.LBB456_10:
	s_or_b32 exec_lo, exec_lo, s4
	v_mov_b32_e32 v15, 0
	s_waitcnt lgkmcnt(0)
	s_barrier
	buffer_gl0_inv
	s_mov_b32 s18, 0
	ds_read_b32 v7, v15
	s_and_saveexec_b32 s17, s0
	s_cbranch_execz .LBB456_14
; %bb.11:
	s_add_i32 s7, s15, s14
	v_mov_b32_e32 v5, v1
	s_lshl_b64 s[4:5], s[6:7], 1
	s_and_b32 s7, s16, 0xffff
	s_add_u32 s4, s10, s4
	s_addc_u32 s5, s11, s5
	v_add_co_u32 v2, s4, s4, v6
	v_add_co_ci_u32_e64 v3, null, s5, 0, s4
	v_mov_b32_e32 v15, 0
	v_add_co_u32 v2, s4, v2, 14
	v_add_co_ci_u32_e64 v3, null, 0, v3, s4
	v_mov_b32_e32 v4, v0
	s_lshl_b32 s19, s7, 4
.LBB456_12:                             ; =>This Inner Loop Header: Depth=1
	global_load_dwordx4 v[16:19], v[2:3], off offset:-14
	v_add_co_u32 v4, s4, v4, s7
	v_add_co_ci_u32_e64 v5, null, 0, v5, s4
	v_add_co_u32 v2, s5, v2, s19
	v_add_co_ci_u32_e64 v3, null, 0, v3, s5
	s_waitcnt vmcnt(0)
	v_cvt_f32_f16_e32 v20, v16
	v_cvt_f32_f16_sdwa v16, v16 dst_sel:DWORD dst_unused:UNUSED_PAD src0_sel:WORD_1
	v_cvt_f32_f16_e32 v21, v17
	v_cvt_f32_f16_sdwa v17, v17 dst_sel:DWORD dst_unused:UNUSED_PAD src0_sel:WORD_1
	v_cvt_f32_f16_e32 v22, v18
	s_waitcnt lgkmcnt(0)
	v_sub_f32_e32 v20, v20, v7
	v_sub_f32_e32 v16, v16, v7
	v_sub_f32_e32 v21, v21, v7
	v_sub_f32_e32 v17, v17, v7
	v_cvt_f32_f16_sdwa v18, v18 dst_sel:DWORD dst_unused:UNUSED_PAD src0_sel:WORD_1
	v_mul_f32_e32 v20, 0x3fb8aa3b, v20
	v_mul_f32_e32 v16, 0x3fb8aa3b, v16
	;; [unrolled: 1-line block ×3, first 2 shown]
	v_sub_f32_e32 v22, v22, v7
	v_mul_f32_e32 v17, 0x3fb8aa3b, v17
	v_exp_f32_e32 v20, v20
	v_exp_f32_e32 v16, v16
	;; [unrolled: 1-line block ×3, first 2 shown]
	v_cvt_f32_f16_e32 v23, v19
	v_sub_f32_e32 v18, v18, v7
	v_exp_f32_e32 v17, v17
	v_cvt_f32_f16_sdwa v19, v19 dst_sel:DWORD dst_unused:UNUSED_PAD src0_sel:WORD_1
	v_mul_f32_e32 v18, 0x3fb8aa3b, v18
	v_add_f32_e32 v15, v15, v20
	v_mul_f32_e32 v20, 0x3fb8aa3b, v22
	v_sub_f32_e32 v19, v19, v7
	v_exp_f32_e32 v18, v18
	v_add_f32_e32 v15, v15, v16
	v_sub_f32_e32 v16, v23, v7
	v_exp_f32_e32 v20, v20
	v_add_f32_e32 v15, v15, v21
	v_mul_f32_e32 v16, 0x3fb8aa3b, v16
	v_add_f32_e32 v15, v15, v17
	v_mul_f32_e32 v17, 0x3fb8aa3b, v19
	v_exp_f32_e32 v19, v16
	v_add_f32_e32 v20, v15, v20
	v_lshlrev_b64 v[15:16], 3, v[4:5]
	v_exp_f32_e32 v17, v17
	v_add_f32_e32 v18, v20, v18
	v_cmp_le_i64_e64 s4, s[12:13], v[15:16]
	v_add_f32_e32 v15, v18, v19
	s_or_b32 s18, s4, s18
	v_add_f32_e32 v15, v15, v17
	s_andn2_b32 exec_lo, exec_lo, s18
	s_cbranch_execnz .LBB456_12
; %bb.13:
	s_or_b32 exec_lo, exec_lo, s18
.LBB456_14:
	s_or_b32 exec_lo, exec_lo, s17
	ds_bpermute_b32 v2, v8, v15
	s_waitcnt lgkmcnt(0)
	s_barrier
	buffer_gl0_inv
	v_add_f32_e32 v2, v15, v2
	ds_bpermute_b32 v3, v9, v2
	s_waitcnt lgkmcnt(0)
	v_add_f32_e32 v2, v2, v3
	ds_bpermute_b32 v3, v10, v2
	s_waitcnt lgkmcnt(0)
	;; [unrolled: 3-line block ×3, first 2 shown]
	v_add_f32_e32 v2, v2, v3
	ds_bpermute_b32 v3, v12, v2
	s_and_saveexec_b32 s4, vcc_lo
	s_cbranch_execz .LBB456_16
; %bb.15:
	v_add_nc_u32_e32 v4, 0, v13
	s_waitcnt lgkmcnt(0)
	v_add_f32_e32 v2, v2, v3
	ds_write_b32 v4, v2
.LBB456_16:
	s_or_b32 exec_lo, exec_lo, s4
	v_mov_b32_e32 v2, 0
	s_waitcnt lgkmcnt(0)
	s_barrier
	buffer_gl0_inv
	s_and_saveexec_b32 s4, s1
	s_cbranch_execnz .LBB456_26
; %bb.17:
	s_or_b32 exec_lo, exec_lo, s4
	s_and_saveexec_b32 s1, s2
	s_cbranch_execnz .LBB456_27
.LBB456_18:
	s_or_b32 exec_lo, exec_lo, s1
	s_and_saveexec_b32 s1, s3
	s_cbranch_execz .LBB456_20
.LBB456_19:
	s_waitcnt lgkmcnt(0)
	v_div_scale_f32 v3, null, v2, v2, 1.0
	v_div_scale_f32 v8, vcc_lo, 1.0, v2, 1.0
	v_rcp_f32_e32 v4, v3
	v_fma_f32 v5, -v3, v4, 1.0
	v_fmac_f32_e32 v4, v5, v4
	v_mul_f32_e32 v5, v8, v4
	v_fma_f32 v9, -v3, v5, v8
	v_fmac_f32_e32 v5, v9, v4
	v_fma_f32 v3, -v3, v5, v8
	v_div_fmas_f32 v3, v3, v4, v5
	v_div_fixup_f32 v2, v3, v2, 1.0
	v_mov_b32_e32 v3, 0
	ds_write_b32 v3, v2
.LBB456_20:
	s_or_b32 exec_lo, exec_lo, s1
	s_waitcnt lgkmcnt(0)
	s_barrier
	buffer_gl0_inv
	s_and_saveexec_b32 s1, s0
	s_cbranch_execz .LBB456_23
; %bb.21:
	v_mov_b32_e32 v2, 0
	s_add_i32 s7, s15, s14
	s_and_b32 s1, s16, 0xffff
	s_lshl_b64 s[2:3], s[6:7], 1
	v_lshlrev_b32_e32 v4, 5, v0
	ds_read_b32 v8, v2
	s_add_u32 s0, s10, s2
	s_addc_u32 s2, s11, s3
	v_add_co_u32 v2, s0, s0, v6
	s_lshl_b64 s[4:5], s[6:7], 2
	v_add_co_ci_u32_e64 v3, null, s2, 0, s0
	s_lshl_b32 s2, s1, 4
	s_add_u32 s0, s8, s4
	s_addc_u32 s3, s9, s5
	v_add_co_u32 v4, s0, s0, v4
	v_add_co_ci_u32_e64 v5, null, s3, 0, s0
	v_add_co_u32 v2, vcc_lo, v2, 14
	v_add_co_ci_u32_e64 v3, null, 0, v3, vcc_lo
	v_add_co_u32 v4, vcc_lo, v4, 16
	v_add_co_ci_u32_e64 v5, null, 0, v5, vcc_lo
	s_mov_b32 s3, 0
	s_lshl_b32 s4, s1, 5
.LBB456_22:                             ; =>This Inner Loop Header: Depth=1
	global_load_dwordx4 v[9:12], v[2:3], off offset:-14
	v_add_co_u32 v0, vcc_lo, v0, s1
	v_add_co_ci_u32_e64 v1, null, 0, v1, vcc_lo
	v_add_co_u32 v2, vcc_lo, v2, s2
	v_add_co_ci_u32_e64 v3, null, 0, v3, vcc_lo
	v_lshlrev_b64 v[13:14], 3, v[0:1]
	v_cmp_le_i64_e32 vcc_lo, s[12:13], v[13:14]
	s_or_b32 s3, vcc_lo, s3
	s_waitcnt vmcnt(0)
	v_cvt_f32_f16_e32 v6, v9
	v_cvt_f32_f16_sdwa v9, v9 dst_sel:DWORD dst_unused:UNUSED_PAD src0_sel:WORD_1
	v_cvt_f32_f16_e32 v13, v10
	v_cvt_f32_f16_sdwa v10, v10 dst_sel:DWORD dst_unused:UNUSED_PAD src0_sel:WORD_1
	;; [unrolled: 2-line block ×4, first 2 shown]
	v_sub_f32_e32 v6, v6, v7
	v_sub_f32_e32 v9, v9, v7
	;; [unrolled: 1-line block ×8, first 2 shown]
	v_mul_f32_e32 v6, 0x3fb8aa3b, v6
	v_mul_f32_e32 v9, 0x3fb8aa3b, v9
	;; [unrolled: 1-line block ×8, first 2 shown]
	v_exp_f32_e32 v6, v6
	v_exp_f32_e32 v16, v9
	v_exp_f32_e32 v13, v13
	v_exp_f32_e32 v17, v10
	v_exp_f32_e32 v14, v14
	v_exp_f32_e32 v18, v11
	v_exp_f32_e32 v15, v15
	v_exp_f32_e32 v19, v12
	s_waitcnt lgkmcnt(0)
	v_mul_f32_e32 v9, v8, v6
	v_mul_f32_e32 v10, v8, v16
	;; [unrolled: 1-line block ×8, first 2 shown]
	global_store_dwordx4 v[4:5], v[9:12], off offset:-16
	global_store_dwordx4 v[4:5], v[13:16], off
	v_add_co_u32 v4, s0, v4, s4
	v_add_co_ci_u32_e64 v5, null, 0, v5, s0
	s_andn2_b32 exec_lo, exec_lo, s3
	s_cbranch_execnz .LBB456_22
.LBB456_23:
	s_endpgm
.LBB456_24:
	ds_read_b32 v2, v14
	s_or_b32 exec_lo, exec_lo, s2
	v_cmp_gt_u32_e64 s2, 32, v0
	s_and_saveexec_b32 s4, s2
	s_cbranch_execz .LBB456_8
.LBB456_25:
	s_waitcnt lgkmcnt(0)
	ds_bpermute_b32 v3, v8, v2
	s_waitcnt lgkmcnt(0)
	v_cmp_lt_f32_e64 s3, v2, v3
	v_cndmask_b32_e64 v2, v2, v3, s3
	ds_bpermute_b32 v3, v9, v2
	s_waitcnt lgkmcnt(0)
	v_cmp_lt_f32_e64 s3, v2, v3
	v_cndmask_b32_e64 v2, v2, v3, s3
	;; [unrolled: 4-line block ×5, first 2 shown]
	s_or_b32 exec_lo, exec_lo, s4
	v_cmp_eq_u32_e64 s3, 0, v0
	s_and_saveexec_b32 s4, s3
	s_cbranch_execnz .LBB456_9
	s_branch .LBB456_10
.LBB456_26:
	ds_read_b32 v2, v14
	s_or_b32 exec_lo, exec_lo, s4
	s_and_saveexec_b32 s1, s2
	s_cbranch_execz .LBB456_18
.LBB456_27:
	s_waitcnt lgkmcnt(0)
	ds_bpermute_b32 v3, v8, v2
	s_waitcnt lgkmcnt(0)
	v_add_f32_e32 v2, v2, v3
	ds_bpermute_b32 v3, v9, v2
	s_waitcnt lgkmcnt(0)
	v_add_f32_e32 v2, v2, v3
	ds_bpermute_b32 v3, v10, v2
	s_waitcnt lgkmcnt(0)
	v_add_f32_e32 v2, v2, v3
	ds_bpermute_b32 v3, v11, v2
	s_waitcnt lgkmcnt(0)
	v_add_f32_e32 v2, v2, v3
	ds_bpermute_b32 v3, v12, v2
	s_waitcnt lgkmcnt(0)
	v_add_f32_e32 v2, v2, v3
	s_or_b32 exec_lo, exec_lo, s1
	s_and_saveexec_b32 s1, s3
	s_cbranch_execnz .LBB456_19
	s_branch .LBB456_20
	.section	.rodata,"a",@progbits
	.p2align	6, 0x0
	.amdhsa_kernel _ZN2at6native12_GLOBAL__N_123cunn_SoftMaxForwardGmemILi8EN3c104HalfEffNS1_29SoftMaxForwardWithMulEpilogueElEEvPT2_PKT0_T4_
		.amdhsa_group_segment_fixed_size 0
		.amdhsa_private_segment_fixed_size 0
		.amdhsa_kernarg_size 280
		.amdhsa_user_sgpr_count 6
		.amdhsa_user_sgpr_private_segment_buffer 1
		.amdhsa_user_sgpr_dispatch_ptr 0
		.amdhsa_user_sgpr_queue_ptr 0
		.amdhsa_user_sgpr_kernarg_segment_ptr 1
		.amdhsa_user_sgpr_dispatch_id 0
		.amdhsa_user_sgpr_flat_scratch_init 0
		.amdhsa_user_sgpr_private_segment_size 0
		.amdhsa_wavefront_size32 1
		.amdhsa_uses_dynamic_stack 0
		.amdhsa_system_sgpr_private_segment_wavefront_offset 0
		.amdhsa_system_sgpr_workgroup_id_x 1
		.amdhsa_system_sgpr_workgroup_id_y 0
		.amdhsa_system_sgpr_workgroup_id_z 0
		.amdhsa_system_sgpr_workgroup_info 0
		.amdhsa_system_vgpr_workitem_id 0
		.amdhsa_next_free_vgpr 24
		.amdhsa_next_free_sgpr 20
		.amdhsa_reserve_vcc 1
		.amdhsa_reserve_flat_scratch 0
		.amdhsa_float_round_mode_32 0
		.amdhsa_float_round_mode_16_64 0
		.amdhsa_float_denorm_mode_32 3
		.amdhsa_float_denorm_mode_16_64 3
		.amdhsa_dx10_clamp 1
		.amdhsa_ieee_mode 1
		.amdhsa_fp16_overflow 0
		.amdhsa_workgroup_processor_mode 1
		.amdhsa_memory_ordered 1
		.amdhsa_forward_progress 1
		.amdhsa_shared_vgpr_count 0
		.amdhsa_exception_fp_ieee_invalid_op 0
		.amdhsa_exception_fp_denorm_src 0
		.amdhsa_exception_fp_ieee_div_zero 0
		.amdhsa_exception_fp_ieee_overflow 0
		.amdhsa_exception_fp_ieee_underflow 0
		.amdhsa_exception_fp_ieee_inexact 0
		.amdhsa_exception_int_div_zero 0
	.end_amdhsa_kernel
	.section	.text._ZN2at6native12_GLOBAL__N_123cunn_SoftMaxForwardGmemILi8EN3c104HalfEffNS1_29SoftMaxForwardWithMulEpilogueElEEvPT2_PKT0_T4_,"axG",@progbits,_ZN2at6native12_GLOBAL__N_123cunn_SoftMaxForwardGmemILi8EN3c104HalfEffNS1_29SoftMaxForwardWithMulEpilogueElEEvPT2_PKT0_T4_,comdat
.Lfunc_end456:
	.size	_ZN2at6native12_GLOBAL__N_123cunn_SoftMaxForwardGmemILi8EN3c104HalfEffNS1_29SoftMaxForwardWithMulEpilogueElEEvPT2_PKT0_T4_, .Lfunc_end456-_ZN2at6native12_GLOBAL__N_123cunn_SoftMaxForwardGmemILi8EN3c104HalfEffNS1_29SoftMaxForwardWithMulEpilogueElEEvPT2_PKT0_T4_
                                        ; -- End function
	.set _ZN2at6native12_GLOBAL__N_123cunn_SoftMaxForwardGmemILi8EN3c104HalfEffNS1_29SoftMaxForwardWithMulEpilogueElEEvPT2_PKT0_T4_.num_vgpr, 24
	.set _ZN2at6native12_GLOBAL__N_123cunn_SoftMaxForwardGmemILi8EN3c104HalfEffNS1_29SoftMaxForwardWithMulEpilogueElEEvPT2_PKT0_T4_.num_agpr, 0
	.set _ZN2at6native12_GLOBAL__N_123cunn_SoftMaxForwardGmemILi8EN3c104HalfEffNS1_29SoftMaxForwardWithMulEpilogueElEEvPT2_PKT0_T4_.numbered_sgpr, 20
	.set _ZN2at6native12_GLOBAL__N_123cunn_SoftMaxForwardGmemILi8EN3c104HalfEffNS1_29SoftMaxForwardWithMulEpilogueElEEvPT2_PKT0_T4_.num_named_barrier, 0
	.set _ZN2at6native12_GLOBAL__N_123cunn_SoftMaxForwardGmemILi8EN3c104HalfEffNS1_29SoftMaxForwardWithMulEpilogueElEEvPT2_PKT0_T4_.private_seg_size, 0
	.set _ZN2at6native12_GLOBAL__N_123cunn_SoftMaxForwardGmemILi8EN3c104HalfEffNS1_29SoftMaxForwardWithMulEpilogueElEEvPT2_PKT0_T4_.uses_vcc, 1
	.set _ZN2at6native12_GLOBAL__N_123cunn_SoftMaxForwardGmemILi8EN3c104HalfEffNS1_29SoftMaxForwardWithMulEpilogueElEEvPT2_PKT0_T4_.uses_flat_scratch, 0
	.set _ZN2at6native12_GLOBAL__N_123cunn_SoftMaxForwardGmemILi8EN3c104HalfEffNS1_29SoftMaxForwardWithMulEpilogueElEEvPT2_PKT0_T4_.has_dyn_sized_stack, 0
	.set _ZN2at6native12_GLOBAL__N_123cunn_SoftMaxForwardGmemILi8EN3c104HalfEffNS1_29SoftMaxForwardWithMulEpilogueElEEvPT2_PKT0_T4_.has_recursion, 0
	.set _ZN2at6native12_GLOBAL__N_123cunn_SoftMaxForwardGmemILi8EN3c104HalfEffNS1_29SoftMaxForwardWithMulEpilogueElEEvPT2_PKT0_T4_.has_indirect_call, 0
	.section	.AMDGPU.csdata,"",@progbits
; Kernel info:
; codeLenInByte = 2176
; TotalNumSgprs: 22
; NumVgprs: 24
; ScratchSize: 0
; MemoryBound: 0
; FloatMode: 240
; IeeeMode: 1
; LDSByteSize: 0 bytes/workgroup (compile time only)
; SGPRBlocks: 0
; VGPRBlocks: 2
; NumSGPRsForWavesPerEU: 22
; NumVGPRsForWavesPerEU: 24
; Occupancy: 16
; WaveLimiterHint : 0
; COMPUTE_PGM_RSRC2:SCRATCH_EN: 0
; COMPUTE_PGM_RSRC2:USER_SGPR: 6
; COMPUTE_PGM_RSRC2:TRAP_HANDLER: 0
; COMPUTE_PGM_RSRC2:TGID_X_EN: 1
; COMPUTE_PGM_RSRC2:TGID_Y_EN: 0
; COMPUTE_PGM_RSRC2:TGID_Z_EN: 0
; COMPUTE_PGM_RSRC2:TIDIG_COMP_CNT: 0
	.section	.text._ZN2at6native12_GLOBAL__N_123cunn_SoftMaxForwardFastILi8EN3c104HalfEffNS1_29SoftMaxForwardWithMulEpilogueEEEvPT2_PKT0_i,"axG",@progbits,_ZN2at6native12_GLOBAL__N_123cunn_SoftMaxForwardFastILi8EN3c104HalfEffNS1_29SoftMaxForwardWithMulEpilogueEEEvPT2_PKT0_i,comdat
	.globl	_ZN2at6native12_GLOBAL__N_123cunn_SoftMaxForwardFastILi8EN3c104HalfEffNS1_29SoftMaxForwardWithMulEpilogueEEEvPT2_PKT0_i ; -- Begin function _ZN2at6native12_GLOBAL__N_123cunn_SoftMaxForwardFastILi8EN3c104HalfEffNS1_29SoftMaxForwardWithMulEpilogueEEEvPT2_PKT0_i
	.p2align	8
	.type	_ZN2at6native12_GLOBAL__N_123cunn_SoftMaxForwardFastILi8EN3c104HalfEffNS1_29SoftMaxForwardWithMulEpilogueEEEvPT2_PKT0_i,@function
_ZN2at6native12_GLOBAL__N_123cunn_SoftMaxForwardFastILi8EN3c104HalfEffNS1_29SoftMaxForwardWithMulEpilogueEEEvPT2_PKT0_i: ; @_ZN2at6native12_GLOBAL__N_123cunn_SoftMaxForwardFastILi8EN3c104HalfEffNS1_29SoftMaxForwardWithMulEpilogueEEEvPT2_PKT0_i
; %bb.0:
	s_clause 0x1
	s_load_dword s7, s[4:5], 0x10
	s_load_dwordx4 s[8:11], s[4:5], 0x0
	s_mov_b32 s15, 0
	s_waitcnt lgkmcnt(0)
	s_ashr_i32 s0, s7, 31
	s_mul_hi_u32 s1, s7, s6
	s_mul_i32 s0, s0, s6
	s_mul_i32 s12, s7, s6
	s_add_i32 s13, s1, s0
	s_lshl_b64 s[0:1], s[12:13], 1
	s_add_u32 s10, s10, s0
	s_addc_u32 s11, s11, s1
	s_bfe_u32 s14, s10, 0x30001
	s_cmp_lg_u32 s14, 0
	v_cmp_le_u32_e64 s0, s14, v0
	s_cselect_b32 s18, -1, 0
	s_add_u32 s2, s4, 24
	s_addc_u32 s3, s5, 0
	s_and_b32 vcc_lo, exec_lo, s18
	s_cbranch_vccz .LBB457_25
; %bb.1:
	s_lshl_b64 s[2:3], s[14:15], 1
	v_mov_b32_e32 v5, 0xff7fffff
	s_sub_u32 s16, s10, s2
	s_subb_u32 s17, s11, s3
	s_add_i32 s1, s14, s7
	v_cmp_gt_i32_e32 vcc_lo, s1, v0
	s_and_b32 s2, s0, vcc_lo
	s_and_saveexec_b32 s0, s2
	s_cbranch_execz .LBB457_3
; %bb.2:
	v_lshlrev_b32_e32 v1, 1, v0
	global_load_ushort v1, v1, s[16:17]
	s_waitcnt vmcnt(0)
	v_cvt_f32_f16_e32 v1, v1
	v_max_f32_e32 v5, 0xff7fffff, v1
.LBB457_3:
	s_or_b32 exec_lo, exec_lo, s0
	s_load_dword s0, s[4:5], 0x24
	s_add_u32 s2, s4, 24
	s_addc_u32 s3, s5, 0
	s_waitcnt lgkmcnt(0)
	s_and_b32 s0, s0, 0xffff
	v_sub_nc_u32_e64 v1, s1, s0 clamp
	s_lshl_b32 s0, s0, 1
	s_add_u32 s0, s16, s0
	s_addc_u32 s1, s17, 0
	v_readfirstlane_b32 s15, v1
	s_branch .LBB457_5
.LBB457_4:
	v_mov_b32_e32 v5, 0xff7fffff
	s_mov_b32 s15, s7
	s_mov_b64 s[0:1], s[10:11]
.LBB457_5:
	s_load_dword s16, s[2:3], 0x0
	v_mov_b32_e32 v1, 0
	v_lshlrev_b32_e32 v11, 3, v0
	s_waitcnt lgkmcnt(0)
	s_cmp_lt_u32 s6, s16
	s_cselect_b32 s16, 12, 18
	s_add_u32 s2, s2, s16
	s_addc_u32 s3, s3, 0
	global_load_ushort v3, v1, s[2:3]
	s_waitcnt vmcnt(0)
	v_readfirstlane_b32 s2, v3
	s_lshl_b32 s2, s2, 3
	v_cvt_f32_u32_e32 v1, s2
	s_sub_i32 s16, 0, s2
	v_rcp_iflag_f32_e32 v1, v1
	v_mul_f32_e32 v1, 0x4f7ffffe, v1
	v_cvt_u32_f32_e32 v1, v1
	v_readfirstlane_b32 s3, v1
	s_mul_i32 s16, s16, s3
	s_mul_hi_u32 s16, s3, s16
	s_add_i32 s3, s3, s16
	s_mul_hi_u32 s3, s15, s3
	s_mul_i32 s3, s3, s2
	s_sub_i32 s3, s15, s3
	s_sub_i32 s16, s3, s2
	s_cmp_ge_u32 s3, s2
	s_cselect_b32 s3, s16, s3
	s_sub_i32 s16, s3, s2
	s_cmp_ge_u32 s3, s2
	s_cselect_b32 s2, s16, s3
	s_mov_b32 s16, 0
	s_sub_i32 s2, s15, s2
	s_mov_b32 s3, exec_lo
	v_cmpx_gt_i32_e64 s2, v11
	s_cbranch_execz .LBB457_9
; %bb.6:
	v_mov_b32_e32 v1, v0
	s_inst_prefetch 0x1
	.p2align	6
.LBB457_7:                              ; =>This Inner Loop Header: Depth=1
	v_ashrrev_i32_e32 v2, 31, v1
	v_lshlrev_b64 v[6:7], 4, v[1:2]
	v_add_nc_u32_e32 v1, v1, v3
	v_add_co_u32 v6, vcc_lo, s0, v6
	v_add_co_ci_u32_e64 v7, null, s1, v7, vcc_lo
	global_load_dwordx4 v[6:9], v[6:7], off
	s_waitcnt vmcnt(0)
	v_cvt_f32_f16_e32 v2, v6
	v_cvt_f32_f16_sdwa v4, v6 dst_sel:DWORD dst_unused:UNUSED_PAD src0_sel:WORD_1
	v_cvt_f32_f16_e32 v6, v7
	v_cvt_f32_f16_sdwa v7, v7 dst_sel:DWORD dst_unused:UNUSED_PAD src0_sel:WORD_1
	v_max3_f32 v2, v5, v2, v4
	v_cvt_f32_f16_e32 v4, v8
	v_cvt_f32_f16_sdwa v5, v8 dst_sel:DWORD dst_unused:UNUSED_PAD src0_sel:WORD_1
	v_cvt_f32_f16_sdwa v8, v9 dst_sel:DWORD dst_unused:UNUSED_PAD src0_sel:WORD_1
	v_max3_f32 v2, v2, v6, v7
	v_lshlrev_b32_e32 v6, 3, v1
	v_cvt_f32_f16_e32 v7, v9
	v_max3_f32 v2, v2, v4, v5
	v_cmp_le_i32_e32 vcc_lo, s2, v6
	v_max3_f32 v5, v2, v7, v8
	s_or_b32 s16, vcc_lo, s16
	s_andn2_b32 exec_lo, exec_lo, s16
	s_cbranch_execnz .LBB457_7
; %bb.8:
	s_inst_prefetch 0x2
	s_or_b32 exec_lo, exec_lo, s16
.LBB457_9:
	s_or_b32 exec_lo, exec_lo, s3
	v_add_nc_u32_e32 v1, s2, v0
	s_mov_b32 s2, exec_lo
	v_cmpx_gt_i32_e64 s15, v1
	s_cbranch_execz .LBB457_13
; %bb.10:
	s_mov_b32 s3, 0
	.p2align	6
.LBB457_11:                             ; =>This Inner Loop Header: Depth=1
	v_ashrrev_i32_e32 v2, 31, v1
	v_max_f32_e32 v4, v5, v5
	v_lshlrev_b64 v[6:7], 1, v[1:2]
	v_add_nc_u32_e32 v1, v1, v3
	v_add_co_u32 v6, vcc_lo, s0, v6
	v_add_co_ci_u32_e64 v7, null, s1, v7, vcc_lo
	v_cmp_le_i32_e32 vcc_lo, s15, v1
	global_load_ushort v2, v[6:7], off
	s_or_b32 s3, vcc_lo, s3
	s_waitcnt vmcnt(0)
	v_cvt_f32_f16_e32 v2, v2
	v_max_f32_e32 v5, v4, v2
	s_andn2_b32 exec_lo, exec_lo, s3
	s_cbranch_execnz .LBB457_11
; %bb.12:
	s_or_b32 exec_lo, exec_lo, s3
.LBB457_13:
	s_or_b32 exec_lo, exec_lo, s2
	v_mbcnt_lo_u32_b32 v1, -1, 0
	v_lshrrev_b32_e32 v9, 3, v0
	s_barrier
	buffer_gl0_inv
	v_lshl_or_b32 v3, v1, 2, 64
	v_cmp_gt_u32_e32 vcc_lo, 24, v1
	ds_bpermute_b32 v2, v3, v5
	v_cndmask_b32_e64 v4, 0, 8, vcc_lo
	v_add_lshl_u32 v4, v4, v1, 2
	s_waitcnt lgkmcnt(0)
	v_cmp_lt_f32_e32 vcc_lo, v5, v2
	v_cndmask_b32_e32 v2, v5, v2, vcc_lo
	v_cmp_gt_u32_e32 vcc_lo, 28, v1
	ds_bpermute_b32 v6, v4, v2
	v_cndmask_b32_e64 v5, 0, 4, vcc_lo
	v_add_lshl_u32 v5, v5, v1, 2
	s_waitcnt lgkmcnt(0)
	v_cmp_lt_f32_e32 vcc_lo, v2, v6
	v_cndmask_b32_e32 v2, v2, v6, vcc_lo
	;; [unrolled: 7-line block ×3, first 2 shown]
	v_cmp_ne_u32_e32 vcc_lo, 31, v1
	ds_bpermute_b32 v7, v6, v2
	v_add_co_ci_u32_e64 v8, null, 0, v1, vcc_lo
	s_waitcnt lgkmcnt(0)
	v_cmp_lt_f32_e32 vcc_lo, v2, v7
	v_cndmask_b32_e32 v1, v2, v7, vcc_lo
	v_lshlrev_b32_e32 v7, 2, v8
	v_and_b32_e32 v2, 31, v0
	ds_bpermute_b32 v8, v7, v1
	v_cmp_eq_u32_e64 s0, 0, v2
	s_and_saveexec_b32 s1, s0
	s_cbranch_execz .LBB457_15
; %bb.14:
	s_waitcnt lgkmcnt(0)
	v_cmp_lt_f32_e32 vcc_lo, v1, v8
	v_add_nc_u32_e32 v10, 0, v9
	v_cndmask_b32_e32 v1, v1, v8, vcc_lo
	ds_write_b32 v10, v1
.LBB457_15:
	s_or_b32 exec_lo, exec_lo, s1
	s_waitcnt lgkmcnt(0)
	s_barrier
	buffer_gl0_inv
	s_load_dword s20, s[4:5], 0x24
	s_add_u32 s16, s4, 24
	s_addc_u32 s17, s5, 0
	v_mov_b32_e32 v1, 0xff7fffff
	v_lshl_add_u32 v10, v2, 2, 0
	s_waitcnt lgkmcnt(0)
	s_bfe_u32 s1, s20, 0xb0005
	v_cmp_gt_u32_e64 s1, s1, v0
	s_and_saveexec_b32 s2, s1
	s_cbranch_execnz .LBB457_23
; %bb.16:
	s_or_b32 exec_lo, exec_lo, s2
	v_cmp_gt_u32_e64 s2, 32, v0
	s_and_saveexec_b32 s3, s2
	s_cbranch_execnz .LBB457_24
.LBB457_17:
	s_or_b32 exec_lo, exec_lo, s3
	v_cmp_eq_u32_e64 s3, 0, v0
	s_and_saveexec_b32 s4, s3
	s_cbranch_execz .LBB457_19
.LBB457_18:
	v_mov_b32_e32 v2, 0
	s_waitcnt lgkmcnt(0)
	ds_write_b32 v2, v1
.LBB457_19:
	s_or_b32 exec_lo, exec_lo, s4
	v_mov_b32_e32 v12, 0
	s_waitcnt lgkmcnt(0)
	s_barrier
	buffer_gl0_inv
	s_andn2_b32 vcc_lo, exec_lo, s18
	ds_read_b32 v8, v12
	s_mov_b32 s15, 0
	s_cbranch_vccnz .LBB457_26
; %bb.20:
	s_lshl_b64 s[4:5], s[14:15], 1
	v_cmp_le_u32_e32 vcc_lo, s14, v0
	s_sub_u32 s18, s10, s4
	s_subb_u32 s19, s11, s5
	s_add_i32 s5, s14, s7
	v_mov_b32_e32 v12, 0
	v_cmp_gt_i32_e64 s4, s5, v0
	s_and_b32 s14, vcc_lo, s4
	s_and_saveexec_b32 s4, s14
	s_cbranch_execz .LBB457_22
; %bb.21:
	v_lshlrev_b32_e32 v1, 1, v0
	global_load_ushort v1, v1, s[18:19]
	s_waitcnt vmcnt(0)
	v_cvt_f32_f16_e32 v1, v1
	s_waitcnt lgkmcnt(0)
	v_sub_f32_e32 v1, v1, v8
	v_mul_f32_e32 v1, 0x3fb8aa3b, v1
	v_exp_f32_e32 v1, v1
	v_add_f32_e32 v12, 0, v1
.LBB457_22:
	s_or_b32 exec_lo, exec_lo, s4
	s_and_b32 s4, 0xffff, s20
	v_sub_nc_u32_e64 v1, s5, s4 clamp
	s_lshl_b32 s4, s4, 1
	s_add_u32 s4, s18, s4
	s_addc_u32 s5, s19, 0
	v_readfirstlane_b32 s14, v1
	s_branch .LBB457_27
.LBB457_23:
	ds_read_b32 v1, v10
	s_or_b32 exec_lo, exec_lo, s2
	v_cmp_gt_u32_e64 s2, 32, v0
	s_and_saveexec_b32 s3, s2
	s_cbranch_execz .LBB457_17
.LBB457_24:
	s_waitcnt lgkmcnt(0)
	ds_bpermute_b32 v2, v3, v1
	s_waitcnt lgkmcnt(0)
	v_cmp_lt_f32_e32 vcc_lo, v1, v2
	v_cndmask_b32_e32 v1, v1, v2, vcc_lo
	ds_bpermute_b32 v2, v4, v1
	s_waitcnt lgkmcnt(0)
	v_cmp_lt_f32_e32 vcc_lo, v1, v2
	v_cndmask_b32_e32 v1, v1, v2, vcc_lo
	ds_bpermute_b32 v2, v5, v1
	s_waitcnt lgkmcnt(0)
	v_cmp_lt_f32_e32 vcc_lo, v1, v2
	v_cndmask_b32_e32 v1, v1, v2, vcc_lo
	ds_bpermute_b32 v2, v6, v1
	s_waitcnt lgkmcnt(0)
	v_cmp_lt_f32_e32 vcc_lo, v1, v2
	v_cndmask_b32_e32 v1, v1, v2, vcc_lo
	ds_bpermute_b32 v2, v7, v1
	s_waitcnt lgkmcnt(0)
	v_cmp_lt_f32_e32 vcc_lo, v1, v2
	v_cndmask_b32_e32 v1, v1, v2, vcc_lo
	s_or_b32 exec_lo, exec_lo, s3
	v_cmp_eq_u32_e64 s3, 0, v0
	s_and_saveexec_b32 s4, s3
	s_cbranch_execnz .LBB457_18
	s_branch .LBB457_19
.LBB457_25:
                                        ; implicit-def: $sgpr0_sgpr1
                                        ; implicit-def: $sgpr15
                                        ; implicit-def: $vgpr5
	s_cbranch_execnz .LBB457_4
	s_branch .LBB457_5
.LBB457_26:
	s_mov_b64 s[4:5], s[10:11]
	s_mov_b32 s14, s7
.LBB457_27:
	s_load_dword s15, s[16:17], 0x0
	v_mov_b32_e32 v1, 0
	s_waitcnt lgkmcnt(0)
	s_cmp_lt_u32 s6, s15
	s_cselect_b32 s6, 12, 18
	s_add_u32 s16, s16, s6
	s_addc_u32 s17, s17, 0
	global_load_ushort v13, v1, s[16:17]
	s_waitcnt vmcnt(0)
	v_readfirstlane_b32 s6, v13
	s_lshl_b32 s6, s6, 3
	v_cvt_f32_u32_e32 v1, s6
	s_sub_i32 s16, 0, s6
	v_rcp_iflag_f32_e32 v1, v1
	v_mul_f32_e32 v1, 0x4f7ffffe, v1
	v_cvt_u32_f32_e32 v1, v1
	v_readfirstlane_b32 s15, v1
	s_mul_i32 s16, s16, s15
	s_mul_hi_u32 s16, s15, s16
	s_add_i32 s15, s15, s16
	s_mul_hi_u32 s15, s14, s15
	s_mul_i32 s15, s15, s6
	s_sub_i32 s15, s14, s15
	s_sub_i32 s16, s15, s6
	s_cmp_ge_u32 s15, s6
	s_cselect_b32 s15, s16, s15
	s_sub_i32 s16, s15, s6
	s_cmp_ge_u32 s15, s6
	s_cselect_b32 s6, s16, s15
	s_mov_b32 s16, 0
	s_sub_i32 s6, s14, s6
	s_mov_b32 s15, exec_lo
	v_cmpx_gt_i32_e64 s6, v11
	s_cbranch_execz .LBB457_31
; %bb.28:
	v_mov_b32_e32 v1, v0
.LBB457_29:                             ; =>This Inner Loop Header: Depth=1
	v_ashrrev_i32_e32 v2, 31, v1
	v_lshlrev_b64 v[14:15], 4, v[1:2]
	v_add_nc_u32_e32 v1, v1, v13
	v_add_co_u32 v14, vcc_lo, s4, v14
	v_add_co_ci_u32_e64 v15, null, s5, v15, vcc_lo
	global_load_dwordx4 v[14:17], v[14:15], off
	s_waitcnt vmcnt(0)
	v_cvt_f32_f16_e32 v2, v14
	v_cvt_f32_f16_sdwa v11, v14 dst_sel:DWORD dst_unused:UNUSED_PAD src0_sel:WORD_1
	v_cvt_f32_f16_e32 v14, v15
	v_cvt_f32_f16_sdwa v15, v15 dst_sel:DWORD dst_unused:UNUSED_PAD src0_sel:WORD_1
	v_cvt_f32_f16_e32 v18, v16
	v_sub_f32_e32 v2, v2, v8
	v_sub_f32_e32 v11, v11, v8
	;; [unrolled: 1-line block ×4, first 2 shown]
	v_cvt_f32_f16_sdwa v16, v16 dst_sel:DWORD dst_unused:UNUSED_PAD src0_sel:WORD_1
	v_mul_f32_e32 v2, 0x3fb8aa3b, v2
	v_mul_f32_e32 v11, 0x3fb8aa3b, v11
	;; [unrolled: 1-line block ×3, first 2 shown]
	v_sub_f32_e32 v18, v18, v8
	v_mul_f32_e32 v15, 0x3fb8aa3b, v15
	v_exp_f32_e32 v2, v2
	v_exp_f32_e32 v11, v11
	;; [unrolled: 1-line block ×3, first 2 shown]
	v_sub_f32_e32 v16, v16, v8
	v_mul_f32_e32 v18, 0x3fb8aa3b, v18
	v_exp_f32_e32 v15, v15
	v_mul_f32_e32 v16, 0x3fb8aa3b, v16
	v_add_f32_e32 v2, v12, v2
	v_cvt_f32_f16_e32 v12, v17
	v_add_f32_e32 v2, v2, v11
	v_cvt_f32_f16_sdwa v11, v17 dst_sel:DWORD dst_unused:UNUSED_PAD src0_sel:WORD_1
	v_sub_f32_e32 v12, v12, v8
	v_exp_f32_e32 v17, v18
	v_add_f32_e32 v2, v2, v14
	v_sub_f32_e32 v11, v11, v8
	v_mul_f32_e32 v12, 0x3fb8aa3b, v12
	v_exp_f32_e32 v14, v16
	v_add_f32_e32 v2, v2, v15
	v_mul_f32_e32 v11, 0x3fb8aa3b, v11
	v_exp_f32_e32 v12, v12
	v_add_f32_e32 v2, v2, v17
	v_exp_f32_e32 v11, v11
	v_add_f32_e32 v2, v2, v14
	v_lshlrev_b32_e32 v14, 3, v1
	v_add_f32_e32 v2, v2, v12
	v_cmp_le_i32_e32 vcc_lo, s6, v14
	v_add_f32_e32 v12, v2, v11
	s_or_b32 s16, vcc_lo, s16
	s_andn2_b32 exec_lo, exec_lo, s16
	s_cbranch_execnz .LBB457_29
; %bb.30:
	s_or_b32 exec_lo, exec_lo, s16
.LBB457_31:
	s_or_b32 exec_lo, exec_lo, s15
	v_add_nc_u32_e32 v1, s6, v0
	s_mov_b32 s6, exec_lo
	v_cmpx_gt_i32_e64 s14, v1
	s_cbranch_execz .LBB457_35
; %bb.32:
	s_mov_b32 s15, 0
	.p2align	6
.LBB457_33:                             ; =>This Inner Loop Header: Depth=1
	v_ashrrev_i32_e32 v2, 31, v1
	v_lshlrev_b64 v[14:15], 1, v[1:2]
	v_add_nc_u32_e32 v1, v1, v13
	v_add_co_u32 v14, vcc_lo, s4, v14
	v_add_co_ci_u32_e64 v15, null, s5, v15, vcc_lo
	v_cmp_le_i32_e32 vcc_lo, s14, v1
	global_load_ushort v2, v[14:15], off
	s_or_b32 s15, vcc_lo, s15
	s_waitcnt vmcnt(0)
	v_cvt_f32_f16_e32 v2, v2
	v_sub_f32_e32 v2, v2, v8
	v_mul_f32_e32 v2, 0x3fb8aa3b, v2
	v_exp_f32_e32 v2, v2
	v_add_f32_e32 v12, v12, v2
	s_andn2_b32 exec_lo, exec_lo, s15
	s_cbranch_execnz .LBB457_33
; %bb.34:
	s_or_b32 exec_lo, exec_lo, s15
.LBB457_35:
	s_or_b32 exec_lo, exec_lo, s6
	ds_bpermute_b32 v1, v3, v12
	s_waitcnt lgkmcnt(0)
	s_barrier
	buffer_gl0_inv
	v_add_f32_e32 v1, v12, v1
	ds_bpermute_b32 v2, v4, v1
	s_waitcnt lgkmcnt(0)
	v_add_f32_e32 v1, v1, v2
	ds_bpermute_b32 v2, v5, v1
	s_waitcnt lgkmcnt(0)
	;; [unrolled: 3-line block ×3, first 2 shown]
	v_add_f32_e32 v1, v1, v2
	ds_bpermute_b32 v2, v7, v1
	s_and_saveexec_b32 s4, s0
	s_cbranch_execz .LBB457_37
; %bb.36:
	v_add_nc_u32_e32 v9, 0, v9
	s_waitcnt lgkmcnt(0)
	v_add_f32_e32 v1, v1, v2
	ds_write_b32 v9, v1
.LBB457_37:
	s_or_b32 exec_lo, exec_lo, s4
	v_mov_b32_e32 v1, 0
	s_waitcnt lgkmcnt(0)
	s_barrier
	buffer_gl0_inv
	s_and_saveexec_b32 s0, s1
	s_cbranch_execnz .LBB457_45
; %bb.38:
	s_or_b32 exec_lo, exec_lo, s0
	s_and_saveexec_b32 s0, s2
	s_cbranch_execnz .LBB457_46
.LBB457_39:
	s_or_b32 exec_lo, exec_lo, s0
	s_and_saveexec_b32 s0, s3
	s_cbranch_execz .LBB457_41
.LBB457_40:
	s_waitcnt lgkmcnt(0)
	v_div_scale_f32 v2, null, v1, v1, 1.0
	v_div_scale_f32 v5, vcc_lo, 1.0, v1, 1.0
	v_rcp_f32_e32 v3, v2
	v_fma_f32 v4, -v2, v3, 1.0
	v_fmac_f32_e32 v3, v4, v3
	v_mul_f32_e32 v4, v5, v3
	v_fma_f32 v6, -v2, v4, v5
	v_fmac_f32_e32 v4, v6, v3
	v_fma_f32 v2, -v2, v4, v5
	v_div_fmas_f32 v2, v2, v3, v4
	v_div_fixup_f32 v1, v2, v1, 1.0
	v_mov_b32_e32 v2, 0
	ds_write_b32 v2, v1
.LBB457_41:
	s_or_b32 exec_lo, exec_lo, s0
	s_waitcnt lgkmcnt(0)
	s_barrier
	buffer_gl0_inv
	s_mov_b32 s0, exec_lo
	v_cmpx_gt_i32_e64 s7, v0
	s_cbranch_execz .LBB457_44
; %bb.42:
	v_mov_b32_e32 v1, 0
	s_lshl_b64 s[4:5], s[12:13], 2
	s_and_b32 s2, 0xffff, s20
	s_add_u32 s3, s8, s4
	s_mov_b32 s1, 0
	ds_read_b32 v2, v1
	s_addc_u32 s4, s9, s5
	.p2align	6
.LBB457_43:                             ; =>This Inner Loop Header: Depth=1
	v_ashrrev_i32_e32 v1, 31, v0
	v_lshlrev_b64 v[3:4], 1, v[0:1]
	v_add_co_u32 v3, vcc_lo, s10, v3
	v_add_co_ci_u32_e64 v4, null, s11, v4, vcc_lo
	global_load_ushort v3, v[3:4], off
	s_waitcnt vmcnt(0)
	v_cvt_f32_f16_e32 v3, v3
	v_sub_f32_e32 v3, v3, v8
	v_mul_f32_e32 v3, 0x3fb8aa3b, v3
	v_exp_f32_e32 v5, v3
	v_lshlrev_b64 v[3:4], 2, v[0:1]
	v_add_nc_u32_e32 v0, s2, v0
	v_cmp_le_i32_e32 vcc_lo, s7, v0
	v_add_co_u32 v3, s0, s3, v3
	s_waitcnt lgkmcnt(0)
	v_mul_f32_e32 v1, v2, v5
	v_add_co_ci_u32_e64 v4, null, s4, v4, s0
	s_or_b32 s1, vcc_lo, s1
	global_store_dword v[3:4], v1, off
	s_andn2_b32 exec_lo, exec_lo, s1
	s_cbranch_execnz .LBB457_43
.LBB457_44:
	s_endpgm
.LBB457_45:
	ds_read_b32 v1, v10
	s_or_b32 exec_lo, exec_lo, s0
	s_and_saveexec_b32 s0, s2
	s_cbranch_execz .LBB457_39
.LBB457_46:
	s_waitcnt lgkmcnt(0)
	ds_bpermute_b32 v2, v3, v1
	s_waitcnt lgkmcnt(0)
	v_add_f32_e32 v1, v1, v2
	ds_bpermute_b32 v2, v4, v1
	s_waitcnt lgkmcnt(0)
	v_add_f32_e32 v1, v1, v2
	;; [unrolled: 3-line block ×5, first 2 shown]
	s_or_b32 exec_lo, exec_lo, s0
	s_and_saveexec_b32 s0, s3
	s_cbranch_execnz .LBB457_40
	s_branch .LBB457_41
	.section	.rodata,"a",@progbits
	.p2align	6, 0x0
	.amdhsa_kernel _ZN2at6native12_GLOBAL__N_123cunn_SoftMaxForwardFastILi8EN3c104HalfEffNS1_29SoftMaxForwardWithMulEpilogueEEEvPT2_PKT0_i
		.amdhsa_group_segment_fixed_size 0
		.amdhsa_private_segment_fixed_size 0
		.amdhsa_kernarg_size 280
		.amdhsa_user_sgpr_count 6
		.amdhsa_user_sgpr_private_segment_buffer 1
		.amdhsa_user_sgpr_dispatch_ptr 0
		.amdhsa_user_sgpr_queue_ptr 0
		.amdhsa_user_sgpr_kernarg_segment_ptr 1
		.amdhsa_user_sgpr_dispatch_id 0
		.amdhsa_user_sgpr_flat_scratch_init 0
		.amdhsa_user_sgpr_private_segment_size 0
		.amdhsa_wavefront_size32 1
		.amdhsa_uses_dynamic_stack 0
		.amdhsa_system_sgpr_private_segment_wavefront_offset 0
		.amdhsa_system_sgpr_workgroup_id_x 1
		.amdhsa_system_sgpr_workgroup_id_y 0
		.amdhsa_system_sgpr_workgroup_id_z 0
		.amdhsa_system_sgpr_workgroup_info 0
		.amdhsa_system_vgpr_workitem_id 0
		.amdhsa_next_free_vgpr 19
		.amdhsa_next_free_sgpr 21
		.amdhsa_reserve_vcc 1
		.amdhsa_reserve_flat_scratch 0
		.amdhsa_float_round_mode_32 0
		.amdhsa_float_round_mode_16_64 0
		.amdhsa_float_denorm_mode_32 3
		.amdhsa_float_denorm_mode_16_64 3
		.amdhsa_dx10_clamp 1
		.amdhsa_ieee_mode 1
		.amdhsa_fp16_overflow 0
		.amdhsa_workgroup_processor_mode 1
		.amdhsa_memory_ordered 1
		.amdhsa_forward_progress 1
		.amdhsa_shared_vgpr_count 0
		.amdhsa_exception_fp_ieee_invalid_op 0
		.amdhsa_exception_fp_denorm_src 0
		.amdhsa_exception_fp_ieee_div_zero 0
		.amdhsa_exception_fp_ieee_overflow 0
		.amdhsa_exception_fp_ieee_underflow 0
		.amdhsa_exception_fp_ieee_inexact 0
		.amdhsa_exception_int_div_zero 0
	.end_amdhsa_kernel
	.section	.text._ZN2at6native12_GLOBAL__N_123cunn_SoftMaxForwardFastILi8EN3c104HalfEffNS1_29SoftMaxForwardWithMulEpilogueEEEvPT2_PKT0_i,"axG",@progbits,_ZN2at6native12_GLOBAL__N_123cunn_SoftMaxForwardFastILi8EN3c104HalfEffNS1_29SoftMaxForwardWithMulEpilogueEEEvPT2_PKT0_i,comdat
.Lfunc_end457:
	.size	_ZN2at6native12_GLOBAL__N_123cunn_SoftMaxForwardFastILi8EN3c104HalfEffNS1_29SoftMaxForwardWithMulEpilogueEEEvPT2_PKT0_i, .Lfunc_end457-_ZN2at6native12_GLOBAL__N_123cunn_SoftMaxForwardFastILi8EN3c104HalfEffNS1_29SoftMaxForwardWithMulEpilogueEEEvPT2_PKT0_i
                                        ; -- End function
	.set _ZN2at6native12_GLOBAL__N_123cunn_SoftMaxForwardFastILi8EN3c104HalfEffNS1_29SoftMaxForwardWithMulEpilogueEEEvPT2_PKT0_i.num_vgpr, 19
	.set _ZN2at6native12_GLOBAL__N_123cunn_SoftMaxForwardFastILi8EN3c104HalfEffNS1_29SoftMaxForwardWithMulEpilogueEEEvPT2_PKT0_i.num_agpr, 0
	.set _ZN2at6native12_GLOBAL__N_123cunn_SoftMaxForwardFastILi8EN3c104HalfEffNS1_29SoftMaxForwardWithMulEpilogueEEEvPT2_PKT0_i.numbered_sgpr, 21
	.set _ZN2at6native12_GLOBAL__N_123cunn_SoftMaxForwardFastILi8EN3c104HalfEffNS1_29SoftMaxForwardWithMulEpilogueEEEvPT2_PKT0_i.num_named_barrier, 0
	.set _ZN2at6native12_GLOBAL__N_123cunn_SoftMaxForwardFastILi8EN3c104HalfEffNS1_29SoftMaxForwardWithMulEpilogueEEEvPT2_PKT0_i.private_seg_size, 0
	.set _ZN2at6native12_GLOBAL__N_123cunn_SoftMaxForwardFastILi8EN3c104HalfEffNS1_29SoftMaxForwardWithMulEpilogueEEEvPT2_PKT0_i.uses_vcc, 1
	.set _ZN2at6native12_GLOBAL__N_123cunn_SoftMaxForwardFastILi8EN3c104HalfEffNS1_29SoftMaxForwardWithMulEpilogueEEEvPT2_PKT0_i.uses_flat_scratch, 0
	.set _ZN2at6native12_GLOBAL__N_123cunn_SoftMaxForwardFastILi8EN3c104HalfEffNS1_29SoftMaxForwardWithMulEpilogueEEEvPT2_PKT0_i.has_dyn_sized_stack, 0
	.set _ZN2at6native12_GLOBAL__N_123cunn_SoftMaxForwardFastILi8EN3c104HalfEffNS1_29SoftMaxForwardWithMulEpilogueEEEvPT2_PKT0_i.has_recursion, 0
	.set _ZN2at6native12_GLOBAL__N_123cunn_SoftMaxForwardFastILi8EN3c104HalfEffNS1_29SoftMaxForwardWithMulEpilogueEEEvPT2_PKT0_i.has_indirect_call, 0
	.section	.AMDGPU.csdata,"",@progbits
; Kernel info:
; codeLenInByte = 2612
; TotalNumSgprs: 23
; NumVgprs: 19
; ScratchSize: 0
; MemoryBound: 0
; FloatMode: 240
; IeeeMode: 1
; LDSByteSize: 0 bytes/workgroup (compile time only)
; SGPRBlocks: 0
; VGPRBlocks: 2
; NumSGPRsForWavesPerEU: 23
; NumVGPRsForWavesPerEU: 19
; Occupancy: 16
; WaveLimiterHint : 0
; COMPUTE_PGM_RSRC2:SCRATCH_EN: 0
; COMPUTE_PGM_RSRC2:USER_SGPR: 6
; COMPUTE_PGM_RSRC2:TRAP_HANDLER: 0
; COMPUTE_PGM_RSRC2:TGID_X_EN: 1
; COMPUTE_PGM_RSRC2:TGID_Y_EN: 0
; COMPUTE_PGM_RSRC2:TGID_Z_EN: 0
; COMPUTE_PGM_RSRC2:TIDIG_COMP_CNT: 0
	.section	.text._ZN12_GLOBAL__N_120softmax_warp_forwardIN3c108BFloat16ES2_fLi0ELb0ELb0ELi64EEEvPT0_PKT_iiiPKbib,"axG",@progbits,_ZN12_GLOBAL__N_120softmax_warp_forwardIN3c108BFloat16ES2_fLi0ELb0ELb0ELi64EEEvPT0_PKT_iiiPKbib,comdat
	.globl	_ZN12_GLOBAL__N_120softmax_warp_forwardIN3c108BFloat16ES2_fLi0ELb0ELb0ELi64EEEvPT0_PKT_iiiPKbib ; -- Begin function _ZN12_GLOBAL__N_120softmax_warp_forwardIN3c108BFloat16ES2_fLi0ELb0ELb0ELi64EEEvPT0_PKT_iiiPKbib
	.p2align	8
	.type	_ZN12_GLOBAL__N_120softmax_warp_forwardIN3c108BFloat16ES2_fLi0ELb0ELb0ELi64EEEvPT0_PKT_iiiPKbib,@function
_ZN12_GLOBAL__N_120softmax_warp_forwardIN3c108BFloat16ES2_fLi0ELb0ELb0ELi64EEEvPT0_PKT_iiiPKbib: ; @_ZN12_GLOBAL__N_120softmax_warp_forwardIN3c108BFloat16ES2_fLi0ELb0ELb0ELi64EEEvPT0_PKT_iiiPKbib
; %bb.0:
	s_clause 0x1
	s_load_dword s0, s[4:5], 0x3c
	s_load_dwordx8 s[8:15], s[4:5], 0x0
	v_mov_b32_e32 v6, 0xff800000
	v_mov_b32_e32 v7, 0xff800000
	s_waitcnt lgkmcnt(0)
	s_lshr_b32 s0, s0, 16
	s_and_b32 s0, s0, 0xffff
	s_mul_i32 s6, s6, s0
	v_cmp_gt_i32_e64 s0, s14, v0
	v_add_lshl_u32 v3, s6, v1, 1
	v_mad_u64_u32 v[1:2], null, v3, s13, v[0:1]
	v_sub_nc_u32_e32 v5, s12, v3
	v_cmp_lt_i32_e32 vcc_lo, 0, v5
	v_ashrrev_i32_e32 v2, 31, v1
	s_and_b32 s2, s0, vcc_lo
	v_lshlrev_b64 v[1:2], 1, v[1:2]
	v_add_co_u32 v3, s1, s10, v1
	v_add_co_ci_u32_e64 v4, null, s11, v2, s1
	s_and_saveexec_b32 s1, s2
	s_cbranch_execz .LBB458_2
; %bb.1:
	global_load_ushort v0, v[3:4], off
	s_waitcnt vmcnt(0)
	v_lshlrev_b32_e32 v7, 16, v0
.LBB458_2:
	s_or_b32 exec_lo, exec_lo, s1
	v_cmp_lt_i32_e64 s1, 1, v5
	s_and_b32 s1, s0, s1
	s_and_saveexec_b32 s2, s1
	s_cbranch_execz .LBB458_4
; %bb.3:
	s_mov_b32 s15, 0
	s_lshl_b64 s[4:5], s[14:15], 1
	v_add_co_u32 v3, s1, v3, s4
	v_add_co_ci_u32_e64 v4, null, s5, v4, s1
	global_load_ushort v0, v[3:4], off
	s_waitcnt vmcnt(0)
	v_lshlrev_b32_e32 v6, 16, v0
.LBB458_4:
	s_or_b32 exec_lo, exec_lo, s2
	s_and_saveexec_b32 s1, vcc_lo
	s_cbranch_execz .LBB458_13
; %bb.5:
	v_add_co_u32 v0, vcc_lo, s8, v1
	v_add_co_ci_u32_e64 v1, null, s9, v2, vcc_lo
	s_and_saveexec_b32 s1, s0
	s_cbranch_execz .LBB458_9
; %bb.6:
	v_sub_f32_e32 v2, v7, v7
	s_mov_b32 s2, exec_lo
	v_mul_f32_e32 v3, 0x3fb8aa3b, v2
	v_cmp_ngt_f32_e32 vcc_lo, 0xc2ce8ed0, v2
	v_rndne_f32_e32 v4, v3
	v_fma_f32 v7, 0x3fb8aa3b, v2, -v3
	v_sub_f32_e32 v3, v3, v4
	v_fmamk_f32 v7, v2, 0x32a5705f, v7
	v_cvt_i32_f32_e32 v4, v4
	v_add_f32_e32 v3, v3, v7
	v_exp_f32_e32 v3, v3
	v_ldexp_f32 v3, v3, v4
	v_cndmask_b32_e32 v3, 0, v3, vcc_lo
	v_cmp_nlt_f32_e32 vcc_lo, 0x42b17218, v2
	v_cndmask_b32_e32 v2, 0x7f800000, v3, vcc_lo
	v_mov_b32_e32 v3, 0x7fc0
	v_cmpx_neq_f32_e32 0, v2
	s_cbranch_execz .LBB458_8
; %bb.7:
	v_div_scale_f32 v3, vcc_lo, v2, v2, v2
	v_rcp_f32_e32 v4, v3
	v_fma_f32 v7, -v3, v4, 1.0
	v_fmac_f32_e32 v4, v7, v4
	v_mul_f32_e32 v7, v3, v4
	v_fma_f32 v8, -v3, v7, v3
	v_fmac_f32_e32 v7, v8, v4
	v_fma_f32 v3, -v3, v7, v3
	v_div_fmas_f32 v3, v3, v4, v7
	v_div_fixup_f32 v2, v3, v2, v2
	v_bfe_u32 v3, v2, 16, 1
	v_cmp_o_f32_e32 vcc_lo, v2, v2
	v_add3_u32 v2, v2, v3, 0x7fff
	v_mov_b32_e32 v3, 0x7fc0
	v_cndmask_b32_sdwa v3, v3, v2, vcc_lo dst_sel:DWORD dst_unused:UNUSED_PAD src0_sel:DWORD src1_sel:WORD_1
.LBB458_8:
	s_or_b32 exec_lo, exec_lo, s2
	global_store_short v[0:1], v3, off
.LBB458_9:
	s_or_b32 exec_lo, exec_lo, s1
	v_cmp_ne_u32_e32 vcc_lo, 1, v5
	s_and_b32 s0, vcc_lo, s0
	s_and_b32 exec_lo, exec_lo, s0
	s_cbranch_execz .LBB458_13
; %bb.10:
	v_sub_f32_e32 v2, v6, v6
	s_mov_b32 s15, 0
	s_mov_b32 s0, exec_lo
	v_mul_f32_e32 v3, 0x3fb8aa3b, v2
	v_cmp_ngt_f32_e32 vcc_lo, 0xc2ce8ed0, v2
	v_rndne_f32_e32 v4, v3
	v_fma_f32 v5, 0x3fb8aa3b, v2, -v3
	v_sub_f32_e32 v3, v3, v4
	v_fmamk_f32 v5, v2, 0x32a5705f, v5
	v_cvt_i32_f32_e32 v4, v4
	v_add_f32_e32 v3, v3, v5
	v_exp_f32_e32 v3, v3
	v_ldexp_f32 v3, v3, v4
	v_cndmask_b32_e32 v3, 0, v3, vcc_lo
	v_cmp_nlt_f32_e32 vcc_lo, 0x42b17218, v2
	v_cndmask_b32_e32 v2, 0x7f800000, v3, vcc_lo
	v_mov_b32_e32 v3, 0x7fc0
	v_cmpx_neq_f32_e32 0, v2
	s_cbranch_execz .LBB458_12
; %bb.11:
	v_div_scale_f32 v3, vcc_lo, v2, v2, v2
	v_rcp_f32_e32 v4, v3
	v_fma_f32 v5, -v3, v4, 1.0
	v_fmac_f32_e32 v4, v5, v4
	v_mul_f32_e32 v5, v3, v4
	v_fma_f32 v6, -v3, v5, v3
	v_fmac_f32_e32 v5, v6, v4
	v_fma_f32 v3, -v3, v5, v3
	v_div_fmas_f32 v3, v3, v4, v5
	v_div_fixup_f32 v2, v3, v2, v2
	v_bfe_u32 v3, v2, 16, 1
	v_cmp_o_f32_e32 vcc_lo, v2, v2
	v_add3_u32 v2, v2, v3, 0x7fff
	v_mov_b32_e32 v3, 0x7fc0
	v_cndmask_b32_sdwa v3, v3, v2, vcc_lo dst_sel:DWORD dst_unused:UNUSED_PAD src0_sel:DWORD src1_sel:WORD_1
.LBB458_12:
	s_or_b32 exec_lo, exec_lo, s0
	s_lshl_b64 s[0:1], s[14:15], 1
	v_add_co_u32 v0, vcc_lo, v0, s0
	v_add_co_ci_u32_e64 v1, null, s1, v1, vcc_lo
	global_store_short v[0:1], v3, off
.LBB458_13:
	s_endpgm
	.section	.rodata,"a",@progbits
	.p2align	6, 0x0
	.amdhsa_kernel _ZN12_GLOBAL__N_120softmax_warp_forwardIN3c108BFloat16ES2_fLi0ELb0ELb0ELi64EEEvPT0_PKT_iiiPKbib
		.amdhsa_group_segment_fixed_size 0
		.amdhsa_private_segment_fixed_size 0
		.amdhsa_kernarg_size 304
		.amdhsa_user_sgpr_count 6
		.amdhsa_user_sgpr_private_segment_buffer 1
		.amdhsa_user_sgpr_dispatch_ptr 0
		.amdhsa_user_sgpr_queue_ptr 0
		.amdhsa_user_sgpr_kernarg_segment_ptr 1
		.amdhsa_user_sgpr_dispatch_id 0
		.amdhsa_user_sgpr_flat_scratch_init 0
		.amdhsa_user_sgpr_private_segment_size 0
		.amdhsa_wavefront_size32 1
		.amdhsa_uses_dynamic_stack 0
		.amdhsa_system_sgpr_private_segment_wavefront_offset 0
		.amdhsa_system_sgpr_workgroup_id_x 1
		.amdhsa_system_sgpr_workgroup_id_y 0
		.amdhsa_system_sgpr_workgroup_id_z 0
		.amdhsa_system_sgpr_workgroup_info 0
		.amdhsa_system_vgpr_workitem_id 1
		.amdhsa_next_free_vgpr 9
		.amdhsa_next_free_sgpr 16
		.amdhsa_reserve_vcc 1
		.amdhsa_reserve_flat_scratch 0
		.amdhsa_float_round_mode_32 0
		.amdhsa_float_round_mode_16_64 0
		.amdhsa_float_denorm_mode_32 3
		.amdhsa_float_denorm_mode_16_64 3
		.amdhsa_dx10_clamp 1
		.amdhsa_ieee_mode 1
		.amdhsa_fp16_overflow 0
		.amdhsa_workgroup_processor_mode 1
		.amdhsa_memory_ordered 1
		.amdhsa_forward_progress 1
		.amdhsa_shared_vgpr_count 0
		.amdhsa_exception_fp_ieee_invalid_op 0
		.amdhsa_exception_fp_denorm_src 0
		.amdhsa_exception_fp_ieee_div_zero 0
		.amdhsa_exception_fp_ieee_overflow 0
		.amdhsa_exception_fp_ieee_underflow 0
		.amdhsa_exception_fp_ieee_inexact 0
		.amdhsa_exception_int_div_zero 0
	.end_amdhsa_kernel
	.section	.text._ZN12_GLOBAL__N_120softmax_warp_forwardIN3c108BFloat16ES2_fLi0ELb0ELb0ELi64EEEvPT0_PKT_iiiPKbib,"axG",@progbits,_ZN12_GLOBAL__N_120softmax_warp_forwardIN3c108BFloat16ES2_fLi0ELb0ELb0ELi64EEEvPT0_PKT_iiiPKbib,comdat
.Lfunc_end458:
	.size	_ZN12_GLOBAL__N_120softmax_warp_forwardIN3c108BFloat16ES2_fLi0ELb0ELb0ELi64EEEvPT0_PKT_iiiPKbib, .Lfunc_end458-_ZN12_GLOBAL__N_120softmax_warp_forwardIN3c108BFloat16ES2_fLi0ELb0ELb0ELi64EEEvPT0_PKT_iiiPKbib
                                        ; -- End function
	.set _ZN12_GLOBAL__N_120softmax_warp_forwardIN3c108BFloat16ES2_fLi0ELb0ELb0ELi64EEEvPT0_PKT_iiiPKbib.num_vgpr, 9
	.set _ZN12_GLOBAL__N_120softmax_warp_forwardIN3c108BFloat16ES2_fLi0ELb0ELb0ELi64EEEvPT0_PKT_iiiPKbib.num_agpr, 0
	.set _ZN12_GLOBAL__N_120softmax_warp_forwardIN3c108BFloat16ES2_fLi0ELb0ELb0ELi64EEEvPT0_PKT_iiiPKbib.numbered_sgpr, 16
	.set _ZN12_GLOBAL__N_120softmax_warp_forwardIN3c108BFloat16ES2_fLi0ELb0ELb0ELi64EEEvPT0_PKT_iiiPKbib.num_named_barrier, 0
	.set _ZN12_GLOBAL__N_120softmax_warp_forwardIN3c108BFloat16ES2_fLi0ELb0ELb0ELi64EEEvPT0_PKT_iiiPKbib.private_seg_size, 0
	.set _ZN12_GLOBAL__N_120softmax_warp_forwardIN3c108BFloat16ES2_fLi0ELb0ELb0ELi64EEEvPT0_PKT_iiiPKbib.uses_vcc, 1
	.set _ZN12_GLOBAL__N_120softmax_warp_forwardIN3c108BFloat16ES2_fLi0ELb0ELb0ELi64EEEvPT0_PKT_iiiPKbib.uses_flat_scratch, 0
	.set _ZN12_GLOBAL__N_120softmax_warp_forwardIN3c108BFloat16ES2_fLi0ELb0ELb0ELi64EEEvPT0_PKT_iiiPKbib.has_dyn_sized_stack, 0
	.set _ZN12_GLOBAL__N_120softmax_warp_forwardIN3c108BFloat16ES2_fLi0ELb0ELb0ELi64EEEvPT0_PKT_iiiPKbib.has_recursion, 0
	.set _ZN12_GLOBAL__N_120softmax_warp_forwardIN3c108BFloat16ES2_fLi0ELb0ELb0ELi64EEEvPT0_PKT_iiiPKbib.has_indirect_call, 0
	.section	.AMDGPU.csdata,"",@progbits
; Kernel info:
; codeLenInByte = 740
; TotalNumSgprs: 18
; NumVgprs: 9
; ScratchSize: 0
; MemoryBound: 0
; FloatMode: 240
; IeeeMode: 1
; LDSByteSize: 0 bytes/workgroup (compile time only)
; SGPRBlocks: 0
; VGPRBlocks: 1
; NumSGPRsForWavesPerEU: 18
; NumVGPRsForWavesPerEU: 9
; Occupancy: 16
; WaveLimiterHint : 0
; COMPUTE_PGM_RSRC2:SCRATCH_EN: 0
; COMPUTE_PGM_RSRC2:USER_SGPR: 6
; COMPUTE_PGM_RSRC2:TRAP_HANDLER: 0
; COMPUTE_PGM_RSRC2:TGID_X_EN: 1
; COMPUTE_PGM_RSRC2:TGID_Y_EN: 0
; COMPUTE_PGM_RSRC2:TGID_Z_EN: 0
; COMPUTE_PGM_RSRC2:TIDIG_COMP_CNT: 1
	.section	.text._ZN12_GLOBAL__N_120softmax_warp_forwardIN3c108BFloat16ES2_fLi0ELb0ELb0ELi32EEEvPT0_PKT_iiiPKbib,"axG",@progbits,_ZN12_GLOBAL__N_120softmax_warp_forwardIN3c108BFloat16ES2_fLi0ELb0ELb0ELi32EEEvPT0_PKT_iiiPKbib,comdat
	.globl	_ZN12_GLOBAL__N_120softmax_warp_forwardIN3c108BFloat16ES2_fLi0ELb0ELb0ELi32EEEvPT0_PKT_iiiPKbib ; -- Begin function _ZN12_GLOBAL__N_120softmax_warp_forwardIN3c108BFloat16ES2_fLi0ELb0ELb0ELi32EEEvPT0_PKT_iiiPKbib
	.p2align	8
	.type	_ZN12_GLOBAL__N_120softmax_warp_forwardIN3c108BFloat16ES2_fLi0ELb0ELb0ELi32EEEvPT0_PKT_iiiPKbib,@function
_ZN12_GLOBAL__N_120softmax_warp_forwardIN3c108BFloat16ES2_fLi0ELb0ELb0ELi32EEEvPT0_PKT_iiiPKbib: ; @_ZN12_GLOBAL__N_120softmax_warp_forwardIN3c108BFloat16ES2_fLi0ELb0ELb0ELi32EEEvPT0_PKT_iiiPKbib
; %bb.0:
	s_clause 0x1
	s_load_dword s0, s[4:5], 0x3c
	s_load_dwordx8 s[8:15], s[4:5], 0x0
	v_mov_b32_e32 v6, 0xff800000
	v_mov_b32_e32 v7, 0xff800000
	s_waitcnt lgkmcnt(0)
	s_lshr_b32 s0, s0, 16
	s_and_b32 s0, s0, 0xffff
	s_mul_i32 s6, s6, s0
	v_cmp_gt_i32_e64 s0, s14, v0
	v_add_lshl_u32 v3, s6, v1, 1
	v_mad_u64_u32 v[1:2], null, v3, s13, v[0:1]
	v_sub_nc_u32_e32 v5, s12, v3
	v_cmp_lt_i32_e32 vcc_lo, 0, v5
	v_ashrrev_i32_e32 v2, 31, v1
	s_and_b32 s2, s0, vcc_lo
	v_lshlrev_b64 v[1:2], 1, v[1:2]
	v_add_co_u32 v3, s1, s10, v1
	v_add_co_ci_u32_e64 v4, null, s11, v2, s1
	s_and_saveexec_b32 s1, s2
	s_cbranch_execz .LBB459_2
; %bb.1:
	global_load_ushort v0, v[3:4], off
	s_waitcnt vmcnt(0)
	v_lshlrev_b32_e32 v7, 16, v0
.LBB459_2:
	s_or_b32 exec_lo, exec_lo, s1
	v_cmp_lt_i32_e64 s1, 1, v5
	s_and_b32 s1, s0, s1
	s_and_saveexec_b32 s2, s1
	s_cbranch_execz .LBB459_4
; %bb.3:
	s_mov_b32 s15, 0
	s_lshl_b64 s[4:5], s[14:15], 1
	v_add_co_u32 v3, s1, v3, s4
	v_add_co_ci_u32_e64 v4, null, s5, v4, s1
	global_load_ushort v0, v[3:4], off
	s_waitcnt vmcnt(0)
	v_lshlrev_b32_e32 v6, 16, v0
.LBB459_4:
	s_or_b32 exec_lo, exec_lo, s2
	s_and_saveexec_b32 s1, vcc_lo
	s_cbranch_execz .LBB459_13
; %bb.5:
	v_add_co_u32 v0, vcc_lo, s8, v1
	v_add_co_ci_u32_e64 v1, null, s9, v2, vcc_lo
	s_and_saveexec_b32 s1, s0
	s_cbranch_execz .LBB459_9
; %bb.6:
	v_sub_f32_e32 v2, v7, v7
	s_mov_b32 s2, exec_lo
	v_mul_f32_e32 v3, 0x3fb8aa3b, v2
	v_cmp_ngt_f32_e32 vcc_lo, 0xc2ce8ed0, v2
	v_rndne_f32_e32 v4, v3
	v_fma_f32 v7, 0x3fb8aa3b, v2, -v3
	v_sub_f32_e32 v3, v3, v4
	v_fmamk_f32 v7, v2, 0x32a5705f, v7
	v_cvt_i32_f32_e32 v4, v4
	v_add_f32_e32 v3, v3, v7
	v_exp_f32_e32 v3, v3
	v_ldexp_f32 v3, v3, v4
	v_cndmask_b32_e32 v3, 0, v3, vcc_lo
	v_cmp_nlt_f32_e32 vcc_lo, 0x42b17218, v2
	v_cndmask_b32_e32 v2, 0x7f800000, v3, vcc_lo
	v_mov_b32_e32 v3, 0x7fc0
	v_cmpx_neq_f32_e32 0, v2
	s_cbranch_execz .LBB459_8
; %bb.7:
	v_div_scale_f32 v3, vcc_lo, v2, v2, v2
	v_rcp_f32_e32 v4, v3
	v_fma_f32 v7, -v3, v4, 1.0
	v_fmac_f32_e32 v4, v7, v4
	v_mul_f32_e32 v7, v3, v4
	v_fma_f32 v8, -v3, v7, v3
	v_fmac_f32_e32 v7, v8, v4
	v_fma_f32 v3, -v3, v7, v3
	v_div_fmas_f32 v3, v3, v4, v7
	v_div_fixup_f32 v2, v3, v2, v2
	v_bfe_u32 v3, v2, 16, 1
	v_cmp_o_f32_e32 vcc_lo, v2, v2
	v_add3_u32 v2, v2, v3, 0x7fff
	v_mov_b32_e32 v3, 0x7fc0
	v_cndmask_b32_sdwa v3, v3, v2, vcc_lo dst_sel:DWORD dst_unused:UNUSED_PAD src0_sel:DWORD src1_sel:WORD_1
.LBB459_8:
	s_or_b32 exec_lo, exec_lo, s2
	global_store_short v[0:1], v3, off
.LBB459_9:
	s_or_b32 exec_lo, exec_lo, s1
	v_cmp_ne_u32_e32 vcc_lo, 1, v5
	s_and_b32 s0, vcc_lo, s0
	s_and_b32 exec_lo, exec_lo, s0
	s_cbranch_execz .LBB459_13
; %bb.10:
	v_sub_f32_e32 v2, v6, v6
	s_mov_b32 s15, 0
	s_mov_b32 s0, exec_lo
	v_mul_f32_e32 v3, 0x3fb8aa3b, v2
	v_cmp_ngt_f32_e32 vcc_lo, 0xc2ce8ed0, v2
	v_rndne_f32_e32 v4, v3
	v_fma_f32 v5, 0x3fb8aa3b, v2, -v3
	v_sub_f32_e32 v3, v3, v4
	v_fmamk_f32 v5, v2, 0x32a5705f, v5
	v_cvt_i32_f32_e32 v4, v4
	v_add_f32_e32 v3, v3, v5
	v_exp_f32_e32 v3, v3
	v_ldexp_f32 v3, v3, v4
	v_cndmask_b32_e32 v3, 0, v3, vcc_lo
	v_cmp_nlt_f32_e32 vcc_lo, 0x42b17218, v2
	v_cndmask_b32_e32 v2, 0x7f800000, v3, vcc_lo
	v_mov_b32_e32 v3, 0x7fc0
	v_cmpx_neq_f32_e32 0, v2
	s_cbranch_execz .LBB459_12
; %bb.11:
	v_div_scale_f32 v3, vcc_lo, v2, v2, v2
	v_rcp_f32_e32 v4, v3
	v_fma_f32 v5, -v3, v4, 1.0
	v_fmac_f32_e32 v4, v5, v4
	v_mul_f32_e32 v5, v3, v4
	v_fma_f32 v6, -v3, v5, v3
	v_fmac_f32_e32 v5, v6, v4
	v_fma_f32 v3, -v3, v5, v3
	v_div_fmas_f32 v3, v3, v4, v5
	v_div_fixup_f32 v2, v3, v2, v2
	v_bfe_u32 v3, v2, 16, 1
	v_cmp_o_f32_e32 vcc_lo, v2, v2
	v_add3_u32 v2, v2, v3, 0x7fff
	v_mov_b32_e32 v3, 0x7fc0
	v_cndmask_b32_sdwa v3, v3, v2, vcc_lo dst_sel:DWORD dst_unused:UNUSED_PAD src0_sel:DWORD src1_sel:WORD_1
.LBB459_12:
	s_or_b32 exec_lo, exec_lo, s0
	s_lshl_b64 s[0:1], s[14:15], 1
	v_add_co_u32 v0, vcc_lo, v0, s0
	v_add_co_ci_u32_e64 v1, null, s1, v1, vcc_lo
	global_store_short v[0:1], v3, off
.LBB459_13:
	s_endpgm
	.section	.rodata,"a",@progbits
	.p2align	6, 0x0
	.amdhsa_kernel _ZN12_GLOBAL__N_120softmax_warp_forwardIN3c108BFloat16ES2_fLi0ELb0ELb0ELi32EEEvPT0_PKT_iiiPKbib
		.amdhsa_group_segment_fixed_size 0
		.amdhsa_private_segment_fixed_size 0
		.amdhsa_kernarg_size 304
		.amdhsa_user_sgpr_count 6
		.amdhsa_user_sgpr_private_segment_buffer 1
		.amdhsa_user_sgpr_dispatch_ptr 0
		.amdhsa_user_sgpr_queue_ptr 0
		.amdhsa_user_sgpr_kernarg_segment_ptr 1
		.amdhsa_user_sgpr_dispatch_id 0
		.amdhsa_user_sgpr_flat_scratch_init 0
		.amdhsa_user_sgpr_private_segment_size 0
		.amdhsa_wavefront_size32 1
		.amdhsa_uses_dynamic_stack 0
		.amdhsa_system_sgpr_private_segment_wavefront_offset 0
		.amdhsa_system_sgpr_workgroup_id_x 1
		.amdhsa_system_sgpr_workgroup_id_y 0
		.amdhsa_system_sgpr_workgroup_id_z 0
		.amdhsa_system_sgpr_workgroup_info 0
		.amdhsa_system_vgpr_workitem_id 1
		.amdhsa_next_free_vgpr 9
		.amdhsa_next_free_sgpr 16
		.amdhsa_reserve_vcc 1
		.amdhsa_reserve_flat_scratch 0
		.amdhsa_float_round_mode_32 0
		.amdhsa_float_round_mode_16_64 0
		.amdhsa_float_denorm_mode_32 3
		.amdhsa_float_denorm_mode_16_64 3
		.amdhsa_dx10_clamp 1
		.amdhsa_ieee_mode 1
		.amdhsa_fp16_overflow 0
		.amdhsa_workgroup_processor_mode 1
		.amdhsa_memory_ordered 1
		.amdhsa_forward_progress 1
		.amdhsa_shared_vgpr_count 0
		.amdhsa_exception_fp_ieee_invalid_op 0
		.amdhsa_exception_fp_denorm_src 0
		.amdhsa_exception_fp_ieee_div_zero 0
		.amdhsa_exception_fp_ieee_overflow 0
		.amdhsa_exception_fp_ieee_underflow 0
		.amdhsa_exception_fp_ieee_inexact 0
		.amdhsa_exception_int_div_zero 0
	.end_amdhsa_kernel
	.section	.text._ZN12_GLOBAL__N_120softmax_warp_forwardIN3c108BFloat16ES2_fLi0ELb0ELb0ELi32EEEvPT0_PKT_iiiPKbib,"axG",@progbits,_ZN12_GLOBAL__N_120softmax_warp_forwardIN3c108BFloat16ES2_fLi0ELb0ELb0ELi32EEEvPT0_PKT_iiiPKbib,comdat
.Lfunc_end459:
	.size	_ZN12_GLOBAL__N_120softmax_warp_forwardIN3c108BFloat16ES2_fLi0ELb0ELb0ELi32EEEvPT0_PKT_iiiPKbib, .Lfunc_end459-_ZN12_GLOBAL__N_120softmax_warp_forwardIN3c108BFloat16ES2_fLi0ELb0ELb0ELi32EEEvPT0_PKT_iiiPKbib
                                        ; -- End function
	.set _ZN12_GLOBAL__N_120softmax_warp_forwardIN3c108BFloat16ES2_fLi0ELb0ELb0ELi32EEEvPT0_PKT_iiiPKbib.num_vgpr, 9
	.set _ZN12_GLOBAL__N_120softmax_warp_forwardIN3c108BFloat16ES2_fLi0ELb0ELb0ELi32EEEvPT0_PKT_iiiPKbib.num_agpr, 0
	.set _ZN12_GLOBAL__N_120softmax_warp_forwardIN3c108BFloat16ES2_fLi0ELb0ELb0ELi32EEEvPT0_PKT_iiiPKbib.numbered_sgpr, 16
	.set _ZN12_GLOBAL__N_120softmax_warp_forwardIN3c108BFloat16ES2_fLi0ELb0ELb0ELi32EEEvPT0_PKT_iiiPKbib.num_named_barrier, 0
	.set _ZN12_GLOBAL__N_120softmax_warp_forwardIN3c108BFloat16ES2_fLi0ELb0ELb0ELi32EEEvPT0_PKT_iiiPKbib.private_seg_size, 0
	.set _ZN12_GLOBAL__N_120softmax_warp_forwardIN3c108BFloat16ES2_fLi0ELb0ELb0ELi32EEEvPT0_PKT_iiiPKbib.uses_vcc, 1
	.set _ZN12_GLOBAL__N_120softmax_warp_forwardIN3c108BFloat16ES2_fLi0ELb0ELb0ELi32EEEvPT0_PKT_iiiPKbib.uses_flat_scratch, 0
	.set _ZN12_GLOBAL__N_120softmax_warp_forwardIN3c108BFloat16ES2_fLi0ELb0ELb0ELi32EEEvPT0_PKT_iiiPKbib.has_dyn_sized_stack, 0
	.set _ZN12_GLOBAL__N_120softmax_warp_forwardIN3c108BFloat16ES2_fLi0ELb0ELb0ELi32EEEvPT0_PKT_iiiPKbib.has_recursion, 0
	.set _ZN12_GLOBAL__N_120softmax_warp_forwardIN3c108BFloat16ES2_fLi0ELb0ELb0ELi32EEEvPT0_PKT_iiiPKbib.has_indirect_call, 0
	.section	.AMDGPU.csdata,"",@progbits
; Kernel info:
; codeLenInByte = 740
; TotalNumSgprs: 18
; NumVgprs: 9
; ScratchSize: 0
; MemoryBound: 0
; FloatMode: 240
; IeeeMode: 1
; LDSByteSize: 0 bytes/workgroup (compile time only)
; SGPRBlocks: 0
; VGPRBlocks: 1
; NumSGPRsForWavesPerEU: 18
; NumVGPRsForWavesPerEU: 9
; Occupancy: 16
; WaveLimiterHint : 0
; COMPUTE_PGM_RSRC2:SCRATCH_EN: 0
; COMPUTE_PGM_RSRC2:USER_SGPR: 6
; COMPUTE_PGM_RSRC2:TRAP_HANDLER: 0
; COMPUTE_PGM_RSRC2:TGID_X_EN: 1
; COMPUTE_PGM_RSRC2:TGID_Y_EN: 0
; COMPUTE_PGM_RSRC2:TGID_Z_EN: 0
; COMPUTE_PGM_RSRC2:TIDIG_COMP_CNT: 1
	.section	.text._ZN12_GLOBAL__N_120softmax_warp_forwardIN3c108BFloat16ES2_fLi1ELb0ELb0ELi64EEEvPT0_PKT_iiiPKbib,"axG",@progbits,_ZN12_GLOBAL__N_120softmax_warp_forwardIN3c108BFloat16ES2_fLi1ELb0ELb0ELi64EEEvPT0_PKT_iiiPKbib,comdat
	.globl	_ZN12_GLOBAL__N_120softmax_warp_forwardIN3c108BFloat16ES2_fLi1ELb0ELb0ELi64EEEvPT0_PKT_iiiPKbib ; -- Begin function _ZN12_GLOBAL__N_120softmax_warp_forwardIN3c108BFloat16ES2_fLi1ELb0ELb0ELi64EEEvPT0_PKT_iiiPKbib
	.p2align	8
	.type	_ZN12_GLOBAL__N_120softmax_warp_forwardIN3c108BFloat16ES2_fLi1ELb0ELb0ELi64EEEvPT0_PKT_iiiPKbib,@function
_ZN12_GLOBAL__N_120softmax_warp_forwardIN3c108BFloat16ES2_fLi1ELb0ELb0ELi64EEEvPT0_PKT_iiiPKbib: ; @_ZN12_GLOBAL__N_120softmax_warp_forwardIN3c108BFloat16ES2_fLi1ELb0ELb0ELi64EEEvPT0_PKT_iiiPKbib
; %bb.0:
	s_clause 0x1
	s_load_dword s0, s[4:5], 0x3c
	s_load_dwordx8 s[8:15], s[4:5], 0x0
	v_mov_b32_e32 v6, 0xff800000
	s_waitcnt lgkmcnt(0)
	s_lshr_b32 s0, s0, 16
	s_and_b32 s0, s0, 0xffff
	s_mul_i32 s6, s6, s0
	v_cmp_gt_i32_e64 s0, s14, v0
	v_add_lshl_u32 v3, s6, v1, 1
	v_mad_u64_u32 v[1:2], null, v3, s13, v[0:1]
	v_sub_nc_u32_e32 v5, s12, v3
	v_mov_b32_e32 v0, 0xff800000
	v_cmp_lt_i32_e32 vcc_lo, 0, v5
	v_ashrrev_i32_e32 v2, 31, v1
	s_and_b32 s2, s0, vcc_lo
	v_lshlrev_b64 v[1:2], 1, v[1:2]
	v_add_co_u32 v3, s1, s10, v1
	v_add_co_ci_u32_e64 v4, null, s11, v2, s1
	s_and_saveexec_b32 s1, s2
	s_cbranch_execz .LBB460_2
; %bb.1:
	global_load_ushort v0, v[3:4], off
	s_waitcnt vmcnt(0)
	v_lshlrev_b32_e32 v0, 16, v0
.LBB460_2:
	s_or_b32 exec_lo, exec_lo, s1
	v_cmp_lt_i32_e64 s1, 1, v5
	s_and_b32 s1, s0, s1
	s_and_saveexec_b32 s2, s1
	s_cbranch_execz .LBB460_4
; %bb.3:
	s_mov_b32 s15, 0
	s_lshl_b64 s[4:5], s[14:15], 1
	v_add_co_u32 v3, s1, v3, s4
	v_add_co_ci_u32_e64 v4, null, s5, v4, s1
	global_load_ushort v3, v[3:4], off
	s_waitcnt vmcnt(0)
	v_lshlrev_b32_e32 v6, 16, v3
.LBB460_4:
	s_or_b32 exec_lo, exec_lo, s2
	v_mbcnt_lo_u32_b32 v3, -1, 0
	v_and_b32_e32 v4, 30, v3
	v_xor_b32_e32 v7, 1, v3
	v_add_nc_u32_e32 v4, 2, v4
	v_cmp_lt_i32_e64 s1, v7, v4
	v_cndmask_b32_e64 v3, v3, v7, s1
	v_lshlrev_b32_e32 v4, 2, v3
	ds_bpermute_b32 v3, v4, v0
	ds_bpermute_b32 v7, v4, v6
	s_waitcnt lgkmcnt(1)
	v_cmp_lt_f32_e64 s1, v0, v3
	v_cndmask_b32_e64 v3, v0, v3, s1
	s_waitcnt lgkmcnt(0)
	v_cmp_lt_f32_e64 s1, v6, v7
	v_sub_f32_e32 v0, v0, v3
	v_cndmask_b32_e64 v7, v6, v7, s1
	v_cmp_ngt_f32_e64 s1, 0xc2ce8ed0, v0
	v_sub_f32_e32 v3, v6, v7
	v_mul_f32_e32 v6, 0x3fb8aa3b, v0
	v_mul_f32_e32 v7, 0x3fb8aa3b, v3
	v_fma_f32 v8, 0x3fb8aa3b, v0, -v6
	v_rndne_f32_e32 v9, v6
	v_fma_f32 v10, 0x3fb8aa3b, v3, -v7
	v_rndne_f32_e32 v11, v7
	v_fmac_f32_e32 v8, 0x32a5705f, v0
	v_sub_f32_e32 v6, v6, v9
	v_fmac_f32_e32 v10, 0x32a5705f, v3
	v_sub_f32_e32 v7, v7, v11
	v_add_f32_e32 v6, v6, v8
	v_cvt_i32_f32_e32 v8, v9
	v_cvt_i32_f32_e32 v9, v11
	v_add_f32_e32 v7, v7, v10
	v_exp_f32_e32 v6, v6
	v_exp_f32_e32 v7, v7
	v_ldexp_f32 v6, v6, v8
	v_ldexp_f32 v7, v7, v9
	v_cndmask_b32_e64 v6, 0, v6, s1
	v_cmp_ngt_f32_e64 s1, 0xc2ce8ed0, v3
	v_cndmask_b32_e64 v7, 0, v7, s1
	v_cmp_nlt_f32_e64 s1, 0x42b17218, v0
	v_cndmask_b32_e64 v6, 0x7f800000, v6, s1
	v_cmp_nlt_f32_e64 s1, 0x42b17218, v3
	v_cndmask_b32_e64 v3, 0x7f800000, v7, s1
	ds_bpermute_b32 v7, v4, v6
	ds_bpermute_b32 v4, v4, v3
	s_and_saveexec_b32 s1, vcc_lo
	s_cbranch_execz .LBB460_13
; %bb.5:
	v_add_co_u32 v0, vcc_lo, s8, v1
	v_add_co_ci_u32_e64 v1, null, s9, v2, vcc_lo
	s_and_saveexec_b32 s1, s0
	s_cbranch_execz .LBB460_9
; %bb.6:
	s_waitcnt lgkmcnt(1)
	v_add_f32_e32 v2, v6, v7
	v_mov_b32_e32 v7, 0x7fc0
	s_mov_b32 s2, exec_lo
	v_cmpx_neq_f32_e32 0, v2
	s_cbranch_execz .LBB460_8
; %bb.7:
	v_div_scale_f32 v7, null, v2, v2, v6
	v_div_scale_f32 v10, vcc_lo, v6, v2, v6
	v_rcp_f32_e32 v8, v7
	v_fma_f32 v9, -v7, v8, 1.0
	v_fmac_f32_e32 v8, v9, v8
	v_mul_f32_e32 v9, v10, v8
	v_fma_f32 v11, -v7, v9, v10
	v_fmac_f32_e32 v9, v11, v8
	v_fma_f32 v7, -v7, v9, v10
	v_div_fmas_f32 v7, v7, v8, v9
	v_div_fixup_f32 v2, v7, v2, v6
	v_bfe_u32 v6, v2, 16, 1
	v_cmp_o_f32_e32 vcc_lo, v2, v2
	v_add3_u32 v2, v2, v6, 0x7fff
	v_mov_b32_e32 v6, 0x7fc0
	v_cndmask_b32_sdwa v7, v6, v2, vcc_lo dst_sel:DWORD dst_unused:UNUSED_PAD src0_sel:DWORD src1_sel:WORD_1
.LBB460_8:
	s_or_b32 exec_lo, exec_lo, s2
	global_store_short v[0:1], v7, off
.LBB460_9:
	s_or_b32 exec_lo, exec_lo, s1
	v_cmp_ne_u32_e32 vcc_lo, 1, v5
	s_and_b32 s0, vcc_lo, s0
	s_and_b32 exec_lo, exec_lo, s0
	s_cbranch_execz .LBB460_13
; %bb.10:
	s_waitcnt lgkmcnt(0)
	v_add_f32_e32 v2, v3, v4
	v_mov_b32_e32 v4, 0x7fc0
	s_mov_b32 s15, 0
	s_mov_b32 s0, exec_lo
	v_cmpx_neq_f32_e32 0, v2
	s_cbranch_execz .LBB460_12
; %bb.11:
	v_div_scale_f32 v4, null, v2, v2, v3
	v_div_scale_f32 v7, vcc_lo, v3, v2, v3
	v_rcp_f32_e32 v5, v4
	v_fma_f32 v6, -v4, v5, 1.0
	v_fmac_f32_e32 v5, v6, v5
	v_mul_f32_e32 v6, v7, v5
	v_fma_f32 v8, -v4, v6, v7
	v_fmac_f32_e32 v6, v8, v5
	v_fma_f32 v4, -v4, v6, v7
	v_div_fmas_f32 v4, v4, v5, v6
	v_div_fixup_f32 v2, v4, v2, v3
	v_bfe_u32 v3, v2, 16, 1
	v_cmp_o_f32_e32 vcc_lo, v2, v2
	v_add3_u32 v2, v2, v3, 0x7fff
	v_mov_b32_e32 v3, 0x7fc0
	v_cndmask_b32_sdwa v4, v3, v2, vcc_lo dst_sel:DWORD dst_unused:UNUSED_PAD src0_sel:DWORD src1_sel:WORD_1
.LBB460_12:
	s_or_b32 exec_lo, exec_lo, s0
	s_lshl_b64 s[0:1], s[14:15], 1
	v_add_co_u32 v0, vcc_lo, v0, s0
	v_add_co_ci_u32_e64 v1, null, s1, v1, vcc_lo
	global_store_short v[0:1], v4, off
.LBB460_13:
	s_endpgm
	.section	.rodata,"a",@progbits
	.p2align	6, 0x0
	.amdhsa_kernel _ZN12_GLOBAL__N_120softmax_warp_forwardIN3c108BFloat16ES2_fLi1ELb0ELb0ELi64EEEvPT0_PKT_iiiPKbib
		.amdhsa_group_segment_fixed_size 0
		.amdhsa_private_segment_fixed_size 0
		.amdhsa_kernarg_size 304
		.amdhsa_user_sgpr_count 6
		.amdhsa_user_sgpr_private_segment_buffer 1
		.amdhsa_user_sgpr_dispatch_ptr 0
		.amdhsa_user_sgpr_queue_ptr 0
		.amdhsa_user_sgpr_kernarg_segment_ptr 1
		.amdhsa_user_sgpr_dispatch_id 0
		.amdhsa_user_sgpr_flat_scratch_init 0
		.amdhsa_user_sgpr_private_segment_size 0
		.amdhsa_wavefront_size32 1
		.amdhsa_uses_dynamic_stack 0
		.amdhsa_system_sgpr_private_segment_wavefront_offset 0
		.amdhsa_system_sgpr_workgroup_id_x 1
		.amdhsa_system_sgpr_workgroup_id_y 0
		.amdhsa_system_sgpr_workgroup_id_z 0
		.amdhsa_system_sgpr_workgroup_info 0
		.amdhsa_system_vgpr_workitem_id 1
		.amdhsa_next_free_vgpr 12
		.amdhsa_next_free_sgpr 16
		.amdhsa_reserve_vcc 1
		.amdhsa_reserve_flat_scratch 0
		.amdhsa_float_round_mode_32 0
		.amdhsa_float_round_mode_16_64 0
		.amdhsa_float_denorm_mode_32 3
		.amdhsa_float_denorm_mode_16_64 3
		.amdhsa_dx10_clamp 1
		.amdhsa_ieee_mode 1
		.amdhsa_fp16_overflow 0
		.amdhsa_workgroup_processor_mode 1
		.amdhsa_memory_ordered 1
		.amdhsa_forward_progress 1
		.amdhsa_shared_vgpr_count 0
		.amdhsa_exception_fp_ieee_invalid_op 0
		.amdhsa_exception_fp_denorm_src 0
		.amdhsa_exception_fp_ieee_div_zero 0
		.amdhsa_exception_fp_ieee_overflow 0
		.amdhsa_exception_fp_ieee_underflow 0
		.amdhsa_exception_fp_ieee_inexact 0
		.amdhsa_exception_int_div_zero 0
	.end_amdhsa_kernel
	.section	.text._ZN12_GLOBAL__N_120softmax_warp_forwardIN3c108BFloat16ES2_fLi1ELb0ELb0ELi64EEEvPT0_PKT_iiiPKbib,"axG",@progbits,_ZN12_GLOBAL__N_120softmax_warp_forwardIN3c108BFloat16ES2_fLi1ELb0ELb0ELi64EEEvPT0_PKT_iiiPKbib,comdat
.Lfunc_end460:
	.size	_ZN12_GLOBAL__N_120softmax_warp_forwardIN3c108BFloat16ES2_fLi1ELb0ELb0ELi64EEEvPT0_PKT_iiiPKbib, .Lfunc_end460-_ZN12_GLOBAL__N_120softmax_warp_forwardIN3c108BFloat16ES2_fLi1ELb0ELb0ELi64EEEvPT0_PKT_iiiPKbib
                                        ; -- End function
	.set _ZN12_GLOBAL__N_120softmax_warp_forwardIN3c108BFloat16ES2_fLi1ELb0ELb0ELi64EEEvPT0_PKT_iiiPKbib.num_vgpr, 12
	.set _ZN12_GLOBAL__N_120softmax_warp_forwardIN3c108BFloat16ES2_fLi1ELb0ELb0ELi64EEEvPT0_PKT_iiiPKbib.num_agpr, 0
	.set _ZN12_GLOBAL__N_120softmax_warp_forwardIN3c108BFloat16ES2_fLi1ELb0ELb0ELi64EEEvPT0_PKT_iiiPKbib.numbered_sgpr, 16
	.set _ZN12_GLOBAL__N_120softmax_warp_forwardIN3c108BFloat16ES2_fLi1ELb0ELb0ELi64EEEvPT0_PKT_iiiPKbib.num_named_barrier, 0
	.set _ZN12_GLOBAL__N_120softmax_warp_forwardIN3c108BFloat16ES2_fLi1ELb0ELb0ELi64EEEvPT0_PKT_iiiPKbib.private_seg_size, 0
	.set _ZN12_GLOBAL__N_120softmax_warp_forwardIN3c108BFloat16ES2_fLi1ELb0ELb0ELi64EEEvPT0_PKT_iiiPKbib.uses_vcc, 1
	.set _ZN12_GLOBAL__N_120softmax_warp_forwardIN3c108BFloat16ES2_fLi1ELb0ELb0ELi64EEEvPT0_PKT_iiiPKbib.uses_flat_scratch, 0
	.set _ZN12_GLOBAL__N_120softmax_warp_forwardIN3c108BFloat16ES2_fLi1ELb0ELb0ELi64EEEvPT0_PKT_iiiPKbib.has_dyn_sized_stack, 0
	.set _ZN12_GLOBAL__N_120softmax_warp_forwardIN3c108BFloat16ES2_fLi1ELb0ELb0ELi64EEEvPT0_PKT_iiiPKbib.has_recursion, 0
	.set _ZN12_GLOBAL__N_120softmax_warp_forwardIN3c108BFloat16ES2_fLi1ELb0ELb0ELi64EEEvPT0_PKT_iiiPKbib.has_indirect_call, 0
	.section	.AMDGPU.csdata,"",@progbits
; Kernel info:
; codeLenInByte = 916
; TotalNumSgprs: 18
; NumVgprs: 12
; ScratchSize: 0
; MemoryBound: 0
; FloatMode: 240
; IeeeMode: 1
; LDSByteSize: 0 bytes/workgroup (compile time only)
; SGPRBlocks: 0
; VGPRBlocks: 1
; NumSGPRsForWavesPerEU: 18
; NumVGPRsForWavesPerEU: 12
; Occupancy: 16
; WaveLimiterHint : 0
; COMPUTE_PGM_RSRC2:SCRATCH_EN: 0
; COMPUTE_PGM_RSRC2:USER_SGPR: 6
; COMPUTE_PGM_RSRC2:TRAP_HANDLER: 0
; COMPUTE_PGM_RSRC2:TGID_X_EN: 1
; COMPUTE_PGM_RSRC2:TGID_Y_EN: 0
; COMPUTE_PGM_RSRC2:TGID_Z_EN: 0
; COMPUTE_PGM_RSRC2:TIDIG_COMP_CNT: 1
	.section	.text._ZN12_GLOBAL__N_120softmax_warp_forwardIN3c108BFloat16ES2_fLi1ELb0ELb0ELi32EEEvPT0_PKT_iiiPKbib,"axG",@progbits,_ZN12_GLOBAL__N_120softmax_warp_forwardIN3c108BFloat16ES2_fLi1ELb0ELb0ELi32EEEvPT0_PKT_iiiPKbib,comdat
	.globl	_ZN12_GLOBAL__N_120softmax_warp_forwardIN3c108BFloat16ES2_fLi1ELb0ELb0ELi32EEEvPT0_PKT_iiiPKbib ; -- Begin function _ZN12_GLOBAL__N_120softmax_warp_forwardIN3c108BFloat16ES2_fLi1ELb0ELb0ELi32EEEvPT0_PKT_iiiPKbib
	.p2align	8
	.type	_ZN12_GLOBAL__N_120softmax_warp_forwardIN3c108BFloat16ES2_fLi1ELb0ELb0ELi32EEEvPT0_PKT_iiiPKbib,@function
_ZN12_GLOBAL__N_120softmax_warp_forwardIN3c108BFloat16ES2_fLi1ELb0ELb0ELi32EEEvPT0_PKT_iiiPKbib: ; @_ZN12_GLOBAL__N_120softmax_warp_forwardIN3c108BFloat16ES2_fLi1ELb0ELb0ELi32EEEvPT0_PKT_iiiPKbib
; %bb.0:
	s_clause 0x1
	s_load_dword s0, s[4:5], 0x3c
	s_load_dwordx8 s[8:15], s[4:5], 0x0
	v_mov_b32_e32 v6, 0xff800000
	s_waitcnt lgkmcnt(0)
	s_lshr_b32 s0, s0, 16
	s_and_b32 s0, s0, 0xffff
	s_mul_i32 s6, s6, s0
	v_cmp_gt_i32_e64 s0, s14, v0
	v_add_lshl_u32 v3, s6, v1, 1
	v_mad_u64_u32 v[1:2], null, v3, s13, v[0:1]
	v_sub_nc_u32_e32 v5, s12, v3
	v_mov_b32_e32 v0, 0xff800000
	v_cmp_lt_i32_e32 vcc_lo, 0, v5
	v_ashrrev_i32_e32 v2, 31, v1
	s_and_b32 s2, s0, vcc_lo
	v_lshlrev_b64 v[1:2], 1, v[1:2]
	v_add_co_u32 v3, s1, s10, v1
	v_add_co_ci_u32_e64 v4, null, s11, v2, s1
	s_and_saveexec_b32 s1, s2
	s_cbranch_execz .LBB461_2
; %bb.1:
	global_load_ushort v0, v[3:4], off
	s_waitcnt vmcnt(0)
	v_lshlrev_b32_e32 v0, 16, v0
.LBB461_2:
	s_or_b32 exec_lo, exec_lo, s1
	v_cmp_lt_i32_e64 s1, 1, v5
	s_and_b32 s1, s0, s1
	s_and_saveexec_b32 s2, s1
	s_cbranch_execz .LBB461_4
; %bb.3:
	s_mov_b32 s15, 0
	s_lshl_b64 s[4:5], s[14:15], 1
	v_add_co_u32 v3, s1, v3, s4
	v_add_co_ci_u32_e64 v4, null, s5, v4, s1
	global_load_ushort v3, v[3:4], off
	s_waitcnt vmcnt(0)
	v_lshlrev_b32_e32 v6, 16, v3
.LBB461_4:
	s_or_b32 exec_lo, exec_lo, s2
	v_mbcnt_lo_u32_b32 v3, -1, 0
	v_and_b32_e32 v4, 30, v3
	v_xor_b32_e32 v7, 1, v3
	v_add_nc_u32_e32 v4, 2, v4
	v_cmp_lt_i32_e64 s1, v7, v4
	v_cndmask_b32_e64 v3, v3, v7, s1
	v_lshlrev_b32_e32 v4, 2, v3
	ds_bpermute_b32 v3, v4, v0
	ds_bpermute_b32 v7, v4, v6
	s_waitcnt lgkmcnt(1)
	v_cmp_lt_f32_e64 s1, v0, v3
	v_cndmask_b32_e64 v3, v0, v3, s1
	s_waitcnt lgkmcnt(0)
	v_cmp_lt_f32_e64 s1, v6, v7
	v_sub_f32_e32 v0, v0, v3
	v_cndmask_b32_e64 v7, v6, v7, s1
	v_cmp_ngt_f32_e64 s1, 0xc2ce8ed0, v0
	v_sub_f32_e32 v3, v6, v7
	v_mul_f32_e32 v6, 0x3fb8aa3b, v0
	v_mul_f32_e32 v7, 0x3fb8aa3b, v3
	v_fma_f32 v8, 0x3fb8aa3b, v0, -v6
	v_rndne_f32_e32 v9, v6
	v_fma_f32 v10, 0x3fb8aa3b, v3, -v7
	v_rndne_f32_e32 v11, v7
	v_fmac_f32_e32 v8, 0x32a5705f, v0
	v_sub_f32_e32 v6, v6, v9
	v_fmac_f32_e32 v10, 0x32a5705f, v3
	v_sub_f32_e32 v7, v7, v11
	v_add_f32_e32 v6, v6, v8
	v_cvt_i32_f32_e32 v8, v9
	v_cvt_i32_f32_e32 v9, v11
	v_add_f32_e32 v7, v7, v10
	v_exp_f32_e32 v6, v6
	v_exp_f32_e32 v7, v7
	v_ldexp_f32 v6, v6, v8
	v_ldexp_f32 v7, v7, v9
	v_cndmask_b32_e64 v6, 0, v6, s1
	v_cmp_ngt_f32_e64 s1, 0xc2ce8ed0, v3
	v_cndmask_b32_e64 v7, 0, v7, s1
	v_cmp_nlt_f32_e64 s1, 0x42b17218, v0
	v_cndmask_b32_e64 v6, 0x7f800000, v6, s1
	v_cmp_nlt_f32_e64 s1, 0x42b17218, v3
	v_cndmask_b32_e64 v3, 0x7f800000, v7, s1
	ds_bpermute_b32 v7, v4, v6
	ds_bpermute_b32 v4, v4, v3
	s_and_saveexec_b32 s1, vcc_lo
	s_cbranch_execz .LBB461_13
; %bb.5:
	v_add_co_u32 v0, vcc_lo, s8, v1
	v_add_co_ci_u32_e64 v1, null, s9, v2, vcc_lo
	s_and_saveexec_b32 s1, s0
	s_cbranch_execz .LBB461_9
; %bb.6:
	s_waitcnt lgkmcnt(1)
	v_add_f32_e32 v2, v6, v7
	v_mov_b32_e32 v7, 0x7fc0
	s_mov_b32 s2, exec_lo
	v_cmpx_neq_f32_e32 0, v2
	s_cbranch_execz .LBB461_8
; %bb.7:
	v_div_scale_f32 v7, null, v2, v2, v6
	v_div_scale_f32 v10, vcc_lo, v6, v2, v6
	v_rcp_f32_e32 v8, v7
	v_fma_f32 v9, -v7, v8, 1.0
	v_fmac_f32_e32 v8, v9, v8
	v_mul_f32_e32 v9, v10, v8
	v_fma_f32 v11, -v7, v9, v10
	v_fmac_f32_e32 v9, v11, v8
	v_fma_f32 v7, -v7, v9, v10
	v_div_fmas_f32 v7, v7, v8, v9
	v_div_fixup_f32 v2, v7, v2, v6
	v_bfe_u32 v6, v2, 16, 1
	v_cmp_o_f32_e32 vcc_lo, v2, v2
	v_add3_u32 v2, v2, v6, 0x7fff
	v_mov_b32_e32 v6, 0x7fc0
	v_cndmask_b32_sdwa v7, v6, v2, vcc_lo dst_sel:DWORD dst_unused:UNUSED_PAD src0_sel:DWORD src1_sel:WORD_1
.LBB461_8:
	s_or_b32 exec_lo, exec_lo, s2
	global_store_short v[0:1], v7, off
.LBB461_9:
	s_or_b32 exec_lo, exec_lo, s1
	v_cmp_ne_u32_e32 vcc_lo, 1, v5
	s_and_b32 s0, vcc_lo, s0
	s_and_b32 exec_lo, exec_lo, s0
	s_cbranch_execz .LBB461_13
; %bb.10:
	s_waitcnt lgkmcnt(0)
	v_add_f32_e32 v2, v3, v4
	v_mov_b32_e32 v4, 0x7fc0
	s_mov_b32 s15, 0
	s_mov_b32 s0, exec_lo
	v_cmpx_neq_f32_e32 0, v2
	s_cbranch_execz .LBB461_12
; %bb.11:
	v_div_scale_f32 v4, null, v2, v2, v3
	v_div_scale_f32 v7, vcc_lo, v3, v2, v3
	v_rcp_f32_e32 v5, v4
	v_fma_f32 v6, -v4, v5, 1.0
	v_fmac_f32_e32 v5, v6, v5
	v_mul_f32_e32 v6, v7, v5
	v_fma_f32 v8, -v4, v6, v7
	v_fmac_f32_e32 v6, v8, v5
	v_fma_f32 v4, -v4, v6, v7
	v_div_fmas_f32 v4, v4, v5, v6
	v_div_fixup_f32 v2, v4, v2, v3
	v_bfe_u32 v3, v2, 16, 1
	v_cmp_o_f32_e32 vcc_lo, v2, v2
	v_add3_u32 v2, v2, v3, 0x7fff
	v_mov_b32_e32 v3, 0x7fc0
	v_cndmask_b32_sdwa v4, v3, v2, vcc_lo dst_sel:DWORD dst_unused:UNUSED_PAD src0_sel:DWORD src1_sel:WORD_1
.LBB461_12:
	s_or_b32 exec_lo, exec_lo, s0
	s_lshl_b64 s[0:1], s[14:15], 1
	v_add_co_u32 v0, vcc_lo, v0, s0
	v_add_co_ci_u32_e64 v1, null, s1, v1, vcc_lo
	global_store_short v[0:1], v4, off
.LBB461_13:
	s_endpgm
	.section	.rodata,"a",@progbits
	.p2align	6, 0x0
	.amdhsa_kernel _ZN12_GLOBAL__N_120softmax_warp_forwardIN3c108BFloat16ES2_fLi1ELb0ELb0ELi32EEEvPT0_PKT_iiiPKbib
		.amdhsa_group_segment_fixed_size 0
		.amdhsa_private_segment_fixed_size 0
		.amdhsa_kernarg_size 304
		.amdhsa_user_sgpr_count 6
		.amdhsa_user_sgpr_private_segment_buffer 1
		.amdhsa_user_sgpr_dispatch_ptr 0
		.amdhsa_user_sgpr_queue_ptr 0
		.amdhsa_user_sgpr_kernarg_segment_ptr 1
		.amdhsa_user_sgpr_dispatch_id 0
		.amdhsa_user_sgpr_flat_scratch_init 0
		.amdhsa_user_sgpr_private_segment_size 0
		.amdhsa_wavefront_size32 1
		.amdhsa_uses_dynamic_stack 0
		.amdhsa_system_sgpr_private_segment_wavefront_offset 0
		.amdhsa_system_sgpr_workgroup_id_x 1
		.amdhsa_system_sgpr_workgroup_id_y 0
		.amdhsa_system_sgpr_workgroup_id_z 0
		.amdhsa_system_sgpr_workgroup_info 0
		.amdhsa_system_vgpr_workitem_id 1
		.amdhsa_next_free_vgpr 12
		.amdhsa_next_free_sgpr 16
		.amdhsa_reserve_vcc 1
		.amdhsa_reserve_flat_scratch 0
		.amdhsa_float_round_mode_32 0
		.amdhsa_float_round_mode_16_64 0
		.amdhsa_float_denorm_mode_32 3
		.amdhsa_float_denorm_mode_16_64 3
		.amdhsa_dx10_clamp 1
		.amdhsa_ieee_mode 1
		.amdhsa_fp16_overflow 0
		.amdhsa_workgroup_processor_mode 1
		.amdhsa_memory_ordered 1
		.amdhsa_forward_progress 1
		.amdhsa_shared_vgpr_count 0
		.amdhsa_exception_fp_ieee_invalid_op 0
		.amdhsa_exception_fp_denorm_src 0
		.amdhsa_exception_fp_ieee_div_zero 0
		.amdhsa_exception_fp_ieee_overflow 0
		.amdhsa_exception_fp_ieee_underflow 0
		.amdhsa_exception_fp_ieee_inexact 0
		.amdhsa_exception_int_div_zero 0
	.end_amdhsa_kernel
	.section	.text._ZN12_GLOBAL__N_120softmax_warp_forwardIN3c108BFloat16ES2_fLi1ELb0ELb0ELi32EEEvPT0_PKT_iiiPKbib,"axG",@progbits,_ZN12_GLOBAL__N_120softmax_warp_forwardIN3c108BFloat16ES2_fLi1ELb0ELb0ELi32EEEvPT0_PKT_iiiPKbib,comdat
.Lfunc_end461:
	.size	_ZN12_GLOBAL__N_120softmax_warp_forwardIN3c108BFloat16ES2_fLi1ELb0ELb0ELi32EEEvPT0_PKT_iiiPKbib, .Lfunc_end461-_ZN12_GLOBAL__N_120softmax_warp_forwardIN3c108BFloat16ES2_fLi1ELb0ELb0ELi32EEEvPT0_PKT_iiiPKbib
                                        ; -- End function
	.set _ZN12_GLOBAL__N_120softmax_warp_forwardIN3c108BFloat16ES2_fLi1ELb0ELb0ELi32EEEvPT0_PKT_iiiPKbib.num_vgpr, 12
	.set _ZN12_GLOBAL__N_120softmax_warp_forwardIN3c108BFloat16ES2_fLi1ELb0ELb0ELi32EEEvPT0_PKT_iiiPKbib.num_agpr, 0
	.set _ZN12_GLOBAL__N_120softmax_warp_forwardIN3c108BFloat16ES2_fLi1ELb0ELb0ELi32EEEvPT0_PKT_iiiPKbib.numbered_sgpr, 16
	.set _ZN12_GLOBAL__N_120softmax_warp_forwardIN3c108BFloat16ES2_fLi1ELb0ELb0ELi32EEEvPT0_PKT_iiiPKbib.num_named_barrier, 0
	.set _ZN12_GLOBAL__N_120softmax_warp_forwardIN3c108BFloat16ES2_fLi1ELb0ELb0ELi32EEEvPT0_PKT_iiiPKbib.private_seg_size, 0
	.set _ZN12_GLOBAL__N_120softmax_warp_forwardIN3c108BFloat16ES2_fLi1ELb0ELb0ELi32EEEvPT0_PKT_iiiPKbib.uses_vcc, 1
	.set _ZN12_GLOBAL__N_120softmax_warp_forwardIN3c108BFloat16ES2_fLi1ELb0ELb0ELi32EEEvPT0_PKT_iiiPKbib.uses_flat_scratch, 0
	.set _ZN12_GLOBAL__N_120softmax_warp_forwardIN3c108BFloat16ES2_fLi1ELb0ELb0ELi32EEEvPT0_PKT_iiiPKbib.has_dyn_sized_stack, 0
	.set _ZN12_GLOBAL__N_120softmax_warp_forwardIN3c108BFloat16ES2_fLi1ELb0ELb0ELi32EEEvPT0_PKT_iiiPKbib.has_recursion, 0
	.set _ZN12_GLOBAL__N_120softmax_warp_forwardIN3c108BFloat16ES2_fLi1ELb0ELb0ELi32EEEvPT0_PKT_iiiPKbib.has_indirect_call, 0
	.section	.AMDGPU.csdata,"",@progbits
; Kernel info:
; codeLenInByte = 916
; TotalNumSgprs: 18
; NumVgprs: 12
; ScratchSize: 0
; MemoryBound: 0
; FloatMode: 240
; IeeeMode: 1
; LDSByteSize: 0 bytes/workgroup (compile time only)
; SGPRBlocks: 0
; VGPRBlocks: 1
; NumSGPRsForWavesPerEU: 18
; NumVGPRsForWavesPerEU: 12
; Occupancy: 16
; WaveLimiterHint : 0
; COMPUTE_PGM_RSRC2:SCRATCH_EN: 0
; COMPUTE_PGM_RSRC2:USER_SGPR: 6
; COMPUTE_PGM_RSRC2:TRAP_HANDLER: 0
; COMPUTE_PGM_RSRC2:TGID_X_EN: 1
; COMPUTE_PGM_RSRC2:TGID_Y_EN: 0
; COMPUTE_PGM_RSRC2:TGID_Z_EN: 0
; COMPUTE_PGM_RSRC2:TIDIG_COMP_CNT: 1
	.section	.text._ZN12_GLOBAL__N_120softmax_warp_forwardIN3c108BFloat16ES2_fLi2ELb0ELb0ELi64EEEvPT0_PKT_iiiPKbib,"axG",@progbits,_ZN12_GLOBAL__N_120softmax_warp_forwardIN3c108BFloat16ES2_fLi2ELb0ELb0ELi64EEEvPT0_PKT_iiiPKbib,comdat
	.globl	_ZN12_GLOBAL__N_120softmax_warp_forwardIN3c108BFloat16ES2_fLi2ELb0ELb0ELi64EEEvPT0_PKT_iiiPKbib ; -- Begin function _ZN12_GLOBAL__N_120softmax_warp_forwardIN3c108BFloat16ES2_fLi2ELb0ELb0ELi64EEEvPT0_PKT_iiiPKbib
	.p2align	8
	.type	_ZN12_GLOBAL__N_120softmax_warp_forwardIN3c108BFloat16ES2_fLi2ELb0ELb0ELi64EEEvPT0_PKT_iiiPKbib,@function
_ZN12_GLOBAL__N_120softmax_warp_forwardIN3c108BFloat16ES2_fLi2ELb0ELb0ELi64EEEvPT0_PKT_iiiPKbib: ; @_ZN12_GLOBAL__N_120softmax_warp_forwardIN3c108BFloat16ES2_fLi2ELb0ELb0ELi64EEEvPT0_PKT_iiiPKbib
; %bb.0:
	s_clause 0x1
	s_load_dword s0, s[4:5], 0x3c
	s_load_dwordx8 s[8:15], s[4:5], 0x0
	v_mov_b32_e32 v6, 0xff800000
	s_waitcnt lgkmcnt(0)
	s_lshr_b32 s0, s0, 16
	s_and_b32 s0, s0, 0xffff
	s_mul_i32 s6, s6, s0
	v_cmp_gt_i32_e64 s0, s14, v0
	v_add_lshl_u32 v3, s6, v1, 1
	v_mad_u64_u32 v[1:2], null, v3, s13, v[0:1]
	v_sub_nc_u32_e32 v5, s12, v3
	v_mov_b32_e32 v0, 0xff800000
	v_cmp_lt_i32_e32 vcc_lo, 0, v5
	v_ashrrev_i32_e32 v2, 31, v1
	s_and_b32 s2, s0, vcc_lo
	v_lshlrev_b64 v[1:2], 1, v[1:2]
	v_add_co_u32 v3, s1, s10, v1
	v_add_co_ci_u32_e64 v4, null, s11, v2, s1
	s_and_saveexec_b32 s1, s2
	s_cbranch_execz .LBB462_2
; %bb.1:
	global_load_ushort v0, v[3:4], off
	s_waitcnt vmcnt(0)
	v_lshlrev_b32_e32 v0, 16, v0
.LBB462_2:
	s_or_b32 exec_lo, exec_lo, s1
	v_cmp_lt_i32_e64 s1, 1, v5
	s_and_b32 s1, s0, s1
	s_and_saveexec_b32 s2, s1
	s_cbranch_execz .LBB462_4
; %bb.3:
	s_mov_b32 s15, 0
	s_lshl_b64 s[4:5], s[14:15], 1
	v_add_co_u32 v3, s1, v3, s4
	v_add_co_ci_u32_e64 v4, null, s5, v4, s1
	global_load_ushort v3, v[3:4], off
	s_waitcnt vmcnt(0)
	v_lshlrev_b32_e32 v6, 16, v3
.LBB462_4:
	s_or_b32 exec_lo, exec_lo, s2
	v_mbcnt_lo_u32_b32 v3, -1, 0
	v_and_b32_e32 v4, 28, v3
	v_xor_b32_e32 v7, 2, v3
	v_xor_b32_e32 v10, 1, v3
	v_add_nc_u32_e32 v4, 4, v4
	v_cmp_lt_i32_e64 s1, v7, v4
	v_cndmask_b32_e64 v7, v3, v7, s1
	v_cmp_lt_i32_e64 s1, v10, v4
	v_lshlrev_b32_e32 v8, 2, v7
	v_cndmask_b32_e64 v3, v3, v10, s1
	ds_bpermute_b32 v7, v8, v0
	ds_bpermute_b32 v9, v8, v6
	v_lshlrev_b32_e32 v10, 2, v3
	s_waitcnt lgkmcnt(1)
	v_cmp_lt_f32_e64 s1, v0, v7
	v_cndmask_b32_e64 v3, v0, v7, s1
	s_waitcnt lgkmcnt(0)
	v_cmp_lt_f32_e64 s1, v6, v9
	ds_bpermute_b32 v7, v10, v3
	v_cndmask_b32_e64 v4, v6, v9, s1
	ds_bpermute_b32 v9, v10, v4
	s_waitcnt lgkmcnt(1)
	v_cmp_lt_f32_e64 s1, v3, v7
	v_cndmask_b32_e64 v3, v3, v7, s1
	s_waitcnt lgkmcnt(0)
	v_cmp_lt_f32_e64 s1, v4, v9
	v_sub_f32_e32 v0, v0, v3
	v_cndmask_b32_e64 v4, v4, v9, s1
	v_cmp_ngt_f32_e64 s1, 0xc2ce8ed0, v0
	v_sub_f32_e32 v3, v6, v4
	v_mul_f32_e32 v4, 0x3fb8aa3b, v0
	v_mul_f32_e32 v6, 0x3fb8aa3b, v3
	v_fma_f32 v7, 0x3fb8aa3b, v0, -v4
	v_rndne_f32_e32 v9, v4
	v_fma_f32 v11, 0x3fb8aa3b, v3, -v6
	v_rndne_f32_e32 v12, v6
	v_fmac_f32_e32 v7, 0x32a5705f, v0
	v_sub_f32_e32 v4, v4, v9
	v_fmac_f32_e32 v11, 0x32a5705f, v3
	v_sub_f32_e32 v6, v6, v12
	v_add_f32_e32 v4, v4, v7
	v_cvt_i32_f32_e32 v7, v9
	v_cvt_i32_f32_e32 v9, v12
	v_add_f32_e32 v6, v6, v11
	v_exp_f32_e32 v4, v4
	v_exp_f32_e32 v6, v6
	v_ldexp_f32 v4, v4, v7
	v_ldexp_f32 v6, v6, v9
	v_cndmask_b32_e64 v4, 0, v4, s1
	v_cmp_ngt_f32_e64 s1, 0xc2ce8ed0, v3
	v_cndmask_b32_e64 v6, 0, v6, s1
	v_cmp_nlt_f32_e64 s1, 0x42b17218, v0
	v_cndmask_b32_e64 v7, 0x7f800000, v4, s1
	v_cmp_nlt_f32_e64 s1, 0x42b17218, v3
	ds_bpermute_b32 v0, v8, v7
	v_cndmask_b32_e64 v3, 0x7f800000, v6, s1
	ds_bpermute_b32 v4, v8, v3
	s_waitcnt lgkmcnt(1)
	v_add_f32_e32 v8, v7, v0
	ds_bpermute_b32 v9, v10, v8
	s_waitcnt lgkmcnt(1)
	v_add_f32_e32 v4, v3, v4
	ds_bpermute_b32 v6, v10, v4
	s_and_saveexec_b32 s1, vcc_lo
	s_cbranch_execz .LBB462_13
; %bb.5:
	v_add_co_u32 v0, vcc_lo, s8, v1
	v_add_co_ci_u32_e64 v1, null, s9, v2, vcc_lo
	s_and_saveexec_b32 s1, s0
	s_cbranch_execz .LBB462_9
; %bb.6:
	s_waitcnt lgkmcnt(1)
	v_add_f32_e32 v2, v8, v9
	v_mov_b32_e32 v8, 0x7fc0
	s_mov_b32 s2, exec_lo
	v_cmpx_neq_f32_e32 0, v2
	s_cbranch_execz .LBB462_8
; %bb.7:
	v_div_scale_f32 v8, null, v2, v2, v7
	v_div_scale_f32 v11, vcc_lo, v7, v2, v7
	v_rcp_f32_e32 v9, v8
	v_fma_f32 v10, -v8, v9, 1.0
	v_fmac_f32_e32 v9, v10, v9
	v_mul_f32_e32 v10, v11, v9
	v_fma_f32 v12, -v8, v10, v11
	v_fmac_f32_e32 v10, v12, v9
	v_fma_f32 v8, -v8, v10, v11
	v_div_fmas_f32 v8, v8, v9, v10
	v_div_fixup_f32 v2, v8, v2, v7
	v_bfe_u32 v7, v2, 16, 1
	v_cmp_o_f32_e32 vcc_lo, v2, v2
	v_add3_u32 v2, v2, v7, 0x7fff
	v_mov_b32_e32 v7, 0x7fc0
	v_cndmask_b32_sdwa v8, v7, v2, vcc_lo dst_sel:DWORD dst_unused:UNUSED_PAD src0_sel:DWORD src1_sel:WORD_1
.LBB462_8:
	s_or_b32 exec_lo, exec_lo, s2
	global_store_short v[0:1], v8, off
.LBB462_9:
	s_or_b32 exec_lo, exec_lo, s1
	v_cmp_ne_u32_e32 vcc_lo, 1, v5
	s_and_b32 s0, vcc_lo, s0
	s_and_b32 exec_lo, exec_lo, s0
	s_cbranch_execz .LBB462_13
; %bb.10:
	s_waitcnt lgkmcnt(0)
	v_add_f32_e32 v2, v4, v6
	v_mov_b32_e32 v4, 0x7fc0
	s_mov_b32 s15, 0
	s_mov_b32 s0, exec_lo
	v_cmpx_neq_f32_e32 0, v2
	s_cbranch_execz .LBB462_12
; %bb.11:
	v_div_scale_f32 v4, null, v2, v2, v3
	v_div_scale_f32 v7, vcc_lo, v3, v2, v3
	v_rcp_f32_e32 v5, v4
	v_fma_f32 v6, -v4, v5, 1.0
	v_fmac_f32_e32 v5, v6, v5
	v_mul_f32_e32 v6, v7, v5
	v_fma_f32 v8, -v4, v6, v7
	v_fmac_f32_e32 v6, v8, v5
	v_fma_f32 v4, -v4, v6, v7
	v_div_fmas_f32 v4, v4, v5, v6
	v_div_fixup_f32 v2, v4, v2, v3
	v_bfe_u32 v3, v2, 16, 1
	v_cmp_o_f32_e32 vcc_lo, v2, v2
	v_add3_u32 v2, v2, v3, 0x7fff
	v_mov_b32_e32 v3, 0x7fc0
	v_cndmask_b32_sdwa v4, v3, v2, vcc_lo dst_sel:DWORD dst_unused:UNUSED_PAD src0_sel:DWORD src1_sel:WORD_1
.LBB462_12:
	s_or_b32 exec_lo, exec_lo, s0
	s_lshl_b64 s[0:1], s[14:15], 1
	v_add_co_u32 v0, vcc_lo, v0, s0
	v_add_co_ci_u32_e64 v1, null, s1, v1, vcc_lo
	global_store_short v[0:1], v4, off
.LBB462_13:
	s_endpgm
	.section	.rodata,"a",@progbits
	.p2align	6, 0x0
	.amdhsa_kernel _ZN12_GLOBAL__N_120softmax_warp_forwardIN3c108BFloat16ES2_fLi2ELb0ELb0ELi64EEEvPT0_PKT_iiiPKbib
		.amdhsa_group_segment_fixed_size 0
		.amdhsa_private_segment_fixed_size 0
		.amdhsa_kernarg_size 304
		.amdhsa_user_sgpr_count 6
		.amdhsa_user_sgpr_private_segment_buffer 1
		.amdhsa_user_sgpr_dispatch_ptr 0
		.amdhsa_user_sgpr_queue_ptr 0
		.amdhsa_user_sgpr_kernarg_segment_ptr 1
		.amdhsa_user_sgpr_dispatch_id 0
		.amdhsa_user_sgpr_flat_scratch_init 0
		.amdhsa_user_sgpr_private_segment_size 0
		.amdhsa_wavefront_size32 1
		.amdhsa_uses_dynamic_stack 0
		.amdhsa_system_sgpr_private_segment_wavefront_offset 0
		.amdhsa_system_sgpr_workgroup_id_x 1
		.amdhsa_system_sgpr_workgroup_id_y 0
		.amdhsa_system_sgpr_workgroup_id_z 0
		.amdhsa_system_sgpr_workgroup_info 0
		.amdhsa_system_vgpr_workitem_id 1
		.amdhsa_next_free_vgpr 13
		.amdhsa_next_free_sgpr 16
		.amdhsa_reserve_vcc 1
		.amdhsa_reserve_flat_scratch 0
		.amdhsa_float_round_mode_32 0
		.amdhsa_float_round_mode_16_64 0
		.amdhsa_float_denorm_mode_32 3
		.amdhsa_float_denorm_mode_16_64 3
		.amdhsa_dx10_clamp 1
		.amdhsa_ieee_mode 1
		.amdhsa_fp16_overflow 0
		.amdhsa_workgroup_processor_mode 1
		.amdhsa_memory_ordered 1
		.amdhsa_forward_progress 1
		.amdhsa_shared_vgpr_count 0
		.amdhsa_exception_fp_ieee_invalid_op 0
		.amdhsa_exception_fp_denorm_src 0
		.amdhsa_exception_fp_ieee_div_zero 0
		.amdhsa_exception_fp_ieee_overflow 0
		.amdhsa_exception_fp_ieee_underflow 0
		.amdhsa_exception_fp_ieee_inexact 0
		.amdhsa_exception_int_div_zero 0
	.end_amdhsa_kernel
	.section	.text._ZN12_GLOBAL__N_120softmax_warp_forwardIN3c108BFloat16ES2_fLi2ELb0ELb0ELi64EEEvPT0_PKT_iiiPKbib,"axG",@progbits,_ZN12_GLOBAL__N_120softmax_warp_forwardIN3c108BFloat16ES2_fLi2ELb0ELb0ELi64EEEvPT0_PKT_iiiPKbib,comdat
.Lfunc_end462:
	.size	_ZN12_GLOBAL__N_120softmax_warp_forwardIN3c108BFloat16ES2_fLi2ELb0ELb0ELi64EEEvPT0_PKT_iiiPKbib, .Lfunc_end462-_ZN12_GLOBAL__N_120softmax_warp_forwardIN3c108BFloat16ES2_fLi2ELb0ELb0ELi64EEEvPT0_PKT_iiiPKbib
                                        ; -- End function
	.set _ZN12_GLOBAL__N_120softmax_warp_forwardIN3c108BFloat16ES2_fLi2ELb0ELb0ELi64EEEvPT0_PKT_iiiPKbib.num_vgpr, 13
	.set _ZN12_GLOBAL__N_120softmax_warp_forwardIN3c108BFloat16ES2_fLi2ELb0ELb0ELi64EEEvPT0_PKT_iiiPKbib.num_agpr, 0
	.set _ZN12_GLOBAL__N_120softmax_warp_forwardIN3c108BFloat16ES2_fLi2ELb0ELb0ELi64EEEvPT0_PKT_iiiPKbib.numbered_sgpr, 16
	.set _ZN12_GLOBAL__N_120softmax_warp_forwardIN3c108BFloat16ES2_fLi2ELb0ELb0ELi64EEEvPT0_PKT_iiiPKbib.num_named_barrier, 0
	.set _ZN12_GLOBAL__N_120softmax_warp_forwardIN3c108BFloat16ES2_fLi2ELb0ELb0ELi64EEEvPT0_PKT_iiiPKbib.private_seg_size, 0
	.set _ZN12_GLOBAL__N_120softmax_warp_forwardIN3c108BFloat16ES2_fLi2ELb0ELb0ELi64EEEvPT0_PKT_iiiPKbib.uses_vcc, 1
	.set _ZN12_GLOBAL__N_120softmax_warp_forwardIN3c108BFloat16ES2_fLi2ELb0ELb0ELi64EEEvPT0_PKT_iiiPKbib.uses_flat_scratch, 0
	.set _ZN12_GLOBAL__N_120softmax_warp_forwardIN3c108BFloat16ES2_fLi2ELb0ELb0ELi64EEEvPT0_PKT_iiiPKbib.has_dyn_sized_stack, 0
	.set _ZN12_GLOBAL__N_120softmax_warp_forwardIN3c108BFloat16ES2_fLi2ELb0ELb0ELi64EEEvPT0_PKT_iiiPKbib.has_recursion, 0
	.set _ZN12_GLOBAL__N_120softmax_warp_forwardIN3c108BFloat16ES2_fLi2ELb0ELb0ELi64EEEvPT0_PKT_iiiPKbib.has_indirect_call, 0
	.section	.AMDGPU.csdata,"",@progbits
; Kernel info:
; codeLenInByte = 1028
; TotalNumSgprs: 18
; NumVgprs: 13
; ScratchSize: 0
; MemoryBound: 0
; FloatMode: 240
; IeeeMode: 1
; LDSByteSize: 0 bytes/workgroup (compile time only)
; SGPRBlocks: 0
; VGPRBlocks: 1
; NumSGPRsForWavesPerEU: 18
; NumVGPRsForWavesPerEU: 13
; Occupancy: 16
; WaveLimiterHint : 0
; COMPUTE_PGM_RSRC2:SCRATCH_EN: 0
; COMPUTE_PGM_RSRC2:USER_SGPR: 6
; COMPUTE_PGM_RSRC2:TRAP_HANDLER: 0
; COMPUTE_PGM_RSRC2:TGID_X_EN: 1
; COMPUTE_PGM_RSRC2:TGID_Y_EN: 0
; COMPUTE_PGM_RSRC2:TGID_Z_EN: 0
; COMPUTE_PGM_RSRC2:TIDIG_COMP_CNT: 1
	.section	.text._ZN12_GLOBAL__N_120softmax_warp_forwardIN3c108BFloat16ES2_fLi2ELb0ELb0ELi32EEEvPT0_PKT_iiiPKbib,"axG",@progbits,_ZN12_GLOBAL__N_120softmax_warp_forwardIN3c108BFloat16ES2_fLi2ELb0ELb0ELi32EEEvPT0_PKT_iiiPKbib,comdat
	.globl	_ZN12_GLOBAL__N_120softmax_warp_forwardIN3c108BFloat16ES2_fLi2ELb0ELb0ELi32EEEvPT0_PKT_iiiPKbib ; -- Begin function _ZN12_GLOBAL__N_120softmax_warp_forwardIN3c108BFloat16ES2_fLi2ELb0ELb0ELi32EEEvPT0_PKT_iiiPKbib
	.p2align	8
	.type	_ZN12_GLOBAL__N_120softmax_warp_forwardIN3c108BFloat16ES2_fLi2ELb0ELb0ELi32EEEvPT0_PKT_iiiPKbib,@function
_ZN12_GLOBAL__N_120softmax_warp_forwardIN3c108BFloat16ES2_fLi2ELb0ELb0ELi32EEEvPT0_PKT_iiiPKbib: ; @_ZN12_GLOBAL__N_120softmax_warp_forwardIN3c108BFloat16ES2_fLi2ELb0ELb0ELi32EEEvPT0_PKT_iiiPKbib
; %bb.0:
	s_clause 0x1
	s_load_dword s0, s[4:5], 0x3c
	s_load_dwordx8 s[8:15], s[4:5], 0x0
	v_mov_b32_e32 v6, 0xff800000
	s_waitcnt lgkmcnt(0)
	s_lshr_b32 s0, s0, 16
	s_and_b32 s0, s0, 0xffff
	s_mul_i32 s6, s6, s0
	v_cmp_gt_i32_e64 s0, s14, v0
	v_add_lshl_u32 v3, s6, v1, 1
	v_mad_u64_u32 v[1:2], null, v3, s13, v[0:1]
	v_sub_nc_u32_e32 v5, s12, v3
	v_mov_b32_e32 v0, 0xff800000
	v_cmp_lt_i32_e32 vcc_lo, 0, v5
	v_ashrrev_i32_e32 v2, 31, v1
	s_and_b32 s2, s0, vcc_lo
	v_lshlrev_b64 v[1:2], 1, v[1:2]
	v_add_co_u32 v3, s1, s10, v1
	v_add_co_ci_u32_e64 v4, null, s11, v2, s1
	s_and_saveexec_b32 s1, s2
	s_cbranch_execz .LBB463_2
; %bb.1:
	global_load_ushort v0, v[3:4], off
	s_waitcnt vmcnt(0)
	v_lshlrev_b32_e32 v0, 16, v0
.LBB463_2:
	s_or_b32 exec_lo, exec_lo, s1
	v_cmp_lt_i32_e64 s1, 1, v5
	s_and_b32 s1, s0, s1
	s_and_saveexec_b32 s2, s1
	s_cbranch_execz .LBB463_4
; %bb.3:
	s_mov_b32 s15, 0
	s_lshl_b64 s[4:5], s[14:15], 1
	v_add_co_u32 v3, s1, v3, s4
	v_add_co_ci_u32_e64 v4, null, s5, v4, s1
	global_load_ushort v3, v[3:4], off
	s_waitcnt vmcnt(0)
	v_lshlrev_b32_e32 v6, 16, v3
.LBB463_4:
	s_or_b32 exec_lo, exec_lo, s2
	v_mbcnt_lo_u32_b32 v3, -1, 0
	v_and_b32_e32 v4, 28, v3
	v_xor_b32_e32 v7, 2, v3
	v_xor_b32_e32 v10, 1, v3
	v_add_nc_u32_e32 v4, 4, v4
	v_cmp_lt_i32_e64 s1, v7, v4
	v_cndmask_b32_e64 v7, v3, v7, s1
	v_cmp_lt_i32_e64 s1, v10, v4
	v_lshlrev_b32_e32 v8, 2, v7
	v_cndmask_b32_e64 v3, v3, v10, s1
	ds_bpermute_b32 v7, v8, v0
	ds_bpermute_b32 v9, v8, v6
	v_lshlrev_b32_e32 v10, 2, v3
	s_waitcnt lgkmcnt(1)
	v_cmp_lt_f32_e64 s1, v0, v7
	v_cndmask_b32_e64 v3, v0, v7, s1
	s_waitcnt lgkmcnt(0)
	v_cmp_lt_f32_e64 s1, v6, v9
	ds_bpermute_b32 v7, v10, v3
	v_cndmask_b32_e64 v4, v6, v9, s1
	ds_bpermute_b32 v9, v10, v4
	s_waitcnt lgkmcnt(1)
	v_cmp_lt_f32_e64 s1, v3, v7
	v_cndmask_b32_e64 v3, v3, v7, s1
	s_waitcnt lgkmcnt(0)
	v_cmp_lt_f32_e64 s1, v4, v9
	v_sub_f32_e32 v0, v0, v3
	v_cndmask_b32_e64 v4, v4, v9, s1
	v_cmp_ngt_f32_e64 s1, 0xc2ce8ed0, v0
	v_sub_f32_e32 v3, v6, v4
	v_mul_f32_e32 v4, 0x3fb8aa3b, v0
	v_mul_f32_e32 v6, 0x3fb8aa3b, v3
	v_fma_f32 v7, 0x3fb8aa3b, v0, -v4
	v_rndne_f32_e32 v9, v4
	v_fma_f32 v11, 0x3fb8aa3b, v3, -v6
	v_rndne_f32_e32 v12, v6
	v_fmac_f32_e32 v7, 0x32a5705f, v0
	v_sub_f32_e32 v4, v4, v9
	v_fmac_f32_e32 v11, 0x32a5705f, v3
	v_sub_f32_e32 v6, v6, v12
	v_add_f32_e32 v4, v4, v7
	v_cvt_i32_f32_e32 v7, v9
	v_cvt_i32_f32_e32 v9, v12
	v_add_f32_e32 v6, v6, v11
	v_exp_f32_e32 v4, v4
	v_exp_f32_e32 v6, v6
	v_ldexp_f32 v4, v4, v7
	v_ldexp_f32 v6, v6, v9
	v_cndmask_b32_e64 v4, 0, v4, s1
	v_cmp_ngt_f32_e64 s1, 0xc2ce8ed0, v3
	v_cndmask_b32_e64 v6, 0, v6, s1
	v_cmp_nlt_f32_e64 s1, 0x42b17218, v0
	v_cndmask_b32_e64 v7, 0x7f800000, v4, s1
	v_cmp_nlt_f32_e64 s1, 0x42b17218, v3
	ds_bpermute_b32 v0, v8, v7
	v_cndmask_b32_e64 v3, 0x7f800000, v6, s1
	ds_bpermute_b32 v4, v8, v3
	s_waitcnt lgkmcnt(1)
	v_add_f32_e32 v8, v7, v0
	ds_bpermute_b32 v9, v10, v8
	s_waitcnt lgkmcnt(1)
	v_add_f32_e32 v4, v3, v4
	ds_bpermute_b32 v6, v10, v4
	s_and_saveexec_b32 s1, vcc_lo
	s_cbranch_execz .LBB463_13
; %bb.5:
	v_add_co_u32 v0, vcc_lo, s8, v1
	v_add_co_ci_u32_e64 v1, null, s9, v2, vcc_lo
	s_and_saveexec_b32 s1, s0
	s_cbranch_execz .LBB463_9
; %bb.6:
	s_waitcnt lgkmcnt(1)
	v_add_f32_e32 v2, v8, v9
	v_mov_b32_e32 v8, 0x7fc0
	s_mov_b32 s2, exec_lo
	v_cmpx_neq_f32_e32 0, v2
	s_cbranch_execz .LBB463_8
; %bb.7:
	v_div_scale_f32 v8, null, v2, v2, v7
	v_div_scale_f32 v11, vcc_lo, v7, v2, v7
	v_rcp_f32_e32 v9, v8
	v_fma_f32 v10, -v8, v9, 1.0
	v_fmac_f32_e32 v9, v10, v9
	v_mul_f32_e32 v10, v11, v9
	v_fma_f32 v12, -v8, v10, v11
	v_fmac_f32_e32 v10, v12, v9
	v_fma_f32 v8, -v8, v10, v11
	v_div_fmas_f32 v8, v8, v9, v10
	v_div_fixup_f32 v2, v8, v2, v7
	v_bfe_u32 v7, v2, 16, 1
	v_cmp_o_f32_e32 vcc_lo, v2, v2
	v_add3_u32 v2, v2, v7, 0x7fff
	v_mov_b32_e32 v7, 0x7fc0
	v_cndmask_b32_sdwa v8, v7, v2, vcc_lo dst_sel:DWORD dst_unused:UNUSED_PAD src0_sel:DWORD src1_sel:WORD_1
.LBB463_8:
	s_or_b32 exec_lo, exec_lo, s2
	global_store_short v[0:1], v8, off
.LBB463_9:
	s_or_b32 exec_lo, exec_lo, s1
	v_cmp_ne_u32_e32 vcc_lo, 1, v5
	s_and_b32 s0, vcc_lo, s0
	s_and_b32 exec_lo, exec_lo, s0
	s_cbranch_execz .LBB463_13
; %bb.10:
	s_waitcnt lgkmcnt(0)
	v_add_f32_e32 v2, v4, v6
	v_mov_b32_e32 v4, 0x7fc0
	s_mov_b32 s15, 0
	s_mov_b32 s0, exec_lo
	v_cmpx_neq_f32_e32 0, v2
	s_cbranch_execz .LBB463_12
; %bb.11:
	v_div_scale_f32 v4, null, v2, v2, v3
	v_div_scale_f32 v7, vcc_lo, v3, v2, v3
	v_rcp_f32_e32 v5, v4
	v_fma_f32 v6, -v4, v5, 1.0
	v_fmac_f32_e32 v5, v6, v5
	v_mul_f32_e32 v6, v7, v5
	v_fma_f32 v8, -v4, v6, v7
	v_fmac_f32_e32 v6, v8, v5
	v_fma_f32 v4, -v4, v6, v7
	v_div_fmas_f32 v4, v4, v5, v6
	v_div_fixup_f32 v2, v4, v2, v3
	v_bfe_u32 v3, v2, 16, 1
	v_cmp_o_f32_e32 vcc_lo, v2, v2
	v_add3_u32 v2, v2, v3, 0x7fff
	v_mov_b32_e32 v3, 0x7fc0
	v_cndmask_b32_sdwa v4, v3, v2, vcc_lo dst_sel:DWORD dst_unused:UNUSED_PAD src0_sel:DWORD src1_sel:WORD_1
.LBB463_12:
	s_or_b32 exec_lo, exec_lo, s0
	s_lshl_b64 s[0:1], s[14:15], 1
	v_add_co_u32 v0, vcc_lo, v0, s0
	v_add_co_ci_u32_e64 v1, null, s1, v1, vcc_lo
	global_store_short v[0:1], v4, off
.LBB463_13:
	s_endpgm
	.section	.rodata,"a",@progbits
	.p2align	6, 0x0
	.amdhsa_kernel _ZN12_GLOBAL__N_120softmax_warp_forwardIN3c108BFloat16ES2_fLi2ELb0ELb0ELi32EEEvPT0_PKT_iiiPKbib
		.amdhsa_group_segment_fixed_size 0
		.amdhsa_private_segment_fixed_size 0
		.amdhsa_kernarg_size 304
		.amdhsa_user_sgpr_count 6
		.amdhsa_user_sgpr_private_segment_buffer 1
		.amdhsa_user_sgpr_dispatch_ptr 0
		.amdhsa_user_sgpr_queue_ptr 0
		.amdhsa_user_sgpr_kernarg_segment_ptr 1
		.amdhsa_user_sgpr_dispatch_id 0
		.amdhsa_user_sgpr_flat_scratch_init 0
		.amdhsa_user_sgpr_private_segment_size 0
		.amdhsa_wavefront_size32 1
		.amdhsa_uses_dynamic_stack 0
		.amdhsa_system_sgpr_private_segment_wavefront_offset 0
		.amdhsa_system_sgpr_workgroup_id_x 1
		.amdhsa_system_sgpr_workgroup_id_y 0
		.amdhsa_system_sgpr_workgroup_id_z 0
		.amdhsa_system_sgpr_workgroup_info 0
		.amdhsa_system_vgpr_workitem_id 1
		.amdhsa_next_free_vgpr 13
		.amdhsa_next_free_sgpr 16
		.amdhsa_reserve_vcc 1
		.amdhsa_reserve_flat_scratch 0
		.amdhsa_float_round_mode_32 0
		.amdhsa_float_round_mode_16_64 0
		.amdhsa_float_denorm_mode_32 3
		.amdhsa_float_denorm_mode_16_64 3
		.amdhsa_dx10_clamp 1
		.amdhsa_ieee_mode 1
		.amdhsa_fp16_overflow 0
		.amdhsa_workgroup_processor_mode 1
		.amdhsa_memory_ordered 1
		.amdhsa_forward_progress 1
		.amdhsa_shared_vgpr_count 0
		.amdhsa_exception_fp_ieee_invalid_op 0
		.amdhsa_exception_fp_denorm_src 0
		.amdhsa_exception_fp_ieee_div_zero 0
		.amdhsa_exception_fp_ieee_overflow 0
		.amdhsa_exception_fp_ieee_underflow 0
		.amdhsa_exception_fp_ieee_inexact 0
		.amdhsa_exception_int_div_zero 0
	.end_amdhsa_kernel
	.section	.text._ZN12_GLOBAL__N_120softmax_warp_forwardIN3c108BFloat16ES2_fLi2ELb0ELb0ELi32EEEvPT0_PKT_iiiPKbib,"axG",@progbits,_ZN12_GLOBAL__N_120softmax_warp_forwardIN3c108BFloat16ES2_fLi2ELb0ELb0ELi32EEEvPT0_PKT_iiiPKbib,comdat
.Lfunc_end463:
	.size	_ZN12_GLOBAL__N_120softmax_warp_forwardIN3c108BFloat16ES2_fLi2ELb0ELb0ELi32EEEvPT0_PKT_iiiPKbib, .Lfunc_end463-_ZN12_GLOBAL__N_120softmax_warp_forwardIN3c108BFloat16ES2_fLi2ELb0ELb0ELi32EEEvPT0_PKT_iiiPKbib
                                        ; -- End function
	.set _ZN12_GLOBAL__N_120softmax_warp_forwardIN3c108BFloat16ES2_fLi2ELb0ELb0ELi32EEEvPT0_PKT_iiiPKbib.num_vgpr, 13
	.set _ZN12_GLOBAL__N_120softmax_warp_forwardIN3c108BFloat16ES2_fLi2ELb0ELb0ELi32EEEvPT0_PKT_iiiPKbib.num_agpr, 0
	.set _ZN12_GLOBAL__N_120softmax_warp_forwardIN3c108BFloat16ES2_fLi2ELb0ELb0ELi32EEEvPT0_PKT_iiiPKbib.numbered_sgpr, 16
	.set _ZN12_GLOBAL__N_120softmax_warp_forwardIN3c108BFloat16ES2_fLi2ELb0ELb0ELi32EEEvPT0_PKT_iiiPKbib.num_named_barrier, 0
	.set _ZN12_GLOBAL__N_120softmax_warp_forwardIN3c108BFloat16ES2_fLi2ELb0ELb0ELi32EEEvPT0_PKT_iiiPKbib.private_seg_size, 0
	.set _ZN12_GLOBAL__N_120softmax_warp_forwardIN3c108BFloat16ES2_fLi2ELb0ELb0ELi32EEEvPT0_PKT_iiiPKbib.uses_vcc, 1
	.set _ZN12_GLOBAL__N_120softmax_warp_forwardIN3c108BFloat16ES2_fLi2ELb0ELb0ELi32EEEvPT0_PKT_iiiPKbib.uses_flat_scratch, 0
	.set _ZN12_GLOBAL__N_120softmax_warp_forwardIN3c108BFloat16ES2_fLi2ELb0ELb0ELi32EEEvPT0_PKT_iiiPKbib.has_dyn_sized_stack, 0
	.set _ZN12_GLOBAL__N_120softmax_warp_forwardIN3c108BFloat16ES2_fLi2ELb0ELb0ELi32EEEvPT0_PKT_iiiPKbib.has_recursion, 0
	.set _ZN12_GLOBAL__N_120softmax_warp_forwardIN3c108BFloat16ES2_fLi2ELb0ELb0ELi32EEEvPT0_PKT_iiiPKbib.has_indirect_call, 0
	.section	.AMDGPU.csdata,"",@progbits
; Kernel info:
; codeLenInByte = 1028
; TotalNumSgprs: 18
; NumVgprs: 13
; ScratchSize: 0
; MemoryBound: 0
; FloatMode: 240
; IeeeMode: 1
; LDSByteSize: 0 bytes/workgroup (compile time only)
; SGPRBlocks: 0
; VGPRBlocks: 1
; NumSGPRsForWavesPerEU: 18
; NumVGPRsForWavesPerEU: 13
; Occupancy: 16
; WaveLimiterHint : 0
; COMPUTE_PGM_RSRC2:SCRATCH_EN: 0
; COMPUTE_PGM_RSRC2:USER_SGPR: 6
; COMPUTE_PGM_RSRC2:TRAP_HANDLER: 0
; COMPUTE_PGM_RSRC2:TGID_X_EN: 1
; COMPUTE_PGM_RSRC2:TGID_Y_EN: 0
; COMPUTE_PGM_RSRC2:TGID_Z_EN: 0
; COMPUTE_PGM_RSRC2:TIDIG_COMP_CNT: 1
	.section	.text._ZN12_GLOBAL__N_120softmax_warp_forwardIN3c108BFloat16ES2_fLi3ELb0ELb0ELi64EEEvPT0_PKT_iiiPKbib,"axG",@progbits,_ZN12_GLOBAL__N_120softmax_warp_forwardIN3c108BFloat16ES2_fLi3ELb0ELb0ELi64EEEvPT0_PKT_iiiPKbib,comdat
	.globl	_ZN12_GLOBAL__N_120softmax_warp_forwardIN3c108BFloat16ES2_fLi3ELb0ELb0ELi64EEEvPT0_PKT_iiiPKbib ; -- Begin function _ZN12_GLOBAL__N_120softmax_warp_forwardIN3c108BFloat16ES2_fLi3ELb0ELb0ELi64EEEvPT0_PKT_iiiPKbib
	.p2align	8
	.type	_ZN12_GLOBAL__N_120softmax_warp_forwardIN3c108BFloat16ES2_fLi3ELb0ELb0ELi64EEEvPT0_PKT_iiiPKbib,@function
_ZN12_GLOBAL__N_120softmax_warp_forwardIN3c108BFloat16ES2_fLi3ELb0ELb0ELi64EEEvPT0_PKT_iiiPKbib: ; @_ZN12_GLOBAL__N_120softmax_warp_forwardIN3c108BFloat16ES2_fLi3ELb0ELb0ELi64EEEvPT0_PKT_iiiPKbib
; %bb.0:
	s_clause 0x1
	s_load_dword s0, s[4:5], 0x3c
	s_load_dwordx8 s[8:15], s[4:5], 0x0
	v_mov_b32_e32 v6, 0xff800000
	s_waitcnt lgkmcnt(0)
	s_lshr_b32 s0, s0, 16
	s_and_b32 s0, s0, 0xffff
	s_mul_i32 s6, s6, s0
	v_cmp_gt_i32_e64 s0, s14, v0
	v_add_lshl_u32 v3, s6, v1, 1
	v_mad_u64_u32 v[1:2], null, v3, s13, v[0:1]
	v_sub_nc_u32_e32 v5, s12, v3
	v_mov_b32_e32 v0, 0xff800000
	v_cmp_lt_i32_e32 vcc_lo, 0, v5
	v_ashrrev_i32_e32 v2, 31, v1
	s_and_b32 s2, s0, vcc_lo
	v_lshlrev_b64 v[1:2], 1, v[1:2]
	v_add_co_u32 v3, s1, s10, v1
	v_add_co_ci_u32_e64 v4, null, s11, v2, s1
	s_and_saveexec_b32 s1, s2
	s_cbranch_execz .LBB464_2
; %bb.1:
	global_load_ushort v0, v[3:4], off
	s_waitcnt vmcnt(0)
	v_lshlrev_b32_e32 v0, 16, v0
.LBB464_2:
	s_or_b32 exec_lo, exec_lo, s1
	v_cmp_lt_i32_e64 s1, 1, v5
	s_and_b32 s1, s0, s1
	s_and_saveexec_b32 s2, s1
	s_cbranch_execz .LBB464_4
; %bb.3:
	s_mov_b32 s15, 0
	s_lshl_b64 s[4:5], s[14:15], 1
	v_add_co_u32 v3, s1, v3, s4
	v_add_co_ci_u32_e64 v4, null, s5, v4, s1
	global_load_ushort v3, v[3:4], off
	s_waitcnt vmcnt(0)
	v_lshlrev_b32_e32 v6, 16, v3
.LBB464_4:
	s_or_b32 exec_lo, exec_lo, s2
	v_mbcnt_lo_u32_b32 v3, -1, 0
	v_and_b32_e32 v4, 24, v3
	v_xor_b32_e32 v7, 4, v3
	v_xor_b32_e32 v10, 2, v3
	;; [unrolled: 1-line block ×3, first 2 shown]
	v_add_nc_u32_e32 v4, 8, v4
	v_cmp_lt_i32_e64 s1, v7, v4
	v_cndmask_b32_e64 v7, v3, v7, s1
	v_cmp_lt_i32_e64 s1, v10, v4
	v_lshlrev_b32_e32 v8, 2, v7
	v_cndmask_b32_e64 v10, v3, v10, s1
	ds_bpermute_b32 v7, v8, v0
	ds_bpermute_b32 v9, v8, v6
	v_lshlrev_b32_e32 v10, 2, v10
	s_waitcnt lgkmcnt(1)
	v_cmp_lt_f32_e64 s1, v0, v7
	v_cndmask_b32_e64 v7, v0, v7, s1
	s_waitcnt lgkmcnt(0)
	v_cmp_lt_f32_e64 s1, v6, v9
	ds_bpermute_b32 v11, v10, v7
	v_cndmask_b32_e64 v9, v6, v9, s1
	v_cmp_lt_i32_e64 s1, v13, v4
	ds_bpermute_b32 v12, v10, v9
	v_cndmask_b32_e64 v3, v3, v13, s1
	v_lshlrev_b32_e32 v13, 2, v3
	s_waitcnt lgkmcnt(1)
	v_cmp_lt_f32_e64 s1, v7, v11
	v_cndmask_b32_e64 v3, v7, v11, s1
	s_waitcnt lgkmcnt(0)
	v_cmp_lt_f32_e64 s1, v9, v12
	ds_bpermute_b32 v7, v13, v3
	v_cndmask_b32_e64 v4, v9, v12, s1
	ds_bpermute_b32 v9, v13, v4
	s_waitcnt lgkmcnt(1)
	v_cmp_lt_f32_e64 s1, v3, v7
	v_cndmask_b32_e64 v3, v3, v7, s1
	s_waitcnt lgkmcnt(0)
	v_cmp_lt_f32_e64 s1, v4, v9
	v_sub_f32_e32 v0, v0, v3
	v_cndmask_b32_e64 v4, v4, v9, s1
	v_cmp_ngt_f32_e64 s1, 0xc2ce8ed0, v0
	v_sub_f32_e32 v3, v6, v4
	v_mul_f32_e32 v4, 0x3fb8aa3b, v0
	v_mul_f32_e32 v6, 0x3fb8aa3b, v3
	v_fma_f32 v7, 0x3fb8aa3b, v0, -v4
	v_rndne_f32_e32 v9, v4
	v_fma_f32 v11, 0x3fb8aa3b, v3, -v6
	v_rndne_f32_e32 v12, v6
	v_fmac_f32_e32 v7, 0x32a5705f, v0
	v_sub_f32_e32 v4, v4, v9
	v_fmac_f32_e32 v11, 0x32a5705f, v3
	v_sub_f32_e32 v6, v6, v12
	v_add_f32_e32 v4, v4, v7
	v_cvt_i32_f32_e32 v7, v9
	v_cvt_i32_f32_e32 v9, v12
	v_add_f32_e32 v6, v6, v11
	v_exp_f32_e32 v4, v4
	v_exp_f32_e32 v6, v6
	v_ldexp_f32 v4, v4, v7
	v_ldexp_f32 v6, v6, v9
	v_cndmask_b32_e64 v4, 0, v4, s1
	v_cmp_ngt_f32_e64 s1, 0xc2ce8ed0, v3
	v_cndmask_b32_e64 v6, 0, v6, s1
	v_cmp_nlt_f32_e64 s1, 0x42b17218, v0
	v_cndmask_b32_e64 v7, 0x7f800000, v4, s1
	v_cmp_nlt_f32_e64 s1, 0x42b17218, v3
	ds_bpermute_b32 v0, v8, v7
	v_cndmask_b32_e64 v3, 0x7f800000, v6, s1
	ds_bpermute_b32 v4, v8, v3
	s_waitcnt lgkmcnt(1)
	v_add_f32_e32 v0, v7, v0
	ds_bpermute_b32 v6, v10, v0
	s_waitcnt lgkmcnt(1)
	v_add_f32_e32 v4, v3, v4
	;; [unrolled: 3-line block ×3, first 2 shown]
	s_waitcnt lgkmcnt(0)
	v_add_f32_e32 v4, v4, v9
	ds_bpermute_b32 v9, v13, v8
	ds_bpermute_b32 v6, v13, v4
	s_and_saveexec_b32 s1, vcc_lo
	s_cbranch_execz .LBB464_13
; %bb.5:
	v_add_co_u32 v0, vcc_lo, s8, v1
	v_add_co_ci_u32_e64 v1, null, s9, v2, vcc_lo
	s_and_saveexec_b32 s1, s0
	s_cbranch_execz .LBB464_9
; %bb.6:
	s_waitcnt lgkmcnt(1)
	v_add_f32_e32 v2, v8, v9
	v_mov_b32_e32 v8, 0x7fc0
	s_mov_b32 s2, exec_lo
	v_cmpx_neq_f32_e32 0, v2
	s_cbranch_execz .LBB464_8
; %bb.7:
	v_div_scale_f32 v8, null, v2, v2, v7
	v_div_scale_f32 v11, vcc_lo, v7, v2, v7
	v_rcp_f32_e32 v9, v8
	v_fma_f32 v10, -v8, v9, 1.0
	v_fmac_f32_e32 v9, v10, v9
	v_mul_f32_e32 v10, v11, v9
	v_fma_f32 v12, -v8, v10, v11
	v_fmac_f32_e32 v10, v12, v9
	v_fma_f32 v8, -v8, v10, v11
	v_div_fmas_f32 v8, v8, v9, v10
	v_div_fixup_f32 v2, v8, v2, v7
	v_bfe_u32 v7, v2, 16, 1
	v_cmp_o_f32_e32 vcc_lo, v2, v2
	v_add3_u32 v2, v2, v7, 0x7fff
	v_mov_b32_e32 v7, 0x7fc0
	v_cndmask_b32_sdwa v8, v7, v2, vcc_lo dst_sel:DWORD dst_unused:UNUSED_PAD src0_sel:DWORD src1_sel:WORD_1
.LBB464_8:
	s_or_b32 exec_lo, exec_lo, s2
	global_store_short v[0:1], v8, off
.LBB464_9:
	s_or_b32 exec_lo, exec_lo, s1
	v_cmp_ne_u32_e32 vcc_lo, 1, v5
	s_and_b32 s0, vcc_lo, s0
	s_and_b32 exec_lo, exec_lo, s0
	s_cbranch_execz .LBB464_13
; %bb.10:
	s_waitcnt lgkmcnt(0)
	v_add_f32_e32 v2, v4, v6
	v_mov_b32_e32 v4, 0x7fc0
	s_mov_b32 s15, 0
	s_mov_b32 s0, exec_lo
	v_cmpx_neq_f32_e32 0, v2
	s_cbranch_execz .LBB464_12
; %bb.11:
	v_div_scale_f32 v4, null, v2, v2, v3
	v_div_scale_f32 v7, vcc_lo, v3, v2, v3
	v_rcp_f32_e32 v5, v4
	v_fma_f32 v6, -v4, v5, 1.0
	v_fmac_f32_e32 v5, v6, v5
	v_mul_f32_e32 v6, v7, v5
	v_fma_f32 v8, -v4, v6, v7
	v_fmac_f32_e32 v6, v8, v5
	v_fma_f32 v4, -v4, v6, v7
	v_div_fmas_f32 v4, v4, v5, v6
	v_div_fixup_f32 v2, v4, v2, v3
	v_bfe_u32 v3, v2, 16, 1
	v_cmp_o_f32_e32 vcc_lo, v2, v2
	v_add3_u32 v2, v2, v3, 0x7fff
	v_mov_b32_e32 v3, 0x7fc0
	v_cndmask_b32_sdwa v4, v3, v2, vcc_lo dst_sel:DWORD dst_unused:UNUSED_PAD src0_sel:DWORD src1_sel:WORD_1
.LBB464_12:
	s_or_b32 exec_lo, exec_lo, s0
	s_lshl_b64 s[0:1], s[14:15], 1
	v_add_co_u32 v0, vcc_lo, v0, s0
	v_add_co_ci_u32_e64 v1, null, s1, v1, vcc_lo
	global_store_short v[0:1], v4, off
.LBB464_13:
	s_endpgm
	.section	.rodata,"a",@progbits
	.p2align	6, 0x0
	.amdhsa_kernel _ZN12_GLOBAL__N_120softmax_warp_forwardIN3c108BFloat16ES2_fLi3ELb0ELb0ELi64EEEvPT0_PKT_iiiPKbib
		.amdhsa_group_segment_fixed_size 0
		.amdhsa_private_segment_fixed_size 0
		.amdhsa_kernarg_size 304
		.amdhsa_user_sgpr_count 6
		.amdhsa_user_sgpr_private_segment_buffer 1
		.amdhsa_user_sgpr_dispatch_ptr 0
		.amdhsa_user_sgpr_queue_ptr 0
		.amdhsa_user_sgpr_kernarg_segment_ptr 1
		.amdhsa_user_sgpr_dispatch_id 0
		.amdhsa_user_sgpr_flat_scratch_init 0
		.amdhsa_user_sgpr_private_segment_size 0
		.amdhsa_wavefront_size32 1
		.amdhsa_uses_dynamic_stack 0
		.amdhsa_system_sgpr_private_segment_wavefront_offset 0
		.amdhsa_system_sgpr_workgroup_id_x 1
		.amdhsa_system_sgpr_workgroup_id_y 0
		.amdhsa_system_sgpr_workgroup_id_z 0
		.amdhsa_system_sgpr_workgroup_info 0
		.amdhsa_system_vgpr_workitem_id 1
		.amdhsa_next_free_vgpr 14
		.amdhsa_next_free_sgpr 16
		.amdhsa_reserve_vcc 1
		.amdhsa_reserve_flat_scratch 0
		.amdhsa_float_round_mode_32 0
		.amdhsa_float_round_mode_16_64 0
		.amdhsa_float_denorm_mode_32 3
		.amdhsa_float_denorm_mode_16_64 3
		.amdhsa_dx10_clamp 1
		.amdhsa_ieee_mode 1
		.amdhsa_fp16_overflow 0
		.amdhsa_workgroup_processor_mode 1
		.amdhsa_memory_ordered 1
		.amdhsa_forward_progress 1
		.amdhsa_shared_vgpr_count 0
		.amdhsa_exception_fp_ieee_invalid_op 0
		.amdhsa_exception_fp_denorm_src 0
		.amdhsa_exception_fp_ieee_div_zero 0
		.amdhsa_exception_fp_ieee_overflow 0
		.amdhsa_exception_fp_ieee_underflow 0
		.amdhsa_exception_fp_ieee_inexact 0
		.amdhsa_exception_int_div_zero 0
	.end_amdhsa_kernel
	.section	.text._ZN12_GLOBAL__N_120softmax_warp_forwardIN3c108BFloat16ES2_fLi3ELb0ELb0ELi64EEEvPT0_PKT_iiiPKbib,"axG",@progbits,_ZN12_GLOBAL__N_120softmax_warp_forwardIN3c108BFloat16ES2_fLi3ELb0ELb0ELi64EEEvPT0_PKT_iiiPKbib,comdat
.Lfunc_end464:
	.size	_ZN12_GLOBAL__N_120softmax_warp_forwardIN3c108BFloat16ES2_fLi3ELb0ELb0ELi64EEEvPT0_PKT_iiiPKbib, .Lfunc_end464-_ZN12_GLOBAL__N_120softmax_warp_forwardIN3c108BFloat16ES2_fLi3ELb0ELb0ELi64EEEvPT0_PKT_iiiPKbib
                                        ; -- End function
	.set _ZN12_GLOBAL__N_120softmax_warp_forwardIN3c108BFloat16ES2_fLi3ELb0ELb0ELi64EEEvPT0_PKT_iiiPKbib.num_vgpr, 14
	.set _ZN12_GLOBAL__N_120softmax_warp_forwardIN3c108BFloat16ES2_fLi3ELb0ELb0ELi64EEEvPT0_PKT_iiiPKbib.num_agpr, 0
	.set _ZN12_GLOBAL__N_120softmax_warp_forwardIN3c108BFloat16ES2_fLi3ELb0ELb0ELi64EEEvPT0_PKT_iiiPKbib.numbered_sgpr, 16
	.set _ZN12_GLOBAL__N_120softmax_warp_forwardIN3c108BFloat16ES2_fLi3ELb0ELb0ELi64EEEvPT0_PKT_iiiPKbib.num_named_barrier, 0
	.set _ZN12_GLOBAL__N_120softmax_warp_forwardIN3c108BFloat16ES2_fLi3ELb0ELb0ELi64EEEvPT0_PKT_iiiPKbib.private_seg_size, 0
	.set _ZN12_GLOBAL__N_120softmax_warp_forwardIN3c108BFloat16ES2_fLi3ELb0ELb0ELi64EEEvPT0_PKT_iiiPKbib.uses_vcc, 1
	.set _ZN12_GLOBAL__N_120softmax_warp_forwardIN3c108BFloat16ES2_fLi3ELb0ELb0ELi64EEEvPT0_PKT_iiiPKbib.uses_flat_scratch, 0
	.set _ZN12_GLOBAL__N_120softmax_warp_forwardIN3c108BFloat16ES2_fLi3ELb0ELb0ELi64EEEvPT0_PKT_iiiPKbib.has_dyn_sized_stack, 0
	.set _ZN12_GLOBAL__N_120softmax_warp_forwardIN3c108BFloat16ES2_fLi3ELb0ELb0ELi64EEEvPT0_PKT_iiiPKbib.has_recursion, 0
	.set _ZN12_GLOBAL__N_120softmax_warp_forwardIN3c108BFloat16ES2_fLi3ELb0ELb0ELi64EEEvPT0_PKT_iiiPKbib.has_indirect_call, 0
	.section	.AMDGPU.csdata,"",@progbits
; Kernel info:
; codeLenInByte = 1140
; TotalNumSgprs: 18
; NumVgprs: 14
; ScratchSize: 0
; MemoryBound: 0
; FloatMode: 240
; IeeeMode: 1
; LDSByteSize: 0 bytes/workgroup (compile time only)
; SGPRBlocks: 0
; VGPRBlocks: 1
; NumSGPRsForWavesPerEU: 18
; NumVGPRsForWavesPerEU: 14
; Occupancy: 16
; WaveLimiterHint : 0
; COMPUTE_PGM_RSRC2:SCRATCH_EN: 0
; COMPUTE_PGM_RSRC2:USER_SGPR: 6
; COMPUTE_PGM_RSRC2:TRAP_HANDLER: 0
; COMPUTE_PGM_RSRC2:TGID_X_EN: 1
; COMPUTE_PGM_RSRC2:TGID_Y_EN: 0
; COMPUTE_PGM_RSRC2:TGID_Z_EN: 0
; COMPUTE_PGM_RSRC2:TIDIG_COMP_CNT: 1
	.section	.text._ZN12_GLOBAL__N_120softmax_warp_forwardIN3c108BFloat16ES2_fLi3ELb0ELb0ELi32EEEvPT0_PKT_iiiPKbib,"axG",@progbits,_ZN12_GLOBAL__N_120softmax_warp_forwardIN3c108BFloat16ES2_fLi3ELb0ELb0ELi32EEEvPT0_PKT_iiiPKbib,comdat
	.globl	_ZN12_GLOBAL__N_120softmax_warp_forwardIN3c108BFloat16ES2_fLi3ELb0ELb0ELi32EEEvPT0_PKT_iiiPKbib ; -- Begin function _ZN12_GLOBAL__N_120softmax_warp_forwardIN3c108BFloat16ES2_fLi3ELb0ELb0ELi32EEEvPT0_PKT_iiiPKbib
	.p2align	8
	.type	_ZN12_GLOBAL__N_120softmax_warp_forwardIN3c108BFloat16ES2_fLi3ELb0ELb0ELi32EEEvPT0_PKT_iiiPKbib,@function
_ZN12_GLOBAL__N_120softmax_warp_forwardIN3c108BFloat16ES2_fLi3ELb0ELb0ELi32EEEvPT0_PKT_iiiPKbib: ; @_ZN12_GLOBAL__N_120softmax_warp_forwardIN3c108BFloat16ES2_fLi3ELb0ELb0ELi32EEEvPT0_PKT_iiiPKbib
; %bb.0:
	s_clause 0x1
	s_load_dword s0, s[4:5], 0x3c
	s_load_dwordx8 s[8:15], s[4:5], 0x0
	v_mov_b32_e32 v6, 0xff800000
	s_waitcnt lgkmcnt(0)
	s_lshr_b32 s0, s0, 16
	s_and_b32 s0, s0, 0xffff
	s_mul_i32 s6, s6, s0
	v_cmp_gt_i32_e64 s0, s14, v0
	v_add_lshl_u32 v3, s6, v1, 1
	v_mad_u64_u32 v[1:2], null, v3, s13, v[0:1]
	v_sub_nc_u32_e32 v5, s12, v3
	v_mov_b32_e32 v0, 0xff800000
	v_cmp_lt_i32_e32 vcc_lo, 0, v5
	v_ashrrev_i32_e32 v2, 31, v1
	s_and_b32 s2, s0, vcc_lo
	v_lshlrev_b64 v[1:2], 1, v[1:2]
	v_add_co_u32 v3, s1, s10, v1
	v_add_co_ci_u32_e64 v4, null, s11, v2, s1
	s_and_saveexec_b32 s1, s2
	s_cbranch_execz .LBB465_2
; %bb.1:
	global_load_ushort v0, v[3:4], off
	s_waitcnt vmcnt(0)
	v_lshlrev_b32_e32 v0, 16, v0
.LBB465_2:
	s_or_b32 exec_lo, exec_lo, s1
	v_cmp_lt_i32_e64 s1, 1, v5
	s_and_b32 s1, s0, s1
	s_and_saveexec_b32 s2, s1
	s_cbranch_execz .LBB465_4
; %bb.3:
	s_mov_b32 s15, 0
	s_lshl_b64 s[4:5], s[14:15], 1
	v_add_co_u32 v3, s1, v3, s4
	v_add_co_ci_u32_e64 v4, null, s5, v4, s1
	global_load_ushort v3, v[3:4], off
	s_waitcnt vmcnt(0)
	v_lshlrev_b32_e32 v6, 16, v3
.LBB465_4:
	s_or_b32 exec_lo, exec_lo, s2
	v_mbcnt_lo_u32_b32 v3, -1, 0
	v_and_b32_e32 v4, 24, v3
	v_xor_b32_e32 v7, 4, v3
	v_xor_b32_e32 v10, 2, v3
	;; [unrolled: 1-line block ×3, first 2 shown]
	v_add_nc_u32_e32 v4, 8, v4
	v_cmp_lt_i32_e64 s1, v7, v4
	v_cndmask_b32_e64 v7, v3, v7, s1
	v_cmp_lt_i32_e64 s1, v10, v4
	v_lshlrev_b32_e32 v8, 2, v7
	v_cndmask_b32_e64 v10, v3, v10, s1
	ds_bpermute_b32 v7, v8, v0
	ds_bpermute_b32 v9, v8, v6
	v_lshlrev_b32_e32 v10, 2, v10
	s_waitcnt lgkmcnt(1)
	v_cmp_lt_f32_e64 s1, v0, v7
	v_cndmask_b32_e64 v7, v0, v7, s1
	s_waitcnt lgkmcnt(0)
	v_cmp_lt_f32_e64 s1, v6, v9
	ds_bpermute_b32 v11, v10, v7
	v_cndmask_b32_e64 v9, v6, v9, s1
	v_cmp_lt_i32_e64 s1, v13, v4
	ds_bpermute_b32 v12, v10, v9
	v_cndmask_b32_e64 v3, v3, v13, s1
	v_lshlrev_b32_e32 v13, 2, v3
	s_waitcnt lgkmcnt(1)
	v_cmp_lt_f32_e64 s1, v7, v11
	v_cndmask_b32_e64 v3, v7, v11, s1
	s_waitcnt lgkmcnt(0)
	v_cmp_lt_f32_e64 s1, v9, v12
	ds_bpermute_b32 v7, v13, v3
	v_cndmask_b32_e64 v4, v9, v12, s1
	ds_bpermute_b32 v9, v13, v4
	s_waitcnt lgkmcnt(1)
	v_cmp_lt_f32_e64 s1, v3, v7
	v_cndmask_b32_e64 v3, v3, v7, s1
	s_waitcnt lgkmcnt(0)
	v_cmp_lt_f32_e64 s1, v4, v9
	v_sub_f32_e32 v0, v0, v3
	v_cndmask_b32_e64 v4, v4, v9, s1
	v_cmp_ngt_f32_e64 s1, 0xc2ce8ed0, v0
	v_sub_f32_e32 v3, v6, v4
	v_mul_f32_e32 v4, 0x3fb8aa3b, v0
	v_mul_f32_e32 v6, 0x3fb8aa3b, v3
	v_fma_f32 v7, 0x3fb8aa3b, v0, -v4
	v_rndne_f32_e32 v9, v4
	v_fma_f32 v11, 0x3fb8aa3b, v3, -v6
	v_rndne_f32_e32 v12, v6
	v_fmac_f32_e32 v7, 0x32a5705f, v0
	v_sub_f32_e32 v4, v4, v9
	v_fmac_f32_e32 v11, 0x32a5705f, v3
	v_sub_f32_e32 v6, v6, v12
	v_add_f32_e32 v4, v4, v7
	v_cvt_i32_f32_e32 v7, v9
	v_cvt_i32_f32_e32 v9, v12
	v_add_f32_e32 v6, v6, v11
	v_exp_f32_e32 v4, v4
	v_exp_f32_e32 v6, v6
	v_ldexp_f32 v4, v4, v7
	v_ldexp_f32 v6, v6, v9
	v_cndmask_b32_e64 v4, 0, v4, s1
	v_cmp_ngt_f32_e64 s1, 0xc2ce8ed0, v3
	v_cndmask_b32_e64 v6, 0, v6, s1
	v_cmp_nlt_f32_e64 s1, 0x42b17218, v0
	v_cndmask_b32_e64 v7, 0x7f800000, v4, s1
	v_cmp_nlt_f32_e64 s1, 0x42b17218, v3
	ds_bpermute_b32 v0, v8, v7
	v_cndmask_b32_e64 v3, 0x7f800000, v6, s1
	ds_bpermute_b32 v4, v8, v3
	s_waitcnt lgkmcnt(1)
	v_add_f32_e32 v0, v7, v0
	ds_bpermute_b32 v6, v10, v0
	s_waitcnt lgkmcnt(1)
	v_add_f32_e32 v4, v3, v4
	;; [unrolled: 3-line block ×3, first 2 shown]
	s_waitcnt lgkmcnt(0)
	v_add_f32_e32 v4, v4, v9
	ds_bpermute_b32 v9, v13, v8
	ds_bpermute_b32 v6, v13, v4
	s_and_saveexec_b32 s1, vcc_lo
	s_cbranch_execz .LBB465_13
; %bb.5:
	v_add_co_u32 v0, vcc_lo, s8, v1
	v_add_co_ci_u32_e64 v1, null, s9, v2, vcc_lo
	s_and_saveexec_b32 s1, s0
	s_cbranch_execz .LBB465_9
; %bb.6:
	s_waitcnt lgkmcnt(1)
	v_add_f32_e32 v2, v8, v9
	v_mov_b32_e32 v8, 0x7fc0
	s_mov_b32 s2, exec_lo
	v_cmpx_neq_f32_e32 0, v2
	s_cbranch_execz .LBB465_8
; %bb.7:
	v_div_scale_f32 v8, null, v2, v2, v7
	v_div_scale_f32 v11, vcc_lo, v7, v2, v7
	v_rcp_f32_e32 v9, v8
	v_fma_f32 v10, -v8, v9, 1.0
	v_fmac_f32_e32 v9, v10, v9
	v_mul_f32_e32 v10, v11, v9
	v_fma_f32 v12, -v8, v10, v11
	v_fmac_f32_e32 v10, v12, v9
	v_fma_f32 v8, -v8, v10, v11
	v_div_fmas_f32 v8, v8, v9, v10
	v_div_fixup_f32 v2, v8, v2, v7
	v_bfe_u32 v7, v2, 16, 1
	v_cmp_o_f32_e32 vcc_lo, v2, v2
	v_add3_u32 v2, v2, v7, 0x7fff
	v_mov_b32_e32 v7, 0x7fc0
	v_cndmask_b32_sdwa v8, v7, v2, vcc_lo dst_sel:DWORD dst_unused:UNUSED_PAD src0_sel:DWORD src1_sel:WORD_1
.LBB465_8:
	s_or_b32 exec_lo, exec_lo, s2
	global_store_short v[0:1], v8, off
.LBB465_9:
	s_or_b32 exec_lo, exec_lo, s1
	v_cmp_ne_u32_e32 vcc_lo, 1, v5
	s_and_b32 s0, vcc_lo, s0
	s_and_b32 exec_lo, exec_lo, s0
	s_cbranch_execz .LBB465_13
; %bb.10:
	s_waitcnt lgkmcnt(0)
	v_add_f32_e32 v2, v4, v6
	v_mov_b32_e32 v4, 0x7fc0
	s_mov_b32 s15, 0
	s_mov_b32 s0, exec_lo
	v_cmpx_neq_f32_e32 0, v2
	s_cbranch_execz .LBB465_12
; %bb.11:
	v_div_scale_f32 v4, null, v2, v2, v3
	v_div_scale_f32 v7, vcc_lo, v3, v2, v3
	v_rcp_f32_e32 v5, v4
	v_fma_f32 v6, -v4, v5, 1.0
	v_fmac_f32_e32 v5, v6, v5
	v_mul_f32_e32 v6, v7, v5
	v_fma_f32 v8, -v4, v6, v7
	v_fmac_f32_e32 v6, v8, v5
	v_fma_f32 v4, -v4, v6, v7
	v_div_fmas_f32 v4, v4, v5, v6
	v_div_fixup_f32 v2, v4, v2, v3
	v_bfe_u32 v3, v2, 16, 1
	v_cmp_o_f32_e32 vcc_lo, v2, v2
	v_add3_u32 v2, v2, v3, 0x7fff
	v_mov_b32_e32 v3, 0x7fc0
	v_cndmask_b32_sdwa v4, v3, v2, vcc_lo dst_sel:DWORD dst_unused:UNUSED_PAD src0_sel:DWORD src1_sel:WORD_1
.LBB465_12:
	s_or_b32 exec_lo, exec_lo, s0
	s_lshl_b64 s[0:1], s[14:15], 1
	v_add_co_u32 v0, vcc_lo, v0, s0
	v_add_co_ci_u32_e64 v1, null, s1, v1, vcc_lo
	global_store_short v[0:1], v4, off
.LBB465_13:
	s_endpgm
	.section	.rodata,"a",@progbits
	.p2align	6, 0x0
	.amdhsa_kernel _ZN12_GLOBAL__N_120softmax_warp_forwardIN3c108BFloat16ES2_fLi3ELb0ELb0ELi32EEEvPT0_PKT_iiiPKbib
		.amdhsa_group_segment_fixed_size 0
		.amdhsa_private_segment_fixed_size 0
		.amdhsa_kernarg_size 304
		.amdhsa_user_sgpr_count 6
		.amdhsa_user_sgpr_private_segment_buffer 1
		.amdhsa_user_sgpr_dispatch_ptr 0
		.amdhsa_user_sgpr_queue_ptr 0
		.amdhsa_user_sgpr_kernarg_segment_ptr 1
		.amdhsa_user_sgpr_dispatch_id 0
		.amdhsa_user_sgpr_flat_scratch_init 0
		.amdhsa_user_sgpr_private_segment_size 0
		.amdhsa_wavefront_size32 1
		.amdhsa_uses_dynamic_stack 0
		.amdhsa_system_sgpr_private_segment_wavefront_offset 0
		.amdhsa_system_sgpr_workgroup_id_x 1
		.amdhsa_system_sgpr_workgroup_id_y 0
		.amdhsa_system_sgpr_workgroup_id_z 0
		.amdhsa_system_sgpr_workgroup_info 0
		.amdhsa_system_vgpr_workitem_id 1
		.amdhsa_next_free_vgpr 14
		.amdhsa_next_free_sgpr 16
		.amdhsa_reserve_vcc 1
		.amdhsa_reserve_flat_scratch 0
		.amdhsa_float_round_mode_32 0
		.amdhsa_float_round_mode_16_64 0
		.amdhsa_float_denorm_mode_32 3
		.amdhsa_float_denorm_mode_16_64 3
		.amdhsa_dx10_clamp 1
		.amdhsa_ieee_mode 1
		.amdhsa_fp16_overflow 0
		.amdhsa_workgroup_processor_mode 1
		.amdhsa_memory_ordered 1
		.amdhsa_forward_progress 1
		.amdhsa_shared_vgpr_count 0
		.amdhsa_exception_fp_ieee_invalid_op 0
		.amdhsa_exception_fp_denorm_src 0
		.amdhsa_exception_fp_ieee_div_zero 0
		.amdhsa_exception_fp_ieee_overflow 0
		.amdhsa_exception_fp_ieee_underflow 0
		.amdhsa_exception_fp_ieee_inexact 0
		.amdhsa_exception_int_div_zero 0
	.end_amdhsa_kernel
	.section	.text._ZN12_GLOBAL__N_120softmax_warp_forwardIN3c108BFloat16ES2_fLi3ELb0ELb0ELi32EEEvPT0_PKT_iiiPKbib,"axG",@progbits,_ZN12_GLOBAL__N_120softmax_warp_forwardIN3c108BFloat16ES2_fLi3ELb0ELb0ELi32EEEvPT0_PKT_iiiPKbib,comdat
.Lfunc_end465:
	.size	_ZN12_GLOBAL__N_120softmax_warp_forwardIN3c108BFloat16ES2_fLi3ELb0ELb0ELi32EEEvPT0_PKT_iiiPKbib, .Lfunc_end465-_ZN12_GLOBAL__N_120softmax_warp_forwardIN3c108BFloat16ES2_fLi3ELb0ELb0ELi32EEEvPT0_PKT_iiiPKbib
                                        ; -- End function
	.set _ZN12_GLOBAL__N_120softmax_warp_forwardIN3c108BFloat16ES2_fLi3ELb0ELb0ELi32EEEvPT0_PKT_iiiPKbib.num_vgpr, 14
	.set _ZN12_GLOBAL__N_120softmax_warp_forwardIN3c108BFloat16ES2_fLi3ELb0ELb0ELi32EEEvPT0_PKT_iiiPKbib.num_agpr, 0
	.set _ZN12_GLOBAL__N_120softmax_warp_forwardIN3c108BFloat16ES2_fLi3ELb0ELb0ELi32EEEvPT0_PKT_iiiPKbib.numbered_sgpr, 16
	.set _ZN12_GLOBAL__N_120softmax_warp_forwardIN3c108BFloat16ES2_fLi3ELb0ELb0ELi32EEEvPT0_PKT_iiiPKbib.num_named_barrier, 0
	.set _ZN12_GLOBAL__N_120softmax_warp_forwardIN3c108BFloat16ES2_fLi3ELb0ELb0ELi32EEEvPT0_PKT_iiiPKbib.private_seg_size, 0
	.set _ZN12_GLOBAL__N_120softmax_warp_forwardIN3c108BFloat16ES2_fLi3ELb0ELb0ELi32EEEvPT0_PKT_iiiPKbib.uses_vcc, 1
	.set _ZN12_GLOBAL__N_120softmax_warp_forwardIN3c108BFloat16ES2_fLi3ELb0ELb0ELi32EEEvPT0_PKT_iiiPKbib.uses_flat_scratch, 0
	.set _ZN12_GLOBAL__N_120softmax_warp_forwardIN3c108BFloat16ES2_fLi3ELb0ELb0ELi32EEEvPT0_PKT_iiiPKbib.has_dyn_sized_stack, 0
	.set _ZN12_GLOBAL__N_120softmax_warp_forwardIN3c108BFloat16ES2_fLi3ELb0ELb0ELi32EEEvPT0_PKT_iiiPKbib.has_recursion, 0
	.set _ZN12_GLOBAL__N_120softmax_warp_forwardIN3c108BFloat16ES2_fLi3ELb0ELb0ELi32EEEvPT0_PKT_iiiPKbib.has_indirect_call, 0
	.section	.AMDGPU.csdata,"",@progbits
; Kernel info:
; codeLenInByte = 1140
; TotalNumSgprs: 18
; NumVgprs: 14
; ScratchSize: 0
; MemoryBound: 0
; FloatMode: 240
; IeeeMode: 1
; LDSByteSize: 0 bytes/workgroup (compile time only)
; SGPRBlocks: 0
; VGPRBlocks: 1
; NumSGPRsForWavesPerEU: 18
; NumVGPRsForWavesPerEU: 14
; Occupancy: 16
; WaveLimiterHint : 0
; COMPUTE_PGM_RSRC2:SCRATCH_EN: 0
; COMPUTE_PGM_RSRC2:USER_SGPR: 6
; COMPUTE_PGM_RSRC2:TRAP_HANDLER: 0
; COMPUTE_PGM_RSRC2:TGID_X_EN: 1
; COMPUTE_PGM_RSRC2:TGID_Y_EN: 0
; COMPUTE_PGM_RSRC2:TGID_Z_EN: 0
; COMPUTE_PGM_RSRC2:TIDIG_COMP_CNT: 1
	.section	.text._ZN12_GLOBAL__N_120softmax_warp_forwardIN3c108BFloat16ES2_fLi4ELb0ELb0ELi64EEEvPT0_PKT_iiiPKbib,"axG",@progbits,_ZN12_GLOBAL__N_120softmax_warp_forwardIN3c108BFloat16ES2_fLi4ELb0ELb0ELi64EEEvPT0_PKT_iiiPKbib,comdat
	.globl	_ZN12_GLOBAL__N_120softmax_warp_forwardIN3c108BFloat16ES2_fLi4ELb0ELb0ELi64EEEvPT0_PKT_iiiPKbib ; -- Begin function _ZN12_GLOBAL__N_120softmax_warp_forwardIN3c108BFloat16ES2_fLi4ELb0ELb0ELi64EEEvPT0_PKT_iiiPKbib
	.p2align	8
	.type	_ZN12_GLOBAL__N_120softmax_warp_forwardIN3c108BFloat16ES2_fLi4ELb0ELb0ELi64EEEvPT0_PKT_iiiPKbib,@function
_ZN12_GLOBAL__N_120softmax_warp_forwardIN3c108BFloat16ES2_fLi4ELb0ELb0ELi64EEEvPT0_PKT_iiiPKbib: ; @_ZN12_GLOBAL__N_120softmax_warp_forwardIN3c108BFloat16ES2_fLi4ELb0ELb0ELi64EEEvPT0_PKT_iiiPKbib
; %bb.0:
	s_clause 0x1
	s_load_dword s0, s[4:5], 0x3c
	s_load_dwordx8 s[8:15], s[4:5], 0x0
	v_mov_b32_e32 v6, 0xff800000
	s_waitcnt lgkmcnt(0)
	s_lshr_b32 s0, s0, 16
	s_and_b32 s0, s0, 0xffff
	s_mul_i32 s6, s6, s0
	v_cmp_gt_i32_e64 s0, s14, v0
	v_add_lshl_u32 v3, s6, v1, 1
	v_mad_u64_u32 v[1:2], null, v3, s13, v[0:1]
	v_sub_nc_u32_e32 v5, s12, v3
	v_mov_b32_e32 v0, 0xff800000
	v_cmp_lt_i32_e32 vcc_lo, 0, v5
	v_ashrrev_i32_e32 v2, 31, v1
	s_and_b32 s2, s0, vcc_lo
	v_lshlrev_b64 v[1:2], 1, v[1:2]
	v_add_co_u32 v3, s1, s10, v1
	v_add_co_ci_u32_e64 v4, null, s11, v2, s1
	s_and_saveexec_b32 s1, s2
	s_cbranch_execz .LBB466_2
; %bb.1:
	global_load_ushort v0, v[3:4], off
	s_waitcnt vmcnt(0)
	v_lshlrev_b32_e32 v0, 16, v0
.LBB466_2:
	s_or_b32 exec_lo, exec_lo, s1
	v_cmp_lt_i32_e64 s1, 1, v5
	s_and_b32 s1, s0, s1
	s_and_saveexec_b32 s2, s1
	s_cbranch_execz .LBB466_4
; %bb.3:
	s_mov_b32 s15, 0
	s_lshl_b64 s[4:5], s[14:15], 1
	v_add_co_u32 v3, s1, v3, s4
	v_add_co_ci_u32_e64 v4, null, s5, v4, s1
	global_load_ushort v3, v[3:4], off
	s_waitcnt vmcnt(0)
	v_lshlrev_b32_e32 v6, 16, v3
.LBB466_4:
	s_or_b32 exec_lo, exec_lo, s2
	v_mbcnt_lo_u32_b32 v3, -1, 0
	v_and_b32_e32 v4, 16, v3
	v_xor_b32_e32 v7, 8, v3
	v_xor_b32_e32 v10, 4, v3
	;; [unrolled: 1-line block ×4, first 2 shown]
	v_add_nc_u32_e32 v4, 16, v4
	v_cmp_lt_i32_e64 s1, v7, v4
	v_cndmask_b32_e64 v7, v3, v7, s1
	v_cmp_lt_i32_e64 s1, v10, v4
	v_lshlrev_b32_e32 v8, 2, v7
	v_cndmask_b32_e64 v10, v3, v10, s1
	ds_bpermute_b32 v7, v8, v0
	ds_bpermute_b32 v9, v8, v6
	v_lshlrev_b32_e32 v10, 2, v10
	s_waitcnt lgkmcnt(1)
	v_cmp_lt_f32_e64 s1, v0, v7
	v_cndmask_b32_e64 v7, v0, v7, s1
	s_waitcnt lgkmcnt(0)
	v_cmp_lt_f32_e64 s1, v6, v9
	ds_bpermute_b32 v11, v10, v7
	v_cndmask_b32_e64 v9, v6, v9, s1
	v_cmp_lt_i32_e64 s1, v13, v4
	ds_bpermute_b32 v12, v10, v9
	v_cndmask_b32_e64 v13, v3, v13, s1
	v_lshlrev_b32_e32 v13, 2, v13
	s_waitcnt lgkmcnt(1)
	v_cmp_lt_f32_e64 s1, v7, v11
	v_cndmask_b32_e64 v7, v7, v11, s1
	s_waitcnt lgkmcnt(0)
	v_cmp_lt_f32_e64 s1, v9, v12
	ds_bpermute_b32 v11, v13, v7
	v_cndmask_b32_e64 v9, v9, v12, s1
	v_cmp_lt_i32_e64 s1, v14, v4
	ds_bpermute_b32 v12, v13, v9
	v_cndmask_b32_e64 v3, v3, v14, s1
	v_lshlrev_b32_e32 v14, 2, v3
	s_waitcnt lgkmcnt(1)
	v_cmp_lt_f32_e64 s1, v7, v11
	v_cndmask_b32_e64 v3, v7, v11, s1
	s_waitcnt lgkmcnt(0)
	v_cmp_lt_f32_e64 s1, v9, v12
	ds_bpermute_b32 v7, v14, v3
	v_cndmask_b32_e64 v4, v9, v12, s1
	ds_bpermute_b32 v9, v14, v4
	s_waitcnt lgkmcnt(1)
	v_cmp_lt_f32_e64 s1, v3, v7
	v_cndmask_b32_e64 v3, v3, v7, s1
	s_waitcnt lgkmcnt(0)
	v_cmp_lt_f32_e64 s1, v4, v9
	v_sub_f32_e32 v0, v0, v3
	v_cndmask_b32_e64 v4, v4, v9, s1
	v_cmp_ngt_f32_e64 s1, 0xc2ce8ed0, v0
	v_sub_f32_e32 v3, v6, v4
	v_mul_f32_e32 v4, 0x3fb8aa3b, v0
	v_mul_f32_e32 v6, 0x3fb8aa3b, v3
	v_fma_f32 v7, 0x3fb8aa3b, v0, -v4
	v_rndne_f32_e32 v9, v4
	v_fma_f32 v11, 0x3fb8aa3b, v3, -v6
	v_rndne_f32_e32 v12, v6
	v_fmac_f32_e32 v7, 0x32a5705f, v0
	v_sub_f32_e32 v4, v4, v9
	v_fmac_f32_e32 v11, 0x32a5705f, v3
	v_sub_f32_e32 v6, v6, v12
	v_add_f32_e32 v4, v4, v7
	v_cvt_i32_f32_e32 v7, v9
	v_cvt_i32_f32_e32 v9, v12
	v_add_f32_e32 v6, v6, v11
	v_exp_f32_e32 v4, v4
	v_exp_f32_e32 v6, v6
	v_ldexp_f32 v4, v4, v7
	v_ldexp_f32 v6, v6, v9
	v_cndmask_b32_e64 v4, 0, v4, s1
	v_cmp_ngt_f32_e64 s1, 0xc2ce8ed0, v3
	v_cndmask_b32_e64 v6, 0, v6, s1
	v_cmp_nlt_f32_e64 s1, 0x42b17218, v0
	v_cndmask_b32_e64 v7, 0x7f800000, v4, s1
	v_cmp_nlt_f32_e64 s1, 0x42b17218, v3
	ds_bpermute_b32 v0, v8, v7
	v_cndmask_b32_e64 v3, 0x7f800000, v6, s1
	ds_bpermute_b32 v4, v8, v3
	s_waitcnt lgkmcnt(1)
	v_add_f32_e32 v0, v7, v0
	ds_bpermute_b32 v6, v10, v0
	s_waitcnt lgkmcnt(1)
	v_add_f32_e32 v4, v3, v4
	;; [unrolled: 3-line block ×5, first 2 shown]
	s_waitcnt lgkmcnt(0)
	v_add_f32_e32 v4, v4, v9
	ds_bpermute_b32 v9, v14, v8
	ds_bpermute_b32 v6, v14, v4
	s_and_saveexec_b32 s1, vcc_lo
	s_cbranch_execz .LBB466_13
; %bb.5:
	v_add_co_u32 v0, vcc_lo, s8, v1
	v_add_co_ci_u32_e64 v1, null, s9, v2, vcc_lo
	s_and_saveexec_b32 s1, s0
	s_cbranch_execz .LBB466_9
; %bb.6:
	s_waitcnt lgkmcnt(1)
	v_add_f32_e32 v2, v8, v9
	v_mov_b32_e32 v8, 0x7fc0
	s_mov_b32 s2, exec_lo
	v_cmpx_neq_f32_e32 0, v2
	s_cbranch_execz .LBB466_8
; %bb.7:
	v_div_scale_f32 v8, null, v2, v2, v7
	v_div_scale_f32 v11, vcc_lo, v7, v2, v7
	v_rcp_f32_e32 v9, v8
	v_fma_f32 v10, -v8, v9, 1.0
	v_fmac_f32_e32 v9, v10, v9
	v_mul_f32_e32 v10, v11, v9
	v_fma_f32 v12, -v8, v10, v11
	v_fmac_f32_e32 v10, v12, v9
	v_fma_f32 v8, -v8, v10, v11
	v_div_fmas_f32 v8, v8, v9, v10
	v_div_fixup_f32 v2, v8, v2, v7
	v_bfe_u32 v7, v2, 16, 1
	v_cmp_o_f32_e32 vcc_lo, v2, v2
	v_add3_u32 v2, v2, v7, 0x7fff
	v_mov_b32_e32 v7, 0x7fc0
	v_cndmask_b32_sdwa v8, v7, v2, vcc_lo dst_sel:DWORD dst_unused:UNUSED_PAD src0_sel:DWORD src1_sel:WORD_1
.LBB466_8:
	s_or_b32 exec_lo, exec_lo, s2
	global_store_short v[0:1], v8, off
.LBB466_9:
	s_or_b32 exec_lo, exec_lo, s1
	v_cmp_ne_u32_e32 vcc_lo, 1, v5
	s_and_b32 s0, vcc_lo, s0
	s_and_b32 exec_lo, exec_lo, s0
	s_cbranch_execz .LBB466_13
; %bb.10:
	s_waitcnt lgkmcnt(0)
	v_add_f32_e32 v2, v4, v6
	v_mov_b32_e32 v4, 0x7fc0
	s_mov_b32 s15, 0
	s_mov_b32 s0, exec_lo
	v_cmpx_neq_f32_e32 0, v2
	s_cbranch_execz .LBB466_12
; %bb.11:
	v_div_scale_f32 v4, null, v2, v2, v3
	v_div_scale_f32 v7, vcc_lo, v3, v2, v3
	v_rcp_f32_e32 v5, v4
	v_fma_f32 v6, -v4, v5, 1.0
	v_fmac_f32_e32 v5, v6, v5
	v_mul_f32_e32 v6, v7, v5
	v_fma_f32 v8, -v4, v6, v7
	v_fmac_f32_e32 v6, v8, v5
	v_fma_f32 v4, -v4, v6, v7
	v_div_fmas_f32 v4, v4, v5, v6
	v_div_fixup_f32 v2, v4, v2, v3
	v_bfe_u32 v3, v2, 16, 1
	v_cmp_o_f32_e32 vcc_lo, v2, v2
	v_add3_u32 v2, v2, v3, 0x7fff
	v_mov_b32_e32 v3, 0x7fc0
	v_cndmask_b32_sdwa v4, v3, v2, vcc_lo dst_sel:DWORD dst_unused:UNUSED_PAD src0_sel:DWORD src1_sel:WORD_1
.LBB466_12:
	s_or_b32 exec_lo, exec_lo, s0
	s_lshl_b64 s[0:1], s[14:15], 1
	v_add_co_u32 v0, vcc_lo, v0, s0
	v_add_co_ci_u32_e64 v1, null, s1, v1, vcc_lo
	global_store_short v[0:1], v4, off
.LBB466_13:
	s_endpgm
	.section	.rodata,"a",@progbits
	.p2align	6, 0x0
	.amdhsa_kernel _ZN12_GLOBAL__N_120softmax_warp_forwardIN3c108BFloat16ES2_fLi4ELb0ELb0ELi64EEEvPT0_PKT_iiiPKbib
		.amdhsa_group_segment_fixed_size 0
		.amdhsa_private_segment_fixed_size 0
		.amdhsa_kernarg_size 304
		.amdhsa_user_sgpr_count 6
		.amdhsa_user_sgpr_private_segment_buffer 1
		.amdhsa_user_sgpr_dispatch_ptr 0
		.amdhsa_user_sgpr_queue_ptr 0
		.amdhsa_user_sgpr_kernarg_segment_ptr 1
		.amdhsa_user_sgpr_dispatch_id 0
		.amdhsa_user_sgpr_flat_scratch_init 0
		.amdhsa_user_sgpr_private_segment_size 0
		.amdhsa_wavefront_size32 1
		.amdhsa_uses_dynamic_stack 0
		.amdhsa_system_sgpr_private_segment_wavefront_offset 0
		.amdhsa_system_sgpr_workgroup_id_x 1
		.amdhsa_system_sgpr_workgroup_id_y 0
		.amdhsa_system_sgpr_workgroup_id_z 0
		.amdhsa_system_sgpr_workgroup_info 0
		.amdhsa_system_vgpr_workitem_id 1
		.amdhsa_next_free_vgpr 15
		.amdhsa_next_free_sgpr 16
		.amdhsa_reserve_vcc 1
		.amdhsa_reserve_flat_scratch 0
		.amdhsa_float_round_mode_32 0
		.amdhsa_float_round_mode_16_64 0
		.amdhsa_float_denorm_mode_32 3
		.amdhsa_float_denorm_mode_16_64 3
		.amdhsa_dx10_clamp 1
		.amdhsa_ieee_mode 1
		.amdhsa_fp16_overflow 0
		.amdhsa_workgroup_processor_mode 1
		.amdhsa_memory_ordered 1
		.amdhsa_forward_progress 1
		.amdhsa_shared_vgpr_count 0
		.amdhsa_exception_fp_ieee_invalid_op 0
		.amdhsa_exception_fp_denorm_src 0
		.amdhsa_exception_fp_ieee_div_zero 0
		.amdhsa_exception_fp_ieee_overflow 0
		.amdhsa_exception_fp_ieee_underflow 0
		.amdhsa_exception_fp_ieee_inexact 0
		.amdhsa_exception_int_div_zero 0
	.end_amdhsa_kernel
	.section	.text._ZN12_GLOBAL__N_120softmax_warp_forwardIN3c108BFloat16ES2_fLi4ELb0ELb0ELi64EEEvPT0_PKT_iiiPKbib,"axG",@progbits,_ZN12_GLOBAL__N_120softmax_warp_forwardIN3c108BFloat16ES2_fLi4ELb0ELb0ELi64EEEvPT0_PKT_iiiPKbib,comdat
.Lfunc_end466:
	.size	_ZN12_GLOBAL__N_120softmax_warp_forwardIN3c108BFloat16ES2_fLi4ELb0ELb0ELi64EEEvPT0_PKT_iiiPKbib, .Lfunc_end466-_ZN12_GLOBAL__N_120softmax_warp_forwardIN3c108BFloat16ES2_fLi4ELb0ELb0ELi64EEEvPT0_PKT_iiiPKbib
                                        ; -- End function
	.set _ZN12_GLOBAL__N_120softmax_warp_forwardIN3c108BFloat16ES2_fLi4ELb0ELb0ELi64EEEvPT0_PKT_iiiPKbib.num_vgpr, 15
	.set _ZN12_GLOBAL__N_120softmax_warp_forwardIN3c108BFloat16ES2_fLi4ELb0ELb0ELi64EEEvPT0_PKT_iiiPKbib.num_agpr, 0
	.set _ZN12_GLOBAL__N_120softmax_warp_forwardIN3c108BFloat16ES2_fLi4ELb0ELb0ELi64EEEvPT0_PKT_iiiPKbib.numbered_sgpr, 16
	.set _ZN12_GLOBAL__N_120softmax_warp_forwardIN3c108BFloat16ES2_fLi4ELb0ELb0ELi64EEEvPT0_PKT_iiiPKbib.num_named_barrier, 0
	.set _ZN12_GLOBAL__N_120softmax_warp_forwardIN3c108BFloat16ES2_fLi4ELb0ELb0ELi64EEEvPT0_PKT_iiiPKbib.private_seg_size, 0
	.set _ZN12_GLOBAL__N_120softmax_warp_forwardIN3c108BFloat16ES2_fLi4ELb0ELb0ELi64EEEvPT0_PKT_iiiPKbib.uses_vcc, 1
	.set _ZN12_GLOBAL__N_120softmax_warp_forwardIN3c108BFloat16ES2_fLi4ELb0ELb0ELi64EEEvPT0_PKT_iiiPKbib.uses_flat_scratch, 0
	.set _ZN12_GLOBAL__N_120softmax_warp_forwardIN3c108BFloat16ES2_fLi4ELb0ELb0ELi64EEEvPT0_PKT_iiiPKbib.has_dyn_sized_stack, 0
	.set _ZN12_GLOBAL__N_120softmax_warp_forwardIN3c108BFloat16ES2_fLi4ELb0ELb0ELi64EEEvPT0_PKT_iiiPKbib.has_recursion, 0
	.set _ZN12_GLOBAL__N_120softmax_warp_forwardIN3c108BFloat16ES2_fLi4ELb0ELb0ELi64EEEvPT0_PKT_iiiPKbib.has_indirect_call, 0
	.section	.AMDGPU.csdata,"",@progbits
; Kernel info:
; codeLenInByte = 1252
; TotalNumSgprs: 18
; NumVgprs: 15
; ScratchSize: 0
; MemoryBound: 0
; FloatMode: 240
; IeeeMode: 1
; LDSByteSize: 0 bytes/workgroup (compile time only)
; SGPRBlocks: 0
; VGPRBlocks: 1
; NumSGPRsForWavesPerEU: 18
; NumVGPRsForWavesPerEU: 15
; Occupancy: 16
; WaveLimiterHint : 0
; COMPUTE_PGM_RSRC2:SCRATCH_EN: 0
; COMPUTE_PGM_RSRC2:USER_SGPR: 6
; COMPUTE_PGM_RSRC2:TRAP_HANDLER: 0
; COMPUTE_PGM_RSRC2:TGID_X_EN: 1
; COMPUTE_PGM_RSRC2:TGID_Y_EN: 0
; COMPUTE_PGM_RSRC2:TGID_Z_EN: 0
; COMPUTE_PGM_RSRC2:TIDIG_COMP_CNT: 1
	.section	.text._ZN12_GLOBAL__N_120softmax_warp_forwardIN3c108BFloat16ES2_fLi4ELb0ELb0ELi32EEEvPT0_PKT_iiiPKbib,"axG",@progbits,_ZN12_GLOBAL__N_120softmax_warp_forwardIN3c108BFloat16ES2_fLi4ELb0ELb0ELi32EEEvPT0_PKT_iiiPKbib,comdat
	.globl	_ZN12_GLOBAL__N_120softmax_warp_forwardIN3c108BFloat16ES2_fLi4ELb0ELb0ELi32EEEvPT0_PKT_iiiPKbib ; -- Begin function _ZN12_GLOBAL__N_120softmax_warp_forwardIN3c108BFloat16ES2_fLi4ELb0ELb0ELi32EEEvPT0_PKT_iiiPKbib
	.p2align	8
	.type	_ZN12_GLOBAL__N_120softmax_warp_forwardIN3c108BFloat16ES2_fLi4ELb0ELb0ELi32EEEvPT0_PKT_iiiPKbib,@function
_ZN12_GLOBAL__N_120softmax_warp_forwardIN3c108BFloat16ES2_fLi4ELb0ELb0ELi32EEEvPT0_PKT_iiiPKbib: ; @_ZN12_GLOBAL__N_120softmax_warp_forwardIN3c108BFloat16ES2_fLi4ELb0ELb0ELi32EEEvPT0_PKT_iiiPKbib
; %bb.0:
	s_clause 0x1
	s_load_dword s0, s[4:5], 0x3c
	s_load_dwordx8 s[8:15], s[4:5], 0x0
	v_mov_b32_e32 v6, 0xff800000
	s_waitcnt lgkmcnt(0)
	s_lshr_b32 s0, s0, 16
	s_and_b32 s0, s0, 0xffff
	s_mul_i32 s6, s6, s0
	v_cmp_gt_i32_e64 s0, s14, v0
	v_add_lshl_u32 v3, s6, v1, 1
	v_mad_u64_u32 v[1:2], null, v3, s13, v[0:1]
	v_sub_nc_u32_e32 v5, s12, v3
	v_mov_b32_e32 v0, 0xff800000
	v_cmp_lt_i32_e32 vcc_lo, 0, v5
	v_ashrrev_i32_e32 v2, 31, v1
	s_and_b32 s2, s0, vcc_lo
	v_lshlrev_b64 v[1:2], 1, v[1:2]
	v_add_co_u32 v3, s1, s10, v1
	v_add_co_ci_u32_e64 v4, null, s11, v2, s1
	s_and_saveexec_b32 s1, s2
	s_cbranch_execz .LBB467_2
; %bb.1:
	global_load_ushort v0, v[3:4], off
	s_waitcnt vmcnt(0)
	v_lshlrev_b32_e32 v0, 16, v0
.LBB467_2:
	s_or_b32 exec_lo, exec_lo, s1
	v_cmp_lt_i32_e64 s1, 1, v5
	s_and_b32 s1, s0, s1
	s_and_saveexec_b32 s2, s1
	s_cbranch_execz .LBB467_4
; %bb.3:
	s_mov_b32 s15, 0
	s_lshl_b64 s[4:5], s[14:15], 1
	v_add_co_u32 v3, s1, v3, s4
	v_add_co_ci_u32_e64 v4, null, s5, v4, s1
	global_load_ushort v3, v[3:4], off
	s_waitcnt vmcnt(0)
	v_lshlrev_b32_e32 v6, 16, v3
.LBB467_4:
	s_or_b32 exec_lo, exec_lo, s2
	v_mbcnt_lo_u32_b32 v3, -1, 0
	v_and_b32_e32 v4, 16, v3
	v_xor_b32_e32 v7, 8, v3
	v_xor_b32_e32 v10, 4, v3
	;; [unrolled: 1-line block ×4, first 2 shown]
	v_add_nc_u32_e32 v4, 16, v4
	v_cmp_lt_i32_e64 s1, v7, v4
	v_cndmask_b32_e64 v7, v3, v7, s1
	v_cmp_lt_i32_e64 s1, v10, v4
	v_lshlrev_b32_e32 v8, 2, v7
	v_cndmask_b32_e64 v10, v3, v10, s1
	ds_bpermute_b32 v7, v8, v0
	ds_bpermute_b32 v9, v8, v6
	v_lshlrev_b32_e32 v10, 2, v10
	s_waitcnt lgkmcnt(1)
	v_cmp_lt_f32_e64 s1, v0, v7
	v_cndmask_b32_e64 v7, v0, v7, s1
	s_waitcnt lgkmcnt(0)
	v_cmp_lt_f32_e64 s1, v6, v9
	ds_bpermute_b32 v11, v10, v7
	v_cndmask_b32_e64 v9, v6, v9, s1
	v_cmp_lt_i32_e64 s1, v13, v4
	ds_bpermute_b32 v12, v10, v9
	v_cndmask_b32_e64 v13, v3, v13, s1
	v_lshlrev_b32_e32 v13, 2, v13
	s_waitcnt lgkmcnt(1)
	v_cmp_lt_f32_e64 s1, v7, v11
	v_cndmask_b32_e64 v7, v7, v11, s1
	s_waitcnt lgkmcnt(0)
	v_cmp_lt_f32_e64 s1, v9, v12
	ds_bpermute_b32 v11, v13, v7
	v_cndmask_b32_e64 v9, v9, v12, s1
	v_cmp_lt_i32_e64 s1, v14, v4
	ds_bpermute_b32 v12, v13, v9
	v_cndmask_b32_e64 v3, v3, v14, s1
	v_lshlrev_b32_e32 v14, 2, v3
	s_waitcnt lgkmcnt(1)
	v_cmp_lt_f32_e64 s1, v7, v11
	v_cndmask_b32_e64 v3, v7, v11, s1
	s_waitcnt lgkmcnt(0)
	v_cmp_lt_f32_e64 s1, v9, v12
	ds_bpermute_b32 v7, v14, v3
	v_cndmask_b32_e64 v4, v9, v12, s1
	ds_bpermute_b32 v9, v14, v4
	s_waitcnt lgkmcnt(1)
	v_cmp_lt_f32_e64 s1, v3, v7
	v_cndmask_b32_e64 v3, v3, v7, s1
	s_waitcnt lgkmcnt(0)
	v_cmp_lt_f32_e64 s1, v4, v9
	v_sub_f32_e32 v0, v0, v3
	v_cndmask_b32_e64 v4, v4, v9, s1
	v_cmp_ngt_f32_e64 s1, 0xc2ce8ed0, v0
	v_sub_f32_e32 v3, v6, v4
	v_mul_f32_e32 v4, 0x3fb8aa3b, v0
	v_mul_f32_e32 v6, 0x3fb8aa3b, v3
	v_fma_f32 v7, 0x3fb8aa3b, v0, -v4
	v_rndne_f32_e32 v9, v4
	v_fma_f32 v11, 0x3fb8aa3b, v3, -v6
	v_rndne_f32_e32 v12, v6
	v_fmac_f32_e32 v7, 0x32a5705f, v0
	v_sub_f32_e32 v4, v4, v9
	v_fmac_f32_e32 v11, 0x32a5705f, v3
	v_sub_f32_e32 v6, v6, v12
	v_add_f32_e32 v4, v4, v7
	v_cvt_i32_f32_e32 v7, v9
	v_cvt_i32_f32_e32 v9, v12
	v_add_f32_e32 v6, v6, v11
	v_exp_f32_e32 v4, v4
	v_exp_f32_e32 v6, v6
	v_ldexp_f32 v4, v4, v7
	v_ldexp_f32 v6, v6, v9
	v_cndmask_b32_e64 v4, 0, v4, s1
	v_cmp_ngt_f32_e64 s1, 0xc2ce8ed0, v3
	v_cndmask_b32_e64 v6, 0, v6, s1
	v_cmp_nlt_f32_e64 s1, 0x42b17218, v0
	v_cndmask_b32_e64 v7, 0x7f800000, v4, s1
	v_cmp_nlt_f32_e64 s1, 0x42b17218, v3
	ds_bpermute_b32 v0, v8, v7
	v_cndmask_b32_e64 v3, 0x7f800000, v6, s1
	ds_bpermute_b32 v4, v8, v3
	s_waitcnt lgkmcnt(1)
	v_add_f32_e32 v0, v7, v0
	ds_bpermute_b32 v6, v10, v0
	s_waitcnt lgkmcnt(1)
	v_add_f32_e32 v4, v3, v4
	;; [unrolled: 3-line block ×5, first 2 shown]
	s_waitcnt lgkmcnt(0)
	v_add_f32_e32 v4, v4, v9
	ds_bpermute_b32 v9, v14, v8
	ds_bpermute_b32 v6, v14, v4
	s_and_saveexec_b32 s1, vcc_lo
	s_cbranch_execz .LBB467_13
; %bb.5:
	v_add_co_u32 v0, vcc_lo, s8, v1
	v_add_co_ci_u32_e64 v1, null, s9, v2, vcc_lo
	s_and_saveexec_b32 s1, s0
	s_cbranch_execz .LBB467_9
; %bb.6:
	s_waitcnt lgkmcnt(1)
	v_add_f32_e32 v2, v8, v9
	v_mov_b32_e32 v8, 0x7fc0
	s_mov_b32 s2, exec_lo
	v_cmpx_neq_f32_e32 0, v2
	s_cbranch_execz .LBB467_8
; %bb.7:
	v_div_scale_f32 v8, null, v2, v2, v7
	v_div_scale_f32 v11, vcc_lo, v7, v2, v7
	v_rcp_f32_e32 v9, v8
	v_fma_f32 v10, -v8, v9, 1.0
	v_fmac_f32_e32 v9, v10, v9
	v_mul_f32_e32 v10, v11, v9
	v_fma_f32 v12, -v8, v10, v11
	v_fmac_f32_e32 v10, v12, v9
	v_fma_f32 v8, -v8, v10, v11
	v_div_fmas_f32 v8, v8, v9, v10
	v_div_fixup_f32 v2, v8, v2, v7
	v_bfe_u32 v7, v2, 16, 1
	v_cmp_o_f32_e32 vcc_lo, v2, v2
	v_add3_u32 v2, v2, v7, 0x7fff
	v_mov_b32_e32 v7, 0x7fc0
	v_cndmask_b32_sdwa v8, v7, v2, vcc_lo dst_sel:DWORD dst_unused:UNUSED_PAD src0_sel:DWORD src1_sel:WORD_1
.LBB467_8:
	s_or_b32 exec_lo, exec_lo, s2
	global_store_short v[0:1], v8, off
.LBB467_9:
	s_or_b32 exec_lo, exec_lo, s1
	v_cmp_ne_u32_e32 vcc_lo, 1, v5
	s_and_b32 s0, vcc_lo, s0
	s_and_b32 exec_lo, exec_lo, s0
	s_cbranch_execz .LBB467_13
; %bb.10:
	s_waitcnt lgkmcnt(0)
	v_add_f32_e32 v2, v4, v6
	v_mov_b32_e32 v4, 0x7fc0
	s_mov_b32 s15, 0
	s_mov_b32 s0, exec_lo
	v_cmpx_neq_f32_e32 0, v2
	s_cbranch_execz .LBB467_12
; %bb.11:
	v_div_scale_f32 v4, null, v2, v2, v3
	v_div_scale_f32 v7, vcc_lo, v3, v2, v3
	v_rcp_f32_e32 v5, v4
	v_fma_f32 v6, -v4, v5, 1.0
	v_fmac_f32_e32 v5, v6, v5
	v_mul_f32_e32 v6, v7, v5
	v_fma_f32 v8, -v4, v6, v7
	v_fmac_f32_e32 v6, v8, v5
	v_fma_f32 v4, -v4, v6, v7
	v_div_fmas_f32 v4, v4, v5, v6
	v_div_fixup_f32 v2, v4, v2, v3
	v_bfe_u32 v3, v2, 16, 1
	v_cmp_o_f32_e32 vcc_lo, v2, v2
	v_add3_u32 v2, v2, v3, 0x7fff
	v_mov_b32_e32 v3, 0x7fc0
	v_cndmask_b32_sdwa v4, v3, v2, vcc_lo dst_sel:DWORD dst_unused:UNUSED_PAD src0_sel:DWORD src1_sel:WORD_1
.LBB467_12:
	s_or_b32 exec_lo, exec_lo, s0
	s_lshl_b64 s[0:1], s[14:15], 1
	v_add_co_u32 v0, vcc_lo, v0, s0
	v_add_co_ci_u32_e64 v1, null, s1, v1, vcc_lo
	global_store_short v[0:1], v4, off
.LBB467_13:
	s_endpgm
	.section	.rodata,"a",@progbits
	.p2align	6, 0x0
	.amdhsa_kernel _ZN12_GLOBAL__N_120softmax_warp_forwardIN3c108BFloat16ES2_fLi4ELb0ELb0ELi32EEEvPT0_PKT_iiiPKbib
		.amdhsa_group_segment_fixed_size 0
		.amdhsa_private_segment_fixed_size 0
		.amdhsa_kernarg_size 304
		.amdhsa_user_sgpr_count 6
		.amdhsa_user_sgpr_private_segment_buffer 1
		.amdhsa_user_sgpr_dispatch_ptr 0
		.amdhsa_user_sgpr_queue_ptr 0
		.amdhsa_user_sgpr_kernarg_segment_ptr 1
		.amdhsa_user_sgpr_dispatch_id 0
		.amdhsa_user_sgpr_flat_scratch_init 0
		.amdhsa_user_sgpr_private_segment_size 0
		.amdhsa_wavefront_size32 1
		.amdhsa_uses_dynamic_stack 0
		.amdhsa_system_sgpr_private_segment_wavefront_offset 0
		.amdhsa_system_sgpr_workgroup_id_x 1
		.amdhsa_system_sgpr_workgroup_id_y 0
		.amdhsa_system_sgpr_workgroup_id_z 0
		.amdhsa_system_sgpr_workgroup_info 0
		.amdhsa_system_vgpr_workitem_id 1
		.amdhsa_next_free_vgpr 15
		.amdhsa_next_free_sgpr 16
		.amdhsa_reserve_vcc 1
		.amdhsa_reserve_flat_scratch 0
		.amdhsa_float_round_mode_32 0
		.amdhsa_float_round_mode_16_64 0
		.amdhsa_float_denorm_mode_32 3
		.amdhsa_float_denorm_mode_16_64 3
		.amdhsa_dx10_clamp 1
		.amdhsa_ieee_mode 1
		.amdhsa_fp16_overflow 0
		.amdhsa_workgroup_processor_mode 1
		.amdhsa_memory_ordered 1
		.amdhsa_forward_progress 1
		.amdhsa_shared_vgpr_count 0
		.amdhsa_exception_fp_ieee_invalid_op 0
		.amdhsa_exception_fp_denorm_src 0
		.amdhsa_exception_fp_ieee_div_zero 0
		.amdhsa_exception_fp_ieee_overflow 0
		.amdhsa_exception_fp_ieee_underflow 0
		.amdhsa_exception_fp_ieee_inexact 0
		.amdhsa_exception_int_div_zero 0
	.end_amdhsa_kernel
	.section	.text._ZN12_GLOBAL__N_120softmax_warp_forwardIN3c108BFloat16ES2_fLi4ELb0ELb0ELi32EEEvPT0_PKT_iiiPKbib,"axG",@progbits,_ZN12_GLOBAL__N_120softmax_warp_forwardIN3c108BFloat16ES2_fLi4ELb0ELb0ELi32EEEvPT0_PKT_iiiPKbib,comdat
.Lfunc_end467:
	.size	_ZN12_GLOBAL__N_120softmax_warp_forwardIN3c108BFloat16ES2_fLi4ELb0ELb0ELi32EEEvPT0_PKT_iiiPKbib, .Lfunc_end467-_ZN12_GLOBAL__N_120softmax_warp_forwardIN3c108BFloat16ES2_fLi4ELb0ELb0ELi32EEEvPT0_PKT_iiiPKbib
                                        ; -- End function
	.set _ZN12_GLOBAL__N_120softmax_warp_forwardIN3c108BFloat16ES2_fLi4ELb0ELb0ELi32EEEvPT0_PKT_iiiPKbib.num_vgpr, 15
	.set _ZN12_GLOBAL__N_120softmax_warp_forwardIN3c108BFloat16ES2_fLi4ELb0ELb0ELi32EEEvPT0_PKT_iiiPKbib.num_agpr, 0
	.set _ZN12_GLOBAL__N_120softmax_warp_forwardIN3c108BFloat16ES2_fLi4ELb0ELb0ELi32EEEvPT0_PKT_iiiPKbib.numbered_sgpr, 16
	.set _ZN12_GLOBAL__N_120softmax_warp_forwardIN3c108BFloat16ES2_fLi4ELb0ELb0ELi32EEEvPT0_PKT_iiiPKbib.num_named_barrier, 0
	.set _ZN12_GLOBAL__N_120softmax_warp_forwardIN3c108BFloat16ES2_fLi4ELb0ELb0ELi32EEEvPT0_PKT_iiiPKbib.private_seg_size, 0
	.set _ZN12_GLOBAL__N_120softmax_warp_forwardIN3c108BFloat16ES2_fLi4ELb0ELb0ELi32EEEvPT0_PKT_iiiPKbib.uses_vcc, 1
	.set _ZN12_GLOBAL__N_120softmax_warp_forwardIN3c108BFloat16ES2_fLi4ELb0ELb0ELi32EEEvPT0_PKT_iiiPKbib.uses_flat_scratch, 0
	.set _ZN12_GLOBAL__N_120softmax_warp_forwardIN3c108BFloat16ES2_fLi4ELb0ELb0ELi32EEEvPT0_PKT_iiiPKbib.has_dyn_sized_stack, 0
	.set _ZN12_GLOBAL__N_120softmax_warp_forwardIN3c108BFloat16ES2_fLi4ELb0ELb0ELi32EEEvPT0_PKT_iiiPKbib.has_recursion, 0
	.set _ZN12_GLOBAL__N_120softmax_warp_forwardIN3c108BFloat16ES2_fLi4ELb0ELb0ELi32EEEvPT0_PKT_iiiPKbib.has_indirect_call, 0
	.section	.AMDGPU.csdata,"",@progbits
; Kernel info:
; codeLenInByte = 1252
; TotalNumSgprs: 18
; NumVgprs: 15
; ScratchSize: 0
; MemoryBound: 0
; FloatMode: 240
; IeeeMode: 1
; LDSByteSize: 0 bytes/workgroup (compile time only)
; SGPRBlocks: 0
; VGPRBlocks: 1
; NumSGPRsForWavesPerEU: 18
; NumVGPRsForWavesPerEU: 15
; Occupancy: 16
; WaveLimiterHint : 0
; COMPUTE_PGM_RSRC2:SCRATCH_EN: 0
; COMPUTE_PGM_RSRC2:USER_SGPR: 6
; COMPUTE_PGM_RSRC2:TRAP_HANDLER: 0
; COMPUTE_PGM_RSRC2:TGID_X_EN: 1
; COMPUTE_PGM_RSRC2:TGID_Y_EN: 0
; COMPUTE_PGM_RSRC2:TGID_Z_EN: 0
; COMPUTE_PGM_RSRC2:TIDIG_COMP_CNT: 1
	.section	.text._ZN12_GLOBAL__N_120softmax_warp_forwardIN3c108BFloat16ES2_fLi5ELb0ELb0ELi64EEEvPT0_PKT_iiiPKbib,"axG",@progbits,_ZN12_GLOBAL__N_120softmax_warp_forwardIN3c108BFloat16ES2_fLi5ELb0ELb0ELi64EEEvPT0_PKT_iiiPKbib,comdat
	.globl	_ZN12_GLOBAL__N_120softmax_warp_forwardIN3c108BFloat16ES2_fLi5ELb0ELb0ELi64EEEvPT0_PKT_iiiPKbib ; -- Begin function _ZN12_GLOBAL__N_120softmax_warp_forwardIN3c108BFloat16ES2_fLi5ELb0ELb0ELi64EEEvPT0_PKT_iiiPKbib
	.p2align	8
	.type	_ZN12_GLOBAL__N_120softmax_warp_forwardIN3c108BFloat16ES2_fLi5ELb0ELb0ELi64EEEvPT0_PKT_iiiPKbib,@function
_ZN12_GLOBAL__N_120softmax_warp_forwardIN3c108BFloat16ES2_fLi5ELb0ELb0ELi64EEEvPT0_PKT_iiiPKbib: ; @_ZN12_GLOBAL__N_120softmax_warp_forwardIN3c108BFloat16ES2_fLi5ELb0ELb0ELi64EEEvPT0_PKT_iiiPKbib
; %bb.0:
	s_clause 0x1
	s_load_dword s0, s[4:5], 0x3c
	s_load_dwordx8 s[8:15], s[4:5], 0x0
	v_mov_b32_e32 v6, 0xff800000
	s_waitcnt lgkmcnt(0)
	s_lshr_b32 s0, s0, 16
	s_and_b32 s0, s0, 0xffff
	s_mul_i32 s6, s6, s0
	v_cmp_gt_i32_e64 s0, s14, v0
	v_add_lshl_u32 v3, s6, v1, 1
	v_mad_u64_u32 v[1:2], null, v3, s13, v[0:1]
	v_sub_nc_u32_e32 v5, s12, v3
	v_mov_b32_e32 v0, 0xff800000
	v_cmp_lt_i32_e32 vcc_lo, 0, v5
	v_ashrrev_i32_e32 v2, 31, v1
	s_and_b32 s2, s0, vcc_lo
	v_lshlrev_b64 v[1:2], 1, v[1:2]
	v_add_co_u32 v3, s1, s10, v1
	v_add_co_ci_u32_e64 v4, null, s11, v2, s1
	s_and_saveexec_b32 s1, s2
	s_cbranch_execz .LBB468_2
; %bb.1:
	global_load_ushort v0, v[3:4], off
	s_waitcnt vmcnt(0)
	v_lshlrev_b32_e32 v0, 16, v0
.LBB468_2:
	s_or_b32 exec_lo, exec_lo, s1
	v_cmp_lt_i32_e64 s1, 1, v5
	s_and_b32 s1, s0, s1
	s_and_saveexec_b32 s2, s1
	s_cbranch_execz .LBB468_4
; %bb.3:
	s_mov_b32 s15, 0
	s_lshl_b64 s[4:5], s[14:15], 1
	v_add_co_u32 v3, s1, v3, s4
	v_add_co_ci_u32_e64 v4, null, s5, v4, s1
	global_load_ushort v3, v[3:4], off
	s_waitcnt vmcnt(0)
	v_lshlrev_b32_e32 v6, 16, v3
.LBB468_4:
	s_or_b32 exec_lo, exec_lo, s2
	v_mbcnt_lo_u32_b32 v3, -1, 0
	v_xor_b32_e32 v4, 16, v3
	v_xor_b32_e32 v9, 8, v3
	;; [unrolled: 1-line block ×5, first 2 shown]
	v_cmp_gt_i32_e64 s1, 32, v4
	v_cndmask_b32_e64 v4, v3, v4, s1
	v_cmp_gt_i32_e64 s1, 32, v9
	v_lshlrev_b32_e32 v4, 2, v4
	v_cndmask_b32_e64 v9, v3, v9, s1
	ds_bpermute_b32 v7, v4, v0
	ds_bpermute_b32 v8, v4, v6
	v_lshlrev_b32_e32 v9, 2, v9
	s_waitcnt lgkmcnt(1)
	v_cmp_lt_f32_e64 s1, v0, v7
	v_cndmask_b32_e64 v7, v0, v7, s1
	s_waitcnt lgkmcnt(0)
	v_cmp_lt_f32_e64 s1, v6, v8
	ds_bpermute_b32 v10, v9, v7
	v_cndmask_b32_e64 v8, v6, v8, s1
	v_cmp_gt_i32_e64 s1, 32, v12
	ds_bpermute_b32 v11, v9, v8
	v_cndmask_b32_e64 v12, v3, v12, s1
	v_lshlrev_b32_e32 v12, 2, v12
	s_waitcnt lgkmcnt(1)
	v_cmp_lt_f32_e64 s1, v7, v10
	v_cndmask_b32_e64 v7, v7, v10, s1
	s_waitcnt lgkmcnt(0)
	v_cmp_lt_f32_e64 s1, v8, v11
	ds_bpermute_b32 v10, v12, v7
	v_cndmask_b32_e64 v8, v8, v11, s1
	v_cmp_gt_i32_e64 s1, 32, v13
	ds_bpermute_b32 v11, v12, v8
	v_cndmask_b32_e64 v13, v3, v13, s1
	;; [unrolled: 11-line block ×3, first 2 shown]
	v_lshlrev_b32_e32 v14, 2, v3
	s_waitcnt lgkmcnt(1)
	v_cmp_lt_f32_e64 s1, v7, v10
	v_cndmask_b32_e64 v3, v7, v10, s1
	s_waitcnt lgkmcnt(0)
	v_cmp_lt_f32_e64 s1, v8, v11
	v_cndmask_b32_e64 v7, v8, v11, s1
	ds_bpermute_b32 v8, v14, v3
	ds_bpermute_b32 v10, v14, v7
	s_waitcnt lgkmcnt(1)
	v_cmp_lt_f32_e64 s1, v3, v8
	v_cndmask_b32_e64 v3, v3, v8, s1
	s_waitcnt lgkmcnt(0)
	v_cmp_lt_f32_e64 s1, v7, v10
	v_sub_f32_e32 v0, v0, v3
	v_cndmask_b32_e64 v7, v7, v10, s1
	v_cmp_ngt_f32_e64 s1, 0xc2ce8ed0, v0
	v_sub_f32_e32 v3, v6, v7
	v_mul_f32_e32 v6, 0x3fb8aa3b, v0
	v_mul_f32_e32 v7, 0x3fb8aa3b, v3
	v_fma_f32 v8, 0x3fb8aa3b, v0, -v6
	v_rndne_f32_e32 v10, v6
	v_fma_f32 v11, 0x3fb8aa3b, v3, -v7
	v_rndne_f32_e32 v15, v7
	v_fmac_f32_e32 v8, 0x32a5705f, v0
	v_sub_f32_e32 v6, v6, v10
	v_fmac_f32_e32 v11, 0x32a5705f, v3
	v_sub_f32_e32 v7, v7, v15
	v_add_f32_e32 v6, v6, v8
	v_cvt_i32_f32_e32 v8, v10
	v_cvt_i32_f32_e32 v10, v15
	v_add_f32_e32 v7, v7, v11
	v_exp_f32_e32 v6, v6
	v_exp_f32_e32 v7, v7
	v_ldexp_f32 v6, v6, v8
	v_ldexp_f32 v7, v7, v10
	v_cndmask_b32_e64 v6, 0, v6, s1
	v_cmp_ngt_f32_e64 s1, 0xc2ce8ed0, v3
	v_cndmask_b32_e64 v8, 0, v7, s1
	v_cmp_nlt_f32_e64 s1, 0x42b17218, v0
	v_cndmask_b32_e64 v7, 0x7f800000, v6, s1
	v_cmp_nlt_f32_e64 s1, 0x42b17218, v3
	ds_bpermute_b32 v0, v4, v7
	v_cndmask_b32_e64 v3, 0x7f800000, v8, s1
	ds_bpermute_b32 v4, v4, v3
	s_waitcnt lgkmcnt(1)
	v_add_f32_e32 v0, v7, v0
	ds_bpermute_b32 v6, v9, v0
	s_waitcnt lgkmcnt(1)
	v_add_f32_e32 v4, v3, v4
	;; [unrolled: 3-line block ×7, first 2 shown]
	s_waitcnt lgkmcnt(0)
	v_add_f32_e32 v4, v4, v9
	ds_bpermute_b32 v9, v14, v8
	ds_bpermute_b32 v6, v14, v4
	s_and_saveexec_b32 s1, vcc_lo
	s_cbranch_execz .LBB468_13
; %bb.5:
	v_add_co_u32 v0, vcc_lo, s8, v1
	v_add_co_ci_u32_e64 v1, null, s9, v2, vcc_lo
	s_and_saveexec_b32 s1, s0
	s_cbranch_execz .LBB468_9
; %bb.6:
	s_waitcnt lgkmcnt(1)
	v_add_f32_e32 v2, v8, v9
	v_mov_b32_e32 v8, 0x7fc0
	s_mov_b32 s2, exec_lo
	v_cmpx_neq_f32_e32 0, v2
	s_cbranch_execz .LBB468_8
; %bb.7:
	v_div_scale_f32 v8, null, v2, v2, v7
	v_div_scale_f32 v11, vcc_lo, v7, v2, v7
	v_rcp_f32_e32 v9, v8
	v_fma_f32 v10, -v8, v9, 1.0
	v_fmac_f32_e32 v9, v10, v9
	v_mul_f32_e32 v10, v11, v9
	v_fma_f32 v12, -v8, v10, v11
	v_fmac_f32_e32 v10, v12, v9
	v_fma_f32 v8, -v8, v10, v11
	v_div_fmas_f32 v8, v8, v9, v10
	v_div_fixup_f32 v2, v8, v2, v7
	v_bfe_u32 v7, v2, 16, 1
	v_cmp_o_f32_e32 vcc_lo, v2, v2
	v_add3_u32 v2, v2, v7, 0x7fff
	v_mov_b32_e32 v7, 0x7fc0
	v_cndmask_b32_sdwa v8, v7, v2, vcc_lo dst_sel:DWORD dst_unused:UNUSED_PAD src0_sel:DWORD src1_sel:WORD_1
.LBB468_8:
	s_or_b32 exec_lo, exec_lo, s2
	global_store_short v[0:1], v8, off
.LBB468_9:
	s_or_b32 exec_lo, exec_lo, s1
	v_cmp_ne_u32_e32 vcc_lo, 1, v5
	s_and_b32 s0, vcc_lo, s0
	s_and_b32 exec_lo, exec_lo, s0
	s_cbranch_execz .LBB468_13
; %bb.10:
	s_waitcnt lgkmcnt(0)
	v_add_f32_e32 v2, v4, v6
	v_mov_b32_e32 v4, 0x7fc0
	s_mov_b32 s15, 0
	s_mov_b32 s0, exec_lo
	v_cmpx_neq_f32_e32 0, v2
	s_cbranch_execz .LBB468_12
; %bb.11:
	v_div_scale_f32 v4, null, v2, v2, v3
	v_div_scale_f32 v7, vcc_lo, v3, v2, v3
	v_rcp_f32_e32 v5, v4
	v_fma_f32 v6, -v4, v5, 1.0
	v_fmac_f32_e32 v5, v6, v5
	v_mul_f32_e32 v6, v7, v5
	v_fma_f32 v8, -v4, v6, v7
	v_fmac_f32_e32 v6, v8, v5
	v_fma_f32 v4, -v4, v6, v7
	v_div_fmas_f32 v4, v4, v5, v6
	v_div_fixup_f32 v2, v4, v2, v3
	v_bfe_u32 v3, v2, 16, 1
	v_cmp_o_f32_e32 vcc_lo, v2, v2
	v_add3_u32 v2, v2, v3, 0x7fff
	v_mov_b32_e32 v3, 0x7fc0
	v_cndmask_b32_sdwa v4, v3, v2, vcc_lo dst_sel:DWORD dst_unused:UNUSED_PAD src0_sel:DWORD src1_sel:WORD_1
.LBB468_12:
	s_or_b32 exec_lo, exec_lo, s0
	s_lshl_b64 s[0:1], s[14:15], 1
	v_add_co_u32 v0, vcc_lo, v0, s0
	v_add_co_ci_u32_e64 v1, null, s1, v1, vcc_lo
	global_store_short v[0:1], v4, off
.LBB468_13:
	s_endpgm
	.section	.rodata,"a",@progbits
	.p2align	6, 0x0
	.amdhsa_kernel _ZN12_GLOBAL__N_120softmax_warp_forwardIN3c108BFloat16ES2_fLi5ELb0ELb0ELi64EEEvPT0_PKT_iiiPKbib
		.amdhsa_group_segment_fixed_size 0
		.amdhsa_private_segment_fixed_size 0
		.amdhsa_kernarg_size 304
		.amdhsa_user_sgpr_count 6
		.amdhsa_user_sgpr_private_segment_buffer 1
		.amdhsa_user_sgpr_dispatch_ptr 0
		.amdhsa_user_sgpr_queue_ptr 0
		.amdhsa_user_sgpr_kernarg_segment_ptr 1
		.amdhsa_user_sgpr_dispatch_id 0
		.amdhsa_user_sgpr_flat_scratch_init 0
		.amdhsa_user_sgpr_private_segment_size 0
		.amdhsa_wavefront_size32 1
		.amdhsa_uses_dynamic_stack 0
		.amdhsa_system_sgpr_private_segment_wavefront_offset 0
		.amdhsa_system_sgpr_workgroup_id_x 1
		.amdhsa_system_sgpr_workgroup_id_y 0
		.amdhsa_system_sgpr_workgroup_id_z 0
		.amdhsa_system_sgpr_workgroup_info 0
		.amdhsa_system_vgpr_workitem_id 1
		.amdhsa_next_free_vgpr 16
		.amdhsa_next_free_sgpr 16
		.amdhsa_reserve_vcc 1
		.amdhsa_reserve_flat_scratch 0
		.amdhsa_float_round_mode_32 0
		.amdhsa_float_round_mode_16_64 0
		.amdhsa_float_denorm_mode_32 3
		.amdhsa_float_denorm_mode_16_64 3
		.amdhsa_dx10_clamp 1
		.amdhsa_ieee_mode 1
		.amdhsa_fp16_overflow 0
		.amdhsa_workgroup_processor_mode 1
		.amdhsa_memory_ordered 1
		.amdhsa_forward_progress 1
		.amdhsa_shared_vgpr_count 0
		.amdhsa_exception_fp_ieee_invalid_op 0
		.amdhsa_exception_fp_denorm_src 0
		.amdhsa_exception_fp_ieee_div_zero 0
		.amdhsa_exception_fp_ieee_overflow 0
		.amdhsa_exception_fp_ieee_underflow 0
		.amdhsa_exception_fp_ieee_inexact 0
		.amdhsa_exception_int_div_zero 0
	.end_amdhsa_kernel
	.section	.text._ZN12_GLOBAL__N_120softmax_warp_forwardIN3c108BFloat16ES2_fLi5ELb0ELb0ELi64EEEvPT0_PKT_iiiPKbib,"axG",@progbits,_ZN12_GLOBAL__N_120softmax_warp_forwardIN3c108BFloat16ES2_fLi5ELb0ELb0ELi64EEEvPT0_PKT_iiiPKbib,comdat
.Lfunc_end468:
	.size	_ZN12_GLOBAL__N_120softmax_warp_forwardIN3c108BFloat16ES2_fLi5ELb0ELb0ELi64EEEvPT0_PKT_iiiPKbib, .Lfunc_end468-_ZN12_GLOBAL__N_120softmax_warp_forwardIN3c108BFloat16ES2_fLi5ELb0ELb0ELi64EEEvPT0_PKT_iiiPKbib
                                        ; -- End function
	.set _ZN12_GLOBAL__N_120softmax_warp_forwardIN3c108BFloat16ES2_fLi5ELb0ELb0ELi64EEEvPT0_PKT_iiiPKbib.num_vgpr, 16
	.set _ZN12_GLOBAL__N_120softmax_warp_forwardIN3c108BFloat16ES2_fLi5ELb0ELb0ELi64EEEvPT0_PKT_iiiPKbib.num_agpr, 0
	.set _ZN12_GLOBAL__N_120softmax_warp_forwardIN3c108BFloat16ES2_fLi5ELb0ELb0ELi64EEEvPT0_PKT_iiiPKbib.numbered_sgpr, 16
	.set _ZN12_GLOBAL__N_120softmax_warp_forwardIN3c108BFloat16ES2_fLi5ELb0ELb0ELi64EEEvPT0_PKT_iiiPKbib.num_named_barrier, 0
	.set _ZN12_GLOBAL__N_120softmax_warp_forwardIN3c108BFloat16ES2_fLi5ELb0ELb0ELi64EEEvPT0_PKT_iiiPKbib.private_seg_size, 0
	.set _ZN12_GLOBAL__N_120softmax_warp_forwardIN3c108BFloat16ES2_fLi5ELb0ELb0ELi64EEEvPT0_PKT_iiiPKbib.uses_vcc, 1
	.set _ZN12_GLOBAL__N_120softmax_warp_forwardIN3c108BFloat16ES2_fLi5ELb0ELb0ELi64EEEvPT0_PKT_iiiPKbib.uses_flat_scratch, 0
	.set _ZN12_GLOBAL__N_120softmax_warp_forwardIN3c108BFloat16ES2_fLi5ELb0ELb0ELi64EEEvPT0_PKT_iiiPKbib.has_dyn_sized_stack, 0
	.set _ZN12_GLOBAL__N_120softmax_warp_forwardIN3c108BFloat16ES2_fLi5ELb0ELb0ELi64EEEvPT0_PKT_iiiPKbib.has_recursion, 0
	.set _ZN12_GLOBAL__N_120softmax_warp_forwardIN3c108BFloat16ES2_fLi5ELb0ELb0ELi64EEEvPT0_PKT_iiiPKbib.has_indirect_call, 0
	.section	.AMDGPU.csdata,"",@progbits
; Kernel info:
; codeLenInByte = 1356
; TotalNumSgprs: 18
; NumVgprs: 16
; ScratchSize: 0
; MemoryBound: 0
; FloatMode: 240
; IeeeMode: 1
; LDSByteSize: 0 bytes/workgroup (compile time only)
; SGPRBlocks: 0
; VGPRBlocks: 1
; NumSGPRsForWavesPerEU: 18
; NumVGPRsForWavesPerEU: 16
; Occupancy: 16
; WaveLimiterHint : 0
; COMPUTE_PGM_RSRC2:SCRATCH_EN: 0
; COMPUTE_PGM_RSRC2:USER_SGPR: 6
; COMPUTE_PGM_RSRC2:TRAP_HANDLER: 0
; COMPUTE_PGM_RSRC2:TGID_X_EN: 1
; COMPUTE_PGM_RSRC2:TGID_Y_EN: 0
; COMPUTE_PGM_RSRC2:TGID_Z_EN: 0
; COMPUTE_PGM_RSRC2:TIDIG_COMP_CNT: 1
	.section	.text._ZN12_GLOBAL__N_120softmax_warp_forwardIN3c108BFloat16ES2_fLi5ELb0ELb0ELi32EEEvPT0_PKT_iiiPKbib,"axG",@progbits,_ZN12_GLOBAL__N_120softmax_warp_forwardIN3c108BFloat16ES2_fLi5ELb0ELb0ELi32EEEvPT0_PKT_iiiPKbib,comdat
	.globl	_ZN12_GLOBAL__N_120softmax_warp_forwardIN3c108BFloat16ES2_fLi5ELb0ELb0ELi32EEEvPT0_PKT_iiiPKbib ; -- Begin function _ZN12_GLOBAL__N_120softmax_warp_forwardIN3c108BFloat16ES2_fLi5ELb0ELb0ELi32EEEvPT0_PKT_iiiPKbib
	.p2align	8
	.type	_ZN12_GLOBAL__N_120softmax_warp_forwardIN3c108BFloat16ES2_fLi5ELb0ELb0ELi32EEEvPT0_PKT_iiiPKbib,@function
_ZN12_GLOBAL__N_120softmax_warp_forwardIN3c108BFloat16ES2_fLi5ELb0ELb0ELi32EEEvPT0_PKT_iiiPKbib: ; @_ZN12_GLOBAL__N_120softmax_warp_forwardIN3c108BFloat16ES2_fLi5ELb0ELb0ELi32EEEvPT0_PKT_iiiPKbib
; %bb.0:
	s_clause 0x1
	s_load_dword s0, s[4:5], 0x3c
	s_load_dwordx8 s[8:15], s[4:5], 0x0
	v_mov_b32_e32 v6, 0xff800000
	s_waitcnt lgkmcnt(0)
	s_lshr_b32 s0, s0, 16
	s_and_b32 s0, s0, 0xffff
	s_mul_i32 s6, s6, s0
	v_cmp_gt_i32_e64 s0, s14, v0
	v_add_lshl_u32 v3, s6, v1, 1
	v_mad_u64_u32 v[1:2], null, v3, s13, v[0:1]
	v_sub_nc_u32_e32 v5, s12, v3
	v_mov_b32_e32 v0, 0xff800000
	v_cmp_lt_i32_e32 vcc_lo, 0, v5
	v_ashrrev_i32_e32 v2, 31, v1
	s_and_b32 s2, s0, vcc_lo
	v_lshlrev_b64 v[1:2], 1, v[1:2]
	v_add_co_u32 v3, s1, s10, v1
	v_add_co_ci_u32_e64 v4, null, s11, v2, s1
	s_and_saveexec_b32 s1, s2
	s_cbranch_execz .LBB469_2
; %bb.1:
	global_load_ushort v0, v[3:4], off
	s_waitcnt vmcnt(0)
	v_lshlrev_b32_e32 v0, 16, v0
.LBB469_2:
	s_or_b32 exec_lo, exec_lo, s1
	v_cmp_lt_i32_e64 s1, 1, v5
	s_and_b32 s1, s0, s1
	s_and_saveexec_b32 s2, s1
	s_cbranch_execz .LBB469_4
; %bb.3:
	s_mov_b32 s15, 0
	s_lshl_b64 s[4:5], s[14:15], 1
	v_add_co_u32 v3, s1, v3, s4
	v_add_co_ci_u32_e64 v4, null, s5, v4, s1
	global_load_ushort v3, v[3:4], off
	s_waitcnt vmcnt(0)
	v_lshlrev_b32_e32 v6, 16, v3
.LBB469_4:
	s_or_b32 exec_lo, exec_lo, s2
	v_mbcnt_lo_u32_b32 v3, -1, 0
	v_xor_b32_e32 v4, 16, v3
	v_xor_b32_e32 v9, 8, v3
	;; [unrolled: 1-line block ×5, first 2 shown]
	v_cmp_gt_i32_e64 s1, 32, v4
	v_cndmask_b32_e64 v4, v3, v4, s1
	v_cmp_gt_i32_e64 s1, 32, v9
	v_lshlrev_b32_e32 v4, 2, v4
	v_cndmask_b32_e64 v9, v3, v9, s1
	ds_bpermute_b32 v7, v4, v0
	ds_bpermute_b32 v8, v4, v6
	v_lshlrev_b32_e32 v9, 2, v9
	s_waitcnt lgkmcnt(1)
	v_cmp_lt_f32_e64 s1, v0, v7
	v_cndmask_b32_e64 v7, v0, v7, s1
	s_waitcnt lgkmcnt(0)
	v_cmp_lt_f32_e64 s1, v6, v8
	ds_bpermute_b32 v10, v9, v7
	v_cndmask_b32_e64 v8, v6, v8, s1
	v_cmp_gt_i32_e64 s1, 32, v12
	ds_bpermute_b32 v11, v9, v8
	v_cndmask_b32_e64 v12, v3, v12, s1
	v_lshlrev_b32_e32 v12, 2, v12
	s_waitcnt lgkmcnt(1)
	v_cmp_lt_f32_e64 s1, v7, v10
	v_cndmask_b32_e64 v7, v7, v10, s1
	s_waitcnt lgkmcnt(0)
	v_cmp_lt_f32_e64 s1, v8, v11
	ds_bpermute_b32 v10, v12, v7
	v_cndmask_b32_e64 v8, v8, v11, s1
	v_cmp_gt_i32_e64 s1, 32, v13
	ds_bpermute_b32 v11, v12, v8
	v_cndmask_b32_e64 v13, v3, v13, s1
	v_lshlrev_b32_e32 v13, 2, v13
	s_waitcnt lgkmcnt(1)
	v_cmp_lt_f32_e64 s1, v7, v10
	v_cndmask_b32_e64 v7, v7, v10, s1
	s_waitcnt lgkmcnt(0)
	v_cmp_lt_f32_e64 s1, v8, v11
	ds_bpermute_b32 v10, v13, v7
	v_cndmask_b32_e64 v8, v8, v11, s1
	v_cmp_gt_i32_e64 s1, 32, v14
	ds_bpermute_b32 v11, v13, v8
	v_cndmask_b32_e64 v3, v3, v14, s1
	v_lshlrev_b32_e32 v14, 2, v3
	s_waitcnt lgkmcnt(1)
	v_cmp_lt_f32_e64 s1, v7, v10
	v_cndmask_b32_e64 v3, v7, v10, s1
	s_waitcnt lgkmcnt(0)
	v_cmp_lt_f32_e64 s1, v8, v11
	v_cndmask_b32_e64 v7, v8, v11, s1
	ds_bpermute_b32 v8, v14, v3
	ds_bpermute_b32 v10, v14, v7
	s_waitcnt lgkmcnt(1)
	v_cmp_lt_f32_e64 s1, v3, v8
	v_cndmask_b32_e64 v3, v3, v8, s1
	s_waitcnt lgkmcnt(0)
	v_cmp_lt_f32_e64 s1, v7, v10
	v_sub_f32_e32 v0, v0, v3
	v_cndmask_b32_e64 v7, v7, v10, s1
	v_cmp_ngt_f32_e64 s1, 0xc2ce8ed0, v0
	v_sub_f32_e32 v3, v6, v7
	v_mul_f32_e32 v6, 0x3fb8aa3b, v0
	v_mul_f32_e32 v7, 0x3fb8aa3b, v3
	v_fma_f32 v8, 0x3fb8aa3b, v0, -v6
	v_rndne_f32_e32 v10, v6
	v_fma_f32 v11, 0x3fb8aa3b, v3, -v7
	v_rndne_f32_e32 v15, v7
	v_fmac_f32_e32 v8, 0x32a5705f, v0
	v_sub_f32_e32 v6, v6, v10
	v_fmac_f32_e32 v11, 0x32a5705f, v3
	v_sub_f32_e32 v7, v7, v15
	v_add_f32_e32 v6, v6, v8
	v_cvt_i32_f32_e32 v8, v10
	v_cvt_i32_f32_e32 v10, v15
	v_add_f32_e32 v7, v7, v11
	v_exp_f32_e32 v6, v6
	v_exp_f32_e32 v7, v7
	v_ldexp_f32 v6, v6, v8
	v_ldexp_f32 v7, v7, v10
	v_cndmask_b32_e64 v6, 0, v6, s1
	v_cmp_ngt_f32_e64 s1, 0xc2ce8ed0, v3
	v_cndmask_b32_e64 v8, 0, v7, s1
	v_cmp_nlt_f32_e64 s1, 0x42b17218, v0
	v_cndmask_b32_e64 v7, 0x7f800000, v6, s1
	v_cmp_nlt_f32_e64 s1, 0x42b17218, v3
	ds_bpermute_b32 v0, v4, v7
	v_cndmask_b32_e64 v3, 0x7f800000, v8, s1
	ds_bpermute_b32 v4, v4, v3
	s_waitcnt lgkmcnt(1)
	v_add_f32_e32 v0, v7, v0
	ds_bpermute_b32 v6, v9, v0
	s_waitcnt lgkmcnt(1)
	v_add_f32_e32 v4, v3, v4
	;; [unrolled: 3-line block ×7, first 2 shown]
	s_waitcnt lgkmcnt(0)
	v_add_f32_e32 v4, v4, v9
	ds_bpermute_b32 v9, v14, v8
	ds_bpermute_b32 v6, v14, v4
	s_and_saveexec_b32 s1, vcc_lo
	s_cbranch_execz .LBB469_13
; %bb.5:
	v_add_co_u32 v0, vcc_lo, s8, v1
	v_add_co_ci_u32_e64 v1, null, s9, v2, vcc_lo
	s_and_saveexec_b32 s1, s0
	s_cbranch_execz .LBB469_9
; %bb.6:
	s_waitcnt lgkmcnt(1)
	v_add_f32_e32 v2, v8, v9
	v_mov_b32_e32 v8, 0x7fc0
	s_mov_b32 s2, exec_lo
	v_cmpx_neq_f32_e32 0, v2
	s_cbranch_execz .LBB469_8
; %bb.7:
	v_div_scale_f32 v8, null, v2, v2, v7
	v_div_scale_f32 v11, vcc_lo, v7, v2, v7
	v_rcp_f32_e32 v9, v8
	v_fma_f32 v10, -v8, v9, 1.0
	v_fmac_f32_e32 v9, v10, v9
	v_mul_f32_e32 v10, v11, v9
	v_fma_f32 v12, -v8, v10, v11
	v_fmac_f32_e32 v10, v12, v9
	v_fma_f32 v8, -v8, v10, v11
	v_div_fmas_f32 v8, v8, v9, v10
	v_div_fixup_f32 v2, v8, v2, v7
	v_bfe_u32 v7, v2, 16, 1
	v_cmp_o_f32_e32 vcc_lo, v2, v2
	v_add3_u32 v2, v2, v7, 0x7fff
	v_mov_b32_e32 v7, 0x7fc0
	v_cndmask_b32_sdwa v8, v7, v2, vcc_lo dst_sel:DWORD dst_unused:UNUSED_PAD src0_sel:DWORD src1_sel:WORD_1
.LBB469_8:
	s_or_b32 exec_lo, exec_lo, s2
	global_store_short v[0:1], v8, off
.LBB469_9:
	s_or_b32 exec_lo, exec_lo, s1
	v_cmp_ne_u32_e32 vcc_lo, 1, v5
	s_and_b32 s0, vcc_lo, s0
	s_and_b32 exec_lo, exec_lo, s0
	s_cbranch_execz .LBB469_13
; %bb.10:
	s_waitcnt lgkmcnt(0)
	v_add_f32_e32 v2, v4, v6
	v_mov_b32_e32 v4, 0x7fc0
	s_mov_b32 s15, 0
	s_mov_b32 s0, exec_lo
	v_cmpx_neq_f32_e32 0, v2
	s_cbranch_execz .LBB469_12
; %bb.11:
	v_div_scale_f32 v4, null, v2, v2, v3
	v_div_scale_f32 v7, vcc_lo, v3, v2, v3
	v_rcp_f32_e32 v5, v4
	v_fma_f32 v6, -v4, v5, 1.0
	v_fmac_f32_e32 v5, v6, v5
	v_mul_f32_e32 v6, v7, v5
	v_fma_f32 v8, -v4, v6, v7
	v_fmac_f32_e32 v6, v8, v5
	v_fma_f32 v4, -v4, v6, v7
	v_div_fmas_f32 v4, v4, v5, v6
	v_div_fixup_f32 v2, v4, v2, v3
	v_bfe_u32 v3, v2, 16, 1
	v_cmp_o_f32_e32 vcc_lo, v2, v2
	v_add3_u32 v2, v2, v3, 0x7fff
	v_mov_b32_e32 v3, 0x7fc0
	v_cndmask_b32_sdwa v4, v3, v2, vcc_lo dst_sel:DWORD dst_unused:UNUSED_PAD src0_sel:DWORD src1_sel:WORD_1
.LBB469_12:
	s_or_b32 exec_lo, exec_lo, s0
	s_lshl_b64 s[0:1], s[14:15], 1
	v_add_co_u32 v0, vcc_lo, v0, s0
	v_add_co_ci_u32_e64 v1, null, s1, v1, vcc_lo
	global_store_short v[0:1], v4, off
.LBB469_13:
	s_endpgm
	.section	.rodata,"a",@progbits
	.p2align	6, 0x0
	.amdhsa_kernel _ZN12_GLOBAL__N_120softmax_warp_forwardIN3c108BFloat16ES2_fLi5ELb0ELb0ELi32EEEvPT0_PKT_iiiPKbib
		.amdhsa_group_segment_fixed_size 0
		.amdhsa_private_segment_fixed_size 0
		.amdhsa_kernarg_size 304
		.amdhsa_user_sgpr_count 6
		.amdhsa_user_sgpr_private_segment_buffer 1
		.amdhsa_user_sgpr_dispatch_ptr 0
		.amdhsa_user_sgpr_queue_ptr 0
		.amdhsa_user_sgpr_kernarg_segment_ptr 1
		.amdhsa_user_sgpr_dispatch_id 0
		.amdhsa_user_sgpr_flat_scratch_init 0
		.amdhsa_user_sgpr_private_segment_size 0
		.amdhsa_wavefront_size32 1
		.amdhsa_uses_dynamic_stack 0
		.amdhsa_system_sgpr_private_segment_wavefront_offset 0
		.amdhsa_system_sgpr_workgroup_id_x 1
		.amdhsa_system_sgpr_workgroup_id_y 0
		.amdhsa_system_sgpr_workgroup_id_z 0
		.amdhsa_system_sgpr_workgroup_info 0
		.amdhsa_system_vgpr_workitem_id 1
		.amdhsa_next_free_vgpr 16
		.amdhsa_next_free_sgpr 16
		.amdhsa_reserve_vcc 1
		.amdhsa_reserve_flat_scratch 0
		.amdhsa_float_round_mode_32 0
		.amdhsa_float_round_mode_16_64 0
		.amdhsa_float_denorm_mode_32 3
		.amdhsa_float_denorm_mode_16_64 3
		.amdhsa_dx10_clamp 1
		.amdhsa_ieee_mode 1
		.amdhsa_fp16_overflow 0
		.amdhsa_workgroup_processor_mode 1
		.amdhsa_memory_ordered 1
		.amdhsa_forward_progress 1
		.amdhsa_shared_vgpr_count 0
		.amdhsa_exception_fp_ieee_invalid_op 0
		.amdhsa_exception_fp_denorm_src 0
		.amdhsa_exception_fp_ieee_div_zero 0
		.amdhsa_exception_fp_ieee_overflow 0
		.amdhsa_exception_fp_ieee_underflow 0
		.amdhsa_exception_fp_ieee_inexact 0
		.amdhsa_exception_int_div_zero 0
	.end_amdhsa_kernel
	.section	.text._ZN12_GLOBAL__N_120softmax_warp_forwardIN3c108BFloat16ES2_fLi5ELb0ELb0ELi32EEEvPT0_PKT_iiiPKbib,"axG",@progbits,_ZN12_GLOBAL__N_120softmax_warp_forwardIN3c108BFloat16ES2_fLi5ELb0ELb0ELi32EEEvPT0_PKT_iiiPKbib,comdat
.Lfunc_end469:
	.size	_ZN12_GLOBAL__N_120softmax_warp_forwardIN3c108BFloat16ES2_fLi5ELb0ELb0ELi32EEEvPT0_PKT_iiiPKbib, .Lfunc_end469-_ZN12_GLOBAL__N_120softmax_warp_forwardIN3c108BFloat16ES2_fLi5ELb0ELb0ELi32EEEvPT0_PKT_iiiPKbib
                                        ; -- End function
	.set _ZN12_GLOBAL__N_120softmax_warp_forwardIN3c108BFloat16ES2_fLi5ELb0ELb0ELi32EEEvPT0_PKT_iiiPKbib.num_vgpr, 16
	.set _ZN12_GLOBAL__N_120softmax_warp_forwardIN3c108BFloat16ES2_fLi5ELb0ELb0ELi32EEEvPT0_PKT_iiiPKbib.num_agpr, 0
	.set _ZN12_GLOBAL__N_120softmax_warp_forwardIN3c108BFloat16ES2_fLi5ELb0ELb0ELi32EEEvPT0_PKT_iiiPKbib.numbered_sgpr, 16
	.set _ZN12_GLOBAL__N_120softmax_warp_forwardIN3c108BFloat16ES2_fLi5ELb0ELb0ELi32EEEvPT0_PKT_iiiPKbib.num_named_barrier, 0
	.set _ZN12_GLOBAL__N_120softmax_warp_forwardIN3c108BFloat16ES2_fLi5ELb0ELb0ELi32EEEvPT0_PKT_iiiPKbib.private_seg_size, 0
	.set _ZN12_GLOBAL__N_120softmax_warp_forwardIN3c108BFloat16ES2_fLi5ELb0ELb0ELi32EEEvPT0_PKT_iiiPKbib.uses_vcc, 1
	.set _ZN12_GLOBAL__N_120softmax_warp_forwardIN3c108BFloat16ES2_fLi5ELb0ELb0ELi32EEEvPT0_PKT_iiiPKbib.uses_flat_scratch, 0
	.set _ZN12_GLOBAL__N_120softmax_warp_forwardIN3c108BFloat16ES2_fLi5ELb0ELb0ELi32EEEvPT0_PKT_iiiPKbib.has_dyn_sized_stack, 0
	.set _ZN12_GLOBAL__N_120softmax_warp_forwardIN3c108BFloat16ES2_fLi5ELb0ELb0ELi32EEEvPT0_PKT_iiiPKbib.has_recursion, 0
	.set _ZN12_GLOBAL__N_120softmax_warp_forwardIN3c108BFloat16ES2_fLi5ELb0ELb0ELi32EEEvPT0_PKT_iiiPKbib.has_indirect_call, 0
	.section	.AMDGPU.csdata,"",@progbits
; Kernel info:
; codeLenInByte = 1356
; TotalNumSgprs: 18
; NumVgprs: 16
; ScratchSize: 0
; MemoryBound: 0
; FloatMode: 240
; IeeeMode: 1
; LDSByteSize: 0 bytes/workgroup (compile time only)
; SGPRBlocks: 0
; VGPRBlocks: 1
; NumSGPRsForWavesPerEU: 18
; NumVGPRsForWavesPerEU: 16
; Occupancy: 16
; WaveLimiterHint : 0
; COMPUTE_PGM_RSRC2:SCRATCH_EN: 0
; COMPUTE_PGM_RSRC2:USER_SGPR: 6
; COMPUTE_PGM_RSRC2:TRAP_HANDLER: 0
; COMPUTE_PGM_RSRC2:TGID_X_EN: 1
; COMPUTE_PGM_RSRC2:TGID_Y_EN: 0
; COMPUTE_PGM_RSRC2:TGID_Z_EN: 0
; COMPUTE_PGM_RSRC2:TIDIG_COMP_CNT: 1
	.section	.text._ZN12_GLOBAL__N_120softmax_warp_forwardIN3c108BFloat16ES2_fLi6ELb0ELb0ELi64EEEvPT0_PKT_iiiPKbib,"axG",@progbits,_ZN12_GLOBAL__N_120softmax_warp_forwardIN3c108BFloat16ES2_fLi6ELb0ELb0ELi64EEEvPT0_PKT_iiiPKbib,comdat
	.globl	_ZN12_GLOBAL__N_120softmax_warp_forwardIN3c108BFloat16ES2_fLi6ELb0ELb0ELi64EEEvPT0_PKT_iiiPKbib ; -- Begin function _ZN12_GLOBAL__N_120softmax_warp_forwardIN3c108BFloat16ES2_fLi6ELb0ELb0ELi64EEEvPT0_PKT_iiiPKbib
	.p2align	8
	.type	_ZN12_GLOBAL__N_120softmax_warp_forwardIN3c108BFloat16ES2_fLi6ELb0ELb0ELi64EEEvPT0_PKT_iiiPKbib,@function
_ZN12_GLOBAL__N_120softmax_warp_forwardIN3c108BFloat16ES2_fLi6ELb0ELb0ELi64EEEvPT0_PKT_iiiPKbib: ; @_ZN12_GLOBAL__N_120softmax_warp_forwardIN3c108BFloat16ES2_fLi6ELb0ELb0ELi64EEEvPT0_PKT_iiiPKbib
; %bb.0:
	s_clause 0x1
	s_load_dword s0, s[4:5], 0x3c
	s_load_dwordx8 s[8:15], s[4:5], 0x0
	v_mov_b32_e32 v6, 0xff800000
	s_waitcnt lgkmcnt(0)
	s_lshr_b32 s0, s0, 16
	s_and_b32 s0, s0, 0xffff
	s_mul_i32 s6, s6, s0
	v_cmp_gt_i32_e64 s0, s14, v0
	v_add_lshl_u32 v3, s6, v1, 1
	v_mad_u64_u32 v[1:2], null, v3, s13, v[0:1]
	v_sub_nc_u32_e32 v5, s12, v3
	v_mov_b32_e32 v0, 0xff800000
	v_cmp_lt_i32_e32 vcc_lo, 0, v5
	v_ashrrev_i32_e32 v2, 31, v1
	s_and_b32 s2, s0, vcc_lo
	v_lshlrev_b64 v[1:2], 1, v[1:2]
	v_add_co_u32 v3, s1, s10, v1
	v_add_co_ci_u32_e64 v4, null, s11, v2, s1
	s_and_saveexec_b32 s1, s2
	s_cbranch_execz .LBB470_2
; %bb.1:
	global_load_ushort v0, v[3:4], off
	s_waitcnt vmcnt(0)
	v_lshlrev_b32_e32 v0, 16, v0
.LBB470_2:
	s_or_b32 exec_lo, exec_lo, s1
	v_cmp_lt_i32_e64 s1, 1, v5
	s_and_b32 s1, s0, s1
	s_and_saveexec_b32 s2, s1
	s_cbranch_execz .LBB470_4
; %bb.3:
	s_mov_b32 s15, 0
	s_lshl_b64 s[4:5], s[14:15], 1
	v_add_co_u32 v3, s1, v3, s4
	v_add_co_ci_u32_e64 v4, null, s5, v4, s1
	global_load_ushort v3, v[3:4], off
	s_waitcnt vmcnt(0)
	v_lshlrev_b32_e32 v6, 16, v3
.LBB470_4:
	s_or_b32 exec_lo, exec_lo, s2
	v_mbcnt_lo_u32_b32 v3, -1, 0
	v_or_b32_e32 v4, 32, v3
	v_xor_b32_e32 v9, 16, v3
	v_xor_b32_e32 v12, 8, v3
	;; [unrolled: 1-line block ×4, first 2 shown]
	v_cmp_gt_i32_e64 s1, 64, v4
	v_xor_b32_e32 v15, 1, v3
	v_cndmask_b32_e64 v4, v3, v4, s1
	v_cmp_gt_i32_e64 s1, 64, v9
	v_lshlrev_b32_e32 v4, 2, v4
	v_cndmask_b32_e64 v9, v3, v9, s1
	ds_bpermute_b32 v7, v4, v0
	ds_bpermute_b32 v8, v4, v6
	v_lshlrev_b32_e32 v9, 2, v9
	s_waitcnt lgkmcnt(1)
	v_cmp_lt_f32_e64 s1, v0, v7
	v_cndmask_b32_e64 v7, v0, v7, s1
	s_waitcnt lgkmcnt(0)
	v_cmp_lt_f32_e64 s1, v6, v8
	ds_bpermute_b32 v10, v9, v7
	v_cndmask_b32_e64 v8, v6, v8, s1
	v_cmp_gt_i32_e64 s1, 64, v12
	ds_bpermute_b32 v11, v9, v8
	v_cndmask_b32_e64 v12, v3, v12, s1
	v_lshlrev_b32_e32 v12, 2, v12
	s_waitcnt lgkmcnt(1)
	v_cmp_lt_f32_e64 s1, v7, v10
	v_cndmask_b32_e64 v7, v7, v10, s1
	s_waitcnt lgkmcnt(0)
	v_cmp_lt_f32_e64 s1, v8, v11
	ds_bpermute_b32 v10, v12, v7
	v_cndmask_b32_e64 v8, v8, v11, s1
	v_cmp_gt_i32_e64 s1, 64, v13
	ds_bpermute_b32 v11, v12, v8
	v_cndmask_b32_e64 v13, v3, v13, s1
	;; [unrolled: 11-line block ×4, first 2 shown]
	v_lshlrev_b32_e32 v15, 2, v3
	s_waitcnt lgkmcnt(1)
	v_cmp_lt_f32_e64 s1, v7, v10
	v_cndmask_b32_e64 v3, v7, v10, s1
	s_waitcnt lgkmcnt(0)
	v_cmp_lt_f32_e64 s1, v8, v11
	v_cndmask_b32_e64 v7, v8, v11, s1
	ds_bpermute_b32 v8, v15, v3
	ds_bpermute_b32 v10, v15, v7
	s_waitcnt lgkmcnt(1)
	v_cmp_lt_f32_e64 s1, v3, v8
	v_cndmask_b32_e64 v3, v3, v8, s1
	s_waitcnt lgkmcnt(0)
	v_cmp_lt_f32_e64 s1, v7, v10
	v_sub_f32_e32 v0, v0, v3
	v_cndmask_b32_e64 v7, v7, v10, s1
	v_cmp_ngt_f32_e64 s1, 0xc2ce8ed0, v0
	v_sub_f32_e32 v3, v6, v7
	v_mul_f32_e32 v6, 0x3fb8aa3b, v0
	v_mul_f32_e32 v7, 0x3fb8aa3b, v3
	v_fma_f32 v8, 0x3fb8aa3b, v0, -v6
	v_rndne_f32_e32 v10, v6
	v_fma_f32 v11, 0x3fb8aa3b, v3, -v7
	v_rndne_f32_e32 v16, v7
	v_fmac_f32_e32 v8, 0x32a5705f, v0
	v_sub_f32_e32 v6, v6, v10
	v_fmac_f32_e32 v11, 0x32a5705f, v3
	v_sub_f32_e32 v7, v7, v16
	v_add_f32_e32 v6, v6, v8
	v_cvt_i32_f32_e32 v8, v10
	v_cvt_i32_f32_e32 v10, v16
	v_add_f32_e32 v7, v7, v11
	v_exp_f32_e32 v6, v6
	v_exp_f32_e32 v7, v7
	v_ldexp_f32 v6, v6, v8
	v_ldexp_f32 v7, v7, v10
	v_cndmask_b32_e64 v6, 0, v6, s1
	v_cmp_ngt_f32_e64 s1, 0xc2ce8ed0, v3
	v_cndmask_b32_e64 v7, 0, v7, s1
	v_cmp_nlt_f32_e64 s1, 0x42b17218, v0
	v_cndmask_b32_e64 v6, 0x7f800000, v6, s1
	v_cmp_nlt_f32_e64 s1, 0x42b17218, v3
	ds_bpermute_b32 v0, v4, v6
	v_cndmask_b32_e64 v3, 0x7f800000, v7, s1
	ds_bpermute_b32 v4, v4, v3
	s_waitcnt lgkmcnt(1)
	v_add_f32_e32 v0, v6, v0
	ds_bpermute_b32 v7, v9, v0
	s_waitcnt lgkmcnt(1)
	v_add_f32_e32 v4, v3, v4
	;; [unrolled: 3-line block ×9, first 2 shown]
	s_waitcnt lgkmcnt(0)
	v_add_f32_e32 v4, v4, v9
	ds_bpermute_b32 v9, v15, v8
	ds_bpermute_b32 v7, v15, v4
	s_and_saveexec_b32 s1, vcc_lo
	s_cbranch_execz .LBB470_13
; %bb.5:
	v_add_co_u32 v0, vcc_lo, s8, v1
	v_add_co_ci_u32_e64 v1, null, s9, v2, vcc_lo
	s_and_saveexec_b32 s1, s0
	s_cbranch_execz .LBB470_9
; %bb.6:
	s_waitcnt lgkmcnt(1)
	v_add_f32_e32 v2, v8, v9
	v_mov_b32_e32 v8, 0x7fc0
	s_mov_b32 s2, exec_lo
	v_cmpx_neq_f32_e32 0, v2
	s_cbranch_execz .LBB470_8
; %bb.7:
	v_div_scale_f32 v8, null, v2, v2, v6
	v_div_scale_f32 v11, vcc_lo, v6, v2, v6
	v_rcp_f32_e32 v9, v8
	v_fma_f32 v10, -v8, v9, 1.0
	v_fmac_f32_e32 v9, v10, v9
	v_mul_f32_e32 v10, v11, v9
	v_fma_f32 v12, -v8, v10, v11
	v_fmac_f32_e32 v10, v12, v9
	v_fma_f32 v8, -v8, v10, v11
	v_div_fmas_f32 v8, v8, v9, v10
	v_div_fixup_f32 v2, v8, v2, v6
	v_bfe_u32 v6, v2, 16, 1
	v_cmp_o_f32_e32 vcc_lo, v2, v2
	v_add3_u32 v2, v2, v6, 0x7fff
	v_mov_b32_e32 v6, 0x7fc0
	v_cndmask_b32_sdwa v8, v6, v2, vcc_lo dst_sel:DWORD dst_unused:UNUSED_PAD src0_sel:DWORD src1_sel:WORD_1
.LBB470_8:
	s_or_b32 exec_lo, exec_lo, s2
	global_store_short v[0:1], v8, off
.LBB470_9:
	s_or_b32 exec_lo, exec_lo, s1
	v_cmp_ne_u32_e32 vcc_lo, 1, v5
	s_and_b32 s0, vcc_lo, s0
	s_and_b32 exec_lo, exec_lo, s0
	s_cbranch_execz .LBB470_13
; %bb.10:
	s_waitcnt lgkmcnt(0)
	v_add_f32_e32 v2, v4, v7
	v_mov_b32_e32 v4, 0x7fc0
	s_mov_b32 s15, 0
	s_mov_b32 s0, exec_lo
	v_cmpx_neq_f32_e32 0, v2
	s_cbranch_execz .LBB470_12
; %bb.11:
	v_div_scale_f32 v4, null, v2, v2, v3
	v_div_scale_f32 v7, vcc_lo, v3, v2, v3
	v_rcp_f32_e32 v5, v4
	v_fma_f32 v6, -v4, v5, 1.0
	v_fmac_f32_e32 v5, v6, v5
	v_mul_f32_e32 v6, v7, v5
	v_fma_f32 v8, -v4, v6, v7
	v_fmac_f32_e32 v6, v8, v5
	v_fma_f32 v4, -v4, v6, v7
	v_div_fmas_f32 v4, v4, v5, v6
	v_div_fixup_f32 v2, v4, v2, v3
	v_bfe_u32 v3, v2, 16, 1
	v_cmp_o_f32_e32 vcc_lo, v2, v2
	v_add3_u32 v2, v2, v3, 0x7fff
	v_mov_b32_e32 v3, 0x7fc0
	v_cndmask_b32_sdwa v4, v3, v2, vcc_lo dst_sel:DWORD dst_unused:UNUSED_PAD src0_sel:DWORD src1_sel:WORD_1
.LBB470_12:
	s_or_b32 exec_lo, exec_lo, s0
	s_lshl_b64 s[0:1], s[14:15], 1
	v_add_co_u32 v0, vcc_lo, v0, s0
	v_add_co_ci_u32_e64 v1, null, s1, v1, vcc_lo
	global_store_short v[0:1], v4, off
.LBB470_13:
	s_endpgm
	.section	.rodata,"a",@progbits
	.p2align	6, 0x0
	.amdhsa_kernel _ZN12_GLOBAL__N_120softmax_warp_forwardIN3c108BFloat16ES2_fLi6ELb0ELb0ELi64EEEvPT0_PKT_iiiPKbib
		.amdhsa_group_segment_fixed_size 0
		.amdhsa_private_segment_fixed_size 0
		.amdhsa_kernarg_size 304
		.amdhsa_user_sgpr_count 6
		.amdhsa_user_sgpr_private_segment_buffer 1
		.amdhsa_user_sgpr_dispatch_ptr 0
		.amdhsa_user_sgpr_queue_ptr 0
		.amdhsa_user_sgpr_kernarg_segment_ptr 1
		.amdhsa_user_sgpr_dispatch_id 0
		.amdhsa_user_sgpr_flat_scratch_init 0
		.amdhsa_user_sgpr_private_segment_size 0
		.amdhsa_wavefront_size32 1
		.amdhsa_uses_dynamic_stack 0
		.amdhsa_system_sgpr_private_segment_wavefront_offset 0
		.amdhsa_system_sgpr_workgroup_id_x 1
		.amdhsa_system_sgpr_workgroup_id_y 0
		.amdhsa_system_sgpr_workgroup_id_z 0
		.amdhsa_system_sgpr_workgroup_info 0
		.amdhsa_system_vgpr_workitem_id 1
		.amdhsa_next_free_vgpr 17
		.amdhsa_next_free_sgpr 16
		.amdhsa_reserve_vcc 1
		.amdhsa_reserve_flat_scratch 0
		.amdhsa_float_round_mode_32 0
		.amdhsa_float_round_mode_16_64 0
		.amdhsa_float_denorm_mode_32 3
		.amdhsa_float_denorm_mode_16_64 3
		.amdhsa_dx10_clamp 1
		.amdhsa_ieee_mode 1
		.amdhsa_fp16_overflow 0
		.amdhsa_workgroup_processor_mode 1
		.amdhsa_memory_ordered 1
		.amdhsa_forward_progress 1
		.amdhsa_shared_vgpr_count 0
		.amdhsa_exception_fp_ieee_invalid_op 0
		.amdhsa_exception_fp_denorm_src 0
		.amdhsa_exception_fp_ieee_div_zero 0
		.amdhsa_exception_fp_ieee_overflow 0
		.amdhsa_exception_fp_ieee_underflow 0
		.amdhsa_exception_fp_ieee_inexact 0
		.amdhsa_exception_int_div_zero 0
	.end_amdhsa_kernel
	.section	.text._ZN12_GLOBAL__N_120softmax_warp_forwardIN3c108BFloat16ES2_fLi6ELb0ELb0ELi64EEEvPT0_PKT_iiiPKbib,"axG",@progbits,_ZN12_GLOBAL__N_120softmax_warp_forwardIN3c108BFloat16ES2_fLi6ELb0ELb0ELi64EEEvPT0_PKT_iiiPKbib,comdat
.Lfunc_end470:
	.size	_ZN12_GLOBAL__N_120softmax_warp_forwardIN3c108BFloat16ES2_fLi6ELb0ELb0ELi64EEEvPT0_PKT_iiiPKbib, .Lfunc_end470-_ZN12_GLOBAL__N_120softmax_warp_forwardIN3c108BFloat16ES2_fLi6ELb0ELb0ELi64EEEvPT0_PKT_iiiPKbib
                                        ; -- End function
	.set _ZN12_GLOBAL__N_120softmax_warp_forwardIN3c108BFloat16ES2_fLi6ELb0ELb0ELi64EEEvPT0_PKT_iiiPKbib.num_vgpr, 17
	.set _ZN12_GLOBAL__N_120softmax_warp_forwardIN3c108BFloat16ES2_fLi6ELb0ELb0ELi64EEEvPT0_PKT_iiiPKbib.num_agpr, 0
	.set _ZN12_GLOBAL__N_120softmax_warp_forwardIN3c108BFloat16ES2_fLi6ELb0ELb0ELi64EEEvPT0_PKT_iiiPKbib.numbered_sgpr, 16
	.set _ZN12_GLOBAL__N_120softmax_warp_forwardIN3c108BFloat16ES2_fLi6ELb0ELb0ELi64EEEvPT0_PKT_iiiPKbib.num_named_barrier, 0
	.set _ZN12_GLOBAL__N_120softmax_warp_forwardIN3c108BFloat16ES2_fLi6ELb0ELb0ELi64EEEvPT0_PKT_iiiPKbib.private_seg_size, 0
	.set _ZN12_GLOBAL__N_120softmax_warp_forwardIN3c108BFloat16ES2_fLi6ELb0ELb0ELi64EEEvPT0_PKT_iiiPKbib.uses_vcc, 1
	.set _ZN12_GLOBAL__N_120softmax_warp_forwardIN3c108BFloat16ES2_fLi6ELb0ELb0ELi64EEEvPT0_PKT_iiiPKbib.uses_flat_scratch, 0
	.set _ZN12_GLOBAL__N_120softmax_warp_forwardIN3c108BFloat16ES2_fLi6ELb0ELb0ELi64EEEvPT0_PKT_iiiPKbib.has_dyn_sized_stack, 0
	.set _ZN12_GLOBAL__N_120softmax_warp_forwardIN3c108BFloat16ES2_fLi6ELb0ELb0ELi64EEEvPT0_PKT_iiiPKbib.has_recursion, 0
	.set _ZN12_GLOBAL__N_120softmax_warp_forwardIN3c108BFloat16ES2_fLi6ELb0ELb0ELi64EEEvPT0_PKT_iiiPKbib.has_indirect_call, 0
	.section	.AMDGPU.csdata,"",@progbits
; Kernel info:
; codeLenInByte = 1468
; TotalNumSgprs: 18
; NumVgprs: 17
; ScratchSize: 0
; MemoryBound: 0
; FloatMode: 240
; IeeeMode: 1
; LDSByteSize: 0 bytes/workgroup (compile time only)
; SGPRBlocks: 0
; VGPRBlocks: 2
; NumSGPRsForWavesPerEU: 18
; NumVGPRsForWavesPerEU: 17
; Occupancy: 16
; WaveLimiterHint : 0
; COMPUTE_PGM_RSRC2:SCRATCH_EN: 0
; COMPUTE_PGM_RSRC2:USER_SGPR: 6
; COMPUTE_PGM_RSRC2:TRAP_HANDLER: 0
; COMPUTE_PGM_RSRC2:TGID_X_EN: 1
; COMPUTE_PGM_RSRC2:TGID_Y_EN: 0
; COMPUTE_PGM_RSRC2:TGID_Z_EN: 0
; COMPUTE_PGM_RSRC2:TIDIG_COMP_CNT: 1
	.section	.text._ZN12_GLOBAL__N_120softmax_warp_forwardIN3c108BFloat16ES2_fLi6ELb0ELb0ELi32EEEvPT0_PKT_iiiPKbib,"axG",@progbits,_ZN12_GLOBAL__N_120softmax_warp_forwardIN3c108BFloat16ES2_fLi6ELb0ELb0ELi32EEEvPT0_PKT_iiiPKbib,comdat
	.globl	_ZN12_GLOBAL__N_120softmax_warp_forwardIN3c108BFloat16ES2_fLi6ELb0ELb0ELi32EEEvPT0_PKT_iiiPKbib ; -- Begin function _ZN12_GLOBAL__N_120softmax_warp_forwardIN3c108BFloat16ES2_fLi6ELb0ELb0ELi32EEEvPT0_PKT_iiiPKbib
	.p2align	8
	.type	_ZN12_GLOBAL__N_120softmax_warp_forwardIN3c108BFloat16ES2_fLi6ELb0ELb0ELi32EEEvPT0_PKT_iiiPKbib,@function
_ZN12_GLOBAL__N_120softmax_warp_forwardIN3c108BFloat16ES2_fLi6ELb0ELb0ELi32EEEvPT0_PKT_iiiPKbib: ; @_ZN12_GLOBAL__N_120softmax_warp_forwardIN3c108BFloat16ES2_fLi6ELb0ELb0ELi32EEEvPT0_PKT_iiiPKbib
; %bb.0:
	s_clause 0x1
	s_load_dword s0, s[4:5], 0x3c
	s_load_dwordx8 s[8:15], s[4:5], 0x0
	v_mov_b32_e32 v6, 0xff800000
	v_mov_b32_e32 v7, 0xff800000
	s_waitcnt lgkmcnt(0)
	s_lshr_b32 s0, s0, 16
	v_cmp_gt_i32_e64 s1, s14, v0
	s_and_b32 s0, s0, 0xffff
	s_mul_i32 s6, s6, s0
	v_add_lshl_u32 v3, s6, v1, 1
	v_mad_u64_u32 v[1:2], null, v3, s13, v[0:1]
	v_sub_nc_u32_e32 v5, s12, v3
	v_cmp_lt_i32_e32 vcc_lo, 0, v5
	v_ashrrev_i32_e32 v2, 31, v1
	s_and_b32 s2, vcc_lo, s1
	v_lshlrev_b64 v[1:2], 1, v[1:2]
	v_add_co_u32 v3, s0, s10, v1
	v_add_co_ci_u32_e64 v4, null, s11, v2, s0
	s_and_saveexec_b32 s0, s2
	s_cbranch_execz .LBB471_2
; %bb.1:
	global_load_ushort v7, v[3:4], off
	s_waitcnt vmcnt(0)
	v_lshlrev_b32_e32 v7, 16, v7
.LBB471_2:
	s_or_b32 exec_lo, exec_lo, s0
	v_add_nc_u32_e32 v0, 32, v0
	v_cmp_gt_i32_e64 s0, s14, v0
	s_and_b32 s3, vcc_lo, s0
	s_and_saveexec_b32 s2, s3
	s_cbranch_execz .LBB471_4
; %bb.3:
	global_load_ushort v0, v[3:4], off offset:64
	s_waitcnt vmcnt(0)
	v_lshlrev_b32_e32 v6, 16, v0
.LBB471_4:
	s_or_b32 exec_lo, exec_lo, s2
	v_cmp_lt_i32_e64 s2, 1, v5
	v_mov_b32_e32 v0, 0xff800000
	v_mov_b32_e32 v8, 0xff800000
	s_and_b32 s3, s2, s1
	s_and_saveexec_b32 s4, s3
	s_cbranch_execz .LBB471_6
; %bb.5:
	s_mov_b32 s15, 0
	s_lshl_b64 s[6:7], s[14:15], 1
	v_add_co_u32 v8, s3, v3, s6
	v_add_co_ci_u32_e64 v9, null, s7, v4, s3
	global_load_ushort v8, v[8:9], off
	s_waitcnt vmcnt(0)
	v_lshlrev_b32_e32 v8, 16, v8
.LBB471_6:
	s_or_b32 exec_lo, exec_lo, s4
	s_and_b32 s2, s2, s0
	s_and_saveexec_b32 s3, s2
	s_cbranch_execz .LBB471_8
; %bb.7:
	s_mov_b32 s15, 0
	s_lshl_b64 s[4:5], s[14:15], 1
	v_add_co_u32 v3, s2, v3, s4
	v_add_co_ci_u32_e64 v4, null, s5, v4, s2
	global_load_ushort v0, v[3:4], off offset:64
	s_waitcnt vmcnt(0)
	v_lshlrev_b32_e32 v0, 16, v0
.LBB471_8:
	s_or_b32 exec_lo, exec_lo, s3
	v_mbcnt_lo_u32_b32 v3, -1, 0
	v_xor_b32_e32 v4, 16, v3
	v_xor_b32_e32 v13, 8, v3
	;; [unrolled: 1-line block ×5, first 2 shown]
	v_cmp_gt_i32_e64 s2, 32, v4
	v_cndmask_b32_e64 v4, v3, v4, s2
	v_cmp_gt_f32_e64 s2, v7, v6
	v_lshlrev_b32_e32 v10, 2, v4
	v_cndmask_b32_e64 v9, v6, v7, s2
	v_cmp_gt_f32_e64 s2, v8, v0
	ds_bpermute_b32 v11, v10, v9
	v_cndmask_b32_e64 v4, v0, v8, s2
	v_cmp_gt_i32_e64 s2, 32, v13
	ds_bpermute_b32 v12, v10, v4
	v_cndmask_b32_e64 v13, v3, v13, s2
	v_lshlrev_b32_e32 v13, 2, v13
	s_waitcnt lgkmcnt(1)
	v_cmp_lt_f32_e64 s2, v9, v11
	v_cndmask_b32_e64 v9, v9, v11, s2
	s_waitcnt lgkmcnt(0)
	v_cmp_lt_f32_e64 s2, v4, v12
	ds_bpermute_b32 v11, v13, v9
	v_cndmask_b32_e64 v4, v4, v12, s2
	v_cmp_gt_i32_e64 s2, 32, v14
	ds_bpermute_b32 v12, v13, v4
	v_cndmask_b32_e64 v14, v3, v14, s2
	v_lshlrev_b32_e32 v14, 2, v14
	s_waitcnt lgkmcnt(1)
	v_cmp_lt_f32_e64 s2, v9, v11
	v_cndmask_b32_e64 v9, v9, v11, s2
	s_waitcnt lgkmcnt(0)
	v_cmp_lt_f32_e64 s2, v4, v12
	;; [unrolled: 11-line block ×4, first 2 shown]
	ds_bpermute_b32 v9, v16, v3
	v_cndmask_b32_e64 v4, v4, v12, s2
	ds_bpermute_b32 v11, v16, v4
	s_waitcnt lgkmcnt(1)
	v_cmp_lt_f32_e64 s2, v3, v9
	v_cndmask_b32_e64 v3, v3, v9, s2
	s_waitcnt lgkmcnt(0)
	v_cmp_lt_f32_e64 s2, v4, v11
	v_sub_f32_e32 v7, v7, v3
	v_cndmask_b32_e64 v4, v4, v11, s2
	v_sub_f32_e32 v3, v6, v3
	v_cmp_ngt_f32_e64 s2, 0xc2ce8ed0, v7
	v_sub_f32_e32 v6, v8, v4
	v_sub_f32_e32 v0, v0, v4
	v_mul_f32_e32 v4, 0x3fb8aa3b, v7
	v_mul_f32_e32 v8, 0x3fb8aa3b, v3
	;; [unrolled: 1-line block ×4, first 2 shown]
	v_fma_f32 v12, 0x3fb8aa3b, v7, -v4
	v_rndne_f32_e32 v17, v4
	v_fma_f32 v18, 0x3fb8aa3b, v3, -v8
	v_rndne_f32_e32 v19, v8
	v_fma_f32 v20, 0x3fb8aa3b, v6, -v9
	v_fmac_f32_e32 v12, 0x32a5705f, v7
	v_sub_f32_e32 v4, v4, v17
	v_rndne_f32_e32 v21, v9
	v_fmac_f32_e32 v18, 0x32a5705f, v3
	v_sub_f32_e32 v8, v8, v19
	v_fma_f32 v22, 0x3fb8aa3b, v0, -v11
	v_add_f32_e32 v4, v4, v12
	v_rndne_f32_e32 v23, v11
	v_fmac_f32_e32 v20, 0x32a5705f, v6
	v_sub_f32_e32 v9, v9, v21
	v_add_f32_e32 v8, v8, v18
	v_exp_f32_e32 v4, v4
	v_fmac_f32_e32 v22, 0x32a5705f, v0
	v_sub_f32_e32 v11, v11, v23
	v_add_f32_e32 v9, v9, v20
	v_exp_f32_e32 v8, v8
	v_cvt_i32_f32_e32 v12, v17
	v_cvt_i32_f32_e32 v17, v19
	v_add_f32_e32 v11, v11, v22
	v_exp_f32_e32 v9, v9
	v_cvt_i32_f32_e32 v18, v21
	v_ldexp_f32 v4, v4, v12
	v_cvt_i32_f32_e32 v19, v23
	v_exp_f32_e32 v11, v11
	v_ldexp_f32 v8, v8, v17
	v_cndmask_b32_e64 v4, 0, v4, s2
	v_cmp_ngt_f32_e64 s2, 0xc2ce8ed0, v3
	v_ldexp_f32 v9, v9, v18
	v_cndmask_b32_e64 v8, 0, v8, s2
	v_cmp_ngt_f32_e64 s2, 0xc2ce8ed0, v6
	;; [unrolled: 3-line block ×3, first 2 shown]
	v_cndmask_b32_e64 v11, 0, v11, s2
	v_cmp_nlt_f32_e64 s2, 0x42b17218, v7
	v_cndmask_b32_e64 v9, 0x7f800000, v4, s2
	v_cmp_nlt_f32_e64 s2, 0x42b17218, v3
	;; [unrolled: 2-line block ×4, first 2 shown]
	v_add_f32_e32 v0, v9, v8
	v_cndmask_b32_e64 v3, 0x7f800000, v11, s2
	ds_bpermute_b32 v7, v10, v0
	v_add_f32_e32 v6, v4, v3
	ds_bpermute_b32 v10, v10, v6
	s_waitcnt lgkmcnt(1)
	v_add_f32_e32 v0, v0, v7
	ds_bpermute_b32 v7, v13, v0
	s_waitcnt lgkmcnt(1)
	;; [unrolled: 3-line block ×7, first 2 shown]
	v_add_f32_e32 v10, v0, v7
	s_waitcnt lgkmcnt(0)
	v_add_f32_e32 v6, v6, v11
	ds_bpermute_b32 v11, v16, v10
	ds_bpermute_b32 v7, v16, v6
	s_and_saveexec_b32 s2, vcc_lo
	s_cbranch_execz .LBB471_24
; %bb.9:
	v_add_co_u32 v0, vcc_lo, s8, v1
	v_add_co_ci_u32_e64 v1, null, s9, v2, vcc_lo
	s_and_saveexec_b32 s3, s1
	s_cbranch_execz .LBB471_16
; %bb.10:
	s_waitcnt lgkmcnt(1)
	v_add_f32_e32 v2, v10, v11
	v_mov_b32_e32 v10, 0x7fc0
	v_cmp_neq_f32_e64 s2, 0, v2
	s_and_saveexec_b32 s4, s2
	s_cbranch_execz .LBB471_12
; %bb.11:
	v_div_scale_f32 v10, null, v2, v2, v9
	v_div_scale_f32 v13, vcc_lo, v9, v2, v9
	v_rcp_f32_e32 v11, v10
	v_fma_f32 v12, -v10, v11, 1.0
	v_fmac_f32_e32 v11, v12, v11
	v_mul_f32_e32 v12, v13, v11
	v_fma_f32 v14, -v10, v12, v13
	v_fmac_f32_e32 v12, v14, v11
	v_fma_f32 v10, -v10, v12, v13
	v_div_fmas_f32 v10, v10, v11, v12
	v_div_fixup_f32 v9, v10, v2, v9
	v_bfe_u32 v10, v9, 16, 1
	v_cmp_o_f32_e32 vcc_lo, v9, v9
	v_add3_u32 v9, v9, v10, 0x7fff
	v_mov_b32_e32 v10, 0x7fc0
	v_cndmask_b32_sdwa v10, v10, v9, vcc_lo dst_sel:DWORD dst_unused:UNUSED_PAD src0_sel:DWORD src1_sel:WORD_1
.LBB471_12:
	s_or_b32 exec_lo, exec_lo, s4
	global_store_short v[0:1], v10, off
	s_and_b32 exec_lo, exec_lo, s0
	s_cbranch_execz .LBB471_16
; %bb.13:
	v_mov_b32_e32 v9, 0x7fc0
	s_and_saveexec_b32 s4, s2
	s_cbranch_execz .LBB471_15
; %bb.14:
	v_div_scale_f32 v9, null, v2, v2, v8
	v_div_scale_f32 v12, vcc_lo, v8, v2, v8
	v_rcp_f32_e32 v10, v9
	v_fma_f32 v11, -v9, v10, 1.0
	v_fmac_f32_e32 v10, v11, v10
	v_mul_f32_e32 v11, v12, v10
	v_fma_f32 v13, -v9, v11, v12
	v_fmac_f32_e32 v11, v13, v10
	v_fma_f32 v9, -v9, v11, v12
	v_div_fmas_f32 v9, v9, v10, v11
	v_div_fixup_f32 v2, v9, v2, v8
	v_bfe_u32 v8, v2, 16, 1
	v_cmp_o_f32_e32 vcc_lo, v2, v2
	v_add3_u32 v2, v2, v8, 0x7fff
	v_mov_b32_e32 v8, 0x7fc0
	v_cndmask_b32_sdwa v9, v8, v2, vcc_lo dst_sel:DWORD dst_unused:UNUSED_PAD src0_sel:DWORD src1_sel:WORD_1
.LBB471_15:
	s_or_b32 exec_lo, exec_lo, s4
	global_store_short v[0:1], v9, off offset:64
.LBB471_16:
	s_or_b32 exec_lo, exec_lo, s3
	v_cmp_ne_u32_e32 vcc_lo, 1, v5
	s_and_b32 exec_lo, exec_lo, vcc_lo
	s_cbranch_execz .LBB471_24
; %bb.17:
	s_and_b32 exec_lo, exec_lo, s1
	s_cbranch_execz .LBB471_24
; %bb.18:
	s_waitcnt lgkmcnt(0)
	v_add_f32_e32 v2, v6, v7
	v_mov_b32_e32 v5, 0x7fc0
	s_mov_b32 s15, 0
	v_cmp_neq_f32_e64 s1, 0, v2
	s_and_saveexec_b32 s2, s1
	s_cbranch_execz .LBB471_20
; %bb.19:
	v_div_scale_f32 v5, null, v2, v2, v4
	v_div_scale_f32 v8, vcc_lo, v4, v2, v4
	v_rcp_f32_e32 v6, v5
	v_fma_f32 v7, -v5, v6, 1.0
	v_fmac_f32_e32 v6, v7, v6
	v_mul_f32_e32 v7, v8, v6
	v_fma_f32 v9, -v5, v7, v8
	v_fmac_f32_e32 v7, v9, v6
	v_fma_f32 v5, -v5, v7, v8
	v_div_fmas_f32 v5, v5, v6, v7
	v_div_fixup_f32 v4, v5, v2, v4
	v_bfe_u32 v5, v4, 16, 1
	v_cmp_o_f32_e32 vcc_lo, v4, v4
	v_add3_u32 v4, v4, v5, 0x7fff
	v_mov_b32_e32 v5, 0x7fc0
	v_cndmask_b32_sdwa v5, v5, v4, vcc_lo dst_sel:DWORD dst_unused:UNUSED_PAD src0_sel:DWORD src1_sel:WORD_1
.LBB471_20:
	s_or_b32 exec_lo, exec_lo, s2
	s_lshl_b64 s[2:3], s[14:15], 1
	v_add_co_u32 v0, vcc_lo, v0, s2
	v_add_co_ci_u32_e64 v1, null, s3, v1, vcc_lo
	global_store_short v[0:1], v5, off
	s_and_b32 exec_lo, exec_lo, s0
	s_cbranch_execz .LBB471_24
; %bb.21:
	v_mov_b32_e32 v4, 0x7fc0
	s_and_saveexec_b32 s0, s1
	s_cbranch_execz .LBB471_23
; %bb.22:
	v_div_scale_f32 v4, null, v2, v2, v3
	v_div_scale_f32 v7, vcc_lo, v3, v2, v3
	v_rcp_f32_e32 v5, v4
	v_fma_f32 v6, -v4, v5, 1.0
	v_fmac_f32_e32 v5, v6, v5
	v_mul_f32_e32 v6, v7, v5
	v_fma_f32 v8, -v4, v6, v7
	v_fmac_f32_e32 v6, v8, v5
	v_fma_f32 v4, -v4, v6, v7
	v_div_fmas_f32 v4, v4, v5, v6
	v_div_fixup_f32 v2, v4, v2, v3
	v_bfe_u32 v3, v2, 16, 1
	v_cmp_o_f32_e32 vcc_lo, v2, v2
	v_add3_u32 v2, v2, v3, 0x7fff
	v_mov_b32_e32 v3, 0x7fc0
	v_cndmask_b32_sdwa v4, v3, v2, vcc_lo dst_sel:DWORD dst_unused:UNUSED_PAD src0_sel:DWORD src1_sel:WORD_1
.LBB471_23:
	s_or_b32 exec_lo, exec_lo, s0
	global_store_short v[0:1], v4, off offset:64
.LBB471_24:
	s_endpgm
	.section	.rodata,"a",@progbits
	.p2align	6, 0x0
	.amdhsa_kernel _ZN12_GLOBAL__N_120softmax_warp_forwardIN3c108BFloat16ES2_fLi6ELb0ELb0ELi32EEEvPT0_PKT_iiiPKbib
		.amdhsa_group_segment_fixed_size 0
		.amdhsa_private_segment_fixed_size 0
		.amdhsa_kernarg_size 304
		.amdhsa_user_sgpr_count 6
		.amdhsa_user_sgpr_private_segment_buffer 1
		.amdhsa_user_sgpr_dispatch_ptr 0
		.amdhsa_user_sgpr_queue_ptr 0
		.amdhsa_user_sgpr_kernarg_segment_ptr 1
		.amdhsa_user_sgpr_dispatch_id 0
		.amdhsa_user_sgpr_flat_scratch_init 0
		.amdhsa_user_sgpr_private_segment_size 0
		.amdhsa_wavefront_size32 1
		.amdhsa_uses_dynamic_stack 0
		.amdhsa_system_sgpr_private_segment_wavefront_offset 0
		.amdhsa_system_sgpr_workgroup_id_x 1
		.amdhsa_system_sgpr_workgroup_id_y 0
		.amdhsa_system_sgpr_workgroup_id_z 0
		.amdhsa_system_sgpr_workgroup_info 0
		.amdhsa_system_vgpr_workitem_id 1
		.amdhsa_next_free_vgpr 24
		.amdhsa_next_free_sgpr 16
		.amdhsa_reserve_vcc 1
		.amdhsa_reserve_flat_scratch 0
		.amdhsa_float_round_mode_32 0
		.amdhsa_float_round_mode_16_64 0
		.amdhsa_float_denorm_mode_32 3
		.amdhsa_float_denorm_mode_16_64 3
		.amdhsa_dx10_clamp 1
		.amdhsa_ieee_mode 1
		.amdhsa_fp16_overflow 0
		.amdhsa_workgroup_processor_mode 1
		.amdhsa_memory_ordered 1
		.amdhsa_forward_progress 1
		.amdhsa_shared_vgpr_count 0
		.amdhsa_exception_fp_ieee_invalid_op 0
		.amdhsa_exception_fp_denorm_src 0
		.amdhsa_exception_fp_ieee_div_zero 0
		.amdhsa_exception_fp_ieee_overflow 0
		.amdhsa_exception_fp_ieee_underflow 0
		.amdhsa_exception_fp_ieee_inexact 0
		.amdhsa_exception_int_div_zero 0
	.end_amdhsa_kernel
	.section	.text._ZN12_GLOBAL__N_120softmax_warp_forwardIN3c108BFloat16ES2_fLi6ELb0ELb0ELi32EEEvPT0_PKT_iiiPKbib,"axG",@progbits,_ZN12_GLOBAL__N_120softmax_warp_forwardIN3c108BFloat16ES2_fLi6ELb0ELb0ELi32EEEvPT0_PKT_iiiPKbib,comdat
.Lfunc_end471:
	.size	_ZN12_GLOBAL__N_120softmax_warp_forwardIN3c108BFloat16ES2_fLi6ELb0ELb0ELi32EEEvPT0_PKT_iiiPKbib, .Lfunc_end471-_ZN12_GLOBAL__N_120softmax_warp_forwardIN3c108BFloat16ES2_fLi6ELb0ELb0ELi32EEEvPT0_PKT_iiiPKbib
                                        ; -- End function
	.set _ZN12_GLOBAL__N_120softmax_warp_forwardIN3c108BFloat16ES2_fLi6ELb0ELb0ELi32EEEvPT0_PKT_iiiPKbib.num_vgpr, 24
	.set _ZN12_GLOBAL__N_120softmax_warp_forwardIN3c108BFloat16ES2_fLi6ELb0ELb0ELi32EEEvPT0_PKT_iiiPKbib.num_agpr, 0
	.set _ZN12_GLOBAL__N_120softmax_warp_forwardIN3c108BFloat16ES2_fLi6ELb0ELb0ELi32EEEvPT0_PKT_iiiPKbib.numbered_sgpr, 16
	.set _ZN12_GLOBAL__N_120softmax_warp_forwardIN3c108BFloat16ES2_fLi6ELb0ELb0ELi32EEEvPT0_PKT_iiiPKbib.num_named_barrier, 0
	.set _ZN12_GLOBAL__N_120softmax_warp_forwardIN3c108BFloat16ES2_fLi6ELb0ELb0ELi32EEEvPT0_PKT_iiiPKbib.private_seg_size, 0
	.set _ZN12_GLOBAL__N_120softmax_warp_forwardIN3c108BFloat16ES2_fLi6ELb0ELb0ELi32EEEvPT0_PKT_iiiPKbib.uses_vcc, 1
	.set _ZN12_GLOBAL__N_120softmax_warp_forwardIN3c108BFloat16ES2_fLi6ELb0ELb0ELi32EEEvPT0_PKT_iiiPKbib.uses_flat_scratch, 0
	.set _ZN12_GLOBAL__N_120softmax_warp_forwardIN3c108BFloat16ES2_fLi6ELb0ELb0ELi32EEEvPT0_PKT_iiiPKbib.has_dyn_sized_stack, 0
	.set _ZN12_GLOBAL__N_120softmax_warp_forwardIN3c108BFloat16ES2_fLi6ELb0ELb0ELi32EEEvPT0_PKT_iiiPKbib.has_recursion, 0
	.set _ZN12_GLOBAL__N_120softmax_warp_forwardIN3c108BFloat16ES2_fLi6ELb0ELb0ELi32EEEvPT0_PKT_iiiPKbib.has_indirect_call, 0
	.section	.AMDGPU.csdata,"",@progbits
; Kernel info:
; codeLenInByte = 2028
; TotalNumSgprs: 18
; NumVgprs: 24
; ScratchSize: 0
; MemoryBound: 0
; FloatMode: 240
; IeeeMode: 1
; LDSByteSize: 0 bytes/workgroup (compile time only)
; SGPRBlocks: 0
; VGPRBlocks: 2
; NumSGPRsForWavesPerEU: 18
; NumVGPRsForWavesPerEU: 24
; Occupancy: 16
; WaveLimiterHint : 0
; COMPUTE_PGM_RSRC2:SCRATCH_EN: 0
; COMPUTE_PGM_RSRC2:USER_SGPR: 6
; COMPUTE_PGM_RSRC2:TRAP_HANDLER: 0
; COMPUTE_PGM_RSRC2:TGID_X_EN: 1
; COMPUTE_PGM_RSRC2:TGID_Y_EN: 0
; COMPUTE_PGM_RSRC2:TGID_Z_EN: 0
; COMPUTE_PGM_RSRC2:TIDIG_COMP_CNT: 1
	.section	.text._ZN12_GLOBAL__N_120softmax_warp_forwardIN3c108BFloat16ES2_fLi7ELb0ELb0ELi64EEEvPT0_PKT_iiiPKbib,"axG",@progbits,_ZN12_GLOBAL__N_120softmax_warp_forwardIN3c108BFloat16ES2_fLi7ELb0ELb0ELi64EEEvPT0_PKT_iiiPKbib,comdat
	.globl	_ZN12_GLOBAL__N_120softmax_warp_forwardIN3c108BFloat16ES2_fLi7ELb0ELb0ELi64EEEvPT0_PKT_iiiPKbib ; -- Begin function _ZN12_GLOBAL__N_120softmax_warp_forwardIN3c108BFloat16ES2_fLi7ELb0ELb0ELi64EEEvPT0_PKT_iiiPKbib
	.p2align	8
	.type	_ZN12_GLOBAL__N_120softmax_warp_forwardIN3c108BFloat16ES2_fLi7ELb0ELb0ELi64EEEvPT0_PKT_iiiPKbib,@function
_ZN12_GLOBAL__N_120softmax_warp_forwardIN3c108BFloat16ES2_fLi7ELb0ELb0ELi64EEEvPT0_PKT_iiiPKbib: ; @_ZN12_GLOBAL__N_120softmax_warp_forwardIN3c108BFloat16ES2_fLi7ELb0ELb0ELi64EEEvPT0_PKT_iiiPKbib
; %bb.0:
	s_clause 0x1
	s_load_dword s0, s[4:5], 0x3c
	s_load_dwordx8 s[8:15], s[4:5], 0x0
	v_mov_b32_e32 v6, 0xff800000
	v_mov_b32_e32 v7, 0xff800000
	s_waitcnt lgkmcnt(0)
	s_lshr_b32 s0, s0, 16
	v_cmp_gt_i32_e64 s1, s14, v0
	s_and_b32 s0, s0, 0xffff
	s_mul_i32 s6, s6, s0
	v_add_lshl_u32 v3, s6, v1, 1
	v_mad_u64_u32 v[1:2], null, v3, s13, v[0:1]
	v_sub_nc_u32_e32 v5, s12, v3
	v_cmp_lt_i32_e32 vcc_lo, 0, v5
	v_ashrrev_i32_e32 v2, 31, v1
	s_and_b32 s2, vcc_lo, s1
	v_lshlrev_b64 v[1:2], 1, v[1:2]
	v_add_co_u32 v3, s0, s10, v1
	v_add_co_ci_u32_e64 v4, null, s11, v2, s0
	s_and_saveexec_b32 s0, s2
	s_cbranch_execz .LBB472_2
; %bb.1:
	global_load_ushort v7, v[3:4], off
	s_waitcnt vmcnt(0)
	v_lshlrev_b32_e32 v7, 16, v7
.LBB472_2:
	s_or_b32 exec_lo, exec_lo, s0
	v_add_nc_u32_e32 v0, 64, v0
	v_cmp_gt_i32_e64 s0, s14, v0
	s_and_b32 s3, vcc_lo, s0
	s_and_saveexec_b32 s2, s3
	s_cbranch_execz .LBB472_4
; %bb.3:
	global_load_ushort v0, v[3:4], off offset:128
	s_waitcnt vmcnt(0)
	v_lshlrev_b32_e32 v6, 16, v0
.LBB472_4:
	s_or_b32 exec_lo, exec_lo, s2
	v_cmp_lt_i32_e64 s2, 1, v5
	v_mov_b32_e32 v0, 0xff800000
	v_mov_b32_e32 v8, 0xff800000
	s_and_b32 s3, s2, s1
	s_and_saveexec_b32 s4, s3
	s_cbranch_execz .LBB472_6
; %bb.5:
	s_mov_b32 s15, 0
	s_lshl_b64 s[6:7], s[14:15], 1
	v_add_co_u32 v8, s3, v3, s6
	v_add_co_ci_u32_e64 v9, null, s7, v4, s3
	global_load_ushort v8, v[8:9], off
	s_waitcnt vmcnt(0)
	v_lshlrev_b32_e32 v8, 16, v8
.LBB472_6:
	s_or_b32 exec_lo, exec_lo, s4
	s_and_b32 s2, s2, s0
	s_and_saveexec_b32 s3, s2
	s_cbranch_execz .LBB472_8
; %bb.7:
	s_mov_b32 s15, 0
	s_lshl_b64 s[4:5], s[14:15], 1
	v_add_co_u32 v3, s2, v3, s4
	v_add_co_ci_u32_e64 v4, null, s5, v4, s2
	global_load_ushort v0, v[3:4], off offset:128
	s_waitcnt vmcnt(0)
	v_lshlrev_b32_e32 v0, 16, v0
.LBB472_8:
	s_or_b32 exec_lo, exec_lo, s3
	v_mbcnt_lo_u32_b32 v3, -1, 0
	v_or_b32_e32 v4, 32, v3
	v_xor_b32_e32 v13, 16, v3
	v_xor_b32_e32 v14, 8, v3
	;; [unrolled: 1-line block ×4, first 2 shown]
	v_cmp_gt_i32_e64 s2, 64, v4
	v_xor_b32_e32 v17, 1, v3
	v_cndmask_b32_e64 v4, v3, v4, s2
	v_cmp_gt_f32_e64 s2, v7, v6
	v_lshlrev_b32_e32 v10, 2, v4
	v_cndmask_b32_e64 v9, v6, v7, s2
	v_cmp_gt_f32_e64 s2, v8, v0
	ds_bpermute_b32 v11, v10, v9
	v_cndmask_b32_e64 v4, v0, v8, s2
	v_cmp_gt_i32_e64 s2, 64, v13
	ds_bpermute_b32 v12, v10, v4
	v_cndmask_b32_e64 v13, v3, v13, s2
	v_lshlrev_b32_e32 v13, 2, v13
	s_waitcnt lgkmcnt(1)
	v_cmp_lt_f32_e64 s2, v9, v11
	v_cndmask_b32_e64 v9, v9, v11, s2
	s_waitcnt lgkmcnt(0)
	v_cmp_lt_f32_e64 s2, v4, v12
	ds_bpermute_b32 v11, v13, v9
	v_cndmask_b32_e64 v4, v4, v12, s2
	v_cmp_gt_i32_e64 s2, 64, v14
	ds_bpermute_b32 v12, v13, v4
	v_cndmask_b32_e64 v14, v3, v14, s2
	v_lshlrev_b32_e32 v14, 2, v14
	s_waitcnt lgkmcnt(1)
	v_cmp_lt_f32_e64 s2, v9, v11
	v_cndmask_b32_e64 v9, v9, v11, s2
	s_waitcnt lgkmcnt(0)
	v_cmp_lt_f32_e64 s2, v4, v12
	;; [unrolled: 11-line block ×5, first 2 shown]
	ds_bpermute_b32 v9, v17, v3
	v_cndmask_b32_e64 v4, v4, v12, s2
	ds_bpermute_b32 v11, v17, v4
	s_waitcnt lgkmcnt(1)
	v_cmp_lt_f32_e64 s2, v3, v9
	v_cndmask_b32_e64 v3, v3, v9, s2
	s_waitcnt lgkmcnt(0)
	v_cmp_lt_f32_e64 s2, v4, v11
	v_sub_f32_e32 v7, v7, v3
	v_cndmask_b32_e64 v4, v4, v11, s2
	v_sub_f32_e32 v3, v6, v3
	v_cmp_ngt_f32_e64 s2, 0xc2ce8ed0, v7
	v_sub_f32_e32 v6, v8, v4
	v_sub_f32_e32 v0, v0, v4
	v_mul_f32_e32 v4, 0x3fb8aa3b, v7
	v_mul_f32_e32 v8, 0x3fb8aa3b, v3
	;; [unrolled: 1-line block ×4, first 2 shown]
	v_fma_f32 v12, 0x3fb8aa3b, v7, -v4
	v_rndne_f32_e32 v18, v4
	v_fma_f32 v19, 0x3fb8aa3b, v3, -v8
	v_rndne_f32_e32 v20, v8
	v_fma_f32 v21, 0x3fb8aa3b, v6, -v9
	v_fmac_f32_e32 v12, 0x32a5705f, v7
	v_sub_f32_e32 v4, v4, v18
	v_rndne_f32_e32 v22, v9
	v_fmac_f32_e32 v19, 0x32a5705f, v3
	v_sub_f32_e32 v8, v8, v20
	v_fma_f32 v23, 0x3fb8aa3b, v0, -v11
	v_add_f32_e32 v4, v4, v12
	v_rndne_f32_e32 v24, v11
	v_fmac_f32_e32 v21, 0x32a5705f, v6
	v_sub_f32_e32 v9, v9, v22
	v_add_f32_e32 v8, v8, v19
	v_exp_f32_e32 v4, v4
	v_fmac_f32_e32 v23, 0x32a5705f, v0
	v_sub_f32_e32 v11, v11, v24
	v_add_f32_e32 v9, v9, v21
	v_exp_f32_e32 v8, v8
	v_cvt_i32_f32_e32 v12, v18
	v_cvt_i32_f32_e32 v18, v20
	v_add_f32_e32 v11, v11, v23
	v_exp_f32_e32 v9, v9
	v_cvt_i32_f32_e32 v19, v22
	v_ldexp_f32 v4, v4, v12
	v_cvt_i32_f32_e32 v20, v24
	v_exp_f32_e32 v11, v11
	v_ldexp_f32 v8, v8, v18
	v_cndmask_b32_e64 v4, 0, v4, s2
	v_cmp_ngt_f32_e64 s2, 0xc2ce8ed0, v3
	v_ldexp_f32 v9, v9, v19
	v_cndmask_b32_e64 v8, 0, v8, s2
	v_cmp_ngt_f32_e64 s2, 0xc2ce8ed0, v6
	;; [unrolled: 3-line block ×3, first 2 shown]
	v_cndmask_b32_e64 v11, 0, v11, s2
	v_cmp_nlt_f32_e64 s2, 0x42b17218, v7
	v_cndmask_b32_e64 v9, 0x7f800000, v4, s2
	v_cmp_nlt_f32_e64 s2, 0x42b17218, v3
	;; [unrolled: 2-line block ×4, first 2 shown]
	v_add_f32_e32 v0, v9, v7
	v_cndmask_b32_e64 v3, 0x7f800000, v11, s2
	ds_bpermute_b32 v8, v10, v0
	v_add_f32_e32 v6, v4, v3
	ds_bpermute_b32 v10, v10, v6
	s_waitcnt lgkmcnt(1)
	v_add_f32_e32 v0, v0, v8
	ds_bpermute_b32 v8, v13, v0
	s_waitcnt lgkmcnt(1)
	;; [unrolled: 3-line block ×9, first 2 shown]
	v_add_f32_e32 v10, v0, v8
	s_waitcnt lgkmcnt(0)
	v_add_f32_e32 v6, v6, v11
	ds_bpermute_b32 v11, v17, v10
	ds_bpermute_b32 v8, v17, v6
	s_and_saveexec_b32 s2, vcc_lo
	s_cbranch_execz .LBB472_24
; %bb.9:
	v_add_co_u32 v0, vcc_lo, s8, v1
	v_add_co_ci_u32_e64 v1, null, s9, v2, vcc_lo
	s_and_saveexec_b32 s3, s1
	s_cbranch_execz .LBB472_16
; %bb.10:
	s_waitcnt lgkmcnt(1)
	v_add_f32_e32 v2, v10, v11
	v_mov_b32_e32 v10, 0x7fc0
	v_cmp_neq_f32_e64 s2, 0, v2
	s_and_saveexec_b32 s4, s2
	s_cbranch_execz .LBB472_12
; %bb.11:
	v_div_scale_f32 v10, null, v2, v2, v9
	v_div_scale_f32 v13, vcc_lo, v9, v2, v9
	v_rcp_f32_e32 v11, v10
	v_fma_f32 v12, -v10, v11, 1.0
	v_fmac_f32_e32 v11, v12, v11
	v_mul_f32_e32 v12, v13, v11
	v_fma_f32 v14, -v10, v12, v13
	v_fmac_f32_e32 v12, v14, v11
	v_fma_f32 v10, -v10, v12, v13
	v_div_fmas_f32 v10, v10, v11, v12
	v_div_fixup_f32 v9, v10, v2, v9
	v_bfe_u32 v10, v9, 16, 1
	v_cmp_o_f32_e32 vcc_lo, v9, v9
	v_add3_u32 v9, v9, v10, 0x7fff
	v_mov_b32_e32 v10, 0x7fc0
	v_cndmask_b32_sdwa v10, v10, v9, vcc_lo dst_sel:DWORD dst_unused:UNUSED_PAD src0_sel:DWORD src1_sel:WORD_1
.LBB472_12:
	s_or_b32 exec_lo, exec_lo, s4
	global_store_short v[0:1], v10, off
	s_and_b32 exec_lo, exec_lo, s0
	s_cbranch_execz .LBB472_16
; %bb.13:
	v_mov_b32_e32 v9, 0x7fc0
	s_and_saveexec_b32 s4, s2
	s_cbranch_execz .LBB472_15
; %bb.14:
	v_div_scale_f32 v9, null, v2, v2, v7
	v_div_scale_f32 v12, vcc_lo, v7, v2, v7
	v_rcp_f32_e32 v10, v9
	v_fma_f32 v11, -v9, v10, 1.0
	v_fmac_f32_e32 v10, v11, v10
	v_mul_f32_e32 v11, v12, v10
	v_fma_f32 v13, -v9, v11, v12
	v_fmac_f32_e32 v11, v13, v10
	v_fma_f32 v9, -v9, v11, v12
	v_div_fmas_f32 v9, v9, v10, v11
	v_div_fixup_f32 v2, v9, v2, v7
	v_bfe_u32 v7, v2, 16, 1
	v_cmp_o_f32_e32 vcc_lo, v2, v2
	v_add3_u32 v2, v2, v7, 0x7fff
	v_mov_b32_e32 v7, 0x7fc0
	v_cndmask_b32_sdwa v9, v7, v2, vcc_lo dst_sel:DWORD dst_unused:UNUSED_PAD src0_sel:DWORD src1_sel:WORD_1
.LBB472_15:
	s_or_b32 exec_lo, exec_lo, s4
	global_store_short v[0:1], v9, off offset:128
.LBB472_16:
	s_or_b32 exec_lo, exec_lo, s3
	v_cmp_ne_u32_e32 vcc_lo, 1, v5
	s_and_b32 exec_lo, exec_lo, vcc_lo
	s_cbranch_execz .LBB472_24
; %bb.17:
	s_and_b32 exec_lo, exec_lo, s1
	s_cbranch_execz .LBB472_24
; %bb.18:
	s_waitcnt lgkmcnt(0)
	v_add_f32_e32 v2, v6, v8
	v_mov_b32_e32 v5, 0x7fc0
	s_mov_b32 s15, 0
	v_cmp_neq_f32_e64 s1, 0, v2
	s_and_saveexec_b32 s2, s1
	s_cbranch_execz .LBB472_20
; %bb.19:
	v_div_scale_f32 v5, null, v2, v2, v4
	v_div_scale_f32 v8, vcc_lo, v4, v2, v4
	v_rcp_f32_e32 v6, v5
	v_fma_f32 v7, -v5, v6, 1.0
	v_fmac_f32_e32 v6, v7, v6
	v_mul_f32_e32 v7, v8, v6
	v_fma_f32 v9, -v5, v7, v8
	v_fmac_f32_e32 v7, v9, v6
	v_fma_f32 v5, -v5, v7, v8
	v_div_fmas_f32 v5, v5, v6, v7
	v_div_fixup_f32 v4, v5, v2, v4
	v_bfe_u32 v5, v4, 16, 1
	v_cmp_o_f32_e32 vcc_lo, v4, v4
	v_add3_u32 v4, v4, v5, 0x7fff
	v_mov_b32_e32 v5, 0x7fc0
	v_cndmask_b32_sdwa v5, v5, v4, vcc_lo dst_sel:DWORD dst_unused:UNUSED_PAD src0_sel:DWORD src1_sel:WORD_1
.LBB472_20:
	s_or_b32 exec_lo, exec_lo, s2
	s_lshl_b64 s[2:3], s[14:15], 1
	v_add_co_u32 v0, vcc_lo, v0, s2
	v_add_co_ci_u32_e64 v1, null, s3, v1, vcc_lo
	global_store_short v[0:1], v5, off
	s_and_b32 exec_lo, exec_lo, s0
	s_cbranch_execz .LBB472_24
; %bb.21:
	v_mov_b32_e32 v4, 0x7fc0
	s_and_saveexec_b32 s0, s1
	s_cbranch_execz .LBB472_23
; %bb.22:
	v_div_scale_f32 v4, null, v2, v2, v3
	v_div_scale_f32 v7, vcc_lo, v3, v2, v3
	v_rcp_f32_e32 v5, v4
	v_fma_f32 v6, -v4, v5, 1.0
	v_fmac_f32_e32 v5, v6, v5
	v_mul_f32_e32 v6, v7, v5
	v_fma_f32 v8, -v4, v6, v7
	v_fmac_f32_e32 v6, v8, v5
	v_fma_f32 v4, -v4, v6, v7
	v_div_fmas_f32 v4, v4, v5, v6
	v_div_fixup_f32 v2, v4, v2, v3
	v_bfe_u32 v3, v2, 16, 1
	v_cmp_o_f32_e32 vcc_lo, v2, v2
	v_add3_u32 v2, v2, v3, 0x7fff
	v_mov_b32_e32 v3, 0x7fc0
	v_cndmask_b32_sdwa v4, v3, v2, vcc_lo dst_sel:DWORD dst_unused:UNUSED_PAD src0_sel:DWORD src1_sel:WORD_1
.LBB472_23:
	s_or_b32 exec_lo, exec_lo, s0
	global_store_short v[0:1], v4, off offset:128
.LBB472_24:
	s_endpgm
	.section	.rodata,"a",@progbits
	.p2align	6, 0x0
	.amdhsa_kernel _ZN12_GLOBAL__N_120softmax_warp_forwardIN3c108BFloat16ES2_fLi7ELb0ELb0ELi64EEEvPT0_PKT_iiiPKbib
		.amdhsa_group_segment_fixed_size 0
		.amdhsa_private_segment_fixed_size 0
		.amdhsa_kernarg_size 304
		.amdhsa_user_sgpr_count 6
		.amdhsa_user_sgpr_private_segment_buffer 1
		.amdhsa_user_sgpr_dispatch_ptr 0
		.amdhsa_user_sgpr_queue_ptr 0
		.amdhsa_user_sgpr_kernarg_segment_ptr 1
		.amdhsa_user_sgpr_dispatch_id 0
		.amdhsa_user_sgpr_flat_scratch_init 0
		.amdhsa_user_sgpr_private_segment_size 0
		.amdhsa_wavefront_size32 1
		.amdhsa_uses_dynamic_stack 0
		.amdhsa_system_sgpr_private_segment_wavefront_offset 0
		.amdhsa_system_sgpr_workgroup_id_x 1
		.amdhsa_system_sgpr_workgroup_id_y 0
		.amdhsa_system_sgpr_workgroup_id_z 0
		.amdhsa_system_sgpr_workgroup_info 0
		.amdhsa_system_vgpr_workitem_id 1
		.amdhsa_next_free_vgpr 25
		.amdhsa_next_free_sgpr 16
		.amdhsa_reserve_vcc 1
		.amdhsa_reserve_flat_scratch 0
		.amdhsa_float_round_mode_32 0
		.amdhsa_float_round_mode_16_64 0
		.amdhsa_float_denorm_mode_32 3
		.amdhsa_float_denorm_mode_16_64 3
		.amdhsa_dx10_clamp 1
		.amdhsa_ieee_mode 1
		.amdhsa_fp16_overflow 0
		.amdhsa_workgroup_processor_mode 1
		.amdhsa_memory_ordered 1
		.amdhsa_forward_progress 1
		.amdhsa_shared_vgpr_count 0
		.amdhsa_exception_fp_ieee_invalid_op 0
		.amdhsa_exception_fp_denorm_src 0
		.amdhsa_exception_fp_ieee_div_zero 0
		.amdhsa_exception_fp_ieee_overflow 0
		.amdhsa_exception_fp_ieee_underflow 0
		.amdhsa_exception_fp_ieee_inexact 0
		.amdhsa_exception_int_div_zero 0
	.end_amdhsa_kernel
	.section	.text._ZN12_GLOBAL__N_120softmax_warp_forwardIN3c108BFloat16ES2_fLi7ELb0ELb0ELi64EEEvPT0_PKT_iiiPKbib,"axG",@progbits,_ZN12_GLOBAL__N_120softmax_warp_forwardIN3c108BFloat16ES2_fLi7ELb0ELb0ELi64EEEvPT0_PKT_iiiPKbib,comdat
.Lfunc_end472:
	.size	_ZN12_GLOBAL__N_120softmax_warp_forwardIN3c108BFloat16ES2_fLi7ELb0ELb0ELi64EEEvPT0_PKT_iiiPKbib, .Lfunc_end472-_ZN12_GLOBAL__N_120softmax_warp_forwardIN3c108BFloat16ES2_fLi7ELb0ELb0ELi64EEEvPT0_PKT_iiiPKbib
                                        ; -- End function
	.set _ZN12_GLOBAL__N_120softmax_warp_forwardIN3c108BFloat16ES2_fLi7ELb0ELb0ELi64EEEvPT0_PKT_iiiPKbib.num_vgpr, 25
	.set _ZN12_GLOBAL__N_120softmax_warp_forwardIN3c108BFloat16ES2_fLi7ELb0ELb0ELi64EEEvPT0_PKT_iiiPKbib.num_agpr, 0
	.set _ZN12_GLOBAL__N_120softmax_warp_forwardIN3c108BFloat16ES2_fLi7ELb0ELb0ELi64EEEvPT0_PKT_iiiPKbib.numbered_sgpr, 16
	.set _ZN12_GLOBAL__N_120softmax_warp_forwardIN3c108BFloat16ES2_fLi7ELb0ELb0ELi64EEEvPT0_PKT_iiiPKbib.num_named_barrier, 0
	.set _ZN12_GLOBAL__N_120softmax_warp_forwardIN3c108BFloat16ES2_fLi7ELb0ELb0ELi64EEEvPT0_PKT_iiiPKbib.private_seg_size, 0
	.set _ZN12_GLOBAL__N_120softmax_warp_forwardIN3c108BFloat16ES2_fLi7ELb0ELb0ELi64EEEvPT0_PKT_iiiPKbib.uses_vcc, 1
	.set _ZN12_GLOBAL__N_120softmax_warp_forwardIN3c108BFloat16ES2_fLi7ELb0ELb0ELi64EEEvPT0_PKT_iiiPKbib.uses_flat_scratch, 0
	.set _ZN12_GLOBAL__N_120softmax_warp_forwardIN3c108BFloat16ES2_fLi7ELb0ELb0ELi64EEEvPT0_PKT_iiiPKbib.has_dyn_sized_stack, 0
	.set _ZN12_GLOBAL__N_120softmax_warp_forwardIN3c108BFloat16ES2_fLi7ELb0ELb0ELi64EEEvPT0_PKT_iiiPKbib.has_recursion, 0
	.set _ZN12_GLOBAL__N_120softmax_warp_forwardIN3c108BFloat16ES2_fLi7ELb0ELb0ELi64EEEvPT0_PKT_iiiPKbib.has_indirect_call, 0
	.section	.AMDGPU.csdata,"",@progbits
; Kernel info:
; codeLenInByte = 2140
; TotalNumSgprs: 18
; NumVgprs: 25
; ScratchSize: 0
; MemoryBound: 0
; FloatMode: 240
; IeeeMode: 1
; LDSByteSize: 0 bytes/workgroup (compile time only)
; SGPRBlocks: 0
; VGPRBlocks: 3
; NumSGPRsForWavesPerEU: 18
; NumVGPRsForWavesPerEU: 25
; Occupancy: 16
; WaveLimiterHint : 0
; COMPUTE_PGM_RSRC2:SCRATCH_EN: 0
; COMPUTE_PGM_RSRC2:USER_SGPR: 6
; COMPUTE_PGM_RSRC2:TRAP_HANDLER: 0
; COMPUTE_PGM_RSRC2:TGID_X_EN: 1
; COMPUTE_PGM_RSRC2:TGID_Y_EN: 0
; COMPUTE_PGM_RSRC2:TGID_Z_EN: 0
; COMPUTE_PGM_RSRC2:TIDIG_COMP_CNT: 1
	.section	.text._ZN12_GLOBAL__N_120softmax_warp_forwardIN3c108BFloat16ES2_fLi7ELb0ELb0ELi32EEEvPT0_PKT_iiiPKbib,"axG",@progbits,_ZN12_GLOBAL__N_120softmax_warp_forwardIN3c108BFloat16ES2_fLi7ELb0ELb0ELi32EEEvPT0_PKT_iiiPKbib,comdat
	.globl	_ZN12_GLOBAL__N_120softmax_warp_forwardIN3c108BFloat16ES2_fLi7ELb0ELb0ELi32EEEvPT0_PKT_iiiPKbib ; -- Begin function _ZN12_GLOBAL__N_120softmax_warp_forwardIN3c108BFloat16ES2_fLi7ELb0ELb0ELi32EEEvPT0_PKT_iiiPKbib
	.p2align	8
	.type	_ZN12_GLOBAL__N_120softmax_warp_forwardIN3c108BFloat16ES2_fLi7ELb0ELb0ELi32EEEvPT0_PKT_iiiPKbib,@function
_ZN12_GLOBAL__N_120softmax_warp_forwardIN3c108BFloat16ES2_fLi7ELb0ELb0ELi32EEEvPT0_PKT_iiiPKbib: ; @_ZN12_GLOBAL__N_120softmax_warp_forwardIN3c108BFloat16ES2_fLi7ELb0ELb0ELi32EEEvPT0_PKT_iiiPKbib
; %bb.0:
	s_clause 0x1
	s_load_dword s0, s[4:5], 0x3c
	s_load_dwordx8 s[8:15], s[4:5], 0x0
	v_mov_b32_e32 v6, 0xff800000
	v_mov_b32_e32 v13, 0xff800000
	s_waitcnt lgkmcnt(0)
	s_lshr_b32 s0, s0, 16
	v_cmp_gt_i32_e64 s3, s14, v0
	s_and_b32 s0, s0, 0xffff
	s_mul_i32 s6, s6, s0
	v_add_lshl_u32 v3, s6, v1, 1
	v_mad_u64_u32 v[1:2], null, v3, s13, v[0:1]
	v_sub_nc_u32_e32 v5, s12, v3
	v_cmp_lt_i32_e32 vcc_lo, 0, v5
	v_ashrrev_i32_e32 v2, 31, v1
	s_and_b32 s1, vcc_lo, s3
	v_lshlrev_b64 v[1:2], 1, v[1:2]
	v_add_co_u32 v3, s0, s10, v1
	v_add_co_ci_u32_e64 v4, null, s11, v2, s0
	s_and_saveexec_b32 s0, s1
	s_cbranch_execz .LBB473_2
; %bb.1:
	global_load_ushort v7, v[3:4], off
	s_waitcnt vmcnt(0)
	v_lshlrev_b32_e32 v13, 16, v7
.LBB473_2:
	s_or_b32 exec_lo, exec_lo, s0
	v_add_nc_u32_e32 v7, 32, v0
	v_cmp_gt_i32_e64 s2, s14, v7
	s_and_b32 s1, vcc_lo, s2
	s_and_saveexec_b32 s0, s1
	s_cbranch_execz .LBB473_4
; %bb.3:
	global_load_ushort v6, v[3:4], off offset:64
	s_waitcnt vmcnt(0)
	v_lshlrev_b32_e32 v6, 16, v6
.LBB473_4:
	s_or_b32 exec_lo, exec_lo, s0
	v_add_nc_u32_e32 v7, 64, v0
	v_mov_b32_e32 v9, 0xff800000
	v_mov_b32_e32 v14, 0xff800000
	v_cmp_gt_i32_e64 s1, s14, v7
	s_and_b32 s4, vcc_lo, s1
	s_and_saveexec_b32 s0, s4
	s_cbranch_execz .LBB473_6
; %bb.5:
	global_load_ushort v7, v[3:4], off offset:128
	s_waitcnt vmcnt(0)
	v_lshlrev_b32_e32 v14, 16, v7
.LBB473_6:
	s_or_b32 exec_lo, exec_lo, s0
	v_add_nc_u32_e32 v0, 0x60, v0
	v_cmp_gt_i32_e64 s0, s14, v0
	s_and_b32 s5, vcc_lo, s0
	s_and_saveexec_b32 s4, s5
	s_cbranch_execz .LBB473_8
; %bb.7:
	global_load_ushort v0, v[3:4], off offset:192
	s_waitcnt vmcnt(0)
	v_lshlrev_b32_e32 v9, 16, v0
.LBB473_8:
	s_or_b32 exec_lo, exec_lo, s4
	v_cmp_lt_i32_e64 s4, 1, v5
	v_mov_b32_e32 v12, 0xff800000
	v_mov_b32_e32 v16, 0xff800000
	s_and_b32 s5, s4, s3
	s_and_saveexec_b32 s6, s5
	s_cbranch_execz .LBB473_10
; %bb.9:
	s_mov_b32 s15, 0
	s_lshl_b64 s[10:11], s[14:15], 1
	v_add_co_u32 v7, s5, v3, s10
	v_add_co_ci_u32_e64 v8, null, s11, v4, s5
	global_load_ushort v0, v[7:8], off
	s_waitcnt vmcnt(0)
	v_lshlrev_b32_e32 v16, 16, v0
.LBB473_10:
	s_or_b32 exec_lo, exec_lo, s6
	s_and_b32 s5, s4, s2
	s_and_saveexec_b32 s6, s5
	s_cbranch_execz .LBB473_12
; %bb.11:
	s_mov_b32 s15, 0
	s_lshl_b64 s[10:11], s[14:15], 1
	v_add_co_u32 v7, s5, v3, s10
	v_add_co_ci_u32_e64 v8, null, s11, v4, s5
	global_load_ushort v0, v[7:8], off offset:64
	s_waitcnt vmcnt(0)
	v_lshlrev_b32_e32 v12, 16, v0
.LBB473_12:
	s_or_b32 exec_lo, exec_lo, s6
	v_mov_b32_e32 v15, 0xff800000
	v_mov_b32_e32 v17, 0xff800000
	s_and_b32 s5, s4, s1
	s_and_saveexec_b32 s6, s5
	s_cbranch_execz .LBB473_14
; %bb.13:
	s_mov_b32 s15, 0
	s_lshl_b64 s[10:11], s[14:15], 1
	v_add_co_u32 v7, s5, v3, s10
	v_add_co_ci_u32_e64 v8, null, s11, v4, s5
	global_load_ushort v0, v[7:8], off offset:128
	s_waitcnt vmcnt(0)
	v_lshlrev_b32_e32 v17, 16, v0
.LBB473_14:
	s_or_b32 exec_lo, exec_lo, s6
	s_and_b32 s4, s4, s0
	s_and_saveexec_b32 s5, s4
	s_cbranch_execz .LBB473_16
; %bb.15:
	s_mov_b32 s15, 0
	s_lshl_b64 s[6:7], s[14:15], 1
	v_add_co_u32 v3, s4, v3, s6
	v_add_co_ci_u32_e64 v4, null, s7, v4, s4
	global_load_ushort v0, v[3:4], off offset:192
	s_waitcnt vmcnt(0)
	v_lshlrev_b32_e32 v15, 16, v0
.LBB473_16:
	s_or_b32 exec_lo, exec_lo, s5
	v_cmp_gt_f32_e64 s4, v13, v6
	v_mbcnt_lo_u32_b32 v3, -1, 0
	v_cndmask_b32_e64 v0, v6, v13, s4
	v_cmp_gt_f32_e64 s4, v16, v12
	v_xor_b32_e32 v4, 16, v3
	v_cndmask_b32_e64 v7, v12, v16, s4
	v_cmp_gt_f32_e64 s4, v0, v14
	v_cndmask_b32_e64 v0, v14, v0, s4
	v_cmp_gt_i32_e64 s4, 32, v4
	v_cndmask_b32_e64 v4, v3, v4, s4
	v_cmp_gt_f32_e64 s4, v7, v17
	v_cndmask_b32_e64 v7, v17, v7, s4
	v_cmp_gt_f32_e64 s4, v0, v9
	v_cndmask_b32_e64 v8, v9, v0, s4
	v_lshlrev_b32_e32 v0, 2, v4
	v_cmp_gt_f32_e64 s4, v7, v15
	ds_bpermute_b32 v10, v0, v8
	v_cndmask_b32_e64 v4, v15, v7, s4
	v_xor_b32_e32 v7, 8, v3
	ds_bpermute_b32 v11, v0, v4
	v_cmp_gt_i32_e64 s4, 32, v7
	v_cndmask_b32_e64 v7, v3, v7, s4
	v_lshlrev_b32_e32 v7, 2, v7
	s_waitcnt lgkmcnt(1)
	v_cmp_lt_f32_e64 s4, v8, v10
	v_cndmask_b32_e64 v10, v8, v10, s4
	s_waitcnt lgkmcnt(0)
	v_cmp_lt_f32_e64 s4, v4, v11
	v_xor_b32_e32 v8, 4, v3
	v_cndmask_b32_e64 v4, v4, v11, s4
	ds_bpermute_b32 v11, v7, v10
	v_cmp_gt_i32_e64 s4, 32, v8
	ds_bpermute_b32 v18, v7, v4
	v_cndmask_b32_e64 v8, v3, v8, s4
	v_lshlrev_b32_e32 v8, 2, v8
	s_waitcnt lgkmcnt(1)
	v_cmp_lt_f32_e64 s4, v10, v11
	v_cndmask_b32_e64 v11, v10, v11, s4
	s_waitcnt lgkmcnt(0)
	v_cmp_lt_f32_e64 s4, v4, v18
	v_xor_b32_e32 v10, 2, v3
	v_cndmask_b32_e64 v4, v4, v18, s4
	ds_bpermute_b32 v18, v8, v11
	v_cmp_gt_i32_e64 s4, 32, v10
	ds_bpermute_b32 v19, v8, v4
	;; [unrolled: 12-line block ×3, first 2 shown]
	v_cndmask_b32_e64 v3, v3, v11, s4
	v_lshlrev_b32_e32 v11, 2, v3
	s_waitcnt lgkmcnt(1)
	v_cmp_lt_f32_e64 s4, v18, v19
	v_cndmask_b32_e64 v3, v18, v19, s4
	s_waitcnt lgkmcnt(0)
	v_cmp_lt_f32_e64 s4, v4, v20
	ds_bpermute_b32 v18, v11, v3
	v_cndmask_b32_e64 v4, v4, v20, s4
	ds_bpermute_b32 v19, v11, v4
	s_waitcnt lgkmcnt(1)
	v_cmp_lt_f32_e64 s4, v3, v18
	v_cndmask_b32_e64 v3, v3, v18, s4
	s_waitcnt lgkmcnt(0)
	v_cmp_lt_f32_e64 s4, v4, v19
	v_sub_f32_e32 v13, v13, v3
	v_cndmask_b32_e64 v4, v4, v19, s4
	v_sub_f32_e32 v6, v6, v3
	v_sub_f32_e32 v18, v14, v3
	;; [unrolled: 1-line block ×3, first 2 shown]
	v_cmp_ngt_f32_e64 s4, 0xc2ce8ed0, v13
	v_sub_f32_e32 v9, v16, v4
	v_sub_f32_e32 v12, v12, v4
	;; [unrolled: 1-line block ×4, first 2 shown]
	v_mul_f32_e32 v4, 0x3fb8aa3b, v13
	v_mul_f32_e32 v14, 0x3fb8aa3b, v6
	;; [unrolled: 1-line block ×5, first 2 shown]
	v_fma_f32 v24, 0x3fb8aa3b, v13, -v4
	v_rndne_f32_e32 v25, v4
	v_fma_f32 v26, 0x3fb8aa3b, v6, -v14
	v_rndne_f32_e32 v27, v14
	v_fma_f32 v28, 0x3fb8aa3b, v18, -v15
	v_fmac_f32_e32 v24, 0x32a5705f, v13
	v_sub_f32_e32 v4, v4, v25
	v_rndne_f32_e32 v29, v15
	v_fmac_f32_e32 v26, 0x32a5705f, v6
	v_sub_f32_e32 v14, v14, v27
	v_mul_f32_e32 v20, 0x3fb8aa3b, v9
	v_add_f32_e32 v4, v4, v24
	v_fma_f32 v30, 0x3fb8aa3b, v3, -v19
	v_rndne_f32_e32 v31, v19
	v_fma_f32 v36, 0x3fb8aa3b, v16, -v22
	v_rndne_f32_e32 v37, v22
	v_fmac_f32_e32 v28, 0x32a5705f, v18
	v_sub_f32_e32 v15, v15, v29
	v_add_f32_e32 v14, v14, v26
	v_exp_f32_e32 v4, v4
	v_mul_f32_e32 v21, 0x3fb8aa3b, v12
	v_fma_f32 v32, 0x3fb8aa3b, v9, -v20
	v_rndne_f32_e32 v33, v20
	v_cvt_i32_f32_e32 v25, v25
	v_fmac_f32_e32 v30, 0x32a5705f, v3
	v_sub_f32_e32 v19, v19, v31
	v_fmac_f32_e32 v36, 0x32a5705f, v16
	v_sub_f32_e32 v22, v22, v37
	v_add_f32_e32 v15, v15, v28
	v_exp_f32_e32 v14, v14
	v_fma_f32 v34, 0x3fb8aa3b, v12, -v21
	v_rndne_f32_e32 v35, v21
	v_cvt_i32_f32_e32 v27, v27
	v_fmac_f32_e32 v32, 0x32a5705f, v9
	v_sub_f32_e32 v20, v20, v33
	v_add_f32_e32 v19, v19, v30
	v_add_f32_e32 v22, v22, v36
	v_exp_f32_e32 v15, v15
	v_ldexp_f32 v4, v4, v25
	v_mul_f32_e32 v23, 0x3fb8aa3b, v17
	v_cvt_i32_f32_e32 v29, v29
	v_fmac_f32_e32 v34, 0x32a5705f, v12
	v_sub_f32_e32 v21, v21, v35
	v_add_f32_e32 v20, v20, v32
	v_exp_f32_e32 v19, v19
	v_exp_f32_e32 v22, v22
	v_ldexp_f32 v14, v14, v27
	v_cndmask_b32_e64 v4, 0, v4, s4
	v_cmp_ngt_f32_e64 s4, 0xc2ce8ed0, v6
	v_fma_f32 v38, 0x3fb8aa3b, v17, -v23
	v_rndne_f32_e32 v39, v23
	v_cvt_i32_f32_e32 v31, v31
	v_add_f32_e32 v21, v21, v34
	v_exp_f32_e32 v20, v20
	v_cvt_i32_f32_e32 v24, v37
	v_ldexp_f32 v15, v15, v29
	v_cndmask_b32_e64 v14, 0, v14, s4
	v_cmp_ngt_f32_e64 s4, 0xc2ce8ed0, v18
	v_cvt_i32_f32_e32 v33, v33
	v_fmac_f32_e32 v38, 0x32a5705f, v17
	v_sub_f32_e32 v23, v23, v39
	v_exp_f32_e32 v21, v21
	v_ldexp_f32 v19, v19, v31
	v_ldexp_f32 v22, v22, v24
	v_cndmask_b32_e64 v24, 0, v15, s4
	v_cmp_ngt_f32_e64 s4, 0xc2ce8ed0, v3
	v_cvt_i32_f32_e32 v35, v35
	v_add_f32_e32 v23, v23, v38
	v_ldexp_f32 v20, v20, v33
	v_cvt_i32_f32_e32 v26, v39
	v_cndmask_b32_e64 v19, 0, v19, s4
	v_cmp_ngt_f32_e64 s4, 0xc2ce8ed0, v9
	v_exp_f32_e32 v23, v23
	v_ldexp_f32 v21, v21, v35
	v_cndmask_b32_e64 v20, 0, v20, s4
	v_cmp_ngt_f32_e64 s4, 0xc2ce8ed0, v12
	v_cndmask_b32_e64 v21, 0, v21, s4
	v_cmp_ngt_f32_e64 s4, 0xc2ce8ed0, v16
	v_ldexp_f32 v23, v23, v26
	v_cndmask_b32_e64 v22, 0, v22, s4
	v_cmp_ngt_f32_e64 s4, 0xc2ce8ed0, v17
	v_cndmask_b32_e64 v23, 0, v23, s4
	v_cmp_nlt_f32_e64 s4, 0x42b17218, v13
	v_cndmask_b32_e64 v15, 0x7f800000, v4, s4
	v_cmp_nlt_f32_e64 s4, 0x42b17218, v6
	;; [unrolled: 2-line block ×5, first 2 shown]
	v_add_f32_e32 v18, v9, v6
	v_cndmask_b32_e64 v13, 0x7f800000, v24, s4
	v_cmp_nlt_f32_e64 s4, 0x42b17218, v16
	v_add_f32_e32 v16, v15, v14
	v_cndmask_b32_e64 v4, 0x7f800000, v22, s4
	v_cmp_nlt_f32_e64 s4, 0x42b17218, v3
	;; [unrolled: 3-line block ×3, first 2 shown]
	v_add_f32_e32 v17, v18, v4
	v_add_f32_e32 v16, v16, v12
	v_cndmask_b32_e64 v3, 0x7f800000, v23, s4
	ds_bpermute_b32 v18, v0, v16
	v_add_f32_e32 v17, v17, v3
	ds_bpermute_b32 v0, v0, v17
	s_waitcnt lgkmcnt(1)
	v_add_f32_e32 v16, v16, v18
	s_waitcnt lgkmcnt(0)
	v_add_f32_e32 v0, v17, v0
	ds_bpermute_b32 v17, v7, v16
	ds_bpermute_b32 v7, v7, v0
	s_waitcnt lgkmcnt(1)
	v_add_f32_e32 v16, v16, v17
	s_waitcnt lgkmcnt(0)
	v_add_f32_e32 v0, v0, v7
	ds_bpermute_b32 v7, v8, v16
	;; [unrolled: 6-line block ×4, first 2 shown]
	ds_bpermute_b32 v8, v11, v7
	s_and_saveexec_b32 s4, vcc_lo
	s_cbranch_execz .LBB473_44
; %bb.17:
	v_add_co_u32 v0, vcc_lo, s8, v1
	v_add_co_ci_u32_e64 v1, null, s9, v2, vcc_lo
	s_and_saveexec_b32 s5, s3
	s_cbranch_execz .LBB473_30
; %bb.18:
	s_waitcnt lgkmcnt(1)
	v_add_f32_e32 v2, v10, v16
	v_mov_b32_e32 v10, 0x7fc0
	v_cmp_neq_f32_e64 s4, 0, v2
	s_and_saveexec_b32 s6, s4
	s_cbranch_execz .LBB473_20
; %bb.19:
	v_div_scale_f32 v10, null, v2, v2, v15
	v_div_scale_f32 v17, vcc_lo, v15, v2, v15
	v_rcp_f32_e32 v11, v10
	v_fma_f32 v16, -v10, v11, 1.0
	v_fmac_f32_e32 v11, v16, v11
	v_mul_f32_e32 v16, v17, v11
	v_fma_f32 v18, -v10, v16, v17
	v_fmac_f32_e32 v16, v18, v11
	v_fma_f32 v10, -v10, v16, v17
	v_div_fmas_f32 v10, v10, v11, v16
	v_div_fixup_f32 v10, v10, v2, v15
	v_bfe_u32 v11, v10, 16, 1
	v_cmp_o_f32_e32 vcc_lo, v10, v10
	v_add3_u32 v10, v10, v11, 0x7fff
	v_mov_b32_e32 v11, 0x7fc0
	v_cndmask_b32_sdwa v10, v11, v10, vcc_lo dst_sel:DWORD dst_unused:UNUSED_PAD src0_sel:DWORD src1_sel:WORD_1
.LBB473_20:
	s_or_b32 exec_lo, exec_lo, s6
	global_store_short v[0:1], v10, off
	s_and_b32 exec_lo, exec_lo, s2
	s_cbranch_execz .LBB473_30
; %bb.21:
	v_mov_b32_e32 v10, 0x7fc0
	s_and_saveexec_b32 s6, s4
	s_cbranch_execz .LBB473_23
; %bb.22:
	v_div_scale_f32 v10, null, v2, v2, v14
	v_div_scale_f32 v16, vcc_lo, v14, v2, v14
	v_rcp_f32_e32 v11, v10
	v_fma_f32 v15, -v10, v11, 1.0
	v_fmac_f32_e32 v11, v15, v11
	v_mul_f32_e32 v15, v16, v11
	v_fma_f32 v17, -v10, v15, v16
	v_fmac_f32_e32 v15, v17, v11
	v_fma_f32 v10, -v10, v15, v16
	v_div_fmas_f32 v10, v10, v11, v15
	v_div_fixup_f32 v10, v10, v2, v14
	v_bfe_u32 v11, v10, 16, 1
	v_cmp_o_f32_e32 vcc_lo, v10, v10
	v_add3_u32 v10, v10, v11, 0x7fff
	v_mov_b32_e32 v11, 0x7fc0
	v_cndmask_b32_sdwa v10, v11, v10, vcc_lo dst_sel:DWORD dst_unused:UNUSED_PAD src0_sel:DWORD src1_sel:WORD_1
.LBB473_23:
	s_or_b32 exec_lo, exec_lo, s6
	global_store_short v[0:1], v10, off offset:64
	s_and_b32 exec_lo, exec_lo, s1
	s_cbranch_execz .LBB473_30
; %bb.24:
	v_mov_b32_e32 v10, 0x7fc0
	s_and_saveexec_b32 s6, s4
	s_cbranch_execz .LBB473_26
; %bb.25:
	v_div_scale_f32 v10, null, v2, v2, v13
	v_div_scale_f32 v15, vcc_lo, v13, v2, v13
	v_rcp_f32_e32 v11, v10
	v_fma_f32 v14, -v10, v11, 1.0
	v_fmac_f32_e32 v11, v14, v11
	v_mul_f32_e32 v14, v15, v11
	v_fma_f32 v16, -v10, v14, v15
	v_fmac_f32_e32 v14, v16, v11
	v_fma_f32 v10, -v10, v14, v15
	v_div_fmas_f32 v10, v10, v11, v14
	v_div_fixup_f32 v10, v10, v2, v13
	v_bfe_u32 v11, v10, 16, 1
	v_cmp_o_f32_e32 vcc_lo, v10, v10
	v_add3_u32 v10, v10, v11, 0x7fff
	v_mov_b32_e32 v11, 0x7fc0
	v_cndmask_b32_sdwa v10, v11, v10, vcc_lo dst_sel:DWORD dst_unused:UNUSED_PAD src0_sel:DWORD src1_sel:WORD_1
.LBB473_26:
	s_or_b32 exec_lo, exec_lo, s6
	global_store_short v[0:1], v10, off offset:128
	;; [unrolled: 26-line block ×3, first 2 shown]
.LBB473_30:
	s_or_b32 exec_lo, exec_lo, s5
	v_cmp_ne_u32_e32 vcc_lo, 1, v5
	s_and_b32 exec_lo, exec_lo, vcc_lo
	s_cbranch_execz .LBB473_44
; %bb.31:
	s_and_b32 exec_lo, exec_lo, s3
	s_cbranch_execz .LBB473_44
; %bb.32:
	s_waitcnt lgkmcnt(0)
	v_add_f32_e32 v2, v7, v8
	v_mov_b32_e32 v5, 0x7fc0
	s_mov_b32 s15, 0
	v_cmp_neq_f32_e64 s3, 0, v2
	s_and_saveexec_b32 s4, s3
	s_cbranch_execz .LBB473_34
; %bb.33:
	v_div_scale_f32 v5, null, v2, v2, v9
	v_div_scale_f32 v10, vcc_lo, v9, v2, v9
	v_rcp_f32_e32 v7, v5
	v_fma_f32 v8, -v5, v7, 1.0
	v_fmac_f32_e32 v7, v8, v7
	v_mul_f32_e32 v8, v10, v7
	v_fma_f32 v11, -v5, v8, v10
	v_fmac_f32_e32 v8, v11, v7
	v_fma_f32 v5, -v5, v8, v10
	v_div_fmas_f32 v5, v5, v7, v8
	v_div_fixup_f32 v5, v5, v2, v9
	v_bfe_u32 v7, v5, 16, 1
	v_cmp_o_f32_e32 vcc_lo, v5, v5
	v_add3_u32 v5, v5, v7, 0x7fff
	v_mov_b32_e32 v7, 0x7fc0
	v_cndmask_b32_sdwa v5, v7, v5, vcc_lo dst_sel:DWORD dst_unused:UNUSED_PAD src0_sel:DWORD src1_sel:WORD_1
.LBB473_34:
	s_or_b32 exec_lo, exec_lo, s4
	s_lshl_b64 s[4:5], s[14:15], 1
	v_add_co_u32 v0, vcc_lo, v0, s4
	v_add_co_ci_u32_e64 v1, null, s5, v1, vcc_lo
	global_store_short v[0:1], v5, off
	s_and_b32 exec_lo, exec_lo, s2
	s_cbranch_execz .LBB473_44
; %bb.35:
	v_mov_b32_e32 v5, 0x7fc0
	s_and_saveexec_b32 s2, s3
	s_cbranch_execz .LBB473_37
; %bb.36:
	v_div_scale_f32 v5, null, v2, v2, v6
	v_div_scale_f32 v9, vcc_lo, v6, v2, v6
	v_rcp_f32_e32 v7, v5
	v_fma_f32 v8, -v5, v7, 1.0
	v_fmac_f32_e32 v7, v8, v7
	v_mul_f32_e32 v8, v9, v7
	v_fma_f32 v10, -v5, v8, v9
	v_fmac_f32_e32 v8, v10, v7
	v_fma_f32 v5, -v5, v8, v9
	v_div_fmas_f32 v5, v5, v7, v8
	v_div_fixup_f32 v5, v5, v2, v6
	v_bfe_u32 v6, v5, 16, 1
	v_cmp_o_f32_e32 vcc_lo, v5, v5
	v_add3_u32 v5, v5, v6, 0x7fff
	v_mov_b32_e32 v6, 0x7fc0
	v_cndmask_b32_sdwa v5, v6, v5, vcc_lo dst_sel:DWORD dst_unused:UNUSED_PAD src0_sel:DWORD src1_sel:WORD_1
.LBB473_37:
	s_or_b32 exec_lo, exec_lo, s2
	global_store_short v[0:1], v5, off offset:64
	s_and_b32 exec_lo, exec_lo, s1
	s_cbranch_execz .LBB473_44
; %bb.38:
	v_mov_b32_e32 v5, 0x7fc0
	s_and_saveexec_b32 s1, s3
	s_cbranch_execz .LBB473_40
; %bb.39:
	v_div_scale_f32 v5, null, v2, v2, v4
	v_div_scale_f32 v8, vcc_lo, v4, v2, v4
	v_rcp_f32_e32 v6, v5
	v_fma_f32 v7, -v5, v6, 1.0
	v_fmac_f32_e32 v6, v7, v6
	v_mul_f32_e32 v7, v8, v6
	v_fma_f32 v9, -v5, v7, v8
	v_fmac_f32_e32 v7, v9, v6
	v_fma_f32 v5, -v5, v7, v8
	v_div_fmas_f32 v5, v5, v6, v7
	v_div_fixup_f32 v4, v5, v2, v4
	v_bfe_u32 v5, v4, 16, 1
	v_cmp_o_f32_e32 vcc_lo, v4, v4
	v_add3_u32 v4, v4, v5, 0x7fff
	v_mov_b32_e32 v5, 0x7fc0
	v_cndmask_b32_sdwa v5, v5, v4, vcc_lo dst_sel:DWORD dst_unused:UNUSED_PAD src0_sel:DWORD src1_sel:WORD_1
.LBB473_40:
	s_or_b32 exec_lo, exec_lo, s1
	global_store_short v[0:1], v5, off offset:128
	;; [unrolled: 26-line block ×3, first 2 shown]
.LBB473_44:
	s_endpgm
	.section	.rodata,"a",@progbits
	.p2align	6, 0x0
	.amdhsa_kernel _ZN12_GLOBAL__N_120softmax_warp_forwardIN3c108BFloat16ES2_fLi7ELb0ELb0ELi32EEEvPT0_PKT_iiiPKbib
		.amdhsa_group_segment_fixed_size 0
		.amdhsa_private_segment_fixed_size 0
		.amdhsa_kernarg_size 304
		.amdhsa_user_sgpr_count 6
		.amdhsa_user_sgpr_private_segment_buffer 1
		.amdhsa_user_sgpr_dispatch_ptr 0
		.amdhsa_user_sgpr_queue_ptr 0
		.amdhsa_user_sgpr_kernarg_segment_ptr 1
		.amdhsa_user_sgpr_dispatch_id 0
		.amdhsa_user_sgpr_flat_scratch_init 0
		.amdhsa_user_sgpr_private_segment_size 0
		.amdhsa_wavefront_size32 1
		.amdhsa_uses_dynamic_stack 0
		.amdhsa_system_sgpr_private_segment_wavefront_offset 0
		.amdhsa_system_sgpr_workgroup_id_x 1
		.amdhsa_system_sgpr_workgroup_id_y 0
		.amdhsa_system_sgpr_workgroup_id_z 0
		.amdhsa_system_sgpr_workgroup_info 0
		.amdhsa_system_vgpr_workitem_id 1
		.amdhsa_next_free_vgpr 40
		.amdhsa_next_free_sgpr 16
		.amdhsa_reserve_vcc 1
		.amdhsa_reserve_flat_scratch 0
		.amdhsa_float_round_mode_32 0
		.amdhsa_float_round_mode_16_64 0
		.amdhsa_float_denorm_mode_32 3
		.amdhsa_float_denorm_mode_16_64 3
		.amdhsa_dx10_clamp 1
		.amdhsa_ieee_mode 1
		.amdhsa_fp16_overflow 0
		.amdhsa_workgroup_processor_mode 1
		.amdhsa_memory_ordered 1
		.amdhsa_forward_progress 1
		.amdhsa_shared_vgpr_count 0
		.amdhsa_exception_fp_ieee_invalid_op 0
		.amdhsa_exception_fp_denorm_src 0
		.amdhsa_exception_fp_ieee_div_zero 0
		.amdhsa_exception_fp_ieee_overflow 0
		.amdhsa_exception_fp_ieee_underflow 0
		.amdhsa_exception_fp_ieee_inexact 0
		.amdhsa_exception_int_div_zero 0
	.end_amdhsa_kernel
	.section	.text._ZN12_GLOBAL__N_120softmax_warp_forwardIN3c108BFloat16ES2_fLi7ELb0ELb0ELi32EEEvPT0_PKT_iiiPKbib,"axG",@progbits,_ZN12_GLOBAL__N_120softmax_warp_forwardIN3c108BFloat16ES2_fLi7ELb0ELb0ELi32EEEvPT0_PKT_iiiPKbib,comdat
.Lfunc_end473:
	.size	_ZN12_GLOBAL__N_120softmax_warp_forwardIN3c108BFloat16ES2_fLi7ELb0ELb0ELi32EEEvPT0_PKT_iiiPKbib, .Lfunc_end473-_ZN12_GLOBAL__N_120softmax_warp_forwardIN3c108BFloat16ES2_fLi7ELb0ELb0ELi32EEEvPT0_PKT_iiiPKbib
                                        ; -- End function
	.set _ZN12_GLOBAL__N_120softmax_warp_forwardIN3c108BFloat16ES2_fLi7ELb0ELb0ELi32EEEvPT0_PKT_iiiPKbib.num_vgpr, 40
	.set _ZN12_GLOBAL__N_120softmax_warp_forwardIN3c108BFloat16ES2_fLi7ELb0ELb0ELi32EEEvPT0_PKT_iiiPKbib.num_agpr, 0
	.set _ZN12_GLOBAL__N_120softmax_warp_forwardIN3c108BFloat16ES2_fLi7ELb0ELb0ELi32EEEvPT0_PKT_iiiPKbib.numbered_sgpr, 16
	.set _ZN12_GLOBAL__N_120softmax_warp_forwardIN3c108BFloat16ES2_fLi7ELb0ELb0ELi32EEEvPT0_PKT_iiiPKbib.num_named_barrier, 0
	.set _ZN12_GLOBAL__N_120softmax_warp_forwardIN3c108BFloat16ES2_fLi7ELb0ELb0ELi32EEEvPT0_PKT_iiiPKbib.private_seg_size, 0
	.set _ZN12_GLOBAL__N_120softmax_warp_forwardIN3c108BFloat16ES2_fLi7ELb0ELb0ELi32EEEvPT0_PKT_iiiPKbib.uses_vcc, 1
	.set _ZN12_GLOBAL__N_120softmax_warp_forwardIN3c108BFloat16ES2_fLi7ELb0ELb0ELi32EEEvPT0_PKT_iiiPKbib.uses_flat_scratch, 0
	.set _ZN12_GLOBAL__N_120softmax_warp_forwardIN3c108BFloat16ES2_fLi7ELb0ELb0ELi32EEEvPT0_PKT_iiiPKbib.has_dyn_sized_stack, 0
	.set _ZN12_GLOBAL__N_120softmax_warp_forwardIN3c108BFloat16ES2_fLi7ELb0ELb0ELi32EEEvPT0_PKT_iiiPKbib.has_recursion, 0
	.set _ZN12_GLOBAL__N_120softmax_warp_forwardIN3c108BFloat16ES2_fLi7ELb0ELb0ELi32EEEvPT0_PKT_iiiPKbib.has_indirect_call, 0
	.section	.AMDGPU.csdata,"",@progbits
; Kernel info:
; codeLenInByte = 3352
; TotalNumSgprs: 18
; NumVgprs: 40
; ScratchSize: 0
; MemoryBound: 0
; FloatMode: 240
; IeeeMode: 1
; LDSByteSize: 0 bytes/workgroup (compile time only)
; SGPRBlocks: 0
; VGPRBlocks: 4
; NumSGPRsForWavesPerEU: 18
; NumVGPRsForWavesPerEU: 40
; Occupancy: 16
; WaveLimiterHint : 0
; COMPUTE_PGM_RSRC2:SCRATCH_EN: 0
; COMPUTE_PGM_RSRC2:USER_SGPR: 6
; COMPUTE_PGM_RSRC2:TRAP_HANDLER: 0
; COMPUTE_PGM_RSRC2:TGID_X_EN: 1
; COMPUTE_PGM_RSRC2:TGID_Y_EN: 0
; COMPUTE_PGM_RSRC2:TGID_Z_EN: 0
; COMPUTE_PGM_RSRC2:TIDIG_COMP_CNT: 1
	.section	.text._ZN12_GLOBAL__N_120softmax_warp_forwardIN3c108BFloat16ES2_fLi8ELb0ELb0ELi64EEEvPT0_PKT_iiiPKbib,"axG",@progbits,_ZN12_GLOBAL__N_120softmax_warp_forwardIN3c108BFloat16ES2_fLi8ELb0ELb0ELi64EEEvPT0_PKT_iiiPKbib,comdat
	.globl	_ZN12_GLOBAL__N_120softmax_warp_forwardIN3c108BFloat16ES2_fLi8ELb0ELb0ELi64EEEvPT0_PKT_iiiPKbib ; -- Begin function _ZN12_GLOBAL__N_120softmax_warp_forwardIN3c108BFloat16ES2_fLi8ELb0ELb0ELi64EEEvPT0_PKT_iiiPKbib
	.p2align	8
	.type	_ZN12_GLOBAL__N_120softmax_warp_forwardIN3c108BFloat16ES2_fLi8ELb0ELb0ELi64EEEvPT0_PKT_iiiPKbib,@function
_ZN12_GLOBAL__N_120softmax_warp_forwardIN3c108BFloat16ES2_fLi8ELb0ELb0ELi64EEEvPT0_PKT_iiiPKbib: ; @_ZN12_GLOBAL__N_120softmax_warp_forwardIN3c108BFloat16ES2_fLi8ELb0ELb0ELi64EEEvPT0_PKT_iiiPKbib
; %bb.0:
	s_clause 0x1
	s_load_dword s0, s[4:5], 0x3c
	s_load_dwordx8 s[8:15], s[4:5], 0x0
	v_mov_b32_e32 v6, 0xff800000
	v_mov_b32_e32 v8, 0xff800000
	s_waitcnt lgkmcnt(0)
	s_lshr_b32 s0, s0, 16
	v_cmp_gt_i32_e32 vcc_lo, s14, v0
	v_mad_u64_u32 v[1:2], null, s6, s0, v[1:2]
	v_mad_u64_u32 v[2:3], null, v1, s13, v[0:1]
	v_sub_nc_u32_e32 v5, s12, v1
	v_cmp_lt_i32_e64 s3, 0, v5
	v_ashrrev_i32_e32 v3, 31, v2
	s_and_b32 s1, s3, vcc_lo
	v_lshlrev_b64 v[1:2], 1, v[2:3]
	v_add_co_u32 v3, s0, s10, v1
	v_add_co_ci_u32_e64 v4, null, s11, v2, s0
	s_and_saveexec_b32 s0, s1
	s_cbranch_execz .LBB474_2
; %bb.1:
	global_load_ushort v7, v[3:4], off
	s_waitcnt vmcnt(0)
	v_lshlrev_b32_e32 v8, 16, v7
.LBB474_2:
	s_or_b32 exec_lo, exec_lo, s0
	v_add_nc_u32_e32 v7, 64, v0
	v_cmp_gt_i32_e64 s2, s14, v7
	s_and_b32 s1, s3, s2
	s_and_saveexec_b32 s0, s1
	s_cbranch_execz .LBB474_4
; %bb.3:
	global_load_ushort v6, v[3:4], off offset:128
	s_waitcnt vmcnt(0)
	v_lshlrev_b32_e32 v6, 16, v6
.LBB474_4:
	s_or_b32 exec_lo, exec_lo, s0
	v_add_nc_u32_e32 v7, 0x80, v0
	v_mov_b32_e32 v9, 0xff800000
	v_cmp_gt_i32_e64 s1, s14, v7
	v_mov_b32_e32 v7, 0xff800000
	s_and_b32 s4, s3, s1
	s_and_saveexec_b32 s0, s4
	s_cbranch_execz .LBB474_6
; %bb.5:
	global_load_ushort v9, v[3:4], off offset:256
	s_waitcnt vmcnt(0)
	v_lshlrev_b32_e32 v9, 16, v9
.LBB474_6:
	s_or_b32 exec_lo, exec_lo, s0
	v_add_nc_u32_e32 v0, 0xc0, v0
	v_cmp_gt_i32_e64 s0, s14, v0
	s_and_b32 s4, s3, s0
	s_and_saveexec_b32 s3, s4
	s_cbranch_execz .LBB474_8
; %bb.7:
	global_load_ushort v0, v[3:4], off offset:384
	s_waitcnt vmcnt(0)
	v_lshlrev_b32_e32 v7, 16, v0
.LBB474_8:
	s_or_b32 exec_lo, exec_lo, s3
	v_cmp_gt_f32_e64 s3, v8, v6
	v_mbcnt_lo_u32_b32 v0, -1, 0
	s_mov_b32 s4, exec_lo
	v_cndmask_b32_e64 v3, v6, v8, s3
	v_or_b32_e32 v4, 32, v0
	v_xor_b32_e32 v11, 16, v0
	v_xor_b32_e32 v12, 8, v0
	v_xor_b32_e32 v13, 4, v0
	v_cmp_gt_f32_e64 s3, v3, v9
	v_xor_b32_e32 v14, 2, v0
	v_xor_b32_e32 v15, 1, v0
	v_cndmask_b32_e64 v3, v9, v3, s3
	v_cmp_gt_i32_e64 s3, 64, v4
	v_cndmask_b32_e64 v4, v0, v4, s3
	v_cmp_gt_f32_e64 s3, v3, v7
	v_lshlrev_b32_e32 v4, 2, v4
	v_cndmask_b32_e64 v3, v7, v3, s3
	v_cmp_gt_i32_e64 s3, 64, v11
	ds_bpermute_b32 v10, v4, v3
	v_cndmask_b32_e64 v11, v0, v11, s3
	v_lshlrev_b32_e32 v11, 2, v11
	s_waitcnt lgkmcnt(0)
	v_cmp_lt_f32_e64 s3, v3, v10
	v_cndmask_b32_e64 v3, v3, v10, s3
	v_cmp_gt_i32_e64 s3, 64, v12
	ds_bpermute_b32 v10, v11, v3
	v_cndmask_b32_e64 v12, v0, v12, s3
	v_lshlrev_b32_e32 v12, 2, v12
	s_waitcnt lgkmcnt(0)
	v_cmp_lt_f32_e64 s3, v3, v10
	v_cndmask_b32_e64 v3, v3, v10, s3
	v_cmp_gt_i32_e64 s3, 64, v13
	ds_bpermute_b32 v10, v12, v3
	v_cndmask_b32_e64 v13, v0, v13, s3
	v_lshlrev_b32_e32 v13, 2, v13
	s_waitcnt lgkmcnt(0)
	v_cmp_lt_f32_e64 s3, v3, v10
	v_cndmask_b32_e64 v3, v3, v10, s3
	v_cmp_gt_i32_e64 s3, 64, v14
	ds_bpermute_b32 v10, v13, v3
	v_cndmask_b32_e64 v14, v0, v14, s3
	v_lshlrev_b32_e32 v14, 2, v14
	s_waitcnt lgkmcnt(0)
	v_cmp_lt_f32_e64 s3, v3, v10
	v_cndmask_b32_e64 v3, v3, v10, s3
	v_cmp_gt_i32_e64 s3, 64, v15
	ds_bpermute_b32 v10, v14, v3
	v_cndmask_b32_e64 v0, v0, v15, s3
	v_lshlrev_b32_e32 v15, 2, v0
	s_waitcnt lgkmcnt(0)
	v_cmp_lt_f32_e64 s3, v3, v10
	v_cndmask_b32_e64 v0, v3, v10, s3
	ds_bpermute_b32 v3, v15, v0
	s_waitcnt lgkmcnt(0)
	v_cmp_lt_f32_e64 s3, v0, v3
	v_cndmask_b32_e64 v0, v0, v3, s3
	v_sub_f32_e32 v3, v8, v0
	v_sub_f32_e32 v6, v6, v0
	;; [unrolled: 1-line block ×4, first 2 shown]
	v_mul_f32_e32 v0, 0x3fb8aa3b, v3
	v_mul_f32_e32 v7, 0x3fb8aa3b, v6
	;; [unrolled: 1-line block ×4, first 2 shown]
	v_cmp_ngt_f32_e64 s3, 0xc2ce8ed0, v3
	v_fma_f32 v17, 0x3fb8aa3b, v3, -v0
	v_rndne_f32_e32 v18, v0
	v_fma_f32 v19, 0x3fb8aa3b, v6, -v7
	v_rndne_f32_e32 v20, v7
	v_fma_f32 v21, 0x3fb8aa3b, v8, -v10
	v_fmac_f32_e32 v17, 0x32a5705f, v3
	v_sub_f32_e32 v0, v0, v18
	v_rndne_f32_e32 v22, v10
	v_fmac_f32_e32 v19, 0x32a5705f, v6
	v_sub_f32_e32 v7, v7, v20
	v_fmac_f32_e32 v21, 0x32a5705f, v8
	v_add_f32_e32 v0, v0, v17
	v_sub_f32_e32 v10, v10, v22
	v_cvt_i32_f32_e32 v18, v18
	v_add_f32_e32 v7, v7, v19
	v_cvt_i32_f32_e32 v19, v20
	v_exp_f32_e32 v0, v0
	v_add_f32_e32 v10, v10, v21
	v_fma_f32 v23, 0x3fb8aa3b, v9, -v16
	v_exp_f32_e32 v7, v7
	v_rndne_f32_e32 v17, v16
	v_cvt_i32_f32_e32 v20, v22
	v_exp_f32_e32 v10, v10
	v_fmac_f32_e32 v23, 0x32a5705f, v9
	v_sub_f32_e32 v16, v16, v17
	v_ldexp_f32 v0, v0, v18
	v_cvt_i32_f32_e32 v17, v17
	v_ldexp_f32 v7, v7, v19
	v_add_f32_e32 v16, v16, v23
	v_cndmask_b32_e64 v0, 0, v0, s3
	v_cmp_ngt_f32_e64 s3, 0xc2ce8ed0, v6
	v_ldexp_f32 v10, v10, v20
	v_exp_f32_e32 v16, v16
	v_cndmask_b32_e64 v7, 0, v7, s3
	v_cmp_ngt_f32_e64 s3, 0xc2ce8ed0, v8
	v_cndmask_b32_e64 v10, 0, v10, s3
	v_cmp_nlt_f32_e64 s3, 0x42b17218, v3
	v_ldexp_f32 v3, v16, v17
	v_cndmask_b32_e64 v0, 0x7f800000, v0, s3
	v_cmp_nlt_f32_e64 s3, 0x42b17218, v6
	v_cndmask_b32_e64 v7, 0x7f800000, v7, s3
	v_cmp_nlt_f32_e64 s3, 0x42b17218, v8
	v_add_f32_e32 v8, v0, v7
	v_cndmask_b32_e64 v6, 0x7f800000, v10, s3
	v_cmp_ngt_f32_e64 s3, 0xc2ce8ed0, v9
	v_add_f32_e32 v8, v8, v6
	v_cndmask_b32_e64 v3, 0, v3, s3
	v_cmp_nlt_f32_e64 s3, 0x42b17218, v9
	v_cndmask_b32_e64 v3, 0x7f800000, v3, s3
	v_add_f32_e32 v8, v8, v3
	ds_bpermute_b32 v4, v4, v8
	s_waitcnt lgkmcnt(0)
	v_add_f32_e32 v4, v8, v4
	ds_bpermute_b32 v8, v11, v4
	s_waitcnt lgkmcnt(0)
	;; [unrolled: 3-line block ×5, first 2 shown]
	v_add_f32_e32 v4, v4, v8
	ds_bpermute_b32 v8, v15, v4
	v_cmpx_lt_i32_e32 0, v5
	s_cbranch_execz .LBB474_22
; %bb.9:
	s_and_b32 exec_lo, exec_lo, vcc_lo
	s_cbranch_execz .LBB474_22
; %bb.10:
	s_waitcnt lgkmcnt(0)
	v_add_f32_e32 v4, v4, v8
	v_mov_b32_e32 v5, 0x7fc0
	v_cmp_neq_f32_e64 s3, 0, v4
	s_and_saveexec_b32 s4, s3
	s_cbranch_execz .LBB474_12
; %bb.11:
	v_div_scale_f32 v5, null, v4, v4, v0
	v_div_scale_f32 v10, vcc_lo, v0, v4, v0
	v_rcp_f32_e32 v8, v5
	v_fma_f32 v9, -v5, v8, 1.0
	v_fmac_f32_e32 v8, v9, v8
	v_mul_f32_e32 v9, v10, v8
	v_fma_f32 v11, -v5, v9, v10
	v_fmac_f32_e32 v9, v11, v8
	v_fma_f32 v5, -v5, v9, v10
	v_div_fmas_f32 v5, v5, v8, v9
	v_div_fixup_f32 v0, v5, v4, v0
	v_bfe_u32 v5, v0, 16, 1
	v_cmp_o_f32_e32 vcc_lo, v0, v0
	v_add3_u32 v0, v0, v5, 0x7fff
	v_mov_b32_e32 v5, 0x7fc0
	v_cndmask_b32_sdwa v5, v5, v0, vcc_lo dst_sel:DWORD dst_unused:UNUSED_PAD src0_sel:DWORD src1_sel:WORD_1
.LBB474_12:
	s_or_b32 exec_lo, exec_lo, s4
	v_add_co_u32 v0, vcc_lo, s8, v1
	v_add_co_ci_u32_e64 v1, null, s9, v2, vcc_lo
	global_store_short v[0:1], v5, off
	s_and_b32 exec_lo, exec_lo, s2
	s_cbranch_execz .LBB474_22
; %bb.13:
	v_mov_b32_e32 v2, 0x7fc0
	s_and_saveexec_b32 s2, s3
	s_cbranch_execz .LBB474_15
; %bb.14:
	v_div_scale_f32 v2, null, v4, v4, v7
	v_div_scale_f32 v9, vcc_lo, v7, v4, v7
	v_rcp_f32_e32 v5, v2
	v_fma_f32 v8, -v2, v5, 1.0
	v_fmac_f32_e32 v5, v8, v5
	v_mul_f32_e32 v8, v9, v5
	v_fma_f32 v10, -v2, v8, v9
	v_fmac_f32_e32 v8, v10, v5
	v_fma_f32 v2, -v2, v8, v9
	v_div_fmas_f32 v2, v2, v5, v8
	v_div_fixup_f32 v2, v2, v4, v7
	v_bfe_u32 v5, v2, 16, 1
	v_cmp_o_f32_e32 vcc_lo, v2, v2
	v_add3_u32 v2, v2, v5, 0x7fff
	v_mov_b32_e32 v5, 0x7fc0
	v_cndmask_b32_sdwa v2, v5, v2, vcc_lo dst_sel:DWORD dst_unused:UNUSED_PAD src0_sel:DWORD src1_sel:WORD_1
.LBB474_15:
	s_or_b32 exec_lo, exec_lo, s2
	global_store_short v[0:1], v2, off offset:128
	s_and_b32 exec_lo, exec_lo, s1
	s_cbranch_execz .LBB474_22
; %bb.16:
	v_mov_b32_e32 v2, 0x7fc0
	s_and_saveexec_b32 s1, s3
	s_cbranch_execz .LBB474_18
; %bb.17:
	v_div_scale_f32 v2, null, v4, v4, v6
	v_div_scale_f32 v8, vcc_lo, v6, v4, v6
	v_rcp_f32_e32 v5, v2
	v_fma_f32 v7, -v2, v5, 1.0
	v_fmac_f32_e32 v5, v7, v5
	v_mul_f32_e32 v7, v8, v5
	v_fma_f32 v9, -v2, v7, v8
	v_fmac_f32_e32 v7, v9, v5
	v_fma_f32 v2, -v2, v7, v8
	v_div_fmas_f32 v2, v2, v5, v7
	v_div_fixup_f32 v2, v2, v4, v6
	v_bfe_u32 v5, v2, 16, 1
	v_cmp_o_f32_e32 vcc_lo, v2, v2
	v_add3_u32 v2, v2, v5, 0x7fff
	v_mov_b32_e32 v5, 0x7fc0
	v_cndmask_b32_sdwa v2, v5, v2, vcc_lo dst_sel:DWORD dst_unused:UNUSED_PAD src0_sel:DWORD src1_sel:WORD_1
.LBB474_18:
	s_or_b32 exec_lo, exec_lo, s1
	global_store_short v[0:1], v2, off offset:256
	;; [unrolled: 26-line block ×3, first 2 shown]
.LBB474_22:
	s_endpgm
	.section	.rodata,"a",@progbits
	.p2align	6, 0x0
	.amdhsa_kernel _ZN12_GLOBAL__N_120softmax_warp_forwardIN3c108BFloat16ES2_fLi8ELb0ELb0ELi64EEEvPT0_PKT_iiiPKbib
		.amdhsa_group_segment_fixed_size 0
		.amdhsa_private_segment_fixed_size 0
		.amdhsa_kernarg_size 304
		.amdhsa_user_sgpr_count 6
		.amdhsa_user_sgpr_private_segment_buffer 1
		.amdhsa_user_sgpr_dispatch_ptr 0
		.amdhsa_user_sgpr_queue_ptr 0
		.amdhsa_user_sgpr_kernarg_segment_ptr 1
		.amdhsa_user_sgpr_dispatch_id 0
		.amdhsa_user_sgpr_flat_scratch_init 0
		.amdhsa_user_sgpr_private_segment_size 0
		.amdhsa_wavefront_size32 1
		.amdhsa_uses_dynamic_stack 0
		.amdhsa_system_sgpr_private_segment_wavefront_offset 0
		.amdhsa_system_sgpr_workgroup_id_x 1
		.amdhsa_system_sgpr_workgroup_id_y 0
		.amdhsa_system_sgpr_workgroup_id_z 0
		.amdhsa_system_sgpr_workgroup_info 0
		.amdhsa_system_vgpr_workitem_id 1
		.amdhsa_next_free_vgpr 24
		.amdhsa_next_free_sgpr 16
		.amdhsa_reserve_vcc 1
		.amdhsa_reserve_flat_scratch 0
		.amdhsa_float_round_mode_32 0
		.amdhsa_float_round_mode_16_64 0
		.amdhsa_float_denorm_mode_32 3
		.amdhsa_float_denorm_mode_16_64 3
		.amdhsa_dx10_clamp 1
		.amdhsa_ieee_mode 1
		.amdhsa_fp16_overflow 0
		.amdhsa_workgroup_processor_mode 1
		.amdhsa_memory_ordered 1
		.amdhsa_forward_progress 1
		.amdhsa_shared_vgpr_count 0
		.amdhsa_exception_fp_ieee_invalid_op 0
		.amdhsa_exception_fp_denorm_src 0
		.amdhsa_exception_fp_ieee_div_zero 0
		.amdhsa_exception_fp_ieee_overflow 0
		.amdhsa_exception_fp_ieee_underflow 0
		.amdhsa_exception_fp_ieee_inexact 0
		.amdhsa_exception_int_div_zero 0
	.end_amdhsa_kernel
	.section	.text._ZN12_GLOBAL__N_120softmax_warp_forwardIN3c108BFloat16ES2_fLi8ELb0ELb0ELi64EEEvPT0_PKT_iiiPKbib,"axG",@progbits,_ZN12_GLOBAL__N_120softmax_warp_forwardIN3c108BFloat16ES2_fLi8ELb0ELb0ELi64EEEvPT0_PKT_iiiPKbib,comdat
.Lfunc_end474:
	.size	_ZN12_GLOBAL__N_120softmax_warp_forwardIN3c108BFloat16ES2_fLi8ELb0ELb0ELi64EEEvPT0_PKT_iiiPKbib, .Lfunc_end474-_ZN12_GLOBAL__N_120softmax_warp_forwardIN3c108BFloat16ES2_fLi8ELb0ELb0ELi64EEEvPT0_PKT_iiiPKbib
                                        ; -- End function
	.set _ZN12_GLOBAL__N_120softmax_warp_forwardIN3c108BFloat16ES2_fLi8ELb0ELb0ELi64EEEvPT0_PKT_iiiPKbib.num_vgpr, 24
	.set _ZN12_GLOBAL__N_120softmax_warp_forwardIN3c108BFloat16ES2_fLi8ELb0ELb0ELi64EEEvPT0_PKT_iiiPKbib.num_agpr, 0
	.set _ZN12_GLOBAL__N_120softmax_warp_forwardIN3c108BFloat16ES2_fLi8ELb0ELb0ELi64EEEvPT0_PKT_iiiPKbib.numbered_sgpr, 16
	.set _ZN12_GLOBAL__N_120softmax_warp_forwardIN3c108BFloat16ES2_fLi8ELb0ELb0ELi64EEEvPT0_PKT_iiiPKbib.num_named_barrier, 0
	.set _ZN12_GLOBAL__N_120softmax_warp_forwardIN3c108BFloat16ES2_fLi8ELb0ELb0ELi64EEEvPT0_PKT_iiiPKbib.private_seg_size, 0
	.set _ZN12_GLOBAL__N_120softmax_warp_forwardIN3c108BFloat16ES2_fLi8ELb0ELb0ELi64EEEvPT0_PKT_iiiPKbib.uses_vcc, 1
	.set _ZN12_GLOBAL__N_120softmax_warp_forwardIN3c108BFloat16ES2_fLi8ELb0ELb0ELi64EEEvPT0_PKT_iiiPKbib.uses_flat_scratch, 0
	.set _ZN12_GLOBAL__N_120softmax_warp_forwardIN3c108BFloat16ES2_fLi8ELb0ELb0ELi64EEEvPT0_PKT_iiiPKbib.has_dyn_sized_stack, 0
	.set _ZN12_GLOBAL__N_120softmax_warp_forwardIN3c108BFloat16ES2_fLi8ELb0ELb0ELi64EEEvPT0_PKT_iiiPKbib.has_recursion, 0
	.set _ZN12_GLOBAL__N_120softmax_warp_forwardIN3c108BFloat16ES2_fLi8ELb0ELb0ELi64EEEvPT0_PKT_iiiPKbib.has_indirect_call, 0
	.section	.AMDGPU.csdata,"",@progbits
; Kernel info:
; codeLenInByte = 1816
; TotalNumSgprs: 18
; NumVgprs: 24
; ScratchSize: 0
; MemoryBound: 0
; FloatMode: 240
; IeeeMode: 1
; LDSByteSize: 0 bytes/workgroup (compile time only)
; SGPRBlocks: 0
; VGPRBlocks: 2
; NumSGPRsForWavesPerEU: 18
; NumVGPRsForWavesPerEU: 24
; Occupancy: 16
; WaveLimiterHint : 0
; COMPUTE_PGM_RSRC2:SCRATCH_EN: 0
; COMPUTE_PGM_RSRC2:USER_SGPR: 6
; COMPUTE_PGM_RSRC2:TRAP_HANDLER: 0
; COMPUTE_PGM_RSRC2:TGID_X_EN: 1
; COMPUTE_PGM_RSRC2:TGID_Y_EN: 0
; COMPUTE_PGM_RSRC2:TGID_Z_EN: 0
; COMPUTE_PGM_RSRC2:TIDIG_COMP_CNT: 1
	.section	.text._ZN12_GLOBAL__N_120softmax_warp_forwardIN3c108BFloat16ES2_fLi8ELb0ELb0ELi32EEEvPT0_PKT_iiiPKbib,"axG",@progbits,_ZN12_GLOBAL__N_120softmax_warp_forwardIN3c108BFloat16ES2_fLi8ELb0ELb0ELi32EEEvPT0_PKT_iiiPKbib,comdat
	.globl	_ZN12_GLOBAL__N_120softmax_warp_forwardIN3c108BFloat16ES2_fLi8ELb0ELb0ELi32EEEvPT0_PKT_iiiPKbib ; -- Begin function _ZN12_GLOBAL__N_120softmax_warp_forwardIN3c108BFloat16ES2_fLi8ELb0ELb0ELi32EEEvPT0_PKT_iiiPKbib
	.p2align	8
	.type	_ZN12_GLOBAL__N_120softmax_warp_forwardIN3c108BFloat16ES2_fLi8ELb0ELb0ELi32EEEvPT0_PKT_iiiPKbib,@function
_ZN12_GLOBAL__N_120softmax_warp_forwardIN3c108BFloat16ES2_fLi8ELb0ELb0ELi32EEEvPT0_PKT_iiiPKbib: ; @_ZN12_GLOBAL__N_120softmax_warp_forwardIN3c108BFloat16ES2_fLi8ELb0ELb0ELi32EEEvPT0_PKT_iiiPKbib
; %bb.0:
	s_clause 0x1
	s_load_dword s0, s[4:5], 0x3c
	s_load_dwordx8 s[8:15], s[4:5], 0x0
	v_mov_b32_e32 v6, 0xff800000
	v_mov_b32_e32 v10, 0xff800000
	s_waitcnt lgkmcnt(0)
	s_lshr_b32 s0, s0, 16
	v_cmp_gt_i32_e32 vcc_lo, s14, v0
	v_mad_u64_u32 v[1:2], null, s6, s0, v[1:2]
	v_mad_u64_u32 v[2:3], null, v1, s13, v[0:1]
	v_sub_nc_u32_e32 v5, s12, v1
	v_cmp_lt_i32_e64 s7, 0, v5
	v_ashrrev_i32_e32 v3, 31, v2
	s_and_b32 s1, s7, vcc_lo
	v_lshlrev_b64 v[1:2], 1, v[2:3]
	v_add_co_u32 v3, s0, s10, v1
	v_add_co_ci_u32_e64 v4, null, s11, v2, s0
	s_and_saveexec_b32 s0, s1
	s_cbranch_execz .LBB475_2
; %bb.1:
	global_load_ushort v7, v[3:4], off
	s_waitcnt vmcnt(0)
	v_lshlrev_b32_e32 v10, 16, v7
.LBB475_2:
	s_or_b32 exec_lo, exec_lo, s0
	v_add_nc_u32_e32 v7, 32, v0
	v_cmp_gt_i32_e64 s6, s14, v7
	s_and_b32 s1, s7, s6
	s_and_saveexec_b32 s0, s1
	s_cbranch_execz .LBB475_4
; %bb.3:
	global_load_ushort v6, v[3:4], off offset:64
	s_waitcnt vmcnt(0)
	v_lshlrev_b32_e32 v6, 16, v6
.LBB475_4:
	s_or_b32 exec_lo, exec_lo, s0
	v_add_nc_u32_e32 v7, 64, v0
	v_mov_b32_e32 v11, 0xff800000
	v_cmp_gt_i32_e64 s5, s14, v7
	v_mov_b32_e32 v7, 0xff800000
	s_and_b32 s1, s7, s5
	s_and_saveexec_b32 s0, s1
	s_cbranch_execz .LBB475_6
; %bb.5:
	global_load_ushort v8, v[3:4], off offset:128
	s_waitcnt vmcnt(0)
	v_lshlrev_b32_e32 v11, 16, v8
.LBB475_6:
	s_or_b32 exec_lo, exec_lo, s0
	v_add_nc_u32_e32 v8, 0x60, v0
	v_cmp_gt_i32_e64 s4, s14, v8
	s_and_b32 s1, s7, s4
	s_and_saveexec_b32 s0, s1
	s_cbranch_execz .LBB475_8
; %bb.7:
	global_load_ushort v7, v[3:4], off offset:192
	s_waitcnt vmcnt(0)
	v_lshlrev_b32_e32 v7, 16, v7
.LBB475_8:
	s_or_b32 exec_lo, exec_lo, s0
	v_add_nc_u32_e32 v8, 0x80, v0
	v_mov_b32_e32 v12, 0xff800000
	v_cmp_gt_i32_e64 s3, s14, v8
	v_mov_b32_e32 v8, 0xff800000
	s_and_b32 s1, s7, s3
	s_and_saveexec_b32 s0, s1
	s_cbranch_execz .LBB475_10
; %bb.9:
	global_load_ushort v9, v[3:4], off offset:256
	s_waitcnt vmcnt(0)
	v_lshlrev_b32_e32 v12, 16, v9
.LBB475_10:
	;; [unrolled: 24-line block ×3, first 2 shown]
	s_or_b32 exec_lo, exec_lo, s0
	v_add_nc_u32_e32 v0, 0xe0, v0
	v_cmp_gt_i32_e64 s0, s14, v0
	s_and_b32 s10, s7, s0
	s_and_saveexec_b32 s7, s10
	s_cbranch_execz .LBB475_16
; %bb.15:
	global_load_ushort v0, v[3:4], off offset:448
	s_waitcnt vmcnt(0)
	v_lshlrev_b32_e32 v9, 16, v0
.LBB475_16:
	s_or_b32 exec_lo, exec_lo, s7
	v_cmp_gt_f32_e64 s7, v10, v6
	v_mbcnt_lo_u32_b32 v3, -1, 0
	s_mov_b32 s10, exec_lo
	v_cndmask_b32_e64 v0, v6, v10, s7
	v_xor_b32_e32 v4, 16, v3
	v_xor_b32_e32 v16, 4, v3
	;; [unrolled: 1-line block ×4, first 2 shown]
	v_cmp_gt_f32_e64 s7, v0, v11
	v_cndmask_b32_e64 v0, v11, v0, s7
	v_cmp_gt_f32_e64 s7, v0, v7
	v_cndmask_b32_e64 v0, v7, v0, s7
	;; [unrolled: 2-line block ×4, first 2 shown]
	v_cmp_gt_i32_e64 s7, 32, v4
	v_cndmask_b32_e64 v4, v3, v4, s7
	v_cmp_gt_f32_e64 s7, v0, v13
	v_cndmask_b32_e64 v14, v13, v0, s7
	v_lshlrev_b32_e32 v0, 2, v4
	v_xor_b32_e32 v4, 8, v3
	v_cmp_gt_f32_e64 s7, v14, v9
	v_cndmask_b32_e64 v14, v9, v14, s7
	v_cmp_gt_i32_e64 s7, 32, v4
	ds_bpermute_b32 v15, v0, v14
	v_cndmask_b32_e64 v4, v3, v4, s7
	v_lshlrev_b32_e32 v4, 2, v4
	s_waitcnt lgkmcnt(0)
	v_cmp_lt_f32_e64 s7, v14, v15
	v_cndmask_b32_e64 v14, v14, v15, s7
	v_cmp_gt_i32_e64 s7, 32, v16
	ds_bpermute_b32 v15, v4, v14
	v_cndmask_b32_e64 v16, v3, v16, s7
	v_lshlrev_b32_e32 v16, 2, v16
	s_waitcnt lgkmcnt(0)
	v_cmp_lt_f32_e64 s7, v14, v15
	;; [unrolled: 7-line block ×4, first 2 shown]
	v_cndmask_b32_e64 v3, v14, v15, s7
	ds_bpermute_b32 v14, v18, v3
	s_waitcnt lgkmcnt(0)
	v_cmp_lt_f32_e64 s7, v3, v14
	v_cndmask_b32_e64 v3, v3, v14, s7
	v_sub_f32_e32 v10, v10, v3
	v_sub_f32_e32 v6, v6, v3
	;; [unrolled: 1-line block ×5, first 2 shown]
	v_mul_f32_e32 v8, 0x3fb8aa3b, v10
	v_sub_f32_e32 v15, v12, v3
	v_sub_f32_e32 v13, v13, v3
	v_sub_f32_e32 v3, v9, v3
	v_mul_f32_e32 v9, 0x3fb8aa3b, v6
	v_fma_f32 v24, 0x3fb8aa3b, v10, -v8
	v_rndne_f32_e32 v25, v8
	v_mul_f32_e32 v11, 0x3fb8aa3b, v14
	v_mul_f32_e32 v22, 0x3fb8aa3b, v13
	v_fma_f32 v26, 0x3fb8aa3b, v6, -v9
	v_rndne_f32_e32 v27, v9
	v_fmac_f32_e32 v24, 0x32a5705f, v10
	v_sub_f32_e32 v8, v8, v25
	v_fma_f32 v28, 0x3fb8aa3b, v14, -v11
	v_rndne_f32_e32 v29, v11
	v_fmac_f32_e32 v26, 0x32a5705f, v6
	v_sub_f32_e32 v9, v9, v27
	v_add_f32_e32 v8, v8, v24
	v_mul_f32_e32 v12, 0x3fb8aa3b, v7
	v_fma_f32 v36, 0x3fb8aa3b, v13, -v22
	v_rndne_f32_e32 v37, v22
	v_fmac_f32_e32 v28, 0x32a5705f, v14
	v_sub_f32_e32 v11, v11, v29
	v_add_f32_e32 v9, v9, v26
	v_exp_f32_e32 v8, v8
	v_fma_f32 v30, 0x3fb8aa3b, v7, -v12
	v_rndne_f32_e32 v31, v12
	v_cvt_i32_f32_e32 v25, v25
	v_fmac_f32_e32 v36, 0x32a5705f, v13
	v_sub_f32_e32 v22, v22, v37
	v_add_f32_e32 v11, v11, v28
	v_exp_f32_e32 v9, v9
	v_cvt_i32_f32_e32 v27, v27
	v_fmac_f32_e32 v30, 0x32a5705f, v7
	v_sub_f32_e32 v12, v12, v31
	v_add_f32_e32 v22, v22, v36
	v_exp_f32_e32 v11, v11
	v_ldexp_f32 v8, v8, v25
	v_cmp_ngt_f32_e64 s7, 0xc2ce8ed0, v10
	v_mul_f32_e32 v20, 0x3fb8aa3b, v15
	v_cvt_i32_f32_e32 v29, v29
	v_add_f32_e32 v12, v12, v30
	v_exp_f32_e32 v22, v22
	v_ldexp_f32 v9, v9, v27
	v_cndmask_b32_e64 v8, 0, v8, s7
	v_cmp_ngt_f32_e64 s7, 0xc2ce8ed0, v6
	v_fma_f32 v32, 0x3fb8aa3b, v15, -v20
	v_rndne_f32_e32 v33, v20
	v_exp_f32_e32 v12, v12
	v_cvt_i32_f32_e32 v24, v37
	v_ldexp_f32 v11, v11, v29
	v_cndmask_b32_e64 v9, 0, v9, s7
	v_cmp_ngt_f32_e64 s7, 0xc2ce8ed0, v14
	v_mul_f32_e32 v21, 0x3fb8aa3b, v19
	v_cvt_i32_f32_e32 v31, v31
	v_fmac_f32_e32 v32, 0x32a5705f, v15
	v_sub_f32_e32 v20, v20, v33
	v_ldexp_f32 v22, v22, v24
	v_cndmask_b32_e64 v24, 0, v11, s7
	v_cmp_nlt_f32_e64 s7, 0x42b17218, v10
	v_fma_f32 v34, 0x3fb8aa3b, v19, -v21
	v_rndne_f32_e32 v35, v21
	v_add_f32_e32 v20, v20, v32
	v_ldexp_f32 v25, v12, v31
	v_cndmask_b32_e64 v12, 0x7f800000, v8, s7
	v_cmp_nlt_f32_e64 s7, 0x42b17218, v6
	v_fmac_f32_e32 v34, 0x32a5705f, v19
	v_sub_f32_e32 v21, v21, v35
	v_exp_f32_e32 v20, v20
	v_cvt_i32_f32_e32 v33, v33
	v_cndmask_b32_e64 v11, 0x7f800000, v9, s7
	v_cmp_ngt_f32_e64 s7, 0xc2ce8ed0, v7
	v_add_f32_e32 v21, v21, v34
	v_mul_f32_e32 v23, 0x3fb8aa3b, v3
	v_cvt_i32_f32_e32 v35, v35
	v_add_f32_e32 v8, v12, v11
	v_cndmask_b32_e64 v6, 0, v25, s7
	v_cmp_nlt_f32_e64 s7, 0x42b17218, v14
	v_exp_f32_e32 v21, v21
	v_ldexp_f32 v20, v20, v33
	v_fma_f32 v38, 0x3fb8aa3b, v3, -v23
	v_rndne_f32_e32 v39, v23
	v_cndmask_b32_e64 v10, 0x7f800000, v24, s7
	v_cmp_ngt_f32_e64 s7, 0xc2ce8ed0, v15
	v_fmac_f32_e32 v38, 0x32a5705f, v3
	v_sub_f32_e32 v23, v23, v39
	v_cvt_i32_f32_e32 v26, v39
	v_cndmask_b32_e64 v14, 0, v20, s7
	v_cmp_nlt_f32_e64 s7, 0x42b17218, v7
	v_ldexp_f32 v21, v21, v35
	v_add_f32_e32 v23, v23, v38
	v_cndmask_b32_e64 v9, 0x7f800000, v6, s7
	v_cmp_ngt_f32_e64 s7, 0xc2ce8ed0, v19
	v_add_f32_e32 v6, v8, v10
	v_exp_f32_e32 v23, v23
	v_cndmask_b32_e64 v7, 0, v21, s7
	v_cmp_nlt_f32_e64 s7, 0x42b17218, v15
	v_add_f32_e32 v6, v6, v9
	v_cndmask_b32_e64 v8, 0x7f800000, v14, s7
	v_cmp_ngt_f32_e64 s7, 0xc2ce8ed0, v13
	v_add_f32_e32 v15, v6, v8
	v_cndmask_b32_e64 v14, 0, v22, s7
	v_cmp_nlt_f32_e64 s7, 0x42b17218, v19
	v_ldexp_f32 v19, v23, v26
	v_cndmask_b32_e64 v7, 0x7f800000, v7, s7
	v_cmp_nlt_f32_e64 s7, 0x42b17218, v13
	v_add_f32_e32 v13, v15, v7
	v_cndmask_b32_e64 v6, 0x7f800000, v14, s7
	v_cmp_ngt_f32_e64 s7, 0xc2ce8ed0, v3
	v_add_f32_e32 v13, v13, v6
	v_cndmask_b32_e64 v14, 0, v19, s7
	v_cmp_nlt_f32_e64 s7, 0x42b17218, v3
	v_cndmask_b32_e64 v3, 0x7f800000, v14, s7
	v_add_f32_e32 v13, v13, v3
	ds_bpermute_b32 v0, v0, v13
	s_waitcnt lgkmcnt(0)
	v_add_f32_e32 v0, v13, v0
	ds_bpermute_b32 v4, v4, v0
	s_waitcnt lgkmcnt(0)
	;; [unrolled: 3-line block ×4, first 2 shown]
	v_add_f32_e32 v0, v0, v4
	ds_bpermute_b32 v4, v18, v0
	v_cmpx_lt_i32_e32 0, v5
	s_cbranch_execz .LBB475_42
; %bb.17:
	s_and_b32 exec_lo, exec_lo, vcc_lo
	s_cbranch_execz .LBB475_42
; %bb.18:
	s_waitcnt lgkmcnt(0)
	v_add_f32_e32 v4, v0, v4
	v_mov_b32_e32 v5, 0x7fc0
	v_cmp_neq_f32_e64 s7, 0, v4
	s_and_saveexec_b32 s10, s7
	s_cbranch_execz .LBB475_20
; %bb.19:
	v_div_scale_f32 v0, null, v4, v4, v12
	v_div_scale_f32 v14, vcc_lo, v12, v4, v12
	v_rcp_f32_e32 v5, v0
	v_fma_f32 v13, -v0, v5, 1.0
	v_fmac_f32_e32 v5, v13, v5
	v_mul_f32_e32 v13, v14, v5
	v_fma_f32 v15, -v0, v13, v14
	v_fmac_f32_e32 v13, v15, v5
	v_fma_f32 v0, -v0, v13, v14
	v_div_fmas_f32 v0, v0, v5, v13
	v_div_fixup_f32 v0, v0, v4, v12
	v_bfe_u32 v5, v0, 16, 1
	v_cmp_o_f32_e32 vcc_lo, v0, v0
	v_add3_u32 v0, v0, v5, 0x7fff
	v_mov_b32_e32 v5, 0x7fc0
	v_cndmask_b32_sdwa v5, v5, v0, vcc_lo dst_sel:DWORD dst_unused:UNUSED_PAD src0_sel:DWORD src1_sel:WORD_1
.LBB475_20:
	s_or_b32 exec_lo, exec_lo, s10
	v_add_co_u32 v0, vcc_lo, s8, v1
	v_add_co_ci_u32_e64 v1, null, s9, v2, vcc_lo
	global_store_short v[0:1], v5, off
	s_and_b32 exec_lo, exec_lo, s6
	s_cbranch_execz .LBB475_42
; %bb.21:
	v_mov_b32_e32 v2, 0x7fc0
	s_and_saveexec_b32 s6, s7
	s_cbranch_execz .LBB475_23
; %bb.22:
	v_div_scale_f32 v2, null, v4, v4, v11
	v_div_scale_f32 v13, vcc_lo, v11, v4, v11
	v_rcp_f32_e32 v5, v2
	v_fma_f32 v12, -v2, v5, 1.0
	v_fmac_f32_e32 v5, v12, v5
	v_mul_f32_e32 v12, v13, v5
	v_fma_f32 v14, -v2, v12, v13
	v_fmac_f32_e32 v12, v14, v5
	v_fma_f32 v2, -v2, v12, v13
	v_div_fmas_f32 v2, v2, v5, v12
	v_div_fixup_f32 v2, v2, v4, v11
	v_bfe_u32 v5, v2, 16, 1
	v_cmp_o_f32_e32 vcc_lo, v2, v2
	v_add3_u32 v2, v2, v5, 0x7fff
	v_mov_b32_e32 v5, 0x7fc0
	v_cndmask_b32_sdwa v2, v5, v2, vcc_lo dst_sel:DWORD dst_unused:UNUSED_PAD src0_sel:DWORD src1_sel:WORD_1
.LBB475_23:
	s_or_b32 exec_lo, exec_lo, s6
	global_store_short v[0:1], v2, off offset:64
	s_and_b32 exec_lo, exec_lo, s5
	s_cbranch_execz .LBB475_42
; %bb.24:
	v_mov_b32_e32 v2, 0x7fc0
	s_and_saveexec_b32 s5, s7
	s_cbranch_execz .LBB475_26
; %bb.25:
	v_div_scale_f32 v2, null, v4, v4, v10
	v_div_scale_f32 v12, vcc_lo, v10, v4, v10
	v_rcp_f32_e32 v5, v2
	v_fma_f32 v11, -v2, v5, 1.0
	v_fmac_f32_e32 v5, v11, v5
	v_mul_f32_e32 v11, v12, v5
	v_fma_f32 v13, -v2, v11, v12
	v_fmac_f32_e32 v11, v13, v5
	v_fma_f32 v2, -v2, v11, v12
	v_div_fmas_f32 v2, v2, v5, v11
	v_div_fixup_f32 v2, v2, v4, v10
	v_bfe_u32 v5, v2, 16, 1
	v_cmp_o_f32_e32 vcc_lo, v2, v2
	v_add3_u32 v2, v2, v5, 0x7fff
	v_mov_b32_e32 v5, 0x7fc0
	v_cndmask_b32_sdwa v2, v5, v2, vcc_lo dst_sel:DWORD dst_unused:UNUSED_PAD src0_sel:DWORD src1_sel:WORD_1
.LBB475_26:
	s_or_b32 exec_lo, exec_lo, s5
	global_store_short v[0:1], v2, off offset:128
	;; [unrolled: 26-line block ×7, first 2 shown]
.LBB475_42:
	s_endpgm
	.section	.rodata,"a",@progbits
	.p2align	6, 0x0
	.amdhsa_kernel _ZN12_GLOBAL__N_120softmax_warp_forwardIN3c108BFloat16ES2_fLi8ELb0ELb0ELi32EEEvPT0_PKT_iiiPKbib
		.amdhsa_group_segment_fixed_size 0
		.amdhsa_private_segment_fixed_size 0
		.amdhsa_kernarg_size 304
		.amdhsa_user_sgpr_count 6
		.amdhsa_user_sgpr_private_segment_buffer 1
		.amdhsa_user_sgpr_dispatch_ptr 0
		.amdhsa_user_sgpr_queue_ptr 0
		.amdhsa_user_sgpr_kernarg_segment_ptr 1
		.amdhsa_user_sgpr_dispatch_id 0
		.amdhsa_user_sgpr_flat_scratch_init 0
		.amdhsa_user_sgpr_private_segment_size 0
		.amdhsa_wavefront_size32 1
		.amdhsa_uses_dynamic_stack 0
		.amdhsa_system_sgpr_private_segment_wavefront_offset 0
		.amdhsa_system_sgpr_workgroup_id_x 1
		.amdhsa_system_sgpr_workgroup_id_y 0
		.amdhsa_system_sgpr_workgroup_id_z 0
		.amdhsa_system_sgpr_workgroup_info 0
		.amdhsa_system_vgpr_workitem_id 1
		.amdhsa_next_free_vgpr 40
		.amdhsa_next_free_sgpr 16
		.amdhsa_reserve_vcc 1
		.amdhsa_reserve_flat_scratch 0
		.amdhsa_float_round_mode_32 0
		.amdhsa_float_round_mode_16_64 0
		.amdhsa_float_denorm_mode_32 3
		.amdhsa_float_denorm_mode_16_64 3
		.amdhsa_dx10_clamp 1
		.amdhsa_ieee_mode 1
		.amdhsa_fp16_overflow 0
		.amdhsa_workgroup_processor_mode 1
		.amdhsa_memory_ordered 1
		.amdhsa_forward_progress 1
		.amdhsa_shared_vgpr_count 0
		.amdhsa_exception_fp_ieee_invalid_op 0
		.amdhsa_exception_fp_denorm_src 0
		.amdhsa_exception_fp_ieee_div_zero 0
		.amdhsa_exception_fp_ieee_overflow 0
		.amdhsa_exception_fp_ieee_underflow 0
		.amdhsa_exception_fp_ieee_inexact 0
		.amdhsa_exception_int_div_zero 0
	.end_amdhsa_kernel
	.section	.text._ZN12_GLOBAL__N_120softmax_warp_forwardIN3c108BFloat16ES2_fLi8ELb0ELb0ELi32EEEvPT0_PKT_iiiPKbib,"axG",@progbits,_ZN12_GLOBAL__N_120softmax_warp_forwardIN3c108BFloat16ES2_fLi8ELb0ELb0ELi32EEEvPT0_PKT_iiiPKbib,comdat
.Lfunc_end475:
	.size	_ZN12_GLOBAL__N_120softmax_warp_forwardIN3c108BFloat16ES2_fLi8ELb0ELb0ELi32EEEvPT0_PKT_iiiPKbib, .Lfunc_end475-_ZN12_GLOBAL__N_120softmax_warp_forwardIN3c108BFloat16ES2_fLi8ELb0ELb0ELi32EEEvPT0_PKT_iiiPKbib
                                        ; -- End function
	.set _ZN12_GLOBAL__N_120softmax_warp_forwardIN3c108BFloat16ES2_fLi8ELb0ELb0ELi32EEEvPT0_PKT_iiiPKbib.num_vgpr, 40
	.set _ZN12_GLOBAL__N_120softmax_warp_forwardIN3c108BFloat16ES2_fLi8ELb0ELb0ELi32EEEvPT0_PKT_iiiPKbib.num_agpr, 0
	.set _ZN12_GLOBAL__N_120softmax_warp_forwardIN3c108BFloat16ES2_fLi8ELb0ELb0ELi32EEEvPT0_PKT_iiiPKbib.numbered_sgpr, 16
	.set _ZN12_GLOBAL__N_120softmax_warp_forwardIN3c108BFloat16ES2_fLi8ELb0ELb0ELi32EEEvPT0_PKT_iiiPKbib.num_named_barrier, 0
	.set _ZN12_GLOBAL__N_120softmax_warp_forwardIN3c108BFloat16ES2_fLi8ELb0ELb0ELi32EEEvPT0_PKT_iiiPKbib.private_seg_size, 0
	.set _ZN12_GLOBAL__N_120softmax_warp_forwardIN3c108BFloat16ES2_fLi8ELb0ELb0ELi32EEEvPT0_PKT_iiiPKbib.uses_vcc, 1
	.set _ZN12_GLOBAL__N_120softmax_warp_forwardIN3c108BFloat16ES2_fLi8ELb0ELb0ELi32EEEvPT0_PKT_iiiPKbib.uses_flat_scratch, 0
	.set _ZN12_GLOBAL__N_120softmax_warp_forwardIN3c108BFloat16ES2_fLi8ELb0ELb0ELi32EEEvPT0_PKT_iiiPKbib.has_dyn_sized_stack, 0
	.set _ZN12_GLOBAL__N_120softmax_warp_forwardIN3c108BFloat16ES2_fLi8ELb0ELb0ELi32EEEvPT0_PKT_iiiPKbib.has_recursion, 0
	.set _ZN12_GLOBAL__N_120softmax_warp_forwardIN3c108BFloat16ES2_fLi8ELb0ELb0ELi32EEEvPT0_PKT_iiiPKbib.has_indirect_call, 0
	.section	.AMDGPU.csdata,"",@progbits
; Kernel info:
; codeLenInByte = 3056
; TotalNumSgprs: 18
; NumVgprs: 40
; ScratchSize: 0
; MemoryBound: 0
; FloatMode: 240
; IeeeMode: 1
; LDSByteSize: 0 bytes/workgroup (compile time only)
; SGPRBlocks: 0
; VGPRBlocks: 4
; NumSGPRsForWavesPerEU: 18
; NumVGPRsForWavesPerEU: 40
; Occupancy: 16
; WaveLimiterHint : 0
; COMPUTE_PGM_RSRC2:SCRATCH_EN: 0
; COMPUTE_PGM_RSRC2:USER_SGPR: 6
; COMPUTE_PGM_RSRC2:TRAP_HANDLER: 0
; COMPUTE_PGM_RSRC2:TGID_X_EN: 1
; COMPUTE_PGM_RSRC2:TGID_Y_EN: 0
; COMPUTE_PGM_RSRC2:TGID_Z_EN: 0
; COMPUTE_PGM_RSRC2:TIDIG_COMP_CNT: 1
	.section	.text._ZN12_GLOBAL__N_120softmax_warp_forwardIN3c108BFloat16ES2_fLi9ELb0ELb0ELi64EEEvPT0_PKT_iiiPKbib,"axG",@progbits,_ZN12_GLOBAL__N_120softmax_warp_forwardIN3c108BFloat16ES2_fLi9ELb0ELb0ELi64EEEvPT0_PKT_iiiPKbib,comdat
	.globl	_ZN12_GLOBAL__N_120softmax_warp_forwardIN3c108BFloat16ES2_fLi9ELb0ELb0ELi64EEEvPT0_PKT_iiiPKbib ; -- Begin function _ZN12_GLOBAL__N_120softmax_warp_forwardIN3c108BFloat16ES2_fLi9ELb0ELb0ELi64EEEvPT0_PKT_iiiPKbib
	.p2align	8
	.type	_ZN12_GLOBAL__N_120softmax_warp_forwardIN3c108BFloat16ES2_fLi9ELb0ELb0ELi64EEEvPT0_PKT_iiiPKbib,@function
_ZN12_GLOBAL__N_120softmax_warp_forwardIN3c108BFloat16ES2_fLi9ELb0ELb0ELi64EEEvPT0_PKT_iiiPKbib: ; @_ZN12_GLOBAL__N_120softmax_warp_forwardIN3c108BFloat16ES2_fLi9ELb0ELb0ELi64EEEvPT0_PKT_iiiPKbib
; %bb.0:
	s_clause 0x1
	s_load_dword s0, s[4:5], 0x3c
	s_load_dwordx8 s[8:15], s[4:5], 0x0
	v_mov_b32_e32 v6, 0xff800000
	v_mov_b32_e32 v11, 0xff800000
	s_waitcnt lgkmcnt(0)
	s_lshr_b32 s0, s0, 16
	v_cmp_gt_i32_e32 vcc_lo, s14, v0
	v_mad_u64_u32 v[1:2], null, s6, s0, v[1:2]
	v_mad_u64_u32 v[2:3], null, v1, s13, v[0:1]
	v_sub_nc_u32_e32 v5, s12, v1
	v_cmp_lt_i32_e64 s7, 0, v5
	v_ashrrev_i32_e32 v3, 31, v2
	s_and_b32 s1, s7, vcc_lo
	v_lshlrev_b64 v[1:2], 1, v[2:3]
	v_add_co_u32 v3, s0, s10, v1
	v_add_co_ci_u32_e64 v4, null, s11, v2, s0
	s_and_saveexec_b32 s0, s1
	s_cbranch_execz .LBB476_2
; %bb.1:
	global_load_ushort v7, v[3:4], off
	s_waitcnt vmcnt(0)
	v_lshlrev_b32_e32 v11, 16, v7
.LBB476_2:
	s_or_b32 exec_lo, exec_lo, s0
	v_add_nc_u32_e32 v7, 64, v0
	v_cmp_gt_i32_e64 s6, s14, v7
	s_and_b32 s1, s7, s6
	s_and_saveexec_b32 s0, s1
	s_cbranch_execz .LBB476_4
; %bb.3:
	global_load_ushort v6, v[3:4], off offset:128
	s_waitcnt vmcnt(0)
	v_lshlrev_b32_e32 v6, 16, v6
.LBB476_4:
	s_or_b32 exec_lo, exec_lo, s0
	v_add_nc_u32_e32 v7, 0x80, v0
	v_mov_b32_e32 v12, 0xff800000
	v_cmp_gt_i32_e64 s5, s14, v7
	v_mov_b32_e32 v7, 0xff800000
	s_and_b32 s1, s7, s5
	s_and_saveexec_b32 s0, s1
	s_cbranch_execz .LBB476_6
; %bb.5:
	global_load_ushort v8, v[3:4], off offset:256
	s_waitcnt vmcnt(0)
	v_lshlrev_b32_e32 v12, 16, v8
.LBB476_6:
	s_or_b32 exec_lo, exec_lo, s0
	v_add_nc_u32_e32 v8, 0xc0, v0
	v_cmp_gt_i32_e64 s4, s14, v8
	s_and_b32 s1, s7, s4
	s_and_saveexec_b32 s0, s1
	s_cbranch_execz .LBB476_8
; %bb.7:
	global_load_ushort v7, v[3:4], off offset:384
	s_waitcnt vmcnt(0)
	v_lshlrev_b32_e32 v7, 16, v7
.LBB476_8:
	s_or_b32 exec_lo, exec_lo, s0
	v_add_nc_u32_e32 v8, 0x100, v0
	v_mov_b32_e32 v9, 0xff800000
	v_mov_b32_e32 v13, 0xff800000
	v_cmp_gt_i32_e64 s3, s14, v8
	s_and_b32 s1, s7, s3
	s_and_saveexec_b32 s0, s1
	s_cbranch_execz .LBB476_10
; %bb.9:
	global_load_ushort v8, v[3:4], off offset:512
	s_waitcnt vmcnt(0)
	v_lshlrev_b32_e32 v13, 16, v8
.LBB476_10:
	s_or_b32 exec_lo, exec_lo, s0
	v_add_nc_u32_e32 v8, 0x140, v0
	v_cmp_gt_i32_e64 s2, s14, v8
	s_and_b32 s1, s7, s2
	s_and_saveexec_b32 s0, s1
	s_cbranch_execz .LBB476_12
; %bb.11:
	global_load_ushort v8, v[3:4], off offset:640
	s_waitcnt vmcnt(0)
	v_lshlrev_b32_e32 v9, 16, v8
.LBB476_12:
	s_or_b32 exec_lo, exec_lo, s0
	v_add_nc_u32_e32 v8, 0x180, v0
	v_mov_b32_e32 v10, 0xff800000
	v_mov_b32_e32 v14, 0xff800000
	v_cmp_gt_i32_e64 s1, s14, v8
	s_and_b32 s10, s7, s1
	s_and_saveexec_b32 s0, s10
	s_cbranch_execz .LBB476_14
; %bb.13:
	global_load_ushort v8, v[3:4], off offset:768
	s_waitcnt vmcnt(0)
	v_lshlrev_b32_e32 v14, 16, v8
.LBB476_14:
	s_or_b32 exec_lo, exec_lo, s0
	v_add_nc_u32_e32 v0, 0x1c0, v0
	v_cmp_gt_i32_e64 s0, s14, v0
	s_and_b32 s10, s7, s0
	s_and_saveexec_b32 s7, s10
	s_cbranch_execz .LBB476_16
; %bb.15:
	global_load_ushort v0, v[3:4], off offset:896
	s_waitcnt vmcnt(0)
	v_lshlrev_b32_e32 v10, 16, v0
.LBB476_16:
	s_or_b32 exec_lo, exec_lo, s7
	v_cmp_gt_f32_e64 s7, v11, v6
	v_mbcnt_lo_u32_b32 v3, -1, 0
	s_mov_b32 s10, exec_lo
	v_cndmask_b32_e64 v0, v6, v11, s7
	v_or_b32_e32 v4, 32, v3
	v_xor_b32_e32 v17, 4, v3
	v_xor_b32_e32 v18, 2, v3
	;; [unrolled: 1-line block ×3, first 2 shown]
	v_cmp_gt_f32_e64 s7, v0, v12
	v_cndmask_b32_e64 v0, v12, v0, s7
	v_cmp_gt_f32_e64 s7, v0, v7
	v_cndmask_b32_e64 v0, v7, v0, s7
	;; [unrolled: 2-line block ×4, first 2 shown]
	v_cmp_gt_i32_e64 s7, 64, v4
	v_cndmask_b32_e64 v4, v3, v4, s7
	v_cmp_gt_f32_e64 s7, v0, v14
	v_cndmask_b32_e64 v8, v14, v0, s7
	v_lshlrev_b32_e32 v0, 2, v4
	v_xor_b32_e32 v4, 16, v3
	v_cmp_gt_f32_e64 s7, v8, v10
	v_cndmask_b32_e64 v8, v10, v8, s7
	v_cmp_gt_i32_e64 s7, 64, v4
	ds_bpermute_b32 v15, v0, v8
	v_cndmask_b32_e64 v4, v3, v4, s7
	v_lshlrev_b32_e32 v4, 2, v4
	s_waitcnt lgkmcnt(0)
	v_cmp_lt_f32_e64 s7, v8, v15
	v_cndmask_b32_e64 v15, v8, v15, s7
	v_xor_b32_e32 v8, 8, v3
	ds_bpermute_b32 v16, v4, v15
	v_cmp_gt_i32_e64 s7, 64, v8
	v_cndmask_b32_e64 v8, v3, v8, s7
	v_lshlrev_b32_e32 v8, 2, v8
	s_waitcnt lgkmcnt(0)
	v_cmp_lt_f32_e64 s7, v15, v16
	v_cndmask_b32_e64 v15, v15, v16, s7
	v_cmp_gt_i32_e64 s7, 64, v17
	ds_bpermute_b32 v16, v8, v15
	v_cndmask_b32_e64 v17, v3, v17, s7
	v_lshlrev_b32_e32 v17, 2, v17
	s_waitcnt lgkmcnt(0)
	v_cmp_lt_f32_e64 s7, v15, v16
	v_cndmask_b32_e64 v15, v15, v16, s7
	v_cmp_gt_i32_e64 s7, 64, v18
	ds_bpermute_b32 v16, v17, v15
	v_cndmask_b32_e64 v18, v3, v18, s7
	v_lshlrev_b32_e32 v18, 2, v18
	s_waitcnt lgkmcnt(0)
	v_cmp_lt_f32_e64 s7, v15, v16
	v_cndmask_b32_e64 v15, v15, v16, s7
	v_cmp_gt_i32_e64 s7, 64, v19
	ds_bpermute_b32 v16, v18, v15
	v_cndmask_b32_e64 v3, v3, v19, s7
	v_lshlrev_b32_e32 v19, 2, v3
	s_waitcnt lgkmcnt(0)
	v_cmp_lt_f32_e64 s7, v15, v16
	v_cndmask_b32_e64 v3, v15, v16, s7
	ds_bpermute_b32 v15, v19, v3
	s_waitcnt lgkmcnt(0)
	v_cmp_lt_f32_e64 s7, v3, v15
	v_cndmask_b32_e64 v3, v3, v15, s7
	v_sub_f32_e32 v11, v11, v3
	v_sub_f32_e32 v6, v6, v3
	;; [unrolled: 1-line block ×5, first 2 shown]
	v_mul_f32_e32 v9, 0x3fb8aa3b, v11
	v_sub_f32_e32 v16, v13, v3
	v_sub_f32_e32 v14, v14, v3
	;; [unrolled: 1-line block ×3, first 2 shown]
	v_mul_f32_e32 v10, 0x3fb8aa3b, v6
	v_fma_f32 v25, 0x3fb8aa3b, v11, -v9
	v_rndne_f32_e32 v26, v9
	v_mul_f32_e32 v12, 0x3fb8aa3b, v15
	v_mul_f32_e32 v23, 0x3fb8aa3b, v14
	v_fma_f32 v27, 0x3fb8aa3b, v6, -v10
	v_rndne_f32_e32 v28, v10
	v_fmac_f32_e32 v25, 0x32a5705f, v11
	v_sub_f32_e32 v9, v9, v26
	v_fma_f32 v29, 0x3fb8aa3b, v15, -v12
	v_rndne_f32_e32 v30, v12
	v_fmac_f32_e32 v27, 0x32a5705f, v6
	v_sub_f32_e32 v10, v10, v28
	v_add_f32_e32 v9, v9, v25
	v_mul_f32_e32 v13, 0x3fb8aa3b, v7
	v_fma_f32 v37, 0x3fb8aa3b, v14, -v23
	v_rndne_f32_e32 v38, v23
	v_fmac_f32_e32 v29, 0x32a5705f, v15
	v_sub_f32_e32 v12, v12, v30
	v_add_f32_e32 v10, v10, v27
	v_exp_f32_e32 v9, v9
	v_fma_f32 v31, 0x3fb8aa3b, v7, -v13
	v_rndne_f32_e32 v32, v13
	v_cvt_i32_f32_e32 v26, v26
	v_fmac_f32_e32 v37, 0x32a5705f, v14
	v_sub_f32_e32 v23, v23, v38
	v_add_f32_e32 v12, v12, v29
	v_exp_f32_e32 v10, v10
	v_cvt_i32_f32_e32 v28, v28
	v_fmac_f32_e32 v31, 0x32a5705f, v7
	v_sub_f32_e32 v13, v13, v32
	v_add_f32_e32 v23, v23, v37
	v_exp_f32_e32 v12, v12
	v_ldexp_f32 v9, v9, v26
	v_cmp_ngt_f32_e64 s7, 0xc2ce8ed0, v11
	v_mul_f32_e32 v21, 0x3fb8aa3b, v16
	v_cvt_i32_f32_e32 v30, v30
	v_add_f32_e32 v13, v13, v31
	v_exp_f32_e32 v23, v23
	v_ldexp_f32 v10, v10, v28
	v_cndmask_b32_e64 v9, 0, v9, s7
	v_cmp_ngt_f32_e64 s7, 0xc2ce8ed0, v6
	v_fma_f32 v33, 0x3fb8aa3b, v16, -v21
	v_rndne_f32_e32 v34, v21
	v_exp_f32_e32 v13, v13
	v_cvt_i32_f32_e32 v25, v38
	v_ldexp_f32 v12, v12, v30
	v_cndmask_b32_e64 v10, 0, v10, s7
	v_cmp_ngt_f32_e64 s7, 0xc2ce8ed0, v15
	v_mul_f32_e32 v22, 0x3fb8aa3b, v20
	v_cvt_i32_f32_e32 v32, v32
	v_fmac_f32_e32 v33, 0x32a5705f, v16
	v_sub_f32_e32 v21, v21, v34
	v_ldexp_f32 v23, v23, v25
	v_cndmask_b32_e64 v25, 0, v12, s7
	v_cmp_nlt_f32_e64 s7, 0x42b17218, v11
	v_fma_f32 v35, 0x3fb8aa3b, v20, -v22
	v_rndne_f32_e32 v36, v22
	v_add_f32_e32 v21, v21, v33
	v_ldexp_f32 v26, v13, v32
	v_cndmask_b32_e64 v13, 0x7f800000, v9, s7
	v_cmp_nlt_f32_e64 s7, 0x42b17218, v6
	v_fmac_f32_e32 v35, 0x32a5705f, v20
	v_sub_f32_e32 v22, v22, v36
	v_exp_f32_e32 v21, v21
	v_cvt_i32_f32_e32 v34, v34
	v_cndmask_b32_e64 v12, 0x7f800000, v10, s7
	v_cmp_ngt_f32_e64 s7, 0xc2ce8ed0, v7
	v_add_f32_e32 v22, v22, v35
	v_mul_f32_e32 v24, 0x3fb8aa3b, v3
	v_cvt_i32_f32_e32 v36, v36
	v_add_f32_e32 v9, v13, v12
	v_cndmask_b32_e64 v6, 0, v26, s7
	v_cmp_nlt_f32_e64 s7, 0x42b17218, v15
	v_exp_f32_e32 v22, v22
	v_ldexp_f32 v21, v21, v34
	v_fma_f32 v39, 0x3fb8aa3b, v3, -v24
	v_rndne_f32_e32 v40, v24
	v_cndmask_b32_e64 v11, 0x7f800000, v25, s7
	v_cmp_ngt_f32_e64 s7, 0xc2ce8ed0, v16
	v_fmac_f32_e32 v39, 0x32a5705f, v3
	v_sub_f32_e32 v24, v24, v40
	v_cvt_i32_f32_e32 v27, v40
	v_cndmask_b32_e64 v15, 0, v21, s7
	v_cmp_nlt_f32_e64 s7, 0x42b17218, v7
	v_ldexp_f32 v22, v22, v36
	v_add_f32_e32 v24, v24, v39
	v_cndmask_b32_e64 v10, 0x7f800000, v6, s7
	v_cmp_ngt_f32_e64 s7, 0xc2ce8ed0, v20
	v_add_f32_e32 v6, v9, v11
	v_exp_f32_e32 v24, v24
	v_cndmask_b32_e64 v7, 0, v22, s7
	v_cmp_nlt_f32_e64 s7, 0x42b17218, v16
	v_add_f32_e32 v6, v6, v10
	v_cndmask_b32_e64 v9, 0x7f800000, v15, s7
	v_cmp_ngt_f32_e64 s7, 0xc2ce8ed0, v14
	v_add_f32_e32 v16, v6, v9
	v_cndmask_b32_e64 v15, 0, v23, s7
	v_cmp_nlt_f32_e64 s7, 0x42b17218, v20
	v_ldexp_f32 v20, v24, v27
	v_cndmask_b32_e64 v7, 0x7f800000, v7, s7
	v_cmp_nlt_f32_e64 s7, 0x42b17218, v14
	v_add_f32_e32 v14, v16, v7
	v_cndmask_b32_e64 v6, 0x7f800000, v15, s7
	v_cmp_ngt_f32_e64 s7, 0xc2ce8ed0, v3
	v_add_f32_e32 v14, v14, v6
	v_cndmask_b32_e64 v15, 0, v20, s7
	v_cmp_nlt_f32_e64 s7, 0x42b17218, v3
	v_cndmask_b32_e64 v3, 0x7f800000, v15, s7
	v_add_f32_e32 v14, v14, v3
	ds_bpermute_b32 v0, v0, v14
	s_waitcnt lgkmcnt(0)
	v_add_f32_e32 v0, v14, v0
	ds_bpermute_b32 v4, v4, v0
	s_waitcnt lgkmcnt(0)
	;; [unrolled: 3-line block ×5, first 2 shown]
	v_add_f32_e32 v0, v0, v4
	ds_bpermute_b32 v4, v19, v0
	v_cmpx_lt_i32_e32 0, v5
	s_cbranch_execz .LBB476_42
; %bb.17:
	s_and_b32 exec_lo, exec_lo, vcc_lo
	s_cbranch_execz .LBB476_42
; %bb.18:
	s_waitcnt lgkmcnt(0)
	v_add_f32_e32 v4, v0, v4
	v_mov_b32_e32 v5, 0x7fc0
	v_cmp_neq_f32_e64 s7, 0, v4
	s_and_saveexec_b32 s10, s7
	s_cbranch_execz .LBB476_20
; %bb.19:
	v_div_scale_f32 v0, null, v4, v4, v13
	v_div_scale_f32 v14, vcc_lo, v13, v4, v13
	v_rcp_f32_e32 v5, v0
	v_fma_f32 v8, -v0, v5, 1.0
	v_fmac_f32_e32 v5, v8, v5
	v_mul_f32_e32 v8, v14, v5
	v_fma_f32 v15, -v0, v8, v14
	v_fmac_f32_e32 v8, v15, v5
	v_fma_f32 v0, -v0, v8, v14
	v_div_fmas_f32 v0, v0, v5, v8
	v_div_fixup_f32 v0, v0, v4, v13
	v_bfe_u32 v5, v0, 16, 1
	v_cmp_o_f32_e32 vcc_lo, v0, v0
	v_add3_u32 v0, v0, v5, 0x7fff
	v_mov_b32_e32 v5, 0x7fc0
	v_cndmask_b32_sdwa v5, v5, v0, vcc_lo dst_sel:DWORD dst_unused:UNUSED_PAD src0_sel:DWORD src1_sel:WORD_1
.LBB476_20:
	s_or_b32 exec_lo, exec_lo, s10
	v_add_co_u32 v0, vcc_lo, s8, v1
	v_add_co_ci_u32_e64 v1, null, s9, v2, vcc_lo
	global_store_short v[0:1], v5, off
	s_and_b32 exec_lo, exec_lo, s6
	s_cbranch_execz .LBB476_42
; %bb.21:
	v_mov_b32_e32 v2, 0x7fc0
	s_and_saveexec_b32 s6, s7
	s_cbranch_execz .LBB476_23
; %bb.22:
	v_div_scale_f32 v2, null, v4, v4, v12
	v_div_scale_f32 v13, vcc_lo, v12, v4, v12
	v_rcp_f32_e32 v5, v2
	v_fma_f32 v8, -v2, v5, 1.0
	v_fmac_f32_e32 v5, v8, v5
	v_mul_f32_e32 v8, v13, v5
	v_fma_f32 v14, -v2, v8, v13
	v_fmac_f32_e32 v8, v14, v5
	v_fma_f32 v2, -v2, v8, v13
	v_div_fmas_f32 v2, v2, v5, v8
	v_div_fixup_f32 v2, v2, v4, v12
	v_bfe_u32 v5, v2, 16, 1
	v_cmp_o_f32_e32 vcc_lo, v2, v2
	v_add3_u32 v2, v2, v5, 0x7fff
	v_mov_b32_e32 v5, 0x7fc0
	v_cndmask_b32_sdwa v2, v5, v2, vcc_lo dst_sel:DWORD dst_unused:UNUSED_PAD src0_sel:DWORD src1_sel:WORD_1
.LBB476_23:
	s_or_b32 exec_lo, exec_lo, s6
	global_store_short v[0:1], v2, off offset:128
	s_and_b32 exec_lo, exec_lo, s5
	s_cbranch_execz .LBB476_42
; %bb.24:
	v_mov_b32_e32 v2, 0x7fc0
	s_and_saveexec_b32 s5, s7
	s_cbranch_execz .LBB476_26
; %bb.25:
	v_div_scale_f32 v2, null, v4, v4, v11
	v_div_scale_f32 v12, vcc_lo, v11, v4, v11
	v_rcp_f32_e32 v5, v2
	v_fma_f32 v8, -v2, v5, 1.0
	v_fmac_f32_e32 v5, v8, v5
	v_mul_f32_e32 v8, v12, v5
	v_fma_f32 v13, -v2, v8, v12
	v_fmac_f32_e32 v8, v13, v5
	v_fma_f32 v2, -v2, v8, v12
	v_div_fmas_f32 v2, v2, v5, v8
	v_div_fixup_f32 v2, v2, v4, v11
	v_bfe_u32 v5, v2, 16, 1
	v_cmp_o_f32_e32 vcc_lo, v2, v2
	v_add3_u32 v2, v2, v5, 0x7fff
	v_mov_b32_e32 v5, 0x7fc0
	v_cndmask_b32_sdwa v2, v5, v2, vcc_lo dst_sel:DWORD dst_unused:UNUSED_PAD src0_sel:DWORD src1_sel:WORD_1
.LBB476_26:
	s_or_b32 exec_lo, exec_lo, s5
	global_store_short v[0:1], v2, off offset:256
	;; [unrolled: 26-line block ×7, first 2 shown]
.LBB476_42:
	s_endpgm
	.section	.rodata,"a",@progbits
	.p2align	6, 0x0
	.amdhsa_kernel _ZN12_GLOBAL__N_120softmax_warp_forwardIN3c108BFloat16ES2_fLi9ELb0ELb0ELi64EEEvPT0_PKT_iiiPKbib
		.amdhsa_group_segment_fixed_size 0
		.amdhsa_private_segment_fixed_size 0
		.amdhsa_kernarg_size 304
		.amdhsa_user_sgpr_count 6
		.amdhsa_user_sgpr_private_segment_buffer 1
		.amdhsa_user_sgpr_dispatch_ptr 0
		.amdhsa_user_sgpr_queue_ptr 0
		.amdhsa_user_sgpr_kernarg_segment_ptr 1
		.amdhsa_user_sgpr_dispatch_id 0
		.amdhsa_user_sgpr_flat_scratch_init 0
		.amdhsa_user_sgpr_private_segment_size 0
		.amdhsa_wavefront_size32 1
		.amdhsa_uses_dynamic_stack 0
		.amdhsa_system_sgpr_private_segment_wavefront_offset 0
		.amdhsa_system_sgpr_workgroup_id_x 1
		.amdhsa_system_sgpr_workgroup_id_y 0
		.amdhsa_system_sgpr_workgroup_id_z 0
		.amdhsa_system_sgpr_workgroup_info 0
		.amdhsa_system_vgpr_workitem_id 1
		.amdhsa_next_free_vgpr 41
		.amdhsa_next_free_sgpr 16
		.amdhsa_reserve_vcc 1
		.amdhsa_reserve_flat_scratch 0
		.amdhsa_float_round_mode_32 0
		.amdhsa_float_round_mode_16_64 0
		.amdhsa_float_denorm_mode_32 3
		.amdhsa_float_denorm_mode_16_64 3
		.amdhsa_dx10_clamp 1
		.amdhsa_ieee_mode 1
		.amdhsa_fp16_overflow 0
		.amdhsa_workgroup_processor_mode 1
		.amdhsa_memory_ordered 1
		.amdhsa_forward_progress 1
		.amdhsa_shared_vgpr_count 0
		.amdhsa_exception_fp_ieee_invalid_op 0
		.amdhsa_exception_fp_denorm_src 0
		.amdhsa_exception_fp_ieee_div_zero 0
		.amdhsa_exception_fp_ieee_overflow 0
		.amdhsa_exception_fp_ieee_underflow 0
		.amdhsa_exception_fp_ieee_inexact 0
		.amdhsa_exception_int_div_zero 0
	.end_amdhsa_kernel
	.section	.text._ZN12_GLOBAL__N_120softmax_warp_forwardIN3c108BFloat16ES2_fLi9ELb0ELb0ELi64EEEvPT0_PKT_iiiPKbib,"axG",@progbits,_ZN12_GLOBAL__N_120softmax_warp_forwardIN3c108BFloat16ES2_fLi9ELb0ELb0ELi64EEEvPT0_PKT_iiiPKbib,comdat
.Lfunc_end476:
	.size	_ZN12_GLOBAL__N_120softmax_warp_forwardIN3c108BFloat16ES2_fLi9ELb0ELb0ELi64EEEvPT0_PKT_iiiPKbib, .Lfunc_end476-_ZN12_GLOBAL__N_120softmax_warp_forwardIN3c108BFloat16ES2_fLi9ELb0ELb0ELi64EEEvPT0_PKT_iiiPKbib
                                        ; -- End function
	.set _ZN12_GLOBAL__N_120softmax_warp_forwardIN3c108BFloat16ES2_fLi9ELb0ELb0ELi64EEEvPT0_PKT_iiiPKbib.num_vgpr, 41
	.set _ZN12_GLOBAL__N_120softmax_warp_forwardIN3c108BFloat16ES2_fLi9ELb0ELb0ELi64EEEvPT0_PKT_iiiPKbib.num_agpr, 0
	.set _ZN12_GLOBAL__N_120softmax_warp_forwardIN3c108BFloat16ES2_fLi9ELb0ELb0ELi64EEEvPT0_PKT_iiiPKbib.numbered_sgpr, 16
	.set _ZN12_GLOBAL__N_120softmax_warp_forwardIN3c108BFloat16ES2_fLi9ELb0ELb0ELi64EEEvPT0_PKT_iiiPKbib.num_named_barrier, 0
	.set _ZN12_GLOBAL__N_120softmax_warp_forwardIN3c108BFloat16ES2_fLi9ELb0ELb0ELi64EEEvPT0_PKT_iiiPKbib.private_seg_size, 0
	.set _ZN12_GLOBAL__N_120softmax_warp_forwardIN3c108BFloat16ES2_fLi9ELb0ELb0ELi64EEEvPT0_PKT_iiiPKbib.uses_vcc, 1
	.set _ZN12_GLOBAL__N_120softmax_warp_forwardIN3c108BFloat16ES2_fLi9ELb0ELb0ELi64EEEvPT0_PKT_iiiPKbib.uses_flat_scratch, 0
	.set _ZN12_GLOBAL__N_120softmax_warp_forwardIN3c108BFloat16ES2_fLi9ELb0ELb0ELi64EEEvPT0_PKT_iiiPKbib.has_dyn_sized_stack, 0
	.set _ZN12_GLOBAL__N_120softmax_warp_forwardIN3c108BFloat16ES2_fLi9ELb0ELb0ELi64EEEvPT0_PKT_iiiPKbib.has_recursion, 0
	.set _ZN12_GLOBAL__N_120softmax_warp_forwardIN3c108BFloat16ES2_fLi9ELb0ELb0ELi64EEEvPT0_PKT_iiiPKbib.has_indirect_call, 0
	.section	.AMDGPU.csdata,"",@progbits
; Kernel info:
; codeLenInByte = 3128
; TotalNumSgprs: 18
; NumVgprs: 41
; ScratchSize: 0
; MemoryBound: 0
; FloatMode: 240
; IeeeMode: 1
; LDSByteSize: 0 bytes/workgroup (compile time only)
; SGPRBlocks: 0
; VGPRBlocks: 5
; NumSGPRsForWavesPerEU: 18
; NumVGPRsForWavesPerEU: 41
; Occupancy: 16
; WaveLimiterHint : 0
; COMPUTE_PGM_RSRC2:SCRATCH_EN: 0
; COMPUTE_PGM_RSRC2:USER_SGPR: 6
; COMPUTE_PGM_RSRC2:TRAP_HANDLER: 0
; COMPUTE_PGM_RSRC2:TGID_X_EN: 1
; COMPUTE_PGM_RSRC2:TGID_Y_EN: 0
; COMPUTE_PGM_RSRC2:TGID_Z_EN: 0
; COMPUTE_PGM_RSRC2:TIDIG_COMP_CNT: 1
	.section	.text._ZN12_GLOBAL__N_120softmax_warp_forwardIN3c108BFloat16ES2_fLi9ELb0ELb0ELi32EEEvPT0_PKT_iiiPKbib,"axG",@progbits,_ZN12_GLOBAL__N_120softmax_warp_forwardIN3c108BFloat16ES2_fLi9ELb0ELb0ELi32EEEvPT0_PKT_iiiPKbib,comdat
	.globl	_ZN12_GLOBAL__N_120softmax_warp_forwardIN3c108BFloat16ES2_fLi9ELb0ELb0ELi32EEEvPT0_PKT_iiiPKbib ; -- Begin function _ZN12_GLOBAL__N_120softmax_warp_forwardIN3c108BFloat16ES2_fLi9ELb0ELb0ELi32EEEvPT0_PKT_iiiPKbib
	.p2align	8
	.type	_ZN12_GLOBAL__N_120softmax_warp_forwardIN3c108BFloat16ES2_fLi9ELb0ELb0ELi32EEEvPT0_PKT_iiiPKbib,@function
_ZN12_GLOBAL__N_120softmax_warp_forwardIN3c108BFloat16ES2_fLi9ELb0ELb0ELi32EEEvPT0_PKT_iiiPKbib: ; @_ZN12_GLOBAL__N_120softmax_warp_forwardIN3c108BFloat16ES2_fLi9ELb0ELb0ELi32EEEvPT0_PKT_iiiPKbib
; %bb.0:
	s_clause 0x1
	s_load_dword s0, s[4:5], 0x3c
	s_load_dwordx8 s[16:23], s[4:5], 0x0
	v_mov_b32_e32 v6, 0xff800000
	v_mov_b32_e32 v7, 0xff800000
	s_waitcnt lgkmcnt(0)
	s_lshr_b32 s0, s0, 16
	v_cmp_gt_i32_e32 vcc_lo, s22, v0
	v_mad_u64_u32 v[1:2], null, s6, s0, v[1:2]
	v_mad_u64_u32 v[2:3], null, v1, s21, v[0:1]
	v_sub_nc_u32_e32 v5, s20, v1
	v_cmp_lt_i32_e64 s15, 0, v5
	v_ashrrev_i32_e32 v3, 31, v2
	s_and_b32 s1, s15, vcc_lo
	v_lshlrev_b64 v[1:2], 1, v[2:3]
	v_add_co_u32 v3, s0, s18, v1
	v_add_co_ci_u32_e64 v4, null, s19, v2, s0
	s_and_saveexec_b32 s0, s1
	s_cbranch_execz .LBB477_2
; %bb.1:
	global_load_ushort v7, v[3:4], off
	s_waitcnt vmcnt(0)
	v_lshlrev_b32_e32 v7, 16, v7
.LBB477_2:
	s_or_b32 exec_lo, exec_lo, s0
	v_add_nc_u32_e32 v8, 32, v0
	v_cmp_gt_i32_e64 s14, s22, v8
	s_and_b32 s1, s15, s14
	s_and_saveexec_b32 s0, s1
	s_cbranch_execz .LBB477_4
; %bb.3:
	global_load_ushort v6, v[3:4], off offset:64
	s_waitcnt vmcnt(0)
	v_lshlrev_b32_e32 v6, 16, v6
.LBB477_4:
	s_or_b32 exec_lo, exec_lo, s0
	v_add_nc_u32_e32 v8, 64, v0
	v_mov_b32_e32 v18, 0xff800000
	v_cmp_gt_i32_e64 s13, s22, v8
	v_mov_b32_e32 v8, 0xff800000
	s_and_b32 s1, s15, s13
	s_and_saveexec_b32 s0, s1
	s_cbranch_execz .LBB477_6
; %bb.5:
	global_load_ushort v9, v[3:4], off offset:128
	s_waitcnt vmcnt(0)
	v_lshlrev_b32_e32 v18, 16, v9
.LBB477_6:
	s_or_b32 exec_lo, exec_lo, s0
	v_add_nc_u32_e32 v9, 0x60, v0
	v_cmp_gt_i32_e64 s12, s22, v9
	s_and_b32 s1, s15, s12
	s_and_saveexec_b32 s0, s1
	s_cbranch_execz .LBB477_8
; %bb.7:
	global_load_ushort v8, v[3:4], off offset:192
	s_waitcnt vmcnt(0)
	v_lshlrev_b32_e32 v8, 16, v8
.LBB477_8:
	s_or_b32 exec_lo, exec_lo, s0
	v_add_nc_u32_e32 v9, 0x80, v0
	v_mov_b32_e32 v19, 0xff800000
	v_cmp_gt_i32_e64 s11, s22, v9
	v_mov_b32_e32 v9, 0xff800000
	s_and_b32 s1, s15, s11
	s_and_saveexec_b32 s0, s1
	s_cbranch_execz .LBB477_10
; %bb.9:
	global_load_ushort v10, v[3:4], off offset:256
	s_waitcnt vmcnt(0)
	v_lshlrev_b32_e32 v19, 16, v10
.LBB477_10:
	s_or_b32 exec_lo, exec_lo, s0
	v_add_nc_u32_e32 v10, 0xa0, v0
	v_cmp_gt_i32_e64 s10, s22, v10
	s_and_b32 s1, s15, s10
	s_and_saveexec_b32 s0, s1
	s_cbranch_execz .LBB477_12
; %bb.11:
	global_load_ushort v9, v[3:4], off offset:320
	s_waitcnt vmcnt(0)
	v_lshlrev_b32_e32 v9, 16, v9
.LBB477_12:
	s_or_b32 exec_lo, exec_lo, s0
	v_add_nc_u32_e32 v10, 0xc0, v0
	v_mov_b32_e32 v20, 0xff800000
	v_cmp_gt_i32_e64 s9, s22, v10
	v_mov_b32_e32 v10, 0xff800000
	s_and_b32 s1, s15, s9
	s_and_saveexec_b32 s0, s1
	s_cbranch_execz .LBB477_14
; %bb.13:
	global_load_ushort v11, v[3:4], off offset:384
	s_waitcnt vmcnt(0)
	v_lshlrev_b32_e32 v20, 16, v11
.LBB477_14:
	s_or_b32 exec_lo, exec_lo, s0
	v_add_nc_u32_e32 v11, 0xe0, v0
	v_cmp_gt_i32_e64 s8, s22, v11
	s_and_b32 s1, s15, s8
	s_and_saveexec_b32 s0, s1
	s_cbranch_execz .LBB477_16
; %bb.15:
	global_load_ushort v10, v[3:4], off offset:448
	s_waitcnt vmcnt(0)
	v_lshlrev_b32_e32 v10, 16, v10
.LBB477_16:
	s_or_b32 exec_lo, exec_lo, s0
	v_add_nc_u32_e32 v11, 0x100, v0
	v_mov_b32_e32 v14, 0xff800000
	v_mov_b32_e32 v21, 0xff800000
	v_cmp_gt_i32_e64 s7, s22, v11
	s_and_b32 s1, s15, s7
	s_and_saveexec_b32 s0, s1
	s_cbranch_execz .LBB477_18
; %bb.17:
	global_load_ushort v11, v[3:4], off offset:512
	s_waitcnt vmcnt(0)
	v_lshlrev_b32_e32 v21, 16, v11
.LBB477_18:
	s_or_b32 exec_lo, exec_lo, s0
	v_add_nc_u32_e32 v11, 0x120, v0
	v_cmp_gt_i32_e64 s6, s22, v11
	s_and_b32 s1, s15, s6
	s_and_saveexec_b32 s0, s1
	s_cbranch_execz .LBB477_20
; %bb.19:
	global_load_ushort v11, v[3:4], off offset:576
	s_waitcnt vmcnt(0)
	v_lshlrev_b32_e32 v14, 16, v11
.LBB477_20:
	s_or_b32 exec_lo, exec_lo, s0
	v_add_nc_u32_e32 v11, 0x140, v0
	v_mov_b32_e32 v15, 0xff800000
	v_mov_b32_e32 v22, 0xff800000
	v_cmp_gt_i32_e64 s5, s22, v11
	s_and_b32 s1, s15, s5
	s_and_saveexec_b32 s0, s1
	s_cbranch_execz .LBB477_22
; %bb.21:
	global_load_ushort v11, v[3:4], off offset:640
	s_waitcnt vmcnt(0)
	v_lshlrev_b32_e32 v22, 16, v11
.LBB477_22:
	;; [unrolled: 24-line block ×4, first 2 shown]
	s_or_b32 exec_lo, exec_lo, s0
	v_add_nc_u32_e32 v0, 0x1e0, v0
	v_cmp_gt_i32_e64 s0, s22, v0
	s_and_b32 s18, s15, s0
	s_and_saveexec_b32 s15, s18
	s_cbranch_execz .LBB477_32
; %bb.31:
	global_load_ushort v0, v[3:4], off offset:960
	s_waitcnt vmcnt(0)
	v_lshlrev_b32_e32 v17, 16, v0
.LBB477_32:
	s_or_b32 exec_lo, exec_lo, s15
	v_cmp_gt_f32_e64 s15, v7, v6
	v_mbcnt_lo_u32_b32 v3, -1, 0
	s_mov_b32 s18, exec_lo
	v_cndmask_b32_e64 v0, v6, v7, s15
	v_xor_b32_e32 v4, 16, v3
	v_cmp_gt_f32_e64 s15, v0, v18
	v_cndmask_b32_e64 v0, v18, v0, s15
	v_cmp_gt_f32_e64 s15, v0, v8
	v_cndmask_b32_e64 v0, v8, v0, s15
	;; [unrolled: 2-line block ×12, first 2 shown]
	v_cmp_gt_i32_e64 s15, 32, v4
	v_cndmask_b32_e64 v4, v3, v4, s15
	v_cmp_gt_f32_e64 s15, v0, v24
	v_cndmask_b32_e64 v11, v24, v0, s15
	v_lshlrev_b32_e32 v0, 2, v4
	v_xor_b32_e32 v4, 8, v3
	v_cmp_gt_f32_e64 s15, v11, v17
	v_cndmask_b32_e64 v11, v17, v11, s15
	v_cmp_gt_i32_e64 s15, 32, v4
	ds_bpermute_b32 v12, v0, v11
	v_cndmask_b32_e64 v4, v3, v4, s15
	v_lshlrev_b32_e32 v4, 2, v4
	s_waitcnt lgkmcnt(0)
	v_cmp_lt_f32_e64 s15, v11, v12
	v_cndmask_b32_e64 v12, v11, v12, s15
	v_xor_b32_e32 v11, 4, v3
	ds_bpermute_b32 v13, v4, v12
	v_cmp_gt_i32_e64 s15, 32, v11
	v_cndmask_b32_e64 v11, v3, v11, s15
	v_lshlrev_b32_e32 v11, 2, v11
	s_waitcnt lgkmcnt(0)
	v_cmp_lt_f32_e64 s15, v12, v13
	v_cndmask_b32_e64 v13, v12, v13, s15
	v_xor_b32_e32 v12, 2, v3
	ds_bpermute_b32 v25, v11, v13
	v_cmp_gt_i32_e64 s15, 32, v12
	;; [unrolled: 8-line block ×3, first 2 shown]
	v_cndmask_b32_e64 v3, v3, v13, s15
	v_lshlrev_b32_e32 v13, 2, v3
	s_waitcnt lgkmcnt(0)
	v_cmp_lt_f32_e64 s15, v25, v26
	v_cndmask_b32_e64 v3, v25, v26, s15
	ds_bpermute_b32 v25, v13, v3
	s_waitcnt lgkmcnt(0)
	v_cmp_lt_f32_e64 s15, v3, v25
	v_cndmask_b32_e64 v26, v3, v25, s15
	v_sub_f32_e32 v3, v7, v26
	v_sub_f32_e32 v6, v6, v26
	;; [unrolled: 1-line block ×5, first 2 shown]
	v_mul_f32_e32 v15, 0x3fb8aa3b, v3
	v_mul_f32_e32 v16, 0x3fb8aa3b, v6
	v_sub_f32_e32 v31, v17, v26
	v_mul_f32_e32 v17, 0x3fb8aa3b, v7
	v_sub_f32_e32 v10, v10, v26
	v_fma_f32 v40, 0x3fb8aa3b, v3, -v15
	v_rndne_f32_e32 v41, v15
	v_fma_f32 v42, 0x3fb8aa3b, v6, -v16
	v_rndne_f32_e32 v43, v16
	v_fma_f32 v44, 0x3fb8aa3b, v7, -v17
	v_fmac_f32_e32 v40, 0x32a5705f, v3
	v_sub_f32_e32 v15, v15, v41
	v_rndne_f32_e32 v45, v17
	v_fmac_f32_e32 v42, 0x32a5705f, v6
	v_sub_f32_e32 v16, v16, v43
	v_sub_f32_e32 v8, v8, v26
	v_add_f32_e32 v15, v15, v40
	v_sub_f32_e32 v18, v19, v26
	v_sub_f32_e32 v19, v20, v26
	v_mul_f32_e32 v28, 0x3fb8aa3b, v10
	v_fmac_f32_e32 v44, 0x32a5705f, v7
	v_sub_f32_e32 v17, v17, v45
	v_add_f32_e32 v16, v16, v42
	v_exp_f32_e32 v15, v15
	v_sub_f32_e32 v20, v21, v26
	v_sub_f32_e32 v21, v22, v26
	v_mul_f32_e32 v22, 0x3fb8aa3b, v8
	v_mul_f32_e32 v27, 0x3fb8aa3b, v19
	v_fma_f32 v54, 0x3fb8aa3b, v10, -v28
	v_rndne_f32_e32 v55, v28
	v_add_f32_e32 v17, v17, v44
	v_cvt_i32_f32_e32 v41, v41
	v_exp_f32_e32 v16, v16
	v_sub_f32_e32 v9, v9, v26
	v_fma_f32 v46, 0x3fb8aa3b, v8, -v22
	v_rndne_f32_e32 v47, v22
	v_fma_f32 v52, 0x3fb8aa3b, v19, -v27
	v_rndne_f32_e32 v53, v27
	v_fmac_f32_e32 v54, 0x32a5705f, v10
	v_sub_f32_e32 v28, v28, v55
	v_cvt_i32_f32_e32 v43, v43
	v_exp_f32_e32 v17, v17
	v_ldexp_f32 v15, v15, v41
	v_cmp_ngt_f32_e64 s15, 0xc2ce8ed0, v3
	v_sub_f32_e32 v14, v14, v26
	v_sub_f32_e32 v23, v23, v26
	;; [unrolled: 1-line block ×3, first 2 shown]
	v_mul_f32_e32 v24, 0x3fb8aa3b, v18
	v_mul_f32_e32 v26, 0x3fb8aa3b, v9
	v_fmac_f32_e32 v46, 0x32a5705f, v8
	v_sub_f32_e32 v22, v22, v47
	v_fmac_f32_e32 v52, 0x32a5705f, v19
	v_sub_f32_e32 v27, v27, v53
	v_add_f32_e32 v28, v28, v54
	v_cvt_i32_f32_e32 v45, v45
	v_ldexp_f32 v16, v16, v43
	v_cndmask_b32_e64 v15, 0, v15, s15
	v_cmp_ngt_f32_e64 s15, 0xc2ce8ed0, v6
	v_fma_f32 v48, 0x3fb8aa3b, v18, -v24
	v_rndne_f32_e32 v49, v24
	v_fma_f32 v50, 0x3fb8aa3b, v9, -v26
	v_rndne_f32_e32 v51, v26
	v_add_f32_e32 v22, v22, v46
	v_add_f32_e32 v27, v27, v52
	v_exp_f32_e32 v28, v28
	v_ldexp_f32 v17, v17, v45
	v_cndmask_b32_e64 v16, 0, v16, s15
	v_cmp_ngt_f32_e64 s15, 0xc2ce8ed0, v7
	v_fmac_f32_e32 v48, 0x32a5705f, v18
	v_sub_f32_e32 v24, v24, v49
	v_fmac_f32_e32 v50, 0x32a5705f, v9
	v_sub_f32_e32 v26, v26, v51
	v_cvt_i32_f32_e32 v55, v55
	v_exp_f32_e32 v22, v22
	v_exp_f32_e32 v27, v27
	v_cndmask_b32_e64 v17, 0, v17, s15
	v_cmp_nlt_f32_e64 s15, 0x42b17218, v3
	v_mul_f32_e32 v35, 0x3fb8aa3b, v25
	v_add_f32_e32 v24, v24, v48
	v_add_f32_e32 v26, v26, v50
	v_cvt_i32_f32_e32 v47, v47
	v_cvt_i32_f32_e32 v53, v53
	v_ldexp_f32 v43, v28, v55
	v_cndmask_b32_e64 v28, 0x7f800000, v15, s15
	v_cmp_nlt_f32_e64 s15, 0x42b17218, v6
	v_fma_f32 v40, 0x3fb8aa3b, v25, -v35
	v_rndne_f32_e32 v42, v35
	v_exp_f32_e32 v24, v24
	v_exp_f32_e32 v26, v26
	v_ldexp_f32 v22, v22, v47
	v_ldexp_f32 v41, v27, v53
	v_cndmask_b32_e64 v27, 0x7f800000, v16, s15
	v_cmp_ngt_f32_e64 s15, 0xc2ce8ed0, v8
	v_cvt_i32_f32_e32 v49, v49
	v_cvt_i32_f32_e32 v51, v51
	v_fmac_f32_e32 v40, 0x32a5705f, v25
	v_sub_f32_e32 v35, v35, v42
	v_cndmask_b32_e64 v3, 0, v22, s15
	v_cmp_nlt_f32_e64 s15, 0x42b17218, v7
	v_ldexp_f32 v24, v24, v49
	v_mul_f32_e32 v32, 0x3fb8aa3b, v20
	v_add_f32_e32 v35, v35, v40
	v_ldexp_f32 v40, v26, v51
	v_cndmask_b32_e64 v26, 0x7f800000, v17, s15
	v_cmp_ngt_f32_e64 s15, 0xc2ce8ed0, v18
	v_add_f32_e32 v6, v28, v27
	v_fma_f32 v56, 0x3fb8aa3b, v20, -v32
	v_rndne_f32_e32 v57, v32
	v_mul_f32_e32 v33, 0x3fb8aa3b, v14
	v_cndmask_b32_e64 v7, 0, v24, s15
	v_cmp_nlt_f32_e64 s15, 0x42b17218, v8
	v_fmac_f32_e32 v56, 0x32a5705f, v20
	v_sub_f32_e32 v32, v32, v57
	v_fma_f32 v58, 0x3fb8aa3b, v14, -v33
	v_rndne_f32_e32 v59, v33
	v_cndmask_b32_e64 v24, 0x7f800000, v3, s15
	v_cmp_ngt_f32_e64 s15, 0xc2ce8ed0, v9
	v_add_f32_e32 v3, v6, v26
	v_add_f32_e32 v32, v32, v56
	v_mul_f32_e32 v34, 0x3fb8aa3b, v21
	v_fmac_f32_e32 v58, 0x32a5705f, v14
	v_cndmask_b32_e64 v6, 0, v40, s15
	v_cmp_nlt_f32_e64 s15, 0x42b17218, v18
	v_sub_f32_e32 v33, v33, v59
	v_exp_f32_e32 v32, v32
	v_fma_f32 v60, 0x3fb8aa3b, v21, -v34
	v_rndne_f32_e32 v61, v34
	v_cndmask_b32_e64 v22, 0x7f800000, v7, s15
	v_cmp_ngt_f32_e64 s15, 0xc2ce8ed0, v19
	v_add_f32_e32 v33, v33, v58
	v_cvt_i32_f32_e32 v57, v57
	v_fmac_f32_e32 v60, 0x32a5705f, v21
	v_sub_f32_e32 v34, v34, v61
	v_cndmask_b32_e64 v7, 0, v41, s15
	v_cmp_nlt_f32_e64 s15, 0x42b17218, v9
	v_exp_f32_e32 v33, v33
	v_ldexp_f32 v32, v32, v57
	v_cvt_i32_f32_e32 v59, v59
	v_add_f32_e32 v34, v34, v60
	v_cndmask_b32_e64 v18, 0x7f800000, v6, s15
	v_cmp_ngt_f32_e64 s15, 0xc2ce8ed0, v10
	v_mul_f32_e32 v36, 0x3fb8aa3b, v23
	v_cvt_i32_f32_e32 v61, v61
	v_exp_f32_e32 v34, v34
	v_mul_f32_e32 v37, 0x3fb8aa3b, v29
	v_cndmask_b32_e64 v6, 0, v43, s15
	v_cmp_nlt_f32_e64 s15, 0x42b17218, v19
	v_ldexp_f32 v33, v33, v59
	v_fma_f32 v44, 0x3fb8aa3b, v23, -v36
	v_rndne_f32_e32 v46, v36
	v_exp_f32_e32 v35, v35
	v_cndmask_b32_e64 v17, 0x7f800000, v7, s15
	v_cmp_ngt_f32_e64 s15, 0xc2ce8ed0, v20
	v_fmac_f32_e32 v44, 0x32a5705f, v23
	v_sub_f32_e32 v36, v36, v46
	v_ldexp_f32 v34, v34, v61
	v_fma_f32 v48, 0x3fb8aa3b, v29, -v37
	v_cndmask_b32_e64 v7, 0, v32, s15
	v_cmp_nlt_f32_e64 s15, 0x42b17218, v10
	v_rndne_f32_e32 v50, v37
	v_cvt_i32_f32_e32 v42, v42
	v_add_f32_e32 v36, v36, v44
	v_mul_f32_e32 v38, 0x3fb8aa3b, v30
	v_cndmask_b32_e64 v16, 0x7f800000, v6, s15
	v_cmp_ngt_f32_e64 s15, 0xc2ce8ed0, v14
	v_fmac_f32_e32 v48, 0x32a5705f, v29
	v_sub_f32_e32 v37, v37, v50
	v_exp_f32_e32 v36, v36
	v_ldexp_f32 v35, v35, v42
	v_cndmask_b32_e64 v6, 0, v33, s15
	v_cmp_nlt_f32_e64 s15, 0x42b17218, v20
	v_add_f32_e32 v3, v3, v24
	v_fma_f32 v52, 0x3fb8aa3b, v30, -v38
	v_rndne_f32_e32 v54, v38
	v_cvt_i32_f32_e32 v46, v46
	v_cndmask_b32_e64 v15, 0x7f800000, v7, s15
	v_cmp_ngt_f32_e64 s15, 0xc2ce8ed0, v21
	v_add_f32_e32 v37, v37, v48
	v_add_f32_e32 v3, v3, v22
	v_fmac_f32_e32 v52, 0x32a5705f, v30
	v_sub_f32_e32 v38, v38, v54
	v_cndmask_b32_e64 v7, 0, v34, s15
	v_cmp_nlt_f32_e64 s15, 0x42b17218, v14
	v_exp_f32_e32 v37, v37
	v_ldexp_f32 v36, v36, v46
	v_add_f32_e32 v3, v3, v18
	v_mul_f32_e32 v39, 0x3fb8aa3b, v31
	v_cndmask_b32_e64 v14, 0x7f800000, v6, s15
	v_cmp_ngt_f32_e64 s15, 0xc2ce8ed0, v25
	v_cvt_i32_f32_e32 v50, v50
	v_add_f32_e32 v38, v38, v52
	v_add_f32_e32 v3, v3, v17
	v_fma_f32 v56, 0x3fb8aa3b, v31, -v39
	v_cndmask_b32_e64 v6, 0, v35, s15
	v_cmp_nlt_f32_e64 s15, 0x42b17218, v21
	v_rndne_f32_e32 v58, v39
	v_exp_f32_e32 v38, v38
	v_ldexp_f32 v37, v37, v50
	v_add_f32_e32 v3, v3, v16
	v_cndmask_b32_e64 v10, 0x7f800000, v7, s15
	v_cmp_ngt_f32_e64 s15, 0xc2ce8ed0, v23
	v_cvt_i32_f32_e32 v54, v54
	v_fmac_f32_e32 v56, 0x32a5705f, v31
	v_sub_f32_e32 v39, v39, v58
	v_add_f32_e32 v3, v3, v15
	v_cndmask_b32_e64 v7, 0, v36, s15
	v_cmp_nlt_f32_e64 s15, 0x42b17218, v25
	v_ldexp_f32 v38, v38, v54
	v_add_f32_e32 v39, v39, v56
	v_add_f32_e32 v3, v3, v14
	v_cvt_i32_f32_e32 v58, v58
	v_cndmask_b32_e64 v9, 0x7f800000, v6, s15
	v_cmp_ngt_f32_e64 s15, 0xc2ce8ed0, v29
	v_exp_f32_e32 v39, v39
	v_add_f32_e32 v3, v3, v10
	v_cndmask_b32_e64 v6, 0, v37, s15
	v_cmp_nlt_f32_e64 s15, 0x42b17218, v23
	v_add_f32_e32 v3, v3, v9
	v_cndmask_b32_e64 v8, 0x7f800000, v7, s15
	v_cmp_ngt_f32_e64 s15, 0xc2ce8ed0, v30
	v_ldexp_f32 v20, v39, v58
	v_add_f32_e32 v3, v3, v8
	v_cndmask_b32_e64 v19, 0, v38, s15
	v_cmp_nlt_f32_e64 s15, 0x42b17218, v29
	v_cndmask_b32_e64 v7, 0x7f800000, v6, s15
	v_cmp_nlt_f32_e64 s15, 0x42b17218, v30
	v_add_f32_e32 v3, v3, v7
	v_cndmask_b32_e64 v6, 0x7f800000, v19, s15
	v_cmp_ngt_f32_e64 s15, 0xc2ce8ed0, v31
	v_cndmask_b32_e64 v19, 0, v20, s15
	v_cmp_nlt_f32_e64 s15, 0x42b17218, v31
	v_add_f32_e32 v20, v3, v6
	v_cndmask_b32_e64 v3, 0x7f800000, v19, s15
	v_add_f32_e32 v19, v20, v3
	ds_bpermute_b32 v0, v0, v19
	s_waitcnt lgkmcnt(0)
	v_add_f32_e32 v0, v19, v0
	ds_bpermute_b32 v4, v4, v0
	s_waitcnt lgkmcnt(0)
	;; [unrolled: 3-line block ×4, first 2 shown]
	v_add_f32_e32 v0, v0, v4
	ds_bpermute_b32 v4, v13, v0
	v_cmpx_lt_i32_e32 0, v5
	s_cbranch_execz .LBB477_82
; %bb.33:
	s_and_b32 exec_lo, exec_lo, vcc_lo
	s_cbranch_execz .LBB477_82
; %bb.34:
	s_waitcnt lgkmcnt(0)
	v_add_f32_e32 v4, v0, v4
	v_mov_b32_e32 v5, 0x7fc0
	v_cmp_neq_f32_e64 s15, 0, v4
	s_and_saveexec_b32 s18, s15
	s_cbranch_execz .LBB477_36
; %bb.35:
	v_div_scale_f32 v0, null, v4, v4, v28
	v_div_scale_f32 v12, vcc_lo, v28, v4, v28
	v_rcp_f32_e32 v5, v0
	v_fma_f32 v11, -v0, v5, 1.0
	v_fmac_f32_e32 v5, v11, v5
	v_mul_f32_e32 v11, v12, v5
	v_fma_f32 v13, -v0, v11, v12
	v_fmac_f32_e32 v11, v13, v5
	v_fma_f32 v0, -v0, v11, v12
	v_div_fmas_f32 v0, v0, v5, v11
	v_div_fixup_f32 v0, v0, v4, v28
	v_bfe_u32 v5, v0, 16, 1
	v_cmp_o_f32_e32 vcc_lo, v0, v0
	v_add3_u32 v0, v0, v5, 0x7fff
	v_mov_b32_e32 v5, 0x7fc0
	v_cndmask_b32_sdwa v5, v5, v0, vcc_lo dst_sel:DWORD dst_unused:UNUSED_PAD src0_sel:DWORD src1_sel:WORD_1
.LBB477_36:
	s_or_b32 exec_lo, exec_lo, s18
	v_add_co_u32 v0, vcc_lo, s16, v1
	v_add_co_ci_u32_e64 v1, null, s17, v2, vcc_lo
	global_store_short v[0:1], v5, off
	s_and_b32 exec_lo, exec_lo, s14
	s_cbranch_execz .LBB477_82
; %bb.37:
	v_mov_b32_e32 v2, 0x7fc0
	s_and_saveexec_b32 s14, s15
	s_cbranch_execz .LBB477_39
; %bb.38:
	v_div_scale_f32 v2, null, v4, v4, v27
	v_div_scale_f32 v12, vcc_lo, v27, v4, v27
	v_rcp_f32_e32 v5, v2
	v_fma_f32 v11, -v2, v5, 1.0
	v_fmac_f32_e32 v5, v11, v5
	v_mul_f32_e32 v11, v12, v5
	v_fma_f32 v13, -v2, v11, v12
	v_fmac_f32_e32 v11, v13, v5
	v_fma_f32 v2, -v2, v11, v12
	v_div_fmas_f32 v2, v2, v5, v11
	v_div_fixup_f32 v2, v2, v4, v27
	v_bfe_u32 v5, v2, 16, 1
	v_cmp_o_f32_e32 vcc_lo, v2, v2
	v_add3_u32 v2, v2, v5, 0x7fff
	v_mov_b32_e32 v5, 0x7fc0
	v_cndmask_b32_sdwa v2, v5, v2, vcc_lo dst_sel:DWORD dst_unused:UNUSED_PAD src0_sel:DWORD src1_sel:WORD_1
.LBB477_39:
	s_or_b32 exec_lo, exec_lo, s14
	global_store_short v[0:1], v2, off offset:64
	s_and_b32 exec_lo, exec_lo, s13
	s_cbranch_execz .LBB477_82
; %bb.40:
	v_mov_b32_e32 v2, 0x7fc0
	s_and_saveexec_b32 s13, s15
	s_cbranch_execz .LBB477_42
; %bb.41:
	v_div_scale_f32 v2, null, v4, v4, v26
	v_div_scale_f32 v12, vcc_lo, v26, v4, v26
	v_rcp_f32_e32 v5, v2
	v_fma_f32 v11, -v2, v5, 1.0
	v_fmac_f32_e32 v5, v11, v5
	v_mul_f32_e32 v11, v12, v5
	v_fma_f32 v13, -v2, v11, v12
	v_fmac_f32_e32 v11, v13, v5
	v_fma_f32 v2, -v2, v11, v12
	v_div_fmas_f32 v2, v2, v5, v11
	v_div_fixup_f32 v2, v2, v4, v26
	v_bfe_u32 v5, v2, 16, 1
	v_cmp_o_f32_e32 vcc_lo, v2, v2
	v_add3_u32 v2, v2, v5, 0x7fff
	v_mov_b32_e32 v5, 0x7fc0
	v_cndmask_b32_sdwa v2, v5, v2, vcc_lo dst_sel:DWORD dst_unused:UNUSED_PAD src0_sel:DWORD src1_sel:WORD_1
.LBB477_42:
	s_or_b32 exec_lo, exec_lo, s13
	global_store_short v[0:1], v2, off offset:128
	;; [unrolled: 26-line block ×15, first 2 shown]
.LBB477_82:
	s_endpgm
	.section	.rodata,"a",@progbits
	.p2align	6, 0x0
	.amdhsa_kernel _ZN12_GLOBAL__N_120softmax_warp_forwardIN3c108BFloat16ES2_fLi9ELb0ELb0ELi32EEEvPT0_PKT_iiiPKbib
		.amdhsa_group_segment_fixed_size 0
		.amdhsa_private_segment_fixed_size 0
		.amdhsa_kernarg_size 304
		.amdhsa_user_sgpr_count 6
		.amdhsa_user_sgpr_private_segment_buffer 1
		.amdhsa_user_sgpr_dispatch_ptr 0
		.amdhsa_user_sgpr_queue_ptr 0
		.amdhsa_user_sgpr_kernarg_segment_ptr 1
		.amdhsa_user_sgpr_dispatch_id 0
		.amdhsa_user_sgpr_flat_scratch_init 0
		.amdhsa_user_sgpr_private_segment_size 0
		.amdhsa_wavefront_size32 1
		.amdhsa_uses_dynamic_stack 0
		.amdhsa_system_sgpr_private_segment_wavefront_offset 0
		.amdhsa_system_sgpr_workgroup_id_x 1
		.amdhsa_system_sgpr_workgroup_id_y 0
		.amdhsa_system_sgpr_workgroup_id_z 0
		.amdhsa_system_sgpr_workgroup_info 0
		.amdhsa_system_vgpr_workitem_id 1
		.amdhsa_next_free_vgpr 62
		.amdhsa_next_free_sgpr 24
		.amdhsa_reserve_vcc 1
		.amdhsa_reserve_flat_scratch 0
		.amdhsa_float_round_mode_32 0
		.amdhsa_float_round_mode_16_64 0
		.amdhsa_float_denorm_mode_32 3
		.amdhsa_float_denorm_mode_16_64 3
		.amdhsa_dx10_clamp 1
		.amdhsa_ieee_mode 1
		.amdhsa_fp16_overflow 0
		.amdhsa_workgroup_processor_mode 1
		.amdhsa_memory_ordered 1
		.amdhsa_forward_progress 1
		.amdhsa_shared_vgpr_count 0
		.amdhsa_exception_fp_ieee_invalid_op 0
		.amdhsa_exception_fp_denorm_src 0
		.amdhsa_exception_fp_ieee_div_zero 0
		.amdhsa_exception_fp_ieee_overflow 0
		.amdhsa_exception_fp_ieee_underflow 0
		.amdhsa_exception_fp_ieee_inexact 0
		.amdhsa_exception_int_div_zero 0
	.end_amdhsa_kernel
	.section	.text._ZN12_GLOBAL__N_120softmax_warp_forwardIN3c108BFloat16ES2_fLi9ELb0ELb0ELi32EEEvPT0_PKT_iiiPKbib,"axG",@progbits,_ZN12_GLOBAL__N_120softmax_warp_forwardIN3c108BFloat16ES2_fLi9ELb0ELb0ELi32EEEvPT0_PKT_iiiPKbib,comdat
.Lfunc_end477:
	.size	_ZN12_GLOBAL__N_120softmax_warp_forwardIN3c108BFloat16ES2_fLi9ELb0ELb0ELi32EEEvPT0_PKT_iiiPKbib, .Lfunc_end477-_ZN12_GLOBAL__N_120softmax_warp_forwardIN3c108BFloat16ES2_fLi9ELb0ELb0ELi32EEEvPT0_PKT_iiiPKbib
                                        ; -- End function
	.set _ZN12_GLOBAL__N_120softmax_warp_forwardIN3c108BFloat16ES2_fLi9ELb0ELb0ELi32EEEvPT0_PKT_iiiPKbib.num_vgpr, 62
	.set _ZN12_GLOBAL__N_120softmax_warp_forwardIN3c108BFloat16ES2_fLi9ELb0ELb0ELi32EEEvPT0_PKT_iiiPKbib.num_agpr, 0
	.set _ZN12_GLOBAL__N_120softmax_warp_forwardIN3c108BFloat16ES2_fLi9ELb0ELb0ELi32EEEvPT0_PKT_iiiPKbib.numbered_sgpr, 24
	.set _ZN12_GLOBAL__N_120softmax_warp_forwardIN3c108BFloat16ES2_fLi9ELb0ELb0ELi32EEEvPT0_PKT_iiiPKbib.num_named_barrier, 0
	.set _ZN12_GLOBAL__N_120softmax_warp_forwardIN3c108BFloat16ES2_fLi9ELb0ELb0ELi32EEEvPT0_PKT_iiiPKbib.private_seg_size, 0
	.set _ZN12_GLOBAL__N_120softmax_warp_forwardIN3c108BFloat16ES2_fLi9ELb0ELb0ELi32EEEvPT0_PKT_iiiPKbib.uses_vcc, 1
	.set _ZN12_GLOBAL__N_120softmax_warp_forwardIN3c108BFloat16ES2_fLi9ELb0ELb0ELi32EEEvPT0_PKT_iiiPKbib.uses_flat_scratch, 0
	.set _ZN12_GLOBAL__N_120softmax_warp_forwardIN3c108BFloat16ES2_fLi9ELb0ELb0ELi32EEEvPT0_PKT_iiiPKbib.has_dyn_sized_stack, 0
	.set _ZN12_GLOBAL__N_120softmax_warp_forwardIN3c108BFloat16ES2_fLi9ELb0ELb0ELi32EEEvPT0_PKT_iiiPKbib.has_recursion, 0
	.set _ZN12_GLOBAL__N_120softmax_warp_forwardIN3c108BFloat16ES2_fLi9ELb0ELb0ELi32EEEvPT0_PKT_iiiPKbib.has_indirect_call, 0
	.section	.AMDGPU.csdata,"",@progbits
; Kernel info:
; codeLenInByte = 5680
; TotalNumSgprs: 26
; NumVgprs: 62
; ScratchSize: 0
; MemoryBound: 0
; FloatMode: 240
; IeeeMode: 1
; LDSByteSize: 0 bytes/workgroup (compile time only)
; SGPRBlocks: 0
; VGPRBlocks: 7
; NumSGPRsForWavesPerEU: 26
; NumVGPRsForWavesPerEU: 62
; Occupancy: 16
; WaveLimiterHint : 0
; COMPUTE_PGM_RSRC2:SCRATCH_EN: 0
; COMPUTE_PGM_RSRC2:USER_SGPR: 6
; COMPUTE_PGM_RSRC2:TRAP_HANDLER: 0
; COMPUTE_PGM_RSRC2:TGID_X_EN: 1
; COMPUTE_PGM_RSRC2:TGID_Y_EN: 0
; COMPUTE_PGM_RSRC2:TGID_Z_EN: 0
; COMPUTE_PGM_RSRC2:TIDIG_COMP_CNT: 1
	.section	.text._ZN12_GLOBAL__N_120softmax_warp_forwardIN3c108BFloat16ES2_fLi10ELb0ELb0ELi64EEEvPT0_PKT_iiiPKbib,"axG",@progbits,_ZN12_GLOBAL__N_120softmax_warp_forwardIN3c108BFloat16ES2_fLi10ELb0ELb0ELi64EEEvPT0_PKT_iiiPKbib,comdat
	.globl	_ZN12_GLOBAL__N_120softmax_warp_forwardIN3c108BFloat16ES2_fLi10ELb0ELb0ELi64EEEvPT0_PKT_iiiPKbib ; -- Begin function _ZN12_GLOBAL__N_120softmax_warp_forwardIN3c108BFloat16ES2_fLi10ELb0ELb0ELi64EEEvPT0_PKT_iiiPKbib
	.p2align	8
	.type	_ZN12_GLOBAL__N_120softmax_warp_forwardIN3c108BFloat16ES2_fLi10ELb0ELb0ELi64EEEvPT0_PKT_iiiPKbib,@function
_ZN12_GLOBAL__N_120softmax_warp_forwardIN3c108BFloat16ES2_fLi10ELb0ELb0ELi64EEEvPT0_PKT_iiiPKbib: ; @_ZN12_GLOBAL__N_120softmax_warp_forwardIN3c108BFloat16ES2_fLi10ELb0ELb0ELi64EEEvPT0_PKT_iiiPKbib
; %bb.0:
	s_clause 0x1
	s_load_dword s0, s[4:5], 0x3c
	s_load_dwordx8 s[16:23], s[4:5], 0x0
	v_mov_b32_e32 v6, 0xff800000
	v_mov_b32_e32 v9, 0xff800000
	s_waitcnt lgkmcnt(0)
	s_lshr_b32 s0, s0, 16
	v_cmp_gt_i32_e32 vcc_lo, s22, v0
	v_mad_u64_u32 v[1:2], null, s6, s0, v[1:2]
	v_mad_u64_u32 v[2:3], null, v1, s21, v[0:1]
	v_sub_nc_u32_e32 v5, s20, v1
	v_cmp_lt_i32_e64 s15, 0, v5
	v_ashrrev_i32_e32 v3, 31, v2
	s_and_b32 s1, s15, vcc_lo
	v_lshlrev_b64 v[1:2], 1, v[2:3]
	v_add_co_u32 v3, s0, s18, v1
	v_add_co_ci_u32_e64 v4, null, s19, v2, s0
	s_and_saveexec_b32 s0, s1
	s_cbranch_execz .LBB478_2
; %bb.1:
	global_load_ushort v7, v[3:4], off
	s_waitcnt vmcnt(0)
	v_lshlrev_b32_e32 v9, 16, v7
.LBB478_2:
	s_or_b32 exec_lo, exec_lo, s0
	v_add_nc_u32_e32 v7, 64, v0
	v_cmp_gt_i32_e64 s14, s22, v7
	s_and_b32 s1, s15, s14
	s_and_saveexec_b32 s0, s1
	s_cbranch_execz .LBB478_4
; %bb.3:
	global_load_ushort v6, v[3:4], off offset:128
	s_waitcnt vmcnt(0)
	v_lshlrev_b32_e32 v6, 16, v6
.LBB478_4:
	s_or_b32 exec_lo, exec_lo, s0
	v_add_nc_u32_e32 v7, 0x80, v0
	v_mov_b32_e32 v19, 0xff800000
	v_cmp_gt_i32_e64 s13, s22, v7
	v_mov_b32_e32 v7, 0xff800000
	s_and_b32 s1, s15, s13
	s_and_saveexec_b32 s0, s1
	s_cbranch_execz .LBB478_6
; %bb.5:
	global_load_ushort v8, v[3:4], off offset:256
	s_waitcnt vmcnt(0)
	v_lshlrev_b32_e32 v19, 16, v8
.LBB478_6:
	s_or_b32 exec_lo, exec_lo, s0
	v_add_nc_u32_e32 v8, 0xc0, v0
	v_cmp_gt_i32_e64 s12, s22, v8
	s_and_b32 s1, s15, s12
	s_and_saveexec_b32 s0, s1
	s_cbranch_execz .LBB478_8
; %bb.7:
	global_load_ushort v7, v[3:4], off offset:384
	s_waitcnt vmcnt(0)
	v_lshlrev_b32_e32 v7, 16, v7
.LBB478_8:
	s_or_b32 exec_lo, exec_lo, s0
	v_add_nc_u32_e32 v8, 0x100, v0
	v_mov_b32_e32 v20, 0xff800000
	v_cmp_gt_i32_e64 s11, s22, v8
	v_mov_b32_e32 v8, 0xff800000
	s_and_b32 s1, s15, s11
	s_and_saveexec_b32 s0, s1
	s_cbranch_execz .LBB478_10
; %bb.9:
	global_load_ushort v10, v[3:4], off offset:512
	s_waitcnt vmcnt(0)
	v_lshlrev_b32_e32 v20, 16, v10
.LBB478_10:
	;; [unrolled: 24-line block ×3, first 2 shown]
	s_or_b32 exec_lo, exec_lo, s0
	v_add_nc_u32_e32 v11, 0x1c0, v0
	v_cmp_gt_i32_e64 s8, s22, v11
	s_and_b32 s1, s15, s8
	s_and_saveexec_b32 s0, s1
	s_cbranch_execz .LBB478_16
; %bb.15:
	global_load_ushort v10, v[3:4], off offset:896
	s_waitcnt vmcnt(0)
	v_lshlrev_b32_e32 v10, 16, v10
.LBB478_16:
	s_or_b32 exec_lo, exec_lo, s0
	v_add_nc_u32_e32 v11, 0x200, v0
	v_mov_b32_e32 v15, 0xff800000
	v_mov_b32_e32 v22, 0xff800000
	v_cmp_gt_i32_e64 s7, s22, v11
	s_and_b32 s1, s15, s7
	s_and_saveexec_b32 s0, s1
	s_cbranch_execz .LBB478_18
; %bb.17:
	global_load_ushort v11, v[3:4], off offset:1024
	s_waitcnt vmcnt(0)
	v_lshlrev_b32_e32 v22, 16, v11
.LBB478_18:
	s_or_b32 exec_lo, exec_lo, s0
	v_add_nc_u32_e32 v11, 0x240, v0
	v_cmp_gt_i32_e64 s6, s22, v11
	s_and_b32 s1, s15, s6
	s_and_saveexec_b32 s0, s1
	s_cbranch_execz .LBB478_20
; %bb.19:
	global_load_ushort v11, v[3:4], off offset:1152
	s_waitcnt vmcnt(0)
	v_lshlrev_b32_e32 v15, 16, v11
.LBB478_20:
	s_or_b32 exec_lo, exec_lo, s0
	v_add_nc_u32_e32 v11, 0x280, v0
	v_mov_b32_e32 v16, 0xff800000
	v_mov_b32_e32 v23, 0xff800000
	v_cmp_gt_i32_e64 s5, s22, v11
	s_and_b32 s1, s15, s5
	s_and_saveexec_b32 s0, s1
	s_cbranch_execz .LBB478_22
; %bb.21:
	global_load_ushort v11, v[3:4], off offset:1280
	s_waitcnt vmcnt(0)
	v_lshlrev_b32_e32 v23, 16, v11
.LBB478_22:
	s_or_b32 exec_lo, exec_lo, s0
	v_add_nc_u32_e32 v11, 0x2c0, v0
	v_cmp_gt_i32_e64 s4, s22, v11
	s_and_b32 s1, s15, s4
	s_and_saveexec_b32 s0, s1
	s_cbranch_execz .LBB478_24
; %bb.23:
	global_load_ushort v11, v[3:4], off offset:1408
	s_waitcnt vmcnt(0)
	v_lshlrev_b32_e32 v16, 16, v11
.LBB478_24:
	s_or_b32 exec_lo, exec_lo, s0
	v_add_nc_u32_e32 v11, 0x300, v0
	v_mov_b32_e32 v17, 0xff800000
	v_mov_b32_e32 v24, 0xff800000
	v_cmp_gt_i32_e64 s3, s22, v11
	s_and_b32 s1, s15, s3
	s_and_saveexec_b32 s0, s1
	s_cbranch_execz .LBB478_26
; %bb.25:
	global_load_ushort v11, v[3:4], off offset:1536
	s_waitcnt vmcnt(0)
	v_lshlrev_b32_e32 v24, 16, v11
.LBB478_26:
	s_or_b32 exec_lo, exec_lo, s0
	v_add_nc_u32_e32 v11, 0x340, v0
	v_cmp_gt_i32_e64 s2, s22, v11
	s_and_b32 s1, s15, s2
	s_and_saveexec_b32 s0, s1
	s_cbranch_execz .LBB478_28
; %bb.27:
	global_load_ushort v11, v[3:4], off offset:1664
	s_waitcnt vmcnt(0)
	v_lshlrev_b32_e32 v17, 16, v11
.LBB478_28:
	s_or_b32 exec_lo, exec_lo, s0
	v_add_nc_u32_e32 v11, 0x380, v0
	v_mov_b32_e32 v18, 0xff800000
	v_mov_b32_e32 v25, 0xff800000
	v_cmp_gt_i32_e64 s1, s22, v11
	s_and_b32 s18, s15, s1
	s_and_saveexec_b32 s0, s18
	s_cbranch_execz .LBB478_30
; %bb.29:
	global_load_ushort v11, v[3:4], off offset:1792
	s_waitcnt vmcnt(0)
	v_lshlrev_b32_e32 v25, 16, v11
.LBB478_30:
	s_or_b32 exec_lo, exec_lo, s0
	v_add_nc_u32_e32 v0, 0x3c0, v0
	v_cmp_gt_i32_e64 s0, s22, v0
	s_and_b32 s18, s15, s0
	s_and_saveexec_b32 s15, s18
	s_cbranch_execz .LBB478_32
; %bb.31:
	global_load_ushort v0, v[3:4], off offset:1920
	s_waitcnt vmcnt(0)
	v_lshlrev_b32_e32 v18, 16, v0
.LBB478_32:
	s_or_b32 exec_lo, exec_lo, s15
	v_cmp_gt_f32_e64 s15, v9, v6
	v_mbcnt_lo_u32_b32 v3, -1, 0
	s_mov_b32 s18, exec_lo
	v_cndmask_b32_e64 v0, v6, v9, s15
	v_or_b32_e32 v4, 32, v3
	v_cmp_gt_f32_e64 s15, v0, v19
	v_cndmask_b32_e64 v0, v19, v0, s15
	v_cmp_gt_f32_e64 s15, v0, v7
	v_cndmask_b32_e64 v0, v7, v0, s15
	;; [unrolled: 2-line block ×12, first 2 shown]
	v_cmp_gt_i32_e64 s15, 64, v4
	v_cndmask_b32_e64 v4, v3, v4, s15
	v_cmp_gt_f32_e64 s15, v0, v25
	v_cndmask_b32_e64 v11, v25, v0, s15
	v_lshlrev_b32_e32 v0, 2, v4
	v_xor_b32_e32 v4, 16, v3
	v_cmp_gt_f32_e64 s15, v11, v18
	v_cndmask_b32_e64 v11, v18, v11, s15
	v_cmp_gt_i32_e64 s15, 64, v4
	ds_bpermute_b32 v12, v0, v11
	v_cndmask_b32_e64 v4, v3, v4, s15
	v_lshlrev_b32_e32 v4, 2, v4
	s_waitcnt lgkmcnt(0)
	v_cmp_lt_f32_e64 s15, v11, v12
	v_cndmask_b32_e64 v12, v11, v12, s15
	v_xor_b32_e32 v11, 8, v3
	ds_bpermute_b32 v13, v4, v12
	v_cmp_gt_i32_e64 s15, 64, v11
	v_cndmask_b32_e64 v11, v3, v11, s15
	v_lshlrev_b32_e32 v11, 2, v11
	s_waitcnt lgkmcnt(0)
	v_cmp_lt_f32_e64 s15, v12, v13
	v_cndmask_b32_e64 v13, v12, v13, s15
	v_xor_b32_e32 v12, 4, v3
	ds_bpermute_b32 v14, v11, v13
	v_cmp_gt_i32_e64 s15, 64, v12
	;; [unrolled: 8-line block ×4, first 2 shown]
	v_cndmask_b32_e64 v3, v3, v14, s15
	v_lshlrev_b32_e32 v14, 2, v3
	s_waitcnt lgkmcnt(0)
	v_cmp_lt_f32_e64 s15, v26, v27
	v_cndmask_b32_e64 v3, v26, v27, s15
	ds_bpermute_b32 v26, v14, v3
	s_waitcnt lgkmcnt(0)
	v_cmp_lt_f32_e64 s15, v3, v26
	v_cndmask_b32_e64 v27, v3, v26, s15
	v_sub_f32_e32 v3, v9, v27
	v_sub_f32_e32 v6, v6, v27
	v_sub_f32_e32 v26, v16, v27
	v_sub_f32_e32 v9, v19, v27
	v_sub_f32_e32 v30, v17, v27
	v_mul_f32_e32 v16, 0x3fb8aa3b, v3
	v_mul_f32_e32 v17, 0x3fb8aa3b, v6
	v_sub_f32_e32 v32, v18, v27
	v_mul_f32_e32 v18, 0x3fb8aa3b, v9
	v_sub_f32_e32 v10, v10, v27
	v_fma_f32 v41, 0x3fb8aa3b, v3, -v16
	v_rndne_f32_e32 v42, v16
	v_fma_f32 v43, 0x3fb8aa3b, v6, -v17
	v_rndne_f32_e32 v44, v17
	v_fma_f32 v45, 0x3fb8aa3b, v9, -v18
	v_fmac_f32_e32 v41, 0x32a5705f, v3
	v_sub_f32_e32 v16, v16, v42
	v_rndne_f32_e32 v46, v18
	v_fmac_f32_e32 v43, 0x32a5705f, v6
	v_sub_f32_e32 v17, v17, v44
	v_sub_f32_e32 v7, v7, v27
	v_add_f32_e32 v16, v16, v41
	v_sub_f32_e32 v19, v20, v27
	v_sub_f32_e32 v20, v21, v27
	v_mul_f32_e32 v29, 0x3fb8aa3b, v10
	v_add_f32_e32 v17, v17, v43
	v_fmac_f32_e32 v45, 0x32a5705f, v9
	v_sub_f32_e32 v18, v18, v46
	v_exp_f32_e32 v16, v16
	v_sub_f32_e32 v21, v22, v27
	v_mul_f32_e32 v22, 0x3fb8aa3b, v7
	v_mul_f32_e32 v28, 0x3fb8aa3b, v20
	v_fma_f32 v55, 0x3fb8aa3b, v10, -v29
	v_rndne_f32_e32 v56, v29
	v_add_f32_e32 v18, v18, v45
	v_cvt_i32_f32_e32 v42, v42
	v_exp_f32_e32 v17, v17
	v_sub_f32_e32 v8, v8, v27
	v_fma_f32 v47, 0x3fb8aa3b, v7, -v22
	v_rndne_f32_e32 v48, v22
	v_fma_f32 v53, 0x3fb8aa3b, v20, -v28
	v_rndne_f32_e32 v54, v28
	v_fmac_f32_e32 v55, 0x32a5705f, v10
	v_sub_f32_e32 v29, v29, v56
	v_cvt_i32_f32_e32 v44, v44
	v_exp_f32_e32 v18, v18
	v_ldexp_f32 v16, v16, v42
	v_cmp_ngt_f32_e64 s15, 0xc2ce8ed0, v3
	v_sub_f32_e32 v15, v15, v27
	v_sub_f32_e32 v23, v23, v27
	;; [unrolled: 1-line block ×4, first 2 shown]
	v_mul_f32_e32 v25, 0x3fb8aa3b, v19
	v_mul_f32_e32 v27, 0x3fb8aa3b, v8
	v_fmac_f32_e32 v47, 0x32a5705f, v7
	v_sub_f32_e32 v22, v22, v48
	v_fmac_f32_e32 v53, 0x32a5705f, v20
	v_sub_f32_e32 v28, v28, v54
	v_add_f32_e32 v29, v29, v55
	v_cvt_i32_f32_e32 v46, v46
	v_ldexp_f32 v17, v17, v44
	v_cndmask_b32_e64 v16, 0, v16, s15
	v_cmp_ngt_f32_e64 s15, 0xc2ce8ed0, v6
	v_mul_f32_e32 v36, 0x3fb8aa3b, v26
	v_fma_f32 v49, 0x3fb8aa3b, v19, -v25
	v_rndne_f32_e32 v50, v25
	v_fma_f32 v51, 0x3fb8aa3b, v8, -v27
	v_rndne_f32_e32 v52, v27
	v_add_f32_e32 v22, v22, v47
	v_add_f32_e32 v28, v28, v53
	v_exp_f32_e32 v29, v29
	v_ldexp_f32 v18, v18, v46
	v_cndmask_b32_e64 v17, 0, v17, s15
	v_cmp_ngt_f32_e64 s15, 0xc2ce8ed0, v9
	v_fma_f32 v43, 0x3fb8aa3b, v26, -v36
	v_fmac_f32_e32 v49, 0x32a5705f, v19
	v_sub_f32_e32 v25, v25, v50
	v_rndne_f32_e32 v45, v36
	v_fmac_f32_e32 v51, 0x32a5705f, v8
	v_sub_f32_e32 v27, v27, v52
	v_cvt_i32_f32_e32 v56, v56
	v_exp_f32_e32 v22, v22
	v_exp_f32_e32 v28, v28
	v_cndmask_b32_e64 v18, 0, v18, s15
	v_cmp_nlt_f32_e64 s15, 0x42b17218, v3
	v_add_f32_e32 v25, v25, v49
	v_add_f32_e32 v27, v27, v51
	v_cvt_i32_f32_e32 v48, v48
	v_cvt_i32_f32_e32 v54, v54
	v_fmac_f32_e32 v43, 0x32a5705f, v26
	v_sub_f32_e32 v36, v36, v45
	v_ldexp_f32 v44, v29, v56
	v_cndmask_b32_e64 v29, 0x7f800000, v16, s15
	v_cmp_nlt_f32_e64 s15, 0x42b17218, v6
	v_exp_f32_e32 v25, v25
	v_add_f32_e32 v36, v36, v43
	v_exp_f32_e32 v27, v27
	v_ldexp_f32 v22, v22, v48
	v_ldexp_f32 v43, v28, v54
	v_cndmask_b32_e64 v28, 0x7f800000, v17, s15
	v_cmp_ngt_f32_e64 s15, 0xc2ce8ed0, v7
	v_cvt_i32_f32_e32 v50, v50
	v_cvt_i32_f32_e32 v52, v52
	v_mul_f32_e32 v33, 0x3fb8aa3b, v21
	v_add_f32_e32 v6, v29, v28
	v_cndmask_b32_e64 v3, 0, v22, s15
	v_cmp_nlt_f32_e64 s15, 0x42b17218, v9
	v_ldexp_f32 v25, v25, v50
	v_ldexp_f32 v42, v27, v52
	v_fma_f32 v57, 0x3fb8aa3b, v21, -v33
	v_rndne_f32_e32 v58, v33
	v_cndmask_b32_e64 v27, 0x7f800000, v18, s15
	v_cmp_ngt_f32_e64 s15, 0xc2ce8ed0, v19
	v_mul_f32_e32 v34, 0x3fb8aa3b, v15
	v_fmac_f32_e32 v57, 0x32a5705f, v21
	v_sub_f32_e32 v33, v33, v58
	v_mul_f32_e32 v35, 0x3fb8aa3b, v23
	v_cndmask_b32_e64 v9, 0, v25, s15
	v_cmp_nlt_f32_e64 s15, 0x42b17218, v7
	v_fma_f32 v59, 0x3fb8aa3b, v15, -v34
	v_rndne_f32_e32 v60, v34
	v_add_f32_e32 v33, v33, v57
	v_fma_f32 v61, 0x3fb8aa3b, v23, -v35
	v_cndmask_b32_e64 v25, 0x7f800000, v3, s15
	v_cmp_ngt_f32_e64 s15, 0xc2ce8ed0, v8
	v_add_f32_e32 v3, v6, v27
	v_fmac_f32_e32 v59, 0x32a5705f, v15
	v_sub_f32_e32 v34, v34, v60
	v_exp_f32_e32 v33, v33
	v_cndmask_b32_e64 v6, 0, v42, s15
	v_cmp_nlt_f32_e64 s15, 0x42b17218, v19
	v_rndne_f32_e32 v41, v35
	v_add_f32_e32 v34, v34, v59
	v_cvt_i32_f32_e32 v58, v58
	v_fmac_f32_e32 v61, 0x32a5705f, v23
	v_cndmask_b32_e64 v22, 0x7f800000, v9, s15
	v_cmp_ngt_f32_e64 s15, 0xc2ce8ed0, v20
	v_sub_f32_e32 v35, v35, v41
	v_exp_f32_e32 v34, v34
	v_ldexp_f32 v33, v33, v58
	v_cvt_i32_f32_e32 v60, v60
	v_cndmask_b32_e64 v7, 0, v43, s15
	v_cmp_nlt_f32_e64 s15, 0x42b17218, v8
	v_add_f32_e32 v35, v35, v61
	v_mul_f32_e32 v37, 0x3fb8aa3b, v24
	v_cvt_i32_f32_e32 v41, v41
	v_mul_f32_e32 v38, 0x3fb8aa3b, v30
	v_cndmask_b32_e64 v19, 0x7f800000, v6, s15
	v_cmp_ngt_f32_e64 s15, 0xc2ce8ed0, v10
	v_exp_f32_e32 v35, v35
	v_ldexp_f32 v34, v34, v60
	v_fma_f32 v47, 0x3fb8aa3b, v24, -v37
	v_rndne_f32_e32 v49, v37
	v_cndmask_b32_e64 v6, 0, v44, s15
	v_cmp_nlt_f32_e64 s15, 0x42b17218, v20
	v_exp_f32_e32 v36, v36
	v_fmac_f32_e32 v47, 0x32a5705f, v24
	v_sub_f32_e32 v37, v37, v49
	v_fma_f32 v51, 0x3fb8aa3b, v30, -v38
	v_cndmask_b32_e64 v18, 0x7f800000, v7, s15
	v_cmp_ngt_f32_e64 s15, 0xc2ce8ed0, v21
	v_ldexp_f32 v35, v35, v41
	v_rndne_f32_e32 v53, v38
	v_cvt_i32_f32_e32 v45, v45
	v_add_f32_e32 v37, v37, v47
	v_cndmask_b32_e64 v7, 0, v33, s15
	v_cmp_nlt_f32_e64 s15, 0x42b17218, v10
	v_mul_f32_e32 v39, 0x3fb8aa3b, v31
	v_fmac_f32_e32 v51, 0x32a5705f, v30
	v_sub_f32_e32 v38, v38, v53
	v_exp_f32_e32 v37, v37
	v_cndmask_b32_e64 v17, 0x7f800000, v6, s15
	v_cmp_ngt_f32_e64 s15, 0xc2ce8ed0, v15
	v_ldexp_f32 v36, v36, v45
	v_add_f32_e32 v3, v3, v25
	v_fma_f32 v55, 0x3fb8aa3b, v31, -v39
	v_rndne_f32_e32 v57, v39
	v_cndmask_b32_e64 v6, 0, v34, s15
	v_cmp_nlt_f32_e64 s15, 0x42b17218, v21
	v_cvt_i32_f32_e32 v49, v49
	v_add_f32_e32 v38, v38, v51
	v_add_f32_e32 v3, v3, v22
	v_fmac_f32_e32 v55, 0x32a5705f, v31
	v_cndmask_b32_e64 v16, 0x7f800000, v7, s15
	v_cmp_ngt_f32_e64 s15, 0xc2ce8ed0, v23
	v_sub_f32_e32 v39, v39, v57
	v_exp_f32_e32 v38, v38
	v_ldexp_f32 v37, v37, v49
	v_add_f32_e32 v3, v3, v19
	v_cndmask_b32_e64 v7, 0, v35, s15
	v_cmp_nlt_f32_e64 s15, 0x42b17218, v15
	v_mul_f32_e32 v40, 0x3fb8aa3b, v32
	v_cvt_i32_f32_e32 v53, v53
	v_add_f32_e32 v39, v39, v55
	v_add_f32_e32 v3, v3, v18
	v_cndmask_b32_e64 v15, 0x7f800000, v6, s15
	v_cmp_ngt_f32_e64 s15, 0xc2ce8ed0, v26
	v_fma_f32 v59, 0x3fb8aa3b, v32, -v40
	v_rndne_f32_e32 v61, v40
	v_exp_f32_e32 v39, v39
	v_ldexp_f32 v38, v38, v53
	v_cndmask_b32_e64 v6, 0, v36, s15
	v_cmp_nlt_f32_e64 s15, 0x42b17218, v23
	v_add_f32_e32 v3, v3, v17
	v_cvt_i32_f32_e32 v57, v57
	v_fmac_f32_e32 v59, 0x32a5705f, v32
	v_sub_f32_e32 v40, v40, v61
	v_cndmask_b32_e64 v10, 0x7f800000, v7, s15
	v_cmp_ngt_f32_e64 s15, 0xc2ce8ed0, v24
	v_add_f32_e32 v3, v3, v16
	v_ldexp_f32 v39, v39, v57
	v_add_f32_e32 v40, v40, v59
	v_cvt_i32_f32_e32 v61, v61
	v_cndmask_b32_e64 v7, 0, v37, s15
	v_cmp_nlt_f32_e64 s15, 0x42b17218, v26
	v_add_f32_e32 v3, v3, v15
	v_exp_f32_e32 v40, v40
	v_cndmask_b32_e64 v9, 0x7f800000, v6, s15
	v_cmp_ngt_f32_e64 s15, 0xc2ce8ed0, v30
	v_add_f32_e32 v3, v3, v10
	v_cndmask_b32_e64 v6, 0, v38, s15
	v_cmp_nlt_f32_e64 s15, 0x42b17218, v24
	v_add_f32_e32 v3, v3, v9
	v_ldexp_f32 v21, v40, v61
	v_cndmask_b32_e64 v8, 0x7f800000, v7, s15
	v_cmp_ngt_f32_e64 s15, 0xc2ce8ed0, v31
	v_add_f32_e32 v3, v3, v8
	v_cndmask_b32_e64 v20, 0, v39, s15
	v_cmp_nlt_f32_e64 s15, 0x42b17218, v30
	v_cndmask_b32_e64 v7, 0x7f800000, v6, s15
	v_cmp_nlt_f32_e64 s15, 0x42b17218, v31
	v_add_f32_e32 v3, v3, v7
	v_cndmask_b32_e64 v6, 0x7f800000, v20, s15
	v_cmp_ngt_f32_e64 s15, 0xc2ce8ed0, v32
	v_cndmask_b32_e64 v20, 0, v21, s15
	v_cmp_nlt_f32_e64 s15, 0x42b17218, v32
	v_add_f32_e32 v21, v3, v6
	v_cndmask_b32_e64 v3, 0x7f800000, v20, s15
	v_add_f32_e32 v20, v21, v3
	ds_bpermute_b32 v0, v0, v20
	s_waitcnt lgkmcnt(0)
	v_add_f32_e32 v0, v20, v0
	ds_bpermute_b32 v4, v4, v0
	s_waitcnt lgkmcnt(0)
	;; [unrolled: 3-line block ×5, first 2 shown]
	v_add_f32_e32 v0, v0, v4
	ds_bpermute_b32 v4, v14, v0
	v_cmpx_lt_i32_e32 0, v5
	s_cbranch_execz .LBB478_82
; %bb.33:
	s_and_b32 exec_lo, exec_lo, vcc_lo
	s_cbranch_execz .LBB478_82
; %bb.34:
	s_waitcnt lgkmcnt(0)
	v_add_f32_e32 v4, v0, v4
	v_mov_b32_e32 v5, 0x7fc0
	v_cmp_neq_f32_e64 s15, 0, v4
	s_and_saveexec_b32 s18, s15
	s_cbranch_execz .LBB478_36
; %bb.35:
	v_div_scale_f32 v0, null, v4, v4, v29
	v_div_scale_f32 v12, vcc_lo, v29, v4, v29
	v_rcp_f32_e32 v5, v0
	v_fma_f32 v11, -v0, v5, 1.0
	v_fmac_f32_e32 v5, v11, v5
	v_mul_f32_e32 v11, v12, v5
	v_fma_f32 v13, -v0, v11, v12
	v_fmac_f32_e32 v11, v13, v5
	v_fma_f32 v0, -v0, v11, v12
	v_div_fmas_f32 v0, v0, v5, v11
	v_div_fixup_f32 v0, v0, v4, v29
	v_bfe_u32 v5, v0, 16, 1
	v_cmp_o_f32_e32 vcc_lo, v0, v0
	v_add3_u32 v0, v0, v5, 0x7fff
	v_mov_b32_e32 v5, 0x7fc0
	v_cndmask_b32_sdwa v5, v5, v0, vcc_lo dst_sel:DWORD dst_unused:UNUSED_PAD src0_sel:DWORD src1_sel:WORD_1
.LBB478_36:
	s_or_b32 exec_lo, exec_lo, s18
	v_add_co_u32 v0, vcc_lo, s16, v1
	v_add_co_ci_u32_e64 v1, null, s17, v2, vcc_lo
	global_store_short v[0:1], v5, off
	s_and_b32 exec_lo, exec_lo, s14
	s_cbranch_execz .LBB478_82
; %bb.37:
	v_mov_b32_e32 v2, 0x7fc0
	s_and_saveexec_b32 s14, s15
	s_cbranch_execz .LBB478_39
; %bb.38:
	v_div_scale_f32 v2, null, v4, v4, v28
	v_div_scale_f32 v12, vcc_lo, v28, v4, v28
	v_rcp_f32_e32 v5, v2
	v_fma_f32 v11, -v2, v5, 1.0
	v_fmac_f32_e32 v5, v11, v5
	v_mul_f32_e32 v11, v12, v5
	v_fma_f32 v13, -v2, v11, v12
	v_fmac_f32_e32 v11, v13, v5
	v_fma_f32 v2, -v2, v11, v12
	v_div_fmas_f32 v2, v2, v5, v11
	v_div_fixup_f32 v2, v2, v4, v28
	v_bfe_u32 v5, v2, 16, 1
	v_cmp_o_f32_e32 vcc_lo, v2, v2
	v_add3_u32 v2, v2, v5, 0x7fff
	v_mov_b32_e32 v5, 0x7fc0
	v_cndmask_b32_sdwa v2, v5, v2, vcc_lo dst_sel:DWORD dst_unused:UNUSED_PAD src0_sel:DWORD src1_sel:WORD_1
.LBB478_39:
	s_or_b32 exec_lo, exec_lo, s14
	global_store_short v[0:1], v2, off offset:128
	s_and_b32 exec_lo, exec_lo, s13
	s_cbranch_execz .LBB478_82
; %bb.40:
	v_mov_b32_e32 v2, 0x7fc0
	s_and_saveexec_b32 s13, s15
	s_cbranch_execz .LBB478_42
; %bb.41:
	v_div_scale_f32 v2, null, v4, v4, v27
	v_div_scale_f32 v12, vcc_lo, v27, v4, v27
	v_rcp_f32_e32 v5, v2
	v_fma_f32 v11, -v2, v5, 1.0
	v_fmac_f32_e32 v5, v11, v5
	v_mul_f32_e32 v11, v12, v5
	v_fma_f32 v13, -v2, v11, v12
	v_fmac_f32_e32 v11, v13, v5
	v_fma_f32 v2, -v2, v11, v12
	v_div_fmas_f32 v2, v2, v5, v11
	v_div_fixup_f32 v2, v2, v4, v27
	v_bfe_u32 v5, v2, 16, 1
	v_cmp_o_f32_e32 vcc_lo, v2, v2
	v_add3_u32 v2, v2, v5, 0x7fff
	v_mov_b32_e32 v5, 0x7fc0
	v_cndmask_b32_sdwa v2, v5, v2, vcc_lo dst_sel:DWORD dst_unused:UNUSED_PAD src0_sel:DWORD src1_sel:WORD_1
.LBB478_42:
	s_or_b32 exec_lo, exec_lo, s13
	global_store_short v[0:1], v2, off offset:256
	s_and_b32 exec_lo, exec_lo, s12
	s_cbranch_execz .LBB478_82
; %bb.43:
	v_mov_b32_e32 v2, 0x7fc0
	s_and_saveexec_b32 s12, s15
	s_cbranch_execz .LBB478_45
; %bb.44:
	v_div_scale_f32 v2, null, v4, v4, v25
	v_div_scale_f32 v12, vcc_lo, v25, v4, v25
	v_rcp_f32_e32 v5, v2
	v_fma_f32 v11, -v2, v5, 1.0
	v_fmac_f32_e32 v5, v11, v5
	v_mul_f32_e32 v11, v12, v5
	v_fma_f32 v13, -v2, v11, v12
	v_fmac_f32_e32 v11, v13, v5
	v_fma_f32 v2, -v2, v11, v12
	v_div_fmas_f32 v2, v2, v5, v11
	v_div_fixup_f32 v2, v2, v4, v25
	v_bfe_u32 v5, v2, 16, 1
	v_cmp_o_f32_e32 vcc_lo, v2, v2
	v_add3_u32 v2, v2, v5, 0x7fff
	v_mov_b32_e32 v5, 0x7fc0
	v_cndmask_b32_sdwa v2, v5, v2, vcc_lo dst_sel:DWORD dst_unused:UNUSED_PAD src0_sel:DWORD src1_sel:WORD_1
.LBB478_45:
	s_or_b32 exec_lo, exec_lo, s12
	global_store_short v[0:1], v2, off offset:384
	s_and_b32 exec_lo, exec_lo, s11
	s_cbranch_execz .LBB478_82
; %bb.46:
	v_mov_b32_e32 v2, 0x7fc0
	s_and_saveexec_b32 s11, s15
	s_cbranch_execz .LBB478_48
; %bb.47:
	v_div_scale_f32 v2, null, v4, v4, v22
	v_div_scale_f32 v12, vcc_lo, v22, v4, v22
	v_rcp_f32_e32 v5, v2
	v_fma_f32 v11, -v2, v5, 1.0
	v_fmac_f32_e32 v5, v11, v5
	v_mul_f32_e32 v11, v12, v5
	v_fma_f32 v13, -v2, v11, v12
	v_fmac_f32_e32 v11, v13, v5
	v_fma_f32 v2, -v2, v11, v12
	v_div_fmas_f32 v2, v2, v5, v11
	v_div_fixup_f32 v2, v2, v4, v22
	v_bfe_u32 v5, v2, 16, 1
	v_cmp_o_f32_e32 vcc_lo, v2, v2
	v_add3_u32 v2, v2, v5, 0x7fff
	v_mov_b32_e32 v5, 0x7fc0
	v_cndmask_b32_sdwa v2, v5, v2, vcc_lo dst_sel:DWORD dst_unused:UNUSED_PAD src0_sel:DWORD src1_sel:WORD_1
.LBB478_48:
	s_or_b32 exec_lo, exec_lo, s11
	global_store_short v[0:1], v2, off offset:512
	s_and_b32 exec_lo, exec_lo, s10
	s_cbranch_execz .LBB478_82
; %bb.49:
	v_mov_b32_e32 v2, 0x7fc0
	s_and_saveexec_b32 s10, s15
	s_cbranch_execz .LBB478_51
; %bb.50:
	v_div_scale_f32 v2, null, v4, v4, v19
	v_div_scale_f32 v12, vcc_lo, v19, v4, v19
	v_rcp_f32_e32 v5, v2
	v_fma_f32 v11, -v2, v5, 1.0
	v_fmac_f32_e32 v5, v11, v5
	v_mul_f32_e32 v11, v12, v5
	v_fma_f32 v13, -v2, v11, v12
	v_fmac_f32_e32 v11, v13, v5
	v_fma_f32 v2, -v2, v11, v12
	v_div_fmas_f32 v2, v2, v5, v11
	v_div_fixup_f32 v2, v2, v4, v19
	v_bfe_u32 v5, v2, 16, 1
	v_cmp_o_f32_e32 vcc_lo, v2, v2
	v_add3_u32 v2, v2, v5, 0x7fff
	v_mov_b32_e32 v5, 0x7fc0
	v_cndmask_b32_sdwa v2, v5, v2, vcc_lo dst_sel:DWORD dst_unused:UNUSED_PAD src0_sel:DWORD src1_sel:WORD_1
.LBB478_51:
	s_or_b32 exec_lo, exec_lo, s10
	global_store_short v[0:1], v2, off offset:640
	s_and_b32 exec_lo, exec_lo, s9
	s_cbranch_execz .LBB478_82
; %bb.52:
	v_mov_b32_e32 v2, 0x7fc0
	s_and_saveexec_b32 s9, s15
	s_cbranch_execz .LBB478_54
; %bb.53:
	v_div_scale_f32 v2, null, v4, v4, v18
	v_div_scale_f32 v12, vcc_lo, v18, v4, v18
	v_rcp_f32_e32 v5, v2
	v_fma_f32 v11, -v2, v5, 1.0
	v_fmac_f32_e32 v5, v11, v5
	v_mul_f32_e32 v11, v12, v5
	v_fma_f32 v13, -v2, v11, v12
	v_fmac_f32_e32 v11, v13, v5
	v_fma_f32 v2, -v2, v11, v12
	v_div_fmas_f32 v2, v2, v5, v11
	v_div_fixup_f32 v2, v2, v4, v18
	v_bfe_u32 v5, v2, 16, 1
	v_cmp_o_f32_e32 vcc_lo, v2, v2
	v_add3_u32 v2, v2, v5, 0x7fff
	v_mov_b32_e32 v5, 0x7fc0
	v_cndmask_b32_sdwa v2, v5, v2, vcc_lo dst_sel:DWORD dst_unused:UNUSED_PAD src0_sel:DWORD src1_sel:WORD_1
.LBB478_54:
	s_or_b32 exec_lo, exec_lo, s9
	global_store_short v[0:1], v2, off offset:768
	s_and_b32 exec_lo, exec_lo, s8
	s_cbranch_execz .LBB478_82
; %bb.55:
	v_mov_b32_e32 v2, 0x7fc0
	s_and_saveexec_b32 s8, s15
	s_cbranch_execz .LBB478_57
; %bb.56:
	v_div_scale_f32 v2, null, v4, v4, v17
	v_div_scale_f32 v12, vcc_lo, v17, v4, v17
	v_rcp_f32_e32 v5, v2
	v_fma_f32 v11, -v2, v5, 1.0
	v_fmac_f32_e32 v5, v11, v5
	v_mul_f32_e32 v11, v12, v5
	v_fma_f32 v13, -v2, v11, v12
	v_fmac_f32_e32 v11, v13, v5
	v_fma_f32 v2, -v2, v11, v12
	v_div_fmas_f32 v2, v2, v5, v11
	v_div_fixup_f32 v2, v2, v4, v17
	v_bfe_u32 v5, v2, 16, 1
	v_cmp_o_f32_e32 vcc_lo, v2, v2
	v_add3_u32 v2, v2, v5, 0x7fff
	v_mov_b32_e32 v5, 0x7fc0
	v_cndmask_b32_sdwa v2, v5, v2, vcc_lo dst_sel:DWORD dst_unused:UNUSED_PAD src0_sel:DWORD src1_sel:WORD_1
.LBB478_57:
	s_or_b32 exec_lo, exec_lo, s8
	global_store_short v[0:1], v2, off offset:896
	s_and_b32 exec_lo, exec_lo, s7
	s_cbranch_execz .LBB478_82
; %bb.58:
	v_mov_b32_e32 v2, 0x7fc0
	s_and_saveexec_b32 s7, s15
	s_cbranch_execz .LBB478_60
; %bb.59:
	v_div_scale_f32 v2, null, v4, v4, v16
	v_div_scale_f32 v12, vcc_lo, v16, v4, v16
	v_rcp_f32_e32 v5, v2
	v_fma_f32 v11, -v2, v5, 1.0
	v_fmac_f32_e32 v5, v11, v5
	v_mul_f32_e32 v11, v12, v5
	v_fma_f32 v13, -v2, v11, v12
	v_fmac_f32_e32 v11, v13, v5
	v_fma_f32 v2, -v2, v11, v12
	v_div_fmas_f32 v2, v2, v5, v11
	v_div_fixup_f32 v2, v2, v4, v16
	v_bfe_u32 v5, v2, 16, 1
	v_cmp_o_f32_e32 vcc_lo, v2, v2
	v_add3_u32 v2, v2, v5, 0x7fff
	v_mov_b32_e32 v5, 0x7fc0
	v_cndmask_b32_sdwa v2, v5, v2, vcc_lo dst_sel:DWORD dst_unused:UNUSED_PAD src0_sel:DWORD src1_sel:WORD_1
.LBB478_60:
	s_or_b32 exec_lo, exec_lo, s7
	global_store_short v[0:1], v2, off offset:1024
	s_and_b32 exec_lo, exec_lo, s6
	s_cbranch_execz .LBB478_82
; %bb.61:
	v_mov_b32_e32 v2, 0x7fc0
	s_and_saveexec_b32 s6, s15
	s_cbranch_execz .LBB478_63
; %bb.62:
	v_div_scale_f32 v2, null, v4, v4, v15
	v_div_scale_f32 v12, vcc_lo, v15, v4, v15
	v_rcp_f32_e32 v5, v2
	v_fma_f32 v11, -v2, v5, 1.0
	v_fmac_f32_e32 v5, v11, v5
	v_mul_f32_e32 v11, v12, v5
	v_fma_f32 v13, -v2, v11, v12
	v_fmac_f32_e32 v11, v13, v5
	v_fma_f32 v2, -v2, v11, v12
	v_div_fmas_f32 v2, v2, v5, v11
	v_div_fixup_f32 v2, v2, v4, v15
	v_bfe_u32 v5, v2, 16, 1
	v_cmp_o_f32_e32 vcc_lo, v2, v2
	v_add3_u32 v2, v2, v5, 0x7fff
	v_mov_b32_e32 v5, 0x7fc0
	v_cndmask_b32_sdwa v2, v5, v2, vcc_lo dst_sel:DWORD dst_unused:UNUSED_PAD src0_sel:DWORD src1_sel:WORD_1
.LBB478_63:
	s_or_b32 exec_lo, exec_lo, s6
	global_store_short v[0:1], v2, off offset:1152
	s_and_b32 exec_lo, exec_lo, s5
	s_cbranch_execz .LBB478_82
; %bb.64:
	v_mov_b32_e32 v2, 0x7fc0
	s_and_saveexec_b32 s5, s15
	s_cbranch_execz .LBB478_66
; %bb.65:
	v_div_scale_f32 v2, null, v4, v4, v10
	v_div_scale_f32 v12, vcc_lo, v10, v4, v10
	v_rcp_f32_e32 v5, v2
	v_fma_f32 v11, -v2, v5, 1.0
	v_fmac_f32_e32 v5, v11, v5
	v_mul_f32_e32 v11, v12, v5
	v_fma_f32 v13, -v2, v11, v12
	v_fmac_f32_e32 v11, v13, v5
	v_fma_f32 v2, -v2, v11, v12
	v_div_fmas_f32 v2, v2, v5, v11
	v_div_fixup_f32 v2, v2, v4, v10
	v_bfe_u32 v5, v2, 16, 1
	v_cmp_o_f32_e32 vcc_lo, v2, v2
	v_add3_u32 v2, v2, v5, 0x7fff
	v_mov_b32_e32 v5, 0x7fc0
	v_cndmask_b32_sdwa v2, v5, v2, vcc_lo dst_sel:DWORD dst_unused:UNUSED_PAD src0_sel:DWORD src1_sel:WORD_1
.LBB478_66:
	s_or_b32 exec_lo, exec_lo, s5
	global_store_short v[0:1], v2, off offset:1280
	s_and_b32 exec_lo, exec_lo, s4
	s_cbranch_execz .LBB478_82
; %bb.67:
	v_mov_b32_e32 v2, 0x7fc0
	s_and_saveexec_b32 s4, s15
	s_cbranch_execz .LBB478_69
; %bb.68:
	v_div_scale_f32 v2, null, v4, v4, v9
	v_div_scale_f32 v11, vcc_lo, v9, v4, v9
	v_rcp_f32_e32 v5, v2
	v_fma_f32 v10, -v2, v5, 1.0
	v_fmac_f32_e32 v5, v10, v5
	v_mul_f32_e32 v10, v11, v5
	v_fma_f32 v12, -v2, v10, v11
	v_fmac_f32_e32 v10, v12, v5
	v_fma_f32 v2, -v2, v10, v11
	v_div_fmas_f32 v2, v2, v5, v10
	v_div_fixup_f32 v2, v2, v4, v9
	v_bfe_u32 v5, v2, 16, 1
	v_cmp_o_f32_e32 vcc_lo, v2, v2
	v_add3_u32 v2, v2, v5, 0x7fff
	v_mov_b32_e32 v5, 0x7fc0
	v_cndmask_b32_sdwa v2, v5, v2, vcc_lo dst_sel:DWORD dst_unused:UNUSED_PAD src0_sel:DWORD src1_sel:WORD_1
.LBB478_69:
	s_or_b32 exec_lo, exec_lo, s4
	global_store_short v[0:1], v2, off offset:1408
	s_and_b32 exec_lo, exec_lo, s3
	s_cbranch_execz .LBB478_82
; %bb.70:
	v_mov_b32_e32 v2, 0x7fc0
	s_and_saveexec_b32 s3, s15
	s_cbranch_execz .LBB478_72
; %bb.71:
	v_div_scale_f32 v2, null, v4, v4, v8
	v_div_scale_f32 v10, vcc_lo, v8, v4, v8
	v_rcp_f32_e32 v5, v2
	v_fma_f32 v9, -v2, v5, 1.0
	v_fmac_f32_e32 v5, v9, v5
	v_mul_f32_e32 v9, v10, v5
	v_fma_f32 v11, -v2, v9, v10
	v_fmac_f32_e32 v9, v11, v5
	v_fma_f32 v2, -v2, v9, v10
	v_div_fmas_f32 v2, v2, v5, v9
	v_div_fixup_f32 v2, v2, v4, v8
	v_bfe_u32 v5, v2, 16, 1
	v_cmp_o_f32_e32 vcc_lo, v2, v2
	v_add3_u32 v2, v2, v5, 0x7fff
	v_mov_b32_e32 v5, 0x7fc0
	v_cndmask_b32_sdwa v2, v5, v2, vcc_lo dst_sel:DWORD dst_unused:UNUSED_PAD src0_sel:DWORD src1_sel:WORD_1
.LBB478_72:
	s_or_b32 exec_lo, exec_lo, s3
	global_store_short v[0:1], v2, off offset:1536
	s_and_b32 exec_lo, exec_lo, s2
	s_cbranch_execz .LBB478_82
; %bb.73:
	v_mov_b32_e32 v2, 0x7fc0
	s_and_saveexec_b32 s2, s15
	s_cbranch_execz .LBB478_75
; %bb.74:
	v_div_scale_f32 v2, null, v4, v4, v7
	v_div_scale_f32 v9, vcc_lo, v7, v4, v7
	v_rcp_f32_e32 v5, v2
	v_fma_f32 v8, -v2, v5, 1.0
	v_fmac_f32_e32 v5, v8, v5
	v_mul_f32_e32 v8, v9, v5
	v_fma_f32 v10, -v2, v8, v9
	v_fmac_f32_e32 v8, v10, v5
	v_fma_f32 v2, -v2, v8, v9
	v_div_fmas_f32 v2, v2, v5, v8
	v_div_fixup_f32 v2, v2, v4, v7
	v_bfe_u32 v5, v2, 16, 1
	v_cmp_o_f32_e32 vcc_lo, v2, v2
	v_add3_u32 v2, v2, v5, 0x7fff
	v_mov_b32_e32 v5, 0x7fc0
	v_cndmask_b32_sdwa v2, v5, v2, vcc_lo dst_sel:DWORD dst_unused:UNUSED_PAD src0_sel:DWORD src1_sel:WORD_1
.LBB478_75:
	s_or_b32 exec_lo, exec_lo, s2
	global_store_short v[0:1], v2, off offset:1664
	s_and_b32 exec_lo, exec_lo, s1
	s_cbranch_execz .LBB478_82
; %bb.76:
	v_mov_b32_e32 v2, 0x7fc0
	s_and_saveexec_b32 s1, s15
	s_cbranch_execz .LBB478_78
; %bb.77:
	v_div_scale_f32 v2, null, v4, v4, v6
	v_div_scale_f32 v8, vcc_lo, v6, v4, v6
	v_rcp_f32_e32 v5, v2
	v_fma_f32 v7, -v2, v5, 1.0
	v_fmac_f32_e32 v5, v7, v5
	v_mul_f32_e32 v7, v8, v5
	v_fma_f32 v9, -v2, v7, v8
	v_fmac_f32_e32 v7, v9, v5
	v_fma_f32 v2, -v2, v7, v8
	v_div_fmas_f32 v2, v2, v5, v7
	v_div_fixup_f32 v2, v2, v4, v6
	v_bfe_u32 v5, v2, 16, 1
	v_cmp_o_f32_e32 vcc_lo, v2, v2
	v_add3_u32 v2, v2, v5, 0x7fff
	v_mov_b32_e32 v5, 0x7fc0
	v_cndmask_b32_sdwa v2, v5, v2, vcc_lo dst_sel:DWORD dst_unused:UNUSED_PAD src0_sel:DWORD src1_sel:WORD_1
.LBB478_78:
	s_or_b32 exec_lo, exec_lo, s1
	global_store_short v[0:1], v2, off offset:1792
	s_and_b32 exec_lo, exec_lo, s0
	s_cbranch_execz .LBB478_82
; %bb.79:
	v_mov_b32_e32 v2, 0x7fc0
	s_and_saveexec_b32 s0, s15
	s_cbranch_execz .LBB478_81
; %bb.80:
	v_div_scale_f32 v2, null, v4, v4, v3
	v_div_scale_f32 v7, vcc_lo, v3, v4, v3
	v_rcp_f32_e32 v5, v2
	v_fma_f32 v6, -v2, v5, 1.0
	v_fmac_f32_e32 v5, v6, v5
	v_mul_f32_e32 v6, v7, v5
	v_fma_f32 v8, -v2, v6, v7
	v_fmac_f32_e32 v6, v8, v5
	v_fma_f32 v2, -v2, v6, v7
	v_div_fmas_f32 v2, v2, v5, v6
	v_div_fixup_f32 v2, v2, v4, v3
	v_bfe_u32 v3, v2, 16, 1
	v_cmp_o_f32_e32 vcc_lo, v2, v2
	v_add3_u32 v2, v2, v3, 0x7fff
	v_mov_b32_e32 v3, 0x7fc0
	v_cndmask_b32_sdwa v2, v3, v2, vcc_lo dst_sel:DWORD dst_unused:UNUSED_PAD src0_sel:DWORD src1_sel:WORD_1
.LBB478_81:
	s_or_b32 exec_lo, exec_lo, s0
	global_store_short v[0:1], v2, off offset:1920
.LBB478_82:
	s_endpgm
	.section	.rodata,"a",@progbits
	.p2align	6, 0x0
	.amdhsa_kernel _ZN12_GLOBAL__N_120softmax_warp_forwardIN3c108BFloat16ES2_fLi10ELb0ELb0ELi64EEEvPT0_PKT_iiiPKbib
		.amdhsa_group_segment_fixed_size 0
		.amdhsa_private_segment_fixed_size 0
		.amdhsa_kernarg_size 304
		.amdhsa_user_sgpr_count 6
		.amdhsa_user_sgpr_private_segment_buffer 1
		.amdhsa_user_sgpr_dispatch_ptr 0
		.amdhsa_user_sgpr_queue_ptr 0
		.amdhsa_user_sgpr_kernarg_segment_ptr 1
		.amdhsa_user_sgpr_dispatch_id 0
		.amdhsa_user_sgpr_flat_scratch_init 0
		.amdhsa_user_sgpr_private_segment_size 0
		.amdhsa_wavefront_size32 1
		.amdhsa_uses_dynamic_stack 0
		.amdhsa_system_sgpr_private_segment_wavefront_offset 0
		.amdhsa_system_sgpr_workgroup_id_x 1
		.amdhsa_system_sgpr_workgroup_id_y 0
		.amdhsa_system_sgpr_workgroup_id_z 0
		.amdhsa_system_sgpr_workgroup_info 0
		.amdhsa_system_vgpr_workitem_id 1
		.amdhsa_next_free_vgpr 62
		.amdhsa_next_free_sgpr 24
		.amdhsa_reserve_vcc 1
		.amdhsa_reserve_flat_scratch 0
		.amdhsa_float_round_mode_32 0
		.amdhsa_float_round_mode_16_64 0
		.amdhsa_float_denorm_mode_32 3
		.amdhsa_float_denorm_mode_16_64 3
		.amdhsa_dx10_clamp 1
		.amdhsa_ieee_mode 1
		.amdhsa_fp16_overflow 0
		.amdhsa_workgroup_processor_mode 1
		.amdhsa_memory_ordered 1
		.amdhsa_forward_progress 1
		.amdhsa_shared_vgpr_count 0
		.amdhsa_exception_fp_ieee_invalid_op 0
		.amdhsa_exception_fp_denorm_src 0
		.amdhsa_exception_fp_ieee_div_zero 0
		.amdhsa_exception_fp_ieee_overflow 0
		.amdhsa_exception_fp_ieee_underflow 0
		.amdhsa_exception_fp_ieee_inexact 0
		.amdhsa_exception_int_div_zero 0
	.end_amdhsa_kernel
	.section	.text._ZN12_GLOBAL__N_120softmax_warp_forwardIN3c108BFloat16ES2_fLi10ELb0ELb0ELi64EEEvPT0_PKT_iiiPKbib,"axG",@progbits,_ZN12_GLOBAL__N_120softmax_warp_forwardIN3c108BFloat16ES2_fLi10ELb0ELb0ELi64EEEvPT0_PKT_iiiPKbib,comdat
.Lfunc_end478:
	.size	_ZN12_GLOBAL__N_120softmax_warp_forwardIN3c108BFloat16ES2_fLi10ELb0ELb0ELi64EEEvPT0_PKT_iiiPKbib, .Lfunc_end478-_ZN12_GLOBAL__N_120softmax_warp_forwardIN3c108BFloat16ES2_fLi10ELb0ELb0ELi64EEEvPT0_PKT_iiiPKbib
                                        ; -- End function
	.set _ZN12_GLOBAL__N_120softmax_warp_forwardIN3c108BFloat16ES2_fLi10ELb0ELb0ELi64EEEvPT0_PKT_iiiPKbib.num_vgpr, 62
	.set _ZN12_GLOBAL__N_120softmax_warp_forwardIN3c108BFloat16ES2_fLi10ELb0ELb0ELi64EEEvPT0_PKT_iiiPKbib.num_agpr, 0
	.set _ZN12_GLOBAL__N_120softmax_warp_forwardIN3c108BFloat16ES2_fLi10ELb0ELb0ELi64EEEvPT0_PKT_iiiPKbib.numbered_sgpr, 24
	.set _ZN12_GLOBAL__N_120softmax_warp_forwardIN3c108BFloat16ES2_fLi10ELb0ELb0ELi64EEEvPT0_PKT_iiiPKbib.num_named_barrier, 0
	.set _ZN12_GLOBAL__N_120softmax_warp_forwardIN3c108BFloat16ES2_fLi10ELb0ELb0ELi64EEEvPT0_PKT_iiiPKbib.private_seg_size, 0
	.set _ZN12_GLOBAL__N_120softmax_warp_forwardIN3c108BFloat16ES2_fLi10ELb0ELb0ELi64EEEvPT0_PKT_iiiPKbib.uses_vcc, 1
	.set _ZN12_GLOBAL__N_120softmax_warp_forwardIN3c108BFloat16ES2_fLi10ELb0ELb0ELi64EEEvPT0_PKT_iiiPKbib.uses_flat_scratch, 0
	.set _ZN12_GLOBAL__N_120softmax_warp_forwardIN3c108BFloat16ES2_fLi10ELb0ELb0ELi64EEEvPT0_PKT_iiiPKbib.has_dyn_sized_stack, 0
	.set _ZN12_GLOBAL__N_120softmax_warp_forwardIN3c108BFloat16ES2_fLi10ELb0ELb0ELi64EEEvPT0_PKT_iiiPKbib.has_recursion, 0
	.set _ZN12_GLOBAL__N_120softmax_warp_forwardIN3c108BFloat16ES2_fLi10ELb0ELb0ELi64EEEvPT0_PKT_iiiPKbib.has_indirect_call, 0
	.section	.AMDGPU.csdata,"",@progbits
; Kernel info:
; codeLenInByte = 5752
; TotalNumSgprs: 26
; NumVgprs: 62
; ScratchSize: 0
; MemoryBound: 0
; FloatMode: 240
; IeeeMode: 1
; LDSByteSize: 0 bytes/workgroup (compile time only)
; SGPRBlocks: 0
; VGPRBlocks: 7
; NumSGPRsForWavesPerEU: 26
; NumVGPRsForWavesPerEU: 62
; Occupancy: 16
; WaveLimiterHint : 0
; COMPUTE_PGM_RSRC2:SCRATCH_EN: 0
; COMPUTE_PGM_RSRC2:USER_SGPR: 6
; COMPUTE_PGM_RSRC2:TRAP_HANDLER: 0
; COMPUTE_PGM_RSRC2:TGID_X_EN: 1
; COMPUTE_PGM_RSRC2:TGID_Y_EN: 0
; COMPUTE_PGM_RSRC2:TGID_Z_EN: 0
; COMPUTE_PGM_RSRC2:TIDIG_COMP_CNT: 1
	.section	.text._ZN12_GLOBAL__N_120softmax_warp_forwardIN3c108BFloat16ES2_fLi10ELb0ELb0ELi32EEEvPT0_PKT_iiiPKbib,"axG",@progbits,_ZN12_GLOBAL__N_120softmax_warp_forwardIN3c108BFloat16ES2_fLi10ELb0ELb0ELi32EEEvPT0_PKT_iiiPKbib,comdat
	.globl	_ZN12_GLOBAL__N_120softmax_warp_forwardIN3c108BFloat16ES2_fLi10ELb0ELb0ELi32EEEvPT0_PKT_iiiPKbib ; -- Begin function _ZN12_GLOBAL__N_120softmax_warp_forwardIN3c108BFloat16ES2_fLi10ELb0ELb0ELi32EEEvPT0_PKT_iiiPKbib
	.p2align	8
	.type	_ZN12_GLOBAL__N_120softmax_warp_forwardIN3c108BFloat16ES2_fLi10ELb0ELb0ELi32EEEvPT0_PKT_iiiPKbib,@function
_ZN12_GLOBAL__N_120softmax_warp_forwardIN3c108BFloat16ES2_fLi10ELb0ELb0ELi32EEEvPT0_PKT_iiiPKbib: ; @_ZN12_GLOBAL__N_120softmax_warp_forwardIN3c108BFloat16ES2_fLi10ELb0ELb0ELi32EEEvPT0_PKT_iiiPKbib
; %bb.0:
	s_clause 0x1
	s_load_dword s0, s[4:5], 0x3c
	s_load_dwordx8 s[36:43], s[4:5], 0x0
	v_mov_b32_e32 v32, 0xff800000
	v_mov_b32_e32 v35, 0xff800000
	s_waitcnt lgkmcnt(0)
	s_lshr_b32 s0, s0, 16
	v_cmp_gt_i32_e32 vcc_lo, s42, v0
	v_mad_u64_u32 v[1:2], null, s6, s0, v[1:2]
	v_mad_u64_u32 v[2:3], null, v1, s41, v[0:1]
	v_sub_nc_u32_e32 v5, s40, v1
	v_cmp_lt_i32_e64 s31, 0, v5
	v_ashrrev_i32_e32 v3, 31, v2
	s_and_b32 s1, s31, vcc_lo
	v_lshlrev_b64 v[1:2], 1, v[2:3]
	v_add_co_u32 v3, s0, s38, v1
	v_add_co_ci_u32_e64 v4, null, s39, v2, s0
	s_and_saveexec_b32 s0, s1
	s_cbranch_execz .LBB479_2
; %bb.1:
	global_load_ushort v6, v[3:4], off
	s_waitcnt vmcnt(0)
	v_lshlrev_b32_e32 v35, 16, v6
.LBB479_2:
	s_or_b32 exec_lo, exec_lo, s0
	v_add_nc_u32_e32 v6, 32, v0
	v_cmp_gt_i32_e64 s30, s42, v6
	s_and_b32 s1, s31, s30
	s_and_saveexec_b32 s0, s1
	s_cbranch_execz .LBB479_4
; %bb.3:
	global_load_ushort v6, v[3:4], off offset:64
	s_waitcnt vmcnt(0)
	v_lshlrev_b32_e32 v32, 16, v6
.LBB479_4:
	s_or_b32 exec_lo, exec_lo, s0
	v_add_nc_u32_e32 v6, 64, v0
	v_mov_b32_e32 v29, 0xff800000
	v_mov_b32_e32 v34, 0xff800000
	v_cmp_gt_i32_e64 s29, s42, v6
	s_and_b32 s1, s31, s29
	s_and_saveexec_b32 s0, s1
	s_cbranch_execz .LBB479_6
; %bb.5:
	global_load_ushort v6, v[3:4], off offset:128
	s_waitcnt vmcnt(0)
	v_lshlrev_b32_e32 v34, 16, v6
.LBB479_6:
	s_or_b32 exec_lo, exec_lo, s0
	v_add_nc_u32_e32 v6, 0x60, v0
	v_cmp_gt_i32_e64 s28, s42, v6
	s_and_b32 s1, s31, s28
	s_and_saveexec_b32 s0, s1
	s_cbranch_execz .LBB479_8
; %bb.7:
	global_load_ushort v6, v[3:4], off offset:192
	s_waitcnt vmcnt(0)
	v_lshlrev_b32_e32 v29, 16, v6
.LBB479_8:
	s_or_b32 exec_lo, exec_lo, s0
	v_add_nc_u32_e32 v6, 0x80, v0
	v_mov_b32_e32 v26, 0xff800000
	v_mov_b32_e32 v31, 0xff800000
	v_cmp_gt_i32_e64 s27, s42, v6
	s_and_b32 s1, s31, s27
	s_and_saveexec_b32 s0, s1
	s_cbranch_execz .LBB479_10
; %bb.9:
	global_load_ushort v6, v[3:4], off offset:256
	s_waitcnt vmcnt(0)
	v_lshlrev_b32_e32 v31, 16, v6
.LBB479_10:
	;; [unrolled: 24-line block ×7, first 2 shown]
	s_or_b32 exec_lo, exec_lo, s0
	v_add_nc_u32_e32 v6, 0x1e0, v0
	v_cmp_gt_i32_e64 s16, s42, v6
	s_and_b32 s1, s31, s16
	s_and_saveexec_b32 s0, s1
	s_cbranch_execz .LBB479_32
; %bb.31:
	global_load_ushort v6, v[3:4], off offset:960
	s_waitcnt vmcnt(0)
	v_lshlrev_b32_e32 v8, 16, v6
.LBB479_32:
	s_or_b32 exec_lo, exec_lo, s0
	v_add_nc_u32_e32 v6, 0x200, v0
	v_mov_b32_e32 v9, 0xff800000
	v_cmp_gt_i32_e64 s15, s42, v6
	v_mov_b32_e32 v6, 0xff800000
	s_and_b32 s1, s31, s15
	s_and_saveexec_b32 s0, s1
	s_cbranch_execz .LBB479_34
; %bb.33:
	global_load_ushort v7, v[3:4], off offset:1024
	s_waitcnt vmcnt(0)
	v_lshlrev_b32_e32 v9, 16, v7
.LBB479_34:
	s_or_b32 exec_lo, exec_lo, s0
	v_add_nc_u32_e32 v7, 0x220, v0
	v_cmp_gt_i32_e64 s14, s42, v7
	s_and_b32 s1, s31, s14
	s_and_saveexec_b32 s0, s1
	s_cbranch_execz .LBB479_36
; %bb.35:
	global_load_ushort v6, v[3:4], off offset:1088
	s_waitcnt vmcnt(0)
	v_lshlrev_b32_e32 v6, 16, v6
.LBB479_36:
	s_or_b32 exec_lo, exec_lo, s0
	v_add_nc_u32_e32 v7, 0x240, v0
	v_mov_b32_e32 v22, 0xff800000
	v_mov_b32_e32 v43, 0xff800000
	v_cmp_gt_i32_e64 s13, s42, v7
	s_and_b32 s1, s31, s13
	s_and_saveexec_b32 s0, s1
	s_cbranch_execz .LBB479_38
; %bb.37:
	global_load_ushort v7, v[3:4], off offset:1152
	s_waitcnt vmcnt(0)
	v_lshlrev_b32_e32 v43, 16, v7
.LBB479_38:
	s_or_b32 exec_lo, exec_lo, s0
	v_add_nc_u32_e32 v7, 0x260, v0
	v_cmp_gt_i32_e64 s12, s42, v7
	s_and_b32 s1, s31, s12
	s_and_saveexec_b32 s0, s1
	s_cbranch_execz .LBB479_40
; %bb.39:
	global_load_ushort v7, v[3:4], off offset:1216
	s_waitcnt vmcnt(0)
	v_lshlrev_b32_e32 v22, 16, v7
.LBB479_40:
	s_or_b32 exec_lo, exec_lo, s0
	v_add_nc_u32_e32 v7, 0x280, v0
	v_mov_b32_e32 v42, 0xff800000
	v_cmp_gt_i32_e64 s11, s42, v7
	v_mov_b32_e32 v7, 0xff800000
	s_and_b32 s1, s31, s11
	s_and_saveexec_b32 s0, s1
	s_cbranch_execz .LBB479_42
; %bb.41:
	global_load_ushort v10, v[3:4], off offset:1280
	s_waitcnt vmcnt(0)
	v_lshlrev_b32_e32 v42, 16, v10
.LBB479_42:
	s_or_b32 exec_lo, exec_lo, s0
	v_add_nc_u32_e32 v10, 0x2a0, v0
	v_cmp_gt_i32_e64 s10, s42, v10
	s_and_b32 s1, s31, s10
	s_and_saveexec_b32 s0, s1
	s_cbranch_execz .LBB479_44
; %bb.43:
	global_load_ushort v7, v[3:4], off offset:1344
	s_waitcnt vmcnt(0)
	v_lshlrev_b32_e32 v7, 16, v7
.LBB479_44:
	s_or_b32 exec_lo, exec_lo, s0
	v_add_nc_u32_e32 v10, 0x2c0, v0
	v_mov_b32_e32 v19, 0xff800000
	v_mov_b32_e32 v21, 0xff800000
	v_cmp_gt_i32_e64 s9, s42, v10
	s_and_b32 s1, s31, s9
	s_and_saveexec_b32 s0, s1
	s_cbranch_execz .LBB479_46
; %bb.45:
	global_load_ushort v10, v[3:4], off offset:1408
	s_waitcnt vmcnt(0)
	v_lshlrev_b32_e32 v21, 16, v10
.LBB479_46:
	s_or_b32 exec_lo, exec_lo, s0
	v_add_nc_u32_e32 v10, 0x2e0, v0
	v_cmp_gt_i32_e64 s8, s42, v10
	s_and_b32 s1, s31, s8
	s_and_saveexec_b32 s0, s1
	s_cbranch_execz .LBB479_48
; %bb.47:
	global_load_ushort v10, v[3:4], off offset:1472
	s_waitcnt vmcnt(0)
	v_lshlrev_b32_e32 v19, 16, v10
.LBB479_48:
	s_or_b32 exec_lo, exec_lo, s0
	v_add_nc_u32_e32 v10, 0x300, v0
	v_mov_b32_e32 v17, 0xff800000
	v_mov_b32_e32 v18, 0xff800000
	v_cmp_gt_i32_e64 s7, s42, v10
	;; [unrolled: 24-line block ×3, first 2 shown]
	s_and_b32 s1, s31, s5
	s_and_saveexec_b32 s0, s1
	s_cbranch_execz .LBB479_54
; %bb.53:
	global_load_ushort v10, v[3:4], off offset:1664
	s_waitcnt vmcnt(0)
	v_lshlrev_b32_e32 v15, 16, v10
.LBB479_54:
	s_or_b32 exec_lo, exec_lo, s0
	v_add_nc_u32_e32 v10, 0x360, v0
	v_cmp_gt_i32_e64 s4, s42, v10
	s_and_b32 s1, s31, s4
	s_and_saveexec_b32 s0, s1
	s_cbranch_execz .LBB479_56
; %bb.55:
	global_load_ushort v10, v[3:4], off offset:1728
	s_waitcnt vmcnt(0)
	v_lshlrev_b32_e32 v14, 16, v10
.LBB479_56:
	s_or_b32 exec_lo, exec_lo, s0
	v_add_nc_u32_e32 v10, 0x380, v0
	v_mov_b32_e32 v12, 0xff800000
	v_cmp_gt_i32_e64 s3, s42, v10
	v_mov_b32_e32 v10, 0xff800000
	s_and_b32 s1, s31, s3
	s_and_saveexec_b32 s0, s1
	s_cbranch_execz .LBB479_58
; %bb.57:
	global_load_ushort v12, v[3:4], off offset:1792
	s_waitcnt vmcnt(0)
	v_lshlrev_b32_e32 v12, 16, v12
.LBB479_58:
	s_or_b32 exec_lo, exec_lo, s0
	v_add_nc_u32_e32 v13, 0x3a0, v0
	v_cmp_gt_i32_e64 s2, s42, v13
	s_and_b32 s1, s31, s2
	s_and_saveexec_b32 s0, s1
	s_cbranch_execz .LBB479_60
; %bb.59:
	global_load_ushort v10, v[3:4], off offset:1856
	s_waitcnt vmcnt(0)
	v_lshlrev_b32_e32 v10, 16, v10
.LBB479_60:
	s_or_b32 exec_lo, exec_lo, s0
	v_add_nc_u32_e32 v13, 0x3c0, v0
	v_mov_b32_e32 v33, 0xff800000
	v_cmp_gt_i32_e64 s1, s42, v13
	v_mov_b32_e32 v13, 0xff800000
	s_and_b32 s33, s31, s1
	s_and_saveexec_b32 s0, s33
	s_cbranch_execz .LBB479_62
; %bb.61:
	global_load_ushort v33, v[3:4], off offset:1920
	s_waitcnt vmcnt(0)
	v_lshlrev_b32_e32 v33, 16, v33
.LBB479_62:
	s_or_b32 exec_lo, exec_lo, s0
	v_add_nc_u32_e32 v0, 0x3e0, v0
	v_cmp_gt_i32_e64 s0, s42, v0
	s_and_b32 s33, s31, s0
	s_and_saveexec_b32 s31, s33
	s_cbranch_execz .LBB479_64
; %bb.63:
	global_load_ushort v0, v[3:4], off offset:1984
	s_waitcnt vmcnt(0)
	v_lshlrev_b32_e32 v13, 16, v0
.LBB479_64:
	s_or_b32 exec_lo, exec_lo, s31
	v_cmp_gt_f32_e64 s31, v35, v32
	v_mbcnt_lo_u32_b32 v4, -1, 0
	s_mov_b32 s33, exec_lo
	v_cndmask_b32_e64 v0, v32, v35, s31
	v_cmp_gt_f32_e64 s31, v0, v34
	v_cndmask_b32_e64 v0, v34, v0, s31
	v_cmp_gt_f32_e64 s31, v0, v29
	;; [unrolled: 2-line block ×30, first 2 shown]
	v_cndmask_b32_e64 v3, v13, v0, s31
	v_xor_b32_e32 v0, 16, v4
	v_cmp_gt_i32_e64 s31, 32, v0
	v_cndmask_b32_e64 v0, v4, v0, s31
	v_lshlrev_b32_e32 v0, 2, v0
	ds_bpermute_b32 v36, v0, v3
	s_waitcnt lgkmcnt(0)
	v_cmp_lt_f32_e64 s31, v3, v36
	v_cndmask_b32_e64 v3, v3, v36, s31
	v_xor_b32_e32 v36, 8, v4
	v_cmp_gt_i32_e64 s31, 32, v36
	v_cndmask_b32_e64 v36, v4, v36, s31
	v_lshlrev_b32_e32 v36, 2, v36
	ds_bpermute_b32 v37, v36, v3
	s_waitcnt lgkmcnt(0)
	v_cmp_lt_f32_e64 s31, v3, v37
	;; [unrolled: 8-line block ×5, first 2 shown]
	v_cndmask_b32_e64 v41, v3, v4, s31
	v_sub_f32_e32 v3, v35, v41
	v_sub_f32_e32 v7, v7, v41
	;; [unrolled: 1-line block ×5, first 2 shown]
	v_mul_f32_e32 v4, 0x3fb8aa3b, v3
	v_cmp_ngt_f32_e64 s31, 0xc2ce8ed0, v3
	v_sub_f32_e32 v17, v17, v41
	v_sub_f32_e32 v15, v15, v41
	v_sub_f32_e32 v14, v14, v41
	v_fma_f32 v35, 0x3fb8aa3b, v3, -v4
	v_rndne_f32_e32 v37, v4
	v_sub_f32_e32 v12, v12, v41
	v_sub_f32_e32 v10, v10, v41
	;; [unrolled: 1-line block ×3, first 2 shown]
	v_fmac_f32_e32 v35, 0x32a5705f, v3
	v_sub_f32_e32 v4, v4, v37
	v_add_f32_e32 v4, v4, v35
	v_cvt_i32_f32_e32 v35, v37
	v_exp_f32_e32 v4, v4
	v_ldexp_f32 v4, v4, v35
	v_cndmask_b32_e64 v4, 0, v4, s31
	v_cmp_nlt_f32_e64 s31, 0x42b17218, v3
	v_sub_f32_e32 v3, v32, v41
	v_cndmask_b32_e64 v37, 0x7f800000, v4, s31
	v_mul_f32_e32 v4, 0x3fb8aa3b, v3
	v_cmp_ngt_f32_e64 s31, 0xc2ce8ed0, v3
	v_fma_f32 v32, 0x3fb8aa3b, v3, -v4
	v_rndne_f32_e32 v35, v4
	v_fmac_f32_e32 v32, 0x32a5705f, v3
	v_sub_f32_e32 v4, v4, v35
	v_add_f32_e32 v4, v4, v32
	v_cvt_i32_f32_e32 v32, v35
	v_exp_f32_e32 v4, v4
	v_ldexp_f32 v4, v4, v32
	v_cndmask_b32_e64 v4, 0, v4, s31
	v_cmp_nlt_f32_e64 s31, 0x42b17218, v3
	v_cndmask_b32_e64 v35, 0x7f800000, v4, s31
	v_sub_f32_e32 v4, v34, v41
	v_add_f32_e32 v3, v37, v35
	v_mul_f32_e32 v32, 0x3fb8aa3b, v4
	v_cmp_ngt_f32_e64 s31, 0xc2ce8ed0, v4
	v_fma_f32 v34, 0x3fb8aa3b, v4, -v32
	v_rndne_f32_e32 v44, v32
	v_fmac_f32_e32 v34, 0x32a5705f, v4
	v_sub_f32_e32 v32, v32, v44
	v_add_f32_e32 v32, v32, v34
	v_cvt_i32_f32_e32 v34, v44
	v_exp_f32_e32 v32, v32
	v_ldexp_f32 v32, v32, v34
	v_cndmask_b32_e64 v32, 0, v32, s31
	v_cmp_nlt_f32_e64 s31, 0x42b17218, v4
	v_sub_f32_e32 v4, v29, v41
	v_cndmask_b32_e64 v34, 0x7f800000, v32, s31
	v_mul_f32_e32 v29, 0x3fb8aa3b, v4
	v_cmp_ngt_f32_e64 s31, 0xc2ce8ed0, v4
	v_add_f32_e32 v3, v3, v34
	v_fma_f32 v32, 0x3fb8aa3b, v4, -v29
	v_rndne_f32_e32 v44, v29
	v_fmac_f32_e32 v32, 0x32a5705f, v4
	v_sub_f32_e32 v29, v29, v44
	v_add_f32_e32 v29, v29, v32
	v_cvt_i32_f32_e32 v32, v44
	v_exp_f32_e32 v29, v29
	v_ldexp_f32 v29, v29, v32
	v_cndmask_b32_e64 v29, 0, v29, s31
	v_cmp_nlt_f32_e64 s31, 0x42b17218, v4
	v_sub_f32_e32 v4, v31, v41
	v_cndmask_b32_e64 v32, 0x7f800000, v29, s31
	v_mul_f32_e32 v29, 0x3fb8aa3b, v4
	v_cmp_ngt_f32_e64 s31, 0xc2ce8ed0, v4
	v_add_f32_e32 v3, v3, v32
	;; [unrolled: 15-line block ×17, first 2 shown]
	v_fma_f32 v43, 0x3fb8aa3b, v4, -v22
	v_rndne_f32_e32 v44, v22
	v_fmac_f32_e32 v43, 0x32a5705f, v4
	v_sub_f32_e32 v22, v22, v44
	v_add_f32_e32 v22, v22, v43
	v_cvt_i32_f32_e32 v43, v44
	v_exp_f32_e32 v22, v22
	v_ldexp_f32 v22, v22, v43
	v_cndmask_b32_e64 v22, 0, v22, s31
	v_cmp_nlt_f32_e64 s31, 0x42b17218, v4
	v_cndmask_b32_e64 v4, 0x7f800000, v22, s31
	v_add_f32_e32 v22, v3, v4
	v_sub_f32_e32 v3, v42, v41
	v_mul_f32_e32 v42, 0x3fb8aa3b, v3
	v_cmp_ngt_f32_e64 s31, 0xc2ce8ed0, v3
	v_fma_f32 v43, 0x3fb8aa3b, v3, -v42
	v_rndne_f32_e32 v44, v42
	v_fmac_f32_e32 v43, 0x32a5705f, v3
	v_sub_f32_e32 v42, v42, v44
	v_add_f32_e32 v42, v42, v43
	v_cvt_i32_f32_e32 v43, v44
	v_exp_f32_e32 v42, v42
	v_ldexp_f32 v42, v42, v43
	v_cndmask_b32_e64 v42, 0, v42, s31
	v_cmp_nlt_f32_e64 s31, 0x42b17218, v3
	v_cndmask_b32_e64 v3, 0x7f800000, v42, s31
	v_mul_f32_e32 v42, 0x3fb8aa3b, v7
	v_cmp_ngt_f32_e64 s31, 0xc2ce8ed0, v7
	v_add_f32_e32 v22, v22, v3
	v_fma_f32 v43, 0x3fb8aa3b, v7, -v42
	v_rndne_f32_e32 v44, v42
	v_fmac_f32_e32 v43, 0x32a5705f, v7
	v_sub_f32_e32 v42, v42, v44
	v_add_f32_e32 v42, v42, v43
	v_cvt_i32_f32_e32 v43, v44
	v_exp_f32_e32 v42, v42
	v_ldexp_f32 v42, v42, v43
	v_cndmask_b32_e64 v42, 0, v42, s31
	v_cmp_nlt_f32_e64 s31, 0x42b17218, v7
	v_cndmask_b32_e64 v7, 0x7f800000, v42, s31
	v_cmp_ngt_f32_e64 s31, 0xc2ce8ed0, v21
	v_add_f32_e32 v42, v22, v7
	v_mul_f32_e32 v22, 0x3fb8aa3b, v21
	v_fma_f32 v43, 0x3fb8aa3b, v21, -v22
	v_rndne_f32_e32 v44, v22
	v_fmac_f32_e32 v43, 0x32a5705f, v21
	v_sub_f32_e32 v22, v22, v44
	v_add_f32_e32 v22, v22, v43
	v_cvt_i32_f32_e32 v43, v44
	v_exp_f32_e32 v22, v22
	v_ldexp_f32 v22, v22, v43
	v_cndmask_b32_e64 v22, 0, v22, s31
	v_cmp_nlt_f32_e64 s31, 0x42b17218, v21
	v_mul_f32_e32 v21, 0x3fb8aa3b, v19
	v_cndmask_b32_e64 v22, 0x7f800000, v22, s31
	v_fma_f32 v43, 0x3fb8aa3b, v19, -v21
	v_rndne_f32_e32 v44, v21
	v_cmp_ngt_f32_e64 s31, 0xc2ce8ed0, v19
	v_add_f32_e32 v42, v42, v22
	v_fmac_f32_e32 v43, 0x32a5705f, v19
	v_sub_f32_e32 v21, v21, v44
	v_add_f32_e32 v21, v21, v43
	v_cvt_i32_f32_e32 v43, v44
	v_exp_f32_e32 v21, v21
	v_ldexp_f32 v21, v21, v43
	v_cndmask_b32_e64 v21, 0, v21, s31
	v_cmp_nlt_f32_e64 s31, 0x42b17218, v19
	v_mul_f32_e32 v19, 0x3fb8aa3b, v18
	v_cndmask_b32_e64 v21, 0x7f800000, v21, s31
	v_fma_f32 v43, 0x3fb8aa3b, v18, -v19
	v_rndne_f32_e32 v44, v19
	v_cmp_ngt_f32_e64 s31, 0xc2ce8ed0, v18
	v_add_f32_e32 v42, v42, v21
	;; [unrolled: 14-line block ×3, first 2 shown]
	v_fmac_f32_e32 v43, 0x32a5705f, v17
	v_sub_f32_e32 v18, v18, v44
	v_add_f32_e32 v18, v18, v43
	v_cvt_i32_f32_e32 v43, v44
	v_exp_f32_e32 v18, v18
	v_ldexp_f32 v18, v18, v43
	v_cndmask_b32_e64 v18, 0, v18, s31
	v_cmp_nlt_f32_e64 s31, 0x42b17218, v17
	v_cndmask_b32_e64 v18, 0x7f800000, v18, s31
	v_cmp_ngt_f32_e64 s31, 0xc2ce8ed0, v15
	v_add_f32_e32 v17, v42, v18
	v_mul_f32_e32 v42, 0x3fb8aa3b, v15
	v_fma_f32 v43, 0x3fb8aa3b, v15, -v42
	v_rndne_f32_e32 v44, v42
	v_fmac_f32_e32 v43, 0x32a5705f, v15
	v_sub_f32_e32 v42, v42, v44
	v_add_f32_e32 v42, v42, v43
	v_cvt_i32_f32_e32 v43, v44
	v_exp_f32_e32 v42, v42
	v_ldexp_f32 v42, v42, v43
	v_cndmask_b32_e64 v42, 0, v42, s31
	v_cmp_nlt_f32_e64 s31, 0x42b17218, v15
	v_cndmask_b32_e64 v15, 0x7f800000, v42, s31
	v_cmp_ngt_f32_e64 s31, 0xc2ce8ed0, v14
	v_add_f32_e32 v42, v17, v15
	v_mul_f32_e32 v17, 0x3fb8aa3b, v14
	v_fma_f32 v43, 0x3fb8aa3b, v14, -v17
	v_rndne_f32_e32 v44, v17
	v_fmac_f32_e32 v43, 0x32a5705f, v14
	v_sub_f32_e32 v17, v17, v44
	v_add_f32_e32 v17, v17, v43
	v_cvt_i32_f32_e32 v43, v44
	v_exp_f32_e32 v17, v17
	v_ldexp_f32 v17, v17, v43
	v_cndmask_b32_e64 v17, 0, v17, s31
	v_cmp_nlt_f32_e64 s31, 0x42b17218, v14
	v_mul_f32_e32 v14, 0x3fb8aa3b, v12
	v_cndmask_b32_e64 v17, 0x7f800000, v17, s31
	v_fma_f32 v43, 0x3fb8aa3b, v12, -v14
	v_rndne_f32_e32 v44, v14
	v_cmp_ngt_f32_e64 s31, 0xc2ce8ed0, v12
	v_add_f32_e32 v42, v42, v17
	v_fmac_f32_e32 v43, 0x32a5705f, v12
	v_sub_f32_e32 v14, v14, v44
	v_add_f32_e32 v14, v14, v43
	v_cvt_i32_f32_e32 v43, v44
	v_exp_f32_e32 v14, v14
	v_ldexp_f32 v14, v14, v43
	v_cndmask_b32_e64 v14, 0, v14, s31
	v_cmp_nlt_f32_e64 s31, 0x42b17218, v12
	v_mul_f32_e32 v12, 0x3fb8aa3b, v10
	v_cndmask_b32_e64 v14, 0x7f800000, v14, s31
	v_fma_f32 v43, 0x3fb8aa3b, v10, -v12
	v_rndne_f32_e32 v44, v12
	v_cmp_ngt_f32_e64 s31, 0xc2ce8ed0, v10
	v_add_f32_e32 v42, v42, v14
	v_fmac_f32_e32 v43, 0x32a5705f, v10
	v_sub_f32_e32 v12, v12, v44
	v_add_f32_e32 v12, v12, v43
	v_cvt_i32_f32_e32 v43, v44
	v_exp_f32_e32 v12, v12
	v_ldexp_f32 v12, v12, v43
	v_cndmask_b32_e64 v12, 0, v12, s31
	v_cmp_nlt_f32_e64 s31, 0x42b17218, v10
	v_sub_f32_e32 v10, v33, v41
	v_mul_f32_e32 v41, 0x3fb8aa3b, v13
	v_cndmask_b32_e64 v12, 0x7f800000, v12, s31
	v_mul_f32_e32 v33, 0x3fb8aa3b, v10
	v_cmp_ngt_f32_e64 s31, 0xc2ce8ed0, v10
	v_add_f32_e32 v42, v42, v12
	v_fma_f32 v43, 0x3fb8aa3b, v10, -v33
	v_rndne_f32_e32 v44, v33
	v_fmac_f32_e32 v43, 0x32a5705f, v10
	v_sub_f32_e32 v33, v33, v44
	v_add_f32_e32 v33, v33, v43
	v_cvt_i32_f32_e32 v43, v44
	v_exp_f32_e32 v33, v33
	v_ldexp_f32 v33, v33, v43
	v_rndne_f32_e32 v43, v41
	v_cndmask_b32_e64 v33, 0, v33, s31
	v_cmp_nlt_f32_e64 s31, 0x42b17218, v10
	v_cndmask_b32_e64 v10, 0x7f800000, v33, s31
	v_cmp_ngt_f32_e64 s31, 0xc2ce8ed0, v13
	v_add_f32_e32 v33, v42, v10
	v_fma_f32 v42, 0x3fb8aa3b, v13, -v41
	v_sub_f32_e32 v41, v41, v43
	v_fmac_f32_e32 v42, 0x32a5705f, v13
	v_add_f32_e32 v41, v41, v42
	v_cvt_i32_f32_e32 v42, v43
	v_exp_f32_e32 v41, v41
	v_ldexp_f32 v41, v41, v42
	v_cndmask_b32_e64 v41, 0, v41, s31
	v_cmp_nlt_f32_e64 s31, 0x42b17218, v13
	v_cndmask_b32_e64 v13, 0x7f800000, v41, s31
	v_add_f32_e32 v33, v33, v13
	ds_bpermute_b32 v0, v0, v33
	s_waitcnt lgkmcnt(0)
	v_add_f32_e32 v0, v33, v0
	ds_bpermute_b32 v33, v36, v0
	s_waitcnt lgkmcnt(0)
	;; [unrolled: 3-line block ×4, first 2 shown]
	v_add_f32_e32 v0, v0, v33
	ds_bpermute_b32 v33, v40, v0
	v_cmpx_lt_i32_e32 0, v5
	s_cbranch_execz .LBB479_162
; %bb.65:
	s_and_b32 exec_lo, exec_lo, vcc_lo
	s_cbranch_execz .LBB479_162
; %bb.66:
	s_waitcnt lgkmcnt(0)
	v_add_f32_e32 v5, v0, v33
	v_mov_b32_e32 v33, 0x7fc0
	v_cmp_neq_f32_e64 s31, 0, v5
	s_and_saveexec_b32 s33, s31
	s_cbranch_execz .LBB479_68
; %bb.67:
	v_div_scale_f32 v0, null, v5, v5, v37
	v_div_scale_f32 v38, vcc_lo, v37, v5, v37
	v_rcp_f32_e32 v33, v0
	v_fma_f32 v36, -v0, v33, 1.0
	v_fmac_f32_e32 v33, v36, v33
	v_mul_f32_e32 v36, v38, v33
	v_fma_f32 v39, -v0, v36, v38
	v_fmac_f32_e32 v36, v39, v33
	v_fma_f32 v0, -v0, v36, v38
	v_div_fmas_f32 v0, v0, v33, v36
	v_div_fixup_f32 v0, v0, v5, v37
	v_bfe_u32 v33, v0, 16, 1
	v_cmp_o_f32_e32 vcc_lo, v0, v0
	v_add3_u32 v0, v0, v33, 0x7fff
	v_mov_b32_e32 v33, 0x7fc0
	v_cndmask_b32_sdwa v33, v33, v0, vcc_lo dst_sel:DWORD dst_unused:UNUSED_PAD src0_sel:DWORD src1_sel:WORD_1
.LBB479_68:
	s_or_b32 exec_lo, exec_lo, s33
	v_add_co_u32 v0, vcc_lo, s36, v1
	v_add_co_ci_u32_e64 v1, null, s37, v2, vcc_lo
	global_store_short v[0:1], v33, off
	s_and_b32 exec_lo, exec_lo, s30
	s_cbranch_execz .LBB479_162
; %bb.69:
	v_mov_b32_e32 v2, 0x7fc0
	s_and_saveexec_b32 s30, s31
	s_cbranch_execz .LBB479_71
; %bb.70:
	v_div_scale_f32 v2, null, v5, v5, v35
	v_div_scale_f32 v37, vcc_lo, v35, v5, v35
	v_rcp_f32_e32 v33, v2
	v_fma_f32 v36, -v2, v33, 1.0
	v_fmac_f32_e32 v33, v36, v33
	v_mul_f32_e32 v36, v37, v33
	v_fma_f32 v38, -v2, v36, v37
	v_fmac_f32_e32 v36, v38, v33
	v_fma_f32 v2, -v2, v36, v37
	v_div_fmas_f32 v2, v2, v33, v36
	v_div_fixup_f32 v2, v2, v5, v35
	v_bfe_u32 v33, v2, 16, 1
	v_cmp_o_f32_e32 vcc_lo, v2, v2
	v_add3_u32 v2, v2, v33, 0x7fff
	v_mov_b32_e32 v33, 0x7fc0
	v_cndmask_b32_sdwa v2, v33, v2, vcc_lo dst_sel:DWORD dst_unused:UNUSED_PAD src0_sel:DWORD src1_sel:WORD_1
.LBB479_71:
	s_or_b32 exec_lo, exec_lo, s30
	global_store_short v[0:1], v2, off offset:64
	s_and_b32 exec_lo, exec_lo, s29
	s_cbranch_execz .LBB479_162
; %bb.72:
	v_mov_b32_e32 v2, 0x7fc0
	s_and_saveexec_b32 s29, s31
	s_cbranch_execz .LBB479_74
; %bb.73:
	v_div_scale_f32 v2, null, v5, v5, v34
	v_div_scale_f32 v36, vcc_lo, v34, v5, v34
	v_rcp_f32_e32 v33, v2
	v_fma_f32 v35, -v2, v33, 1.0
	v_fmac_f32_e32 v33, v35, v33
	v_mul_f32_e32 v35, v36, v33
	v_fma_f32 v37, -v2, v35, v36
	v_fmac_f32_e32 v35, v37, v33
	v_fma_f32 v2, -v2, v35, v36
	v_div_fmas_f32 v2, v2, v33, v35
	v_div_fixup_f32 v2, v2, v5, v34
	v_bfe_u32 v33, v2, 16, 1
	v_cmp_o_f32_e32 vcc_lo, v2, v2
	v_add3_u32 v2, v2, v33, 0x7fff
	v_mov_b32_e32 v33, 0x7fc0
	v_cndmask_b32_sdwa v2, v33, v2, vcc_lo dst_sel:DWORD dst_unused:UNUSED_PAD src0_sel:DWORD src1_sel:WORD_1
.LBB479_74:
	s_or_b32 exec_lo, exec_lo, s29
	global_store_short v[0:1], v2, off offset:128
	;; [unrolled: 26-line block ×31, first 2 shown]
.LBB479_162:
	s_endpgm
	.section	.rodata,"a",@progbits
	.p2align	6, 0x0
	.amdhsa_kernel _ZN12_GLOBAL__N_120softmax_warp_forwardIN3c108BFloat16ES2_fLi10ELb0ELb0ELi32EEEvPT0_PKT_iiiPKbib
		.amdhsa_group_segment_fixed_size 0
		.amdhsa_private_segment_fixed_size 0
		.amdhsa_kernarg_size 304
		.amdhsa_user_sgpr_count 6
		.amdhsa_user_sgpr_private_segment_buffer 1
		.amdhsa_user_sgpr_dispatch_ptr 0
		.amdhsa_user_sgpr_queue_ptr 0
		.amdhsa_user_sgpr_kernarg_segment_ptr 1
		.amdhsa_user_sgpr_dispatch_id 0
		.amdhsa_user_sgpr_flat_scratch_init 0
		.amdhsa_user_sgpr_private_segment_size 0
		.amdhsa_wavefront_size32 1
		.amdhsa_uses_dynamic_stack 0
		.amdhsa_system_sgpr_private_segment_wavefront_offset 0
		.amdhsa_system_sgpr_workgroup_id_x 1
		.amdhsa_system_sgpr_workgroup_id_y 0
		.amdhsa_system_sgpr_workgroup_id_z 0
		.amdhsa_system_sgpr_workgroup_info 0
		.amdhsa_system_vgpr_workitem_id 1
		.amdhsa_next_free_vgpr 45
		.amdhsa_next_free_sgpr 44
		.amdhsa_reserve_vcc 1
		.amdhsa_reserve_flat_scratch 0
		.amdhsa_float_round_mode_32 0
		.amdhsa_float_round_mode_16_64 0
		.amdhsa_float_denorm_mode_32 3
		.amdhsa_float_denorm_mode_16_64 3
		.amdhsa_dx10_clamp 1
		.amdhsa_ieee_mode 1
		.amdhsa_fp16_overflow 0
		.amdhsa_workgroup_processor_mode 1
		.amdhsa_memory_ordered 1
		.amdhsa_forward_progress 1
		.amdhsa_shared_vgpr_count 0
		.amdhsa_exception_fp_ieee_invalid_op 0
		.amdhsa_exception_fp_denorm_src 0
		.amdhsa_exception_fp_ieee_div_zero 0
		.amdhsa_exception_fp_ieee_overflow 0
		.amdhsa_exception_fp_ieee_underflow 0
		.amdhsa_exception_fp_ieee_inexact 0
		.amdhsa_exception_int_div_zero 0
	.end_amdhsa_kernel
	.section	.text._ZN12_GLOBAL__N_120softmax_warp_forwardIN3c108BFloat16ES2_fLi10ELb0ELb0ELi32EEEvPT0_PKT_iiiPKbib,"axG",@progbits,_ZN12_GLOBAL__N_120softmax_warp_forwardIN3c108BFloat16ES2_fLi10ELb0ELb0ELi32EEEvPT0_PKT_iiiPKbib,comdat
.Lfunc_end479:
	.size	_ZN12_GLOBAL__N_120softmax_warp_forwardIN3c108BFloat16ES2_fLi10ELb0ELb0ELi32EEEvPT0_PKT_iiiPKbib, .Lfunc_end479-_ZN12_GLOBAL__N_120softmax_warp_forwardIN3c108BFloat16ES2_fLi10ELb0ELb0ELi32EEEvPT0_PKT_iiiPKbib
                                        ; -- End function
	.set _ZN12_GLOBAL__N_120softmax_warp_forwardIN3c108BFloat16ES2_fLi10ELb0ELb0ELi32EEEvPT0_PKT_iiiPKbib.num_vgpr, 45
	.set _ZN12_GLOBAL__N_120softmax_warp_forwardIN3c108BFloat16ES2_fLi10ELb0ELb0ELi32EEEvPT0_PKT_iiiPKbib.num_agpr, 0
	.set _ZN12_GLOBAL__N_120softmax_warp_forwardIN3c108BFloat16ES2_fLi10ELb0ELb0ELi32EEEvPT0_PKT_iiiPKbib.numbered_sgpr, 44
	.set _ZN12_GLOBAL__N_120softmax_warp_forwardIN3c108BFloat16ES2_fLi10ELb0ELb0ELi32EEEvPT0_PKT_iiiPKbib.num_named_barrier, 0
	.set _ZN12_GLOBAL__N_120softmax_warp_forwardIN3c108BFloat16ES2_fLi10ELb0ELb0ELi32EEEvPT0_PKT_iiiPKbib.private_seg_size, 0
	.set _ZN12_GLOBAL__N_120softmax_warp_forwardIN3c108BFloat16ES2_fLi10ELb0ELb0ELi32EEEvPT0_PKT_iiiPKbib.uses_vcc, 1
	.set _ZN12_GLOBAL__N_120softmax_warp_forwardIN3c108BFloat16ES2_fLi10ELb0ELb0ELi32EEEvPT0_PKT_iiiPKbib.uses_flat_scratch, 0
	.set _ZN12_GLOBAL__N_120softmax_warp_forwardIN3c108BFloat16ES2_fLi10ELb0ELb0ELi32EEEvPT0_PKT_iiiPKbib.has_dyn_sized_stack, 0
	.set _ZN12_GLOBAL__N_120softmax_warp_forwardIN3c108BFloat16ES2_fLi10ELb0ELb0ELi32EEEvPT0_PKT_iiiPKbib.has_recursion, 0
	.set _ZN12_GLOBAL__N_120softmax_warp_forwardIN3c108BFloat16ES2_fLi10ELb0ELb0ELi32EEEvPT0_PKT_iiiPKbib.has_indirect_call, 0
	.section	.AMDGPU.csdata,"",@progbits
; Kernel info:
; codeLenInByte = 10928
; TotalNumSgprs: 46
; NumVgprs: 45
; ScratchSize: 0
; MemoryBound: 0
; FloatMode: 240
; IeeeMode: 1
; LDSByteSize: 0 bytes/workgroup (compile time only)
; SGPRBlocks: 0
; VGPRBlocks: 5
; NumSGPRsForWavesPerEU: 46
; NumVGPRsForWavesPerEU: 45
; Occupancy: 16
; WaveLimiterHint : 0
; COMPUTE_PGM_RSRC2:SCRATCH_EN: 0
; COMPUTE_PGM_RSRC2:USER_SGPR: 6
; COMPUTE_PGM_RSRC2:TRAP_HANDLER: 0
; COMPUTE_PGM_RSRC2:TGID_X_EN: 1
; COMPUTE_PGM_RSRC2:TGID_Y_EN: 0
; COMPUTE_PGM_RSRC2:TGID_Z_EN: 0
; COMPUTE_PGM_RSRC2:TIDIG_COMP_CNT: 1
	.section	.text._ZN12_GLOBAL__N_120softmax_warp_forwardIN3c108BFloat16ES2_fLi11ELb0ELb0ELi64EEEvPT0_PKT_iiiPKbib,"axG",@progbits,_ZN12_GLOBAL__N_120softmax_warp_forwardIN3c108BFloat16ES2_fLi11ELb0ELb0ELi64EEEvPT0_PKT_iiiPKbib,comdat
	.globl	_ZN12_GLOBAL__N_120softmax_warp_forwardIN3c108BFloat16ES2_fLi11ELb0ELb0ELi64EEEvPT0_PKT_iiiPKbib ; -- Begin function _ZN12_GLOBAL__N_120softmax_warp_forwardIN3c108BFloat16ES2_fLi11ELb0ELb0ELi64EEEvPT0_PKT_iiiPKbib
	.p2align	8
	.type	_ZN12_GLOBAL__N_120softmax_warp_forwardIN3c108BFloat16ES2_fLi11ELb0ELb0ELi64EEEvPT0_PKT_iiiPKbib,@function
_ZN12_GLOBAL__N_120softmax_warp_forwardIN3c108BFloat16ES2_fLi11ELb0ELb0ELi64EEEvPT0_PKT_iiiPKbib: ; @_ZN12_GLOBAL__N_120softmax_warp_forwardIN3c108BFloat16ES2_fLi11ELb0ELb0ELi64EEEvPT0_PKT_iiiPKbib
; %bb.0:
	s_clause 0x1
	s_load_dword s0, s[4:5], 0x3c
	s_load_dwordx8 s[36:43], s[4:5], 0x0
	v_mov_b32_e32 v31, 0xff800000
	v_mov_b32_e32 v34, 0xff800000
	s_waitcnt lgkmcnt(0)
	s_lshr_b32 s0, s0, 16
	v_cmp_gt_i32_e32 vcc_lo, s42, v0
	v_mad_u64_u32 v[1:2], null, s6, s0, v[1:2]
	v_mad_u64_u32 v[2:3], null, v1, s41, v[0:1]
	v_sub_nc_u32_e32 v5, s40, v1
	v_cmp_lt_i32_e64 s31, 0, v5
	v_ashrrev_i32_e32 v3, 31, v2
	s_and_b32 s1, s31, vcc_lo
	v_lshlrev_b64 v[1:2], 1, v[2:3]
	v_add_co_u32 v3, s0, s38, v1
	v_add_co_ci_u32_e64 v4, null, s39, v2, s0
	s_and_saveexec_b32 s0, s1
	s_cbranch_execz .LBB480_2
; %bb.1:
	global_load_ushort v6, v[3:4], off
	s_waitcnt vmcnt(0)
	v_lshlrev_b32_e32 v34, 16, v6
.LBB480_2:
	s_or_b32 exec_lo, exec_lo, s0
	v_add_nc_u32_e32 v6, 64, v0
	v_cmp_gt_i32_e64 s30, s42, v6
	s_and_b32 s1, s31, s30
	s_and_saveexec_b32 s0, s1
	s_cbranch_execz .LBB480_4
; %bb.3:
	global_load_ushort v6, v[3:4], off offset:128
	s_waitcnt vmcnt(0)
	v_lshlrev_b32_e32 v31, 16, v6
.LBB480_4:
	s_or_b32 exec_lo, exec_lo, s0
	v_add_nc_u32_e32 v6, 0x80, v0
	v_mov_b32_e32 v29, 0xff800000
	v_mov_b32_e32 v33, 0xff800000
	v_cmp_gt_i32_e64 s29, s42, v6
	s_and_b32 s1, s31, s29
	s_and_saveexec_b32 s0, s1
	s_cbranch_execz .LBB480_6
; %bb.5:
	global_load_ushort v6, v[3:4], off offset:256
	s_waitcnt vmcnt(0)
	v_lshlrev_b32_e32 v33, 16, v6
.LBB480_6:
	s_or_b32 exec_lo, exec_lo, s0
	v_add_nc_u32_e32 v6, 0xc0, v0
	v_cmp_gt_i32_e64 s28, s42, v6
	s_and_b32 s1, s31, s28
	s_and_saveexec_b32 s0, s1
	s_cbranch_execz .LBB480_8
; %bb.7:
	global_load_ushort v6, v[3:4], off offset:384
	s_waitcnt vmcnt(0)
	v_lshlrev_b32_e32 v29, 16, v6
.LBB480_8:
	s_or_b32 exec_lo, exec_lo, s0
	v_add_nc_u32_e32 v6, 0x100, v0
	v_mov_b32_e32 v27, 0xff800000
	v_mov_b32_e32 v30, 0xff800000
	v_cmp_gt_i32_e64 s27, s42, v6
	s_and_b32 s1, s31, s27
	s_and_saveexec_b32 s0, s1
	s_cbranch_execz .LBB480_10
; %bb.9:
	global_load_ushort v6, v[3:4], off offset:512
	s_waitcnt vmcnt(0)
	v_lshlrev_b32_e32 v30, 16, v6
.LBB480_10:
	;; [unrolled: 24-line block ×7, first 2 shown]
	s_or_b32 exec_lo, exec_lo, s0
	v_add_nc_u32_e32 v6, 0x3c0, v0
	v_cmp_gt_i32_e64 s16, s42, v6
	s_and_b32 s1, s31, s16
	s_and_saveexec_b32 s0, s1
	s_cbranch_execz .LBB480_32
; %bb.31:
	global_load_ushort v6, v[3:4], off offset:1920
	s_waitcnt vmcnt(0)
	v_lshlrev_b32_e32 v9, 16, v6
.LBB480_32:
	s_or_b32 exec_lo, exec_lo, s0
	v_or_b32_e32 v6, 0x400, v0
	v_mov_b32_e32 v8, 0xff800000
	v_mov_b32_e32 v15, 0xff800000
	v_cmp_gt_i32_e64 s15, s42, v6
	s_and_b32 s0, s31, s15
	s_and_saveexec_b32 s1, s0
	s_cbranch_execz .LBB480_34
; %bb.33:
	v_add_co_u32 v6, s0, 0x800, v3
	v_add_co_ci_u32_e64 v7, null, 0, v4, s0
	global_load_ushort v6, v[6:7], off
	s_waitcnt vmcnt(0)
	v_lshlrev_b32_e32 v15, 16, v6
.LBB480_34:
	s_or_b32 exec_lo, exec_lo, s1
	v_add_nc_u32_e32 v6, 0x440, v0
	v_cmp_gt_i32_e64 s14, s42, v6
	s_and_b32 s0, s31, s14
	s_and_saveexec_b32 s1, s0
	s_cbranch_execz .LBB480_36
; %bb.35:
	v_add_co_u32 v6, s0, 0x800, v3
	v_add_co_ci_u32_e64 v7, null, 0, v4, s0
	global_load_ushort v6, v[6:7], off offset:128
	s_waitcnt vmcnt(0)
	v_lshlrev_b32_e32 v8, 16, v6
.LBB480_36:
	s_or_b32 exec_lo, exec_lo, s1
	v_add_nc_u32_e32 v6, 0x480, v0
	v_mov_b32_e32 v45, 0xff800000
	v_cmp_gt_i32_e64 s13, s42, v6
	v_mov_b32_e32 v6, 0xff800000
	s_and_b32 s0, s31, s13
	s_and_saveexec_b32 s1, s0
	s_cbranch_execz .LBB480_38
; %bb.37:
	v_add_co_u32 v12, s0, 0x800, v3
	v_add_co_ci_u32_e64 v13, null, 0, v4, s0
	global_load_ushort v7, v[12:13], off offset:256
	s_waitcnt vmcnt(0)
	v_lshlrev_b32_e32 v45, 16, v7
.LBB480_38:
	s_or_b32 exec_lo, exec_lo, s1
	v_add_nc_u32_e32 v7, 0x4c0, v0
	v_cmp_gt_i32_e64 s12, s42, v7
	s_and_b32 s0, s31, s12
	s_and_saveexec_b32 s1, s0
	s_cbranch_execz .LBB480_40
; %bb.39:
	v_add_co_u32 v6, s0, 0x800, v3
	v_add_co_ci_u32_e64 v7, null, 0, v4, s0
	global_load_ushort v6, v[6:7], off offset:384
	s_waitcnt vmcnt(0)
	v_lshlrev_b32_e32 v6, 16, v6
.LBB480_40:
	s_or_b32 exec_lo, exec_lo, s1
	v_add_nc_u32_e32 v7, 0x500, v0
	v_mov_b32_e32 v19, 0xff800000
	v_mov_b32_e32 v44, 0xff800000
	v_cmp_gt_i32_e64 s11, s42, v7
	s_and_b32 s0, s31, s11
	s_and_saveexec_b32 s1, s0
	s_cbranch_execz .LBB480_42
; %bb.41:
	v_add_co_u32 v12, s0, 0x800, v3
	v_add_co_ci_u32_e64 v13, null, 0, v4, s0
	global_load_ushort v7, v[12:13], off offset:512
	s_waitcnt vmcnt(0)
	v_lshlrev_b32_e32 v44, 16, v7
.LBB480_42:
	s_or_b32 exec_lo, exec_lo, s1
	v_add_nc_u32_e32 v7, 0x540, v0
	v_cmp_gt_i32_e64 s10, s42, v7
	s_and_b32 s0, s31, s10
	s_and_saveexec_b32 s1, s0
	s_cbranch_execz .LBB480_44
; %bb.43:
	v_add_co_u32 v12, s0, 0x800, v3
	v_add_co_ci_u32_e64 v13, null, 0, v4, s0
	global_load_ushort v7, v[12:13], off offset:640
	s_waitcnt vmcnt(0)
	v_lshlrev_b32_e32 v19, 16, v7
.LBB480_44:
	s_or_b32 exec_lo, exec_lo, s1
	v_add_nc_u32_e32 v7, 0x580, v0
	v_mov_b32_e32 v43, 0xff800000
	v_cmp_gt_i32_e64 s9, s42, v7
	v_mov_b32_e32 v7, 0xff800000
	s_and_b32 s0, s31, s9
	s_and_saveexec_b32 s1, s0
	s_cbranch_execz .LBB480_46
; %bb.45:
	v_add_co_u32 v12, s0, 0x800, v3
	v_add_co_ci_u32_e64 v13, null, 0, v4, s0
	global_load_ushort v10, v[12:13], off offset:768
	s_waitcnt vmcnt(0)
	v_lshlrev_b32_e32 v43, 16, v10
.LBB480_46:
	s_or_b32 exec_lo, exec_lo, s1
	v_add_nc_u32_e32 v10, 0x5c0, v0
	v_cmp_gt_i32_e64 s8, s42, v10
	s_and_b32 s0, s31, s8
	s_and_saveexec_b32 s1, s0
	s_cbranch_execz .LBB480_48
; %bb.47:
	v_add_co_u32 v12, s0, 0x800, v3
	v_add_co_ci_u32_e64 v13, null, 0, v4, s0
	global_load_ushort v7, v[12:13], off offset:896
	s_waitcnt vmcnt(0)
	v_lshlrev_b32_e32 v7, 16, v7
.LBB480_48:
	s_or_b32 exec_lo, exec_lo, s1
	v_add_nc_u32_e32 v10, 0x600, v0
	v_mov_b32_e32 v16, 0xff800000
	v_mov_b32_e32 v18, 0xff800000
	v_cmp_gt_i32_e64 s7, s42, v10
	s_and_b32 s0, s31, s7
	s_and_saveexec_b32 s1, s0
	s_cbranch_execz .LBB480_50
; %bb.49:
	v_add_co_u32 v12, s0, 0x800, v3
	v_add_co_ci_u32_e64 v13, null, 0, v4, s0
	global_load_ushort v10, v[12:13], off offset:1024
	s_waitcnt vmcnt(0)
	v_lshlrev_b32_e32 v18, 16, v10
.LBB480_50:
	s_or_b32 exec_lo, exec_lo, s1
	v_add_nc_u32_e32 v10, 0x640, v0
	v_cmp_gt_i32_e64 s6, s42, v10
	s_and_b32 s0, s31, s6
	s_and_saveexec_b32 s1, s0
	s_cbranch_execz .LBB480_52
; %bb.51:
	v_add_co_u32 v12, s0, 0x800, v3
	v_add_co_ci_u32_e64 v13, null, 0, v4, s0
	global_load_ushort v10, v[12:13], off offset:1152
	s_waitcnt vmcnt(0)
	v_lshlrev_b32_e32 v16, 16, v10
.LBB480_52:
	s_or_b32 exec_lo, exec_lo, s1
	v_add_nc_u32_e32 v10, 0x680, v0
	v_mov_b32_e32 v14, 0xff800000
	v_mov_b32_e32 v17, 0xff800000
	v_cmp_gt_i32_e64 s5, s42, v10
	s_and_b32 s0, s31, s5
	s_and_saveexec_b32 s1, s0
	s_cbranch_execz .LBB480_54
; %bb.53:
	v_add_co_u32 v12, s0, 0x800, v3
	v_add_co_ci_u32_e64 v13, null, 0, v4, s0
	global_load_ushort v10, v[12:13], off offset:1280
	s_waitcnt vmcnt(0)
	v_lshlrev_b32_e32 v17, 16, v10
.LBB480_54:
	s_or_b32 exec_lo, exec_lo, s1
	v_add_nc_u32_e32 v10, 0x6c0, v0
	v_cmp_gt_i32_e64 s4, s42, v10
	s_and_b32 s0, s31, s4
	s_and_saveexec_b32 s1, s0
	s_cbranch_execz .LBB480_56
; %bb.55:
	v_add_co_u32 v12, s0, 0x800, v3
	v_add_co_ci_u32_e64 v13, null, 0, v4, s0
	global_load_ushort v10, v[12:13], off offset:1408
	s_waitcnt vmcnt(0)
	v_lshlrev_b32_e32 v14, 16, v10
.LBB480_56:
	s_or_b32 exec_lo, exec_lo, s1
	v_add_nc_u32_e32 v10, 0x700, v0
	v_mov_b32_e32 v12, 0xff800000
	v_cmp_gt_i32_e64 s3, s42, v10
	v_mov_b32_e32 v10, 0xff800000
	s_and_b32 s0, s31, s3
	s_and_saveexec_b32 s1, s0
	s_cbranch_execz .LBB480_58
; %bb.57:
	v_add_co_u32 v12, s0, 0x800, v3
	v_add_co_ci_u32_e64 v13, null, 0, v4, s0
	global_load_ushort v12, v[12:13], off offset:1536
	s_waitcnt vmcnt(0)
	v_lshlrev_b32_e32 v12, 16, v12
.LBB480_58:
	s_or_b32 exec_lo, exec_lo, s1
	v_add_nc_u32_e32 v13, 0x740, v0
	v_cmp_gt_i32_e64 s2, s42, v13
	s_and_b32 s0, s31, s2
	s_and_saveexec_b32 s1, s0
	s_cbranch_execz .LBB480_60
; %bb.59:
	v_add_co_u32 v35, s0, 0x800, v3
	v_add_co_ci_u32_e64 v36, null, 0, v4, s0
	global_load_ushort v10, v[35:36], off offset:1664
	s_waitcnt vmcnt(0)
	v_lshlrev_b32_e32 v10, 16, v10
.LBB480_60:
	s_or_b32 exec_lo, exec_lo, s1
	v_add_nc_u32_e32 v13, 0x780, v0
	v_mov_b32_e32 v32, 0xff800000
	v_cmp_gt_i32_e64 s1, s42, v13
	v_mov_b32_e32 v13, 0xff800000
	s_and_b32 s0, s31, s1
	s_and_saveexec_b32 s33, s0
	s_cbranch_execz .LBB480_62
; %bb.61:
	v_add_co_u32 v35, s0, 0x800, v3
	v_add_co_ci_u32_e64 v36, null, 0, v4, s0
	global_load_ushort v32, v[35:36], off offset:1792
	s_waitcnt vmcnt(0)
	v_lshlrev_b32_e32 v32, 16, v32
.LBB480_62:
	s_or_b32 exec_lo, exec_lo, s33
	v_add_nc_u32_e32 v0, 0x7c0, v0
	v_cmp_gt_i32_e64 s0, s42, v0
	s_and_b32 s31, s31, s0
	s_and_saveexec_b32 s33, s31
	s_cbranch_execz .LBB480_64
; %bb.63:
	v_add_co_u32 v3, s31, 0x800, v3
	v_add_co_ci_u32_e64 v4, null, 0, v4, s31
	global_load_ushort v0, v[3:4], off offset:1920
	s_waitcnt vmcnt(0)
	v_lshlrev_b32_e32 v13, 16, v0
.LBB480_64:
	s_or_b32 exec_lo, exec_lo, s33
	v_cmp_gt_f32_e64 s31, v34, v31
	v_mbcnt_lo_u32_b32 v4, -1, 0
	s_mov_b32 s33, exec_lo
	v_cndmask_b32_e64 v0, v31, v34, s31
	v_cmp_gt_f32_e64 s31, v0, v33
	v_cndmask_b32_e64 v0, v33, v0, s31
	v_cmp_gt_f32_e64 s31, v0, v29
	;; [unrolled: 2-line block ×30, first 2 shown]
	v_cndmask_b32_e64 v3, v13, v0, s31
	v_or_b32_e32 v0, 32, v4
	v_cmp_gt_i32_e64 s31, 64, v0
	v_cndmask_b32_e64 v0, v4, v0, s31
	v_lshlrev_b32_e32 v0, 2, v0
	ds_bpermute_b32 v35, v0, v3
	s_waitcnt lgkmcnt(0)
	v_cmp_lt_f32_e64 s31, v3, v35
	v_cndmask_b32_e64 v3, v3, v35, s31
	v_xor_b32_e32 v35, 16, v4
	v_cmp_gt_i32_e64 s31, 64, v35
	v_cndmask_b32_e64 v35, v4, v35, s31
	v_lshlrev_b32_e32 v36, 2, v35
	ds_bpermute_b32 v35, v36, v3
	s_waitcnt lgkmcnt(0)
	v_cmp_lt_f32_e64 s31, v3, v35
	v_cndmask_b32_e64 v3, v3, v35, s31
	v_xor_b32_e32 v35, 8, v4
	v_cmp_gt_i32_e64 s31, 64, v35
	v_cndmask_b32_e64 v35, v4, v35, s31
	v_lshlrev_b32_e32 v37, 2, v35
	ds_bpermute_b32 v35, v37, v3
	s_waitcnt lgkmcnt(0)
	v_cmp_lt_f32_e64 s31, v3, v35
	v_cndmask_b32_e64 v3, v3, v35, s31
	v_xor_b32_e32 v35, 4, v4
	v_cmp_gt_i32_e64 s31, 64, v35
	v_cndmask_b32_e64 v35, v4, v35, s31
	v_lshlrev_b32_e32 v39, 2, v35
	ds_bpermute_b32 v35, v39, v3
	s_waitcnt lgkmcnt(0)
	v_cmp_lt_f32_e64 s31, v3, v35
	v_cndmask_b32_e64 v3, v3, v35, s31
	v_xor_b32_e32 v35, 2, v4
	v_cmp_gt_i32_e64 s31, 64, v35
	v_cndmask_b32_e64 v35, v4, v35, s31
	v_lshlrev_b32_e32 v40, 2, v35
	ds_bpermute_b32 v35, v40, v3
	s_waitcnt lgkmcnt(0)
	v_cmp_lt_f32_e64 s31, v3, v35
	v_cndmask_b32_e64 v3, v3, v35, s31
	v_xor_b32_e32 v35, 1, v4
	v_cmp_gt_i32_e64 s31, 64, v35
	v_cndmask_b32_e64 v4, v4, v35, s31
	v_lshlrev_b32_e32 v41, 2, v4
	ds_bpermute_b32 v4, v41, v3
	s_waitcnt lgkmcnt(0)
	v_cmp_lt_f32_e64 s31, v3, v4
	v_cndmask_b32_e64 v42, v3, v4, s31
	v_sub_f32_e32 v3, v34, v42
	v_sub_f32_e32 v7, v7, v42
	;; [unrolled: 1-line block ×5, first 2 shown]
	v_mul_f32_e32 v4, 0x3fb8aa3b, v3
	v_cmp_ngt_f32_e64 s31, 0xc2ce8ed0, v3
	v_sub_f32_e32 v12, v12, v42
	v_sub_f32_e32 v10, v10, v42
	;; [unrolled: 1-line block ×3, first 2 shown]
	v_fma_f32 v34, 0x3fb8aa3b, v3, -v4
	v_rndne_f32_e32 v35, v4
	v_fmac_f32_e32 v34, 0x32a5705f, v3
	v_sub_f32_e32 v4, v4, v35
	v_add_f32_e32 v4, v4, v34
	v_cvt_i32_f32_e32 v34, v35
	v_exp_f32_e32 v4, v4
	v_ldexp_f32 v4, v4, v34
	v_cndmask_b32_e64 v4, 0, v4, s31
	v_cmp_nlt_f32_e64 s31, 0x42b17218, v3
	v_sub_f32_e32 v3, v31, v42
	v_cndmask_b32_e64 v38, 0x7f800000, v4, s31
	v_mul_f32_e32 v4, 0x3fb8aa3b, v3
	v_cmp_ngt_f32_e64 s31, 0xc2ce8ed0, v3
	v_fma_f32 v31, 0x3fb8aa3b, v3, -v4
	v_rndne_f32_e32 v34, v4
	v_fmac_f32_e32 v31, 0x32a5705f, v3
	v_sub_f32_e32 v4, v4, v34
	v_add_f32_e32 v4, v4, v31
	v_cvt_i32_f32_e32 v31, v34
	v_exp_f32_e32 v4, v4
	v_ldexp_f32 v4, v4, v31
	v_cndmask_b32_e64 v4, 0, v4, s31
	v_cmp_nlt_f32_e64 s31, 0x42b17218, v3
	v_cndmask_b32_e64 v35, 0x7f800000, v4, s31
	v_sub_f32_e32 v4, v33, v42
	v_add_f32_e32 v3, v38, v35
	v_mul_f32_e32 v31, 0x3fb8aa3b, v4
	v_cmp_ngt_f32_e64 s31, 0xc2ce8ed0, v4
	v_fma_f32 v33, 0x3fb8aa3b, v4, -v31
	v_rndne_f32_e32 v34, v31
	v_fmac_f32_e32 v33, 0x32a5705f, v4
	v_sub_f32_e32 v31, v31, v34
	v_add_f32_e32 v31, v31, v33
	v_cvt_i32_f32_e32 v33, v34
	v_exp_f32_e32 v31, v31
	v_ldexp_f32 v31, v31, v33
	v_cndmask_b32_e64 v31, 0, v31, s31
	v_cmp_nlt_f32_e64 s31, 0x42b17218, v4
	v_sub_f32_e32 v4, v29, v42
	v_cndmask_b32_e64 v34, 0x7f800000, v31, s31
	v_mul_f32_e32 v29, 0x3fb8aa3b, v4
	v_cmp_ngt_f32_e64 s31, 0xc2ce8ed0, v4
	v_add_f32_e32 v3, v3, v34
	v_fma_f32 v31, 0x3fb8aa3b, v4, -v29
	v_rndne_f32_e32 v33, v29
	v_fmac_f32_e32 v31, 0x32a5705f, v4
	v_sub_f32_e32 v29, v29, v33
	v_add_f32_e32 v29, v29, v31
	v_cvt_i32_f32_e32 v31, v33
	v_exp_f32_e32 v29, v29
	v_ldexp_f32 v29, v29, v31
	v_cndmask_b32_e64 v29, 0, v29, s31
	v_cmp_nlt_f32_e64 s31, 0x42b17218, v4
	v_sub_f32_e32 v4, v30, v42
	v_cndmask_b32_e64 v33, 0x7f800000, v29, s31
	v_mul_f32_e32 v29, 0x3fb8aa3b, v4
	v_cmp_ngt_f32_e64 s31, 0xc2ce8ed0, v4
	v_add_f32_e32 v3, v3, v33
	;; [unrolled: 15-line block ×19, first 2 shown]
	v_fma_f32 v44, 0x3fb8aa3b, v4, -v19
	v_rndne_f32_e32 v45, v19
	v_fmac_f32_e32 v44, 0x32a5705f, v4
	v_sub_f32_e32 v19, v19, v45
	v_add_f32_e32 v19, v19, v44
	v_cvt_i32_f32_e32 v44, v45
	v_exp_f32_e32 v19, v19
	v_ldexp_f32 v19, v19, v44
	v_cndmask_b32_e64 v19, 0, v19, s31
	v_cmp_nlt_f32_e64 s31, 0x42b17218, v4
	v_cndmask_b32_e64 v4, 0x7f800000, v19, s31
	v_add_f32_e32 v19, v3, v4
	v_sub_f32_e32 v3, v43, v42
	v_mul_f32_e32 v43, 0x3fb8aa3b, v3
	v_cmp_ngt_f32_e64 s31, 0xc2ce8ed0, v3
	v_fma_f32 v44, 0x3fb8aa3b, v3, -v43
	v_rndne_f32_e32 v45, v43
	v_fmac_f32_e32 v44, 0x32a5705f, v3
	v_sub_f32_e32 v43, v43, v45
	v_add_f32_e32 v43, v43, v44
	v_cvt_i32_f32_e32 v44, v45
	v_exp_f32_e32 v43, v43
	v_ldexp_f32 v43, v43, v44
	v_cndmask_b32_e64 v43, 0, v43, s31
	v_cmp_nlt_f32_e64 s31, 0x42b17218, v3
	v_cndmask_b32_e64 v3, 0x7f800000, v43, s31
	v_mul_f32_e32 v43, 0x3fb8aa3b, v7
	v_cmp_ngt_f32_e64 s31, 0xc2ce8ed0, v7
	v_add_f32_e32 v19, v19, v3
	v_fma_f32 v44, 0x3fb8aa3b, v7, -v43
	v_rndne_f32_e32 v45, v43
	v_fmac_f32_e32 v44, 0x32a5705f, v7
	v_sub_f32_e32 v43, v43, v45
	v_add_f32_e32 v43, v43, v44
	v_cvt_i32_f32_e32 v44, v45
	v_exp_f32_e32 v43, v43
	v_ldexp_f32 v43, v43, v44
	v_cndmask_b32_e64 v43, 0, v43, s31
	v_cmp_nlt_f32_e64 s31, 0x42b17218, v7
	v_cndmask_b32_e64 v7, 0x7f800000, v43, s31
	v_cmp_ngt_f32_e64 s31, 0xc2ce8ed0, v18
	v_add_f32_e32 v43, v19, v7
	v_mul_f32_e32 v19, 0x3fb8aa3b, v18
	v_fma_f32 v44, 0x3fb8aa3b, v18, -v19
	v_rndne_f32_e32 v45, v19
	v_fmac_f32_e32 v44, 0x32a5705f, v18
	v_sub_f32_e32 v19, v19, v45
	v_add_f32_e32 v19, v19, v44
	v_cvt_i32_f32_e32 v44, v45
	v_exp_f32_e32 v19, v19
	v_ldexp_f32 v19, v19, v44
	v_cndmask_b32_e64 v19, 0, v19, s31
	v_cmp_nlt_f32_e64 s31, 0x42b17218, v18
	v_mul_f32_e32 v18, 0x3fb8aa3b, v16
	v_cndmask_b32_e64 v19, 0x7f800000, v19, s31
	v_fma_f32 v44, 0x3fb8aa3b, v16, -v18
	v_rndne_f32_e32 v45, v18
	v_cmp_ngt_f32_e64 s31, 0xc2ce8ed0, v16
	v_add_f32_e32 v43, v43, v19
	v_fmac_f32_e32 v44, 0x32a5705f, v16
	v_sub_f32_e32 v18, v18, v45
	v_add_f32_e32 v18, v18, v44
	v_cvt_i32_f32_e32 v44, v45
	v_exp_f32_e32 v18, v18
	v_ldexp_f32 v18, v18, v44
	v_cndmask_b32_e64 v18, 0, v18, s31
	v_cmp_nlt_f32_e64 s31, 0x42b17218, v16
	v_sub_f32_e32 v16, v17, v42
	v_cndmask_b32_e64 v18, 0x7f800000, v18, s31
	v_mul_f32_e32 v17, 0x3fb8aa3b, v16
	v_cmp_ngt_f32_e64 s31, 0xc2ce8ed0, v16
	v_add_f32_e32 v43, v43, v18
	v_fma_f32 v44, 0x3fb8aa3b, v16, -v17
	v_rndne_f32_e32 v45, v17
	v_fmac_f32_e32 v44, 0x32a5705f, v16
	v_sub_f32_e32 v17, v17, v45
	v_add_f32_e32 v17, v17, v44
	v_cvt_i32_f32_e32 v44, v45
	v_exp_f32_e32 v17, v17
	v_ldexp_f32 v17, v17, v44
	v_cndmask_b32_e64 v17, 0, v17, s31
	v_cmp_nlt_f32_e64 s31, 0x42b17218, v16
	v_cndmask_b32_e64 v16, 0x7f800000, v17, s31
	v_mul_f32_e32 v17, 0x3fb8aa3b, v14
	v_cmp_ngt_f32_e64 s31, 0xc2ce8ed0, v14
	v_add_f32_e32 v43, v43, v16
	v_fma_f32 v44, 0x3fb8aa3b, v14, -v17
	v_rndne_f32_e32 v45, v17
	v_fmac_f32_e32 v44, 0x32a5705f, v14
	v_sub_f32_e32 v17, v17, v45
	v_add_f32_e32 v17, v17, v44
	v_cvt_i32_f32_e32 v44, v45
	v_exp_f32_e32 v17, v17
	v_ldexp_f32 v17, v17, v44
	v_cndmask_b32_e64 v17, 0, v17, s31
	v_cmp_nlt_f32_e64 s31, 0x42b17218, v14
	v_mul_f32_e32 v14, 0x3fb8aa3b, v12
	v_cndmask_b32_e64 v17, 0x7f800000, v17, s31
	v_fma_f32 v44, 0x3fb8aa3b, v12, -v14
	v_rndne_f32_e32 v45, v14
	v_cmp_ngt_f32_e64 s31, 0xc2ce8ed0, v12
	v_add_f32_e32 v43, v43, v17
	v_fmac_f32_e32 v44, 0x32a5705f, v12
	v_sub_f32_e32 v14, v14, v45
	v_add_f32_e32 v14, v14, v44
	v_cvt_i32_f32_e32 v44, v45
	v_exp_f32_e32 v14, v14
	v_ldexp_f32 v14, v14, v44
	v_cndmask_b32_e64 v14, 0, v14, s31
	v_cmp_nlt_f32_e64 s31, 0x42b17218, v12
	v_mul_f32_e32 v12, 0x3fb8aa3b, v10
	v_cndmask_b32_e64 v14, 0x7f800000, v14, s31
	v_fma_f32 v44, 0x3fb8aa3b, v10, -v12
	v_rndne_f32_e32 v45, v12
	v_cmp_ngt_f32_e64 s31, 0xc2ce8ed0, v10
	v_add_f32_e32 v43, v43, v14
	v_fmac_f32_e32 v44, 0x32a5705f, v10
	v_sub_f32_e32 v12, v12, v45
	v_add_f32_e32 v12, v12, v44
	v_cvt_i32_f32_e32 v44, v45
	v_exp_f32_e32 v12, v12
	v_ldexp_f32 v12, v12, v44
	v_cndmask_b32_e64 v12, 0, v12, s31
	v_cmp_nlt_f32_e64 s31, 0x42b17218, v10
	v_sub_f32_e32 v10, v32, v42
	v_mul_f32_e32 v42, 0x3fb8aa3b, v13
	v_cndmask_b32_e64 v12, 0x7f800000, v12, s31
	v_mul_f32_e32 v32, 0x3fb8aa3b, v10
	v_cmp_ngt_f32_e64 s31, 0xc2ce8ed0, v10
	v_add_f32_e32 v43, v43, v12
	v_fma_f32 v44, 0x3fb8aa3b, v10, -v32
	v_rndne_f32_e32 v45, v32
	v_fmac_f32_e32 v44, 0x32a5705f, v10
	v_sub_f32_e32 v32, v32, v45
	v_add_f32_e32 v32, v32, v44
	v_cvt_i32_f32_e32 v44, v45
	v_exp_f32_e32 v32, v32
	v_ldexp_f32 v32, v32, v44
	v_rndne_f32_e32 v44, v42
	v_cndmask_b32_e64 v32, 0, v32, s31
	v_cmp_nlt_f32_e64 s31, 0x42b17218, v10
	v_cndmask_b32_e64 v10, 0x7f800000, v32, s31
	v_cmp_ngt_f32_e64 s31, 0xc2ce8ed0, v13
	v_add_f32_e32 v32, v43, v10
	v_fma_f32 v43, 0x3fb8aa3b, v13, -v42
	v_sub_f32_e32 v42, v42, v44
	v_fmac_f32_e32 v43, 0x32a5705f, v13
	v_add_f32_e32 v42, v42, v43
	v_cvt_i32_f32_e32 v43, v44
	v_exp_f32_e32 v42, v42
	v_ldexp_f32 v42, v42, v43
	v_cndmask_b32_e64 v42, 0, v42, s31
	v_cmp_nlt_f32_e64 s31, 0x42b17218, v13
	v_cndmask_b32_e64 v13, 0x7f800000, v42, s31
	v_add_f32_e32 v32, v32, v13
	ds_bpermute_b32 v0, v0, v32
	s_waitcnt lgkmcnt(0)
	v_add_f32_e32 v0, v32, v0
	ds_bpermute_b32 v32, v36, v0
	s_waitcnt lgkmcnt(0)
	;; [unrolled: 3-line block ×5, first 2 shown]
	v_add_f32_e32 v0, v0, v32
	ds_bpermute_b32 v32, v41, v0
	v_cmpx_lt_i32_e32 0, v5
	s_cbranch_execz .LBB480_162
; %bb.65:
	s_and_b32 exec_lo, exec_lo, vcc_lo
	s_cbranch_execz .LBB480_162
; %bb.66:
	s_waitcnt lgkmcnt(0)
	v_add_f32_e32 v5, v0, v32
	v_mov_b32_e32 v32, 0x7fc0
	v_cmp_neq_f32_e64 s31, 0, v5
	s_and_saveexec_b32 s33, s31
	s_cbranch_execz .LBB480_68
; %bb.67:
	v_div_scale_f32 v0, null, v5, v5, v38
	v_div_scale_f32 v37, vcc_lo, v38, v5, v38
	v_rcp_f32_e32 v32, v0
	v_fma_f32 v36, -v0, v32, 1.0
	v_fmac_f32_e32 v32, v36, v32
	v_mul_f32_e32 v36, v37, v32
	v_fma_f32 v39, -v0, v36, v37
	v_fmac_f32_e32 v36, v39, v32
	v_fma_f32 v0, -v0, v36, v37
	v_div_fmas_f32 v0, v0, v32, v36
	v_div_fixup_f32 v0, v0, v5, v38
	v_bfe_u32 v32, v0, 16, 1
	v_cmp_o_f32_e32 vcc_lo, v0, v0
	v_add3_u32 v0, v0, v32, 0x7fff
	v_mov_b32_e32 v32, 0x7fc0
	v_cndmask_b32_sdwa v32, v32, v0, vcc_lo dst_sel:DWORD dst_unused:UNUSED_PAD src0_sel:DWORD src1_sel:WORD_1
.LBB480_68:
	s_or_b32 exec_lo, exec_lo, s33
	v_add_co_u32 v0, vcc_lo, s36, v1
	v_add_co_ci_u32_e64 v1, null, s37, v2, vcc_lo
	global_store_short v[0:1], v32, off
	s_and_b32 exec_lo, exec_lo, s30
	s_cbranch_execz .LBB480_162
; %bb.69:
	v_mov_b32_e32 v2, 0x7fc0
	s_and_saveexec_b32 s30, s31
	s_cbranch_execz .LBB480_71
; %bb.70:
	v_div_scale_f32 v2, null, v5, v5, v35
	v_div_scale_f32 v37, vcc_lo, v35, v5, v35
	v_rcp_f32_e32 v32, v2
	v_fma_f32 v36, -v2, v32, 1.0
	v_fmac_f32_e32 v32, v36, v32
	v_mul_f32_e32 v36, v37, v32
	v_fma_f32 v38, -v2, v36, v37
	v_fmac_f32_e32 v36, v38, v32
	v_fma_f32 v2, -v2, v36, v37
	v_div_fmas_f32 v2, v2, v32, v36
	v_div_fixup_f32 v2, v2, v5, v35
	v_bfe_u32 v32, v2, 16, 1
	v_cmp_o_f32_e32 vcc_lo, v2, v2
	v_add3_u32 v2, v2, v32, 0x7fff
	v_mov_b32_e32 v32, 0x7fc0
	v_cndmask_b32_sdwa v2, v32, v2, vcc_lo dst_sel:DWORD dst_unused:UNUSED_PAD src0_sel:DWORD src1_sel:WORD_1
.LBB480_71:
	s_or_b32 exec_lo, exec_lo, s30
	global_store_short v[0:1], v2, off offset:128
	s_and_b32 exec_lo, exec_lo, s29
	s_cbranch_execz .LBB480_162
; %bb.72:
	v_mov_b32_e32 v2, 0x7fc0
	s_and_saveexec_b32 s29, s31
	s_cbranch_execz .LBB480_74
; %bb.73:
	v_div_scale_f32 v2, null, v5, v5, v34
	v_div_scale_f32 v36, vcc_lo, v34, v5, v34
	v_rcp_f32_e32 v32, v2
	v_fma_f32 v35, -v2, v32, 1.0
	v_fmac_f32_e32 v32, v35, v32
	v_mul_f32_e32 v35, v36, v32
	v_fma_f32 v37, -v2, v35, v36
	v_fmac_f32_e32 v35, v37, v32
	v_fma_f32 v2, -v2, v35, v36
	v_div_fmas_f32 v2, v2, v32, v35
	v_div_fixup_f32 v2, v2, v5, v34
	v_bfe_u32 v32, v2, 16, 1
	v_cmp_o_f32_e32 vcc_lo, v2, v2
	v_add3_u32 v2, v2, v32, 0x7fff
	v_mov_b32_e32 v32, 0x7fc0
	v_cndmask_b32_sdwa v2, v32, v2, vcc_lo dst_sel:DWORD dst_unused:UNUSED_PAD src0_sel:DWORD src1_sel:WORD_1
.LBB480_74:
	s_or_b32 exec_lo, exec_lo, s29
	global_store_short v[0:1], v2, off offset:256
	;; [unrolled: 26-line block ×15, first 2 shown]
	s_and_b32 exec_lo, exec_lo, s15
	s_cbranch_execz .LBB480_162
; %bb.114:
	v_mov_b32_e32 v2, 0x7fc0
	s_and_saveexec_b32 s15, s31
	s_cbranch_execz .LBB480_116
; %bb.115:
	v_div_scale_f32 v2, null, v5, v5, v15
	v_div_scale_f32 v22, vcc_lo, v15, v5, v15
	v_rcp_f32_e32 v20, v2
	v_fma_f32 v21, -v2, v20, 1.0
	v_fmac_f32_e32 v20, v21, v20
	v_mul_f32_e32 v21, v22, v20
	v_fma_f32 v23, -v2, v21, v22
	v_fmac_f32_e32 v21, v23, v20
	v_fma_f32 v2, -v2, v21, v22
	v_div_fmas_f32 v2, v2, v20, v21
	v_div_fixup_f32 v2, v2, v5, v15
	v_bfe_u32 v15, v2, 16, 1
	v_cmp_o_f32_e32 vcc_lo, v2, v2
	v_add3_u32 v2, v2, v15, 0x7fff
	v_mov_b32_e32 v15, 0x7fc0
	v_cndmask_b32_sdwa v2, v15, v2, vcc_lo dst_sel:DWORD dst_unused:UNUSED_PAD src0_sel:DWORD src1_sel:WORD_1
.LBB480_116:
	s_or_b32 exec_lo, exec_lo, s15
	v_add_co_u32 v0, vcc_lo, 0x800, v0
	v_add_co_ci_u32_e64 v1, null, 0, v1, vcc_lo
	global_store_short v[0:1], v2, off
	s_and_b32 exec_lo, exec_lo, s14
	s_cbranch_execz .LBB480_162
; %bb.117:
	v_mov_b32_e32 v2, 0x7fc0
	s_and_saveexec_b32 s14, s31
	s_cbranch_execz .LBB480_119
; %bb.118:
	v_div_scale_f32 v2, null, v5, v5, v11
	v_div_scale_f32 v21, vcc_lo, v11, v5, v11
	v_rcp_f32_e32 v15, v2
	v_fma_f32 v20, -v2, v15, 1.0
	v_fmac_f32_e32 v15, v20, v15
	v_mul_f32_e32 v20, v21, v15
	v_fma_f32 v22, -v2, v20, v21
	v_fmac_f32_e32 v20, v22, v15
	v_fma_f32 v2, -v2, v20, v21
	v_div_fmas_f32 v2, v2, v15, v20
	v_div_fixup_f32 v2, v2, v5, v11
	v_bfe_u32 v11, v2, 16, 1
	v_cmp_o_f32_e32 vcc_lo, v2, v2
	v_add3_u32 v2, v2, v11, 0x7fff
	v_mov_b32_e32 v11, 0x7fc0
	v_cndmask_b32_sdwa v2, v11, v2, vcc_lo dst_sel:DWORD dst_unused:UNUSED_PAD src0_sel:DWORD src1_sel:WORD_1
.LBB480_119:
	s_or_b32 exec_lo, exec_lo, s14
	global_store_short v[0:1], v2, off offset:128
	s_and_b32 exec_lo, exec_lo, s13
	s_cbranch_execz .LBB480_162
; %bb.120:
	v_mov_b32_e32 v2, 0x7fc0
	s_and_saveexec_b32 s13, s31
	s_cbranch_execz .LBB480_122
; %bb.121:
	v_div_scale_f32 v2, null, v5, v5, v9
	v_div_scale_f32 v20, vcc_lo, v9, v5, v9
	v_rcp_f32_e32 v11, v2
	v_fma_f32 v15, -v2, v11, 1.0
	v_fmac_f32_e32 v11, v15, v11
	v_mul_f32_e32 v15, v20, v11
	v_fma_f32 v21, -v2, v15, v20
	v_fmac_f32_e32 v15, v21, v11
	v_fma_f32 v2, -v2, v15, v20
	v_div_fmas_f32 v2, v2, v11, v15
	v_div_fixup_f32 v2, v2, v5, v9
	v_bfe_u32 v9, v2, 16, 1
	v_cmp_o_f32_e32 vcc_lo, v2, v2
	v_add3_u32 v2, v2, v9, 0x7fff
	v_mov_b32_e32 v9, 0x7fc0
	v_cndmask_b32_sdwa v2, v9, v2, vcc_lo dst_sel:DWORD dst_unused:UNUSED_PAD src0_sel:DWORD src1_sel:WORD_1
.LBB480_122:
	s_or_b32 exec_lo, exec_lo, s13
	global_store_short v[0:1], v2, off offset:256
	;; [unrolled: 26-line block ×15, first 2 shown]
.LBB480_162:
	s_endpgm
	.section	.rodata,"a",@progbits
	.p2align	6, 0x0
	.amdhsa_kernel _ZN12_GLOBAL__N_120softmax_warp_forwardIN3c108BFloat16ES2_fLi11ELb0ELb0ELi64EEEvPT0_PKT_iiiPKbib
		.amdhsa_group_segment_fixed_size 0
		.amdhsa_private_segment_fixed_size 0
		.amdhsa_kernarg_size 304
		.amdhsa_user_sgpr_count 6
		.amdhsa_user_sgpr_private_segment_buffer 1
		.amdhsa_user_sgpr_dispatch_ptr 0
		.amdhsa_user_sgpr_queue_ptr 0
		.amdhsa_user_sgpr_kernarg_segment_ptr 1
		.amdhsa_user_sgpr_dispatch_id 0
		.amdhsa_user_sgpr_flat_scratch_init 0
		.amdhsa_user_sgpr_private_segment_size 0
		.amdhsa_wavefront_size32 1
		.amdhsa_uses_dynamic_stack 0
		.amdhsa_system_sgpr_private_segment_wavefront_offset 0
		.amdhsa_system_sgpr_workgroup_id_x 1
		.amdhsa_system_sgpr_workgroup_id_y 0
		.amdhsa_system_sgpr_workgroup_id_z 0
		.amdhsa_system_sgpr_workgroup_info 0
		.amdhsa_system_vgpr_workitem_id 1
		.amdhsa_next_free_vgpr 46
		.amdhsa_next_free_sgpr 44
		.amdhsa_reserve_vcc 1
		.amdhsa_reserve_flat_scratch 0
		.amdhsa_float_round_mode_32 0
		.amdhsa_float_round_mode_16_64 0
		.amdhsa_float_denorm_mode_32 3
		.amdhsa_float_denorm_mode_16_64 3
		.amdhsa_dx10_clamp 1
		.amdhsa_ieee_mode 1
		.amdhsa_fp16_overflow 0
		.amdhsa_workgroup_processor_mode 1
		.amdhsa_memory_ordered 1
		.amdhsa_forward_progress 1
		.amdhsa_shared_vgpr_count 0
		.amdhsa_exception_fp_ieee_invalid_op 0
		.amdhsa_exception_fp_denorm_src 0
		.amdhsa_exception_fp_ieee_div_zero 0
		.amdhsa_exception_fp_ieee_overflow 0
		.amdhsa_exception_fp_ieee_underflow 0
		.amdhsa_exception_fp_ieee_inexact 0
		.amdhsa_exception_int_div_zero 0
	.end_amdhsa_kernel
	.section	.text._ZN12_GLOBAL__N_120softmax_warp_forwardIN3c108BFloat16ES2_fLi11ELb0ELb0ELi64EEEvPT0_PKT_iiiPKbib,"axG",@progbits,_ZN12_GLOBAL__N_120softmax_warp_forwardIN3c108BFloat16ES2_fLi11ELb0ELb0ELi64EEEvPT0_PKT_iiiPKbib,comdat
.Lfunc_end480:
	.size	_ZN12_GLOBAL__N_120softmax_warp_forwardIN3c108BFloat16ES2_fLi11ELb0ELb0ELi64EEEvPT0_PKT_iiiPKbib, .Lfunc_end480-_ZN12_GLOBAL__N_120softmax_warp_forwardIN3c108BFloat16ES2_fLi11ELb0ELb0ELi64EEEvPT0_PKT_iiiPKbib
                                        ; -- End function
	.set _ZN12_GLOBAL__N_120softmax_warp_forwardIN3c108BFloat16ES2_fLi11ELb0ELb0ELi64EEEvPT0_PKT_iiiPKbib.num_vgpr, 46
	.set _ZN12_GLOBAL__N_120softmax_warp_forwardIN3c108BFloat16ES2_fLi11ELb0ELb0ELi64EEEvPT0_PKT_iiiPKbib.num_agpr, 0
	.set _ZN12_GLOBAL__N_120softmax_warp_forwardIN3c108BFloat16ES2_fLi11ELb0ELb0ELi64EEEvPT0_PKT_iiiPKbib.numbered_sgpr, 44
	.set _ZN12_GLOBAL__N_120softmax_warp_forwardIN3c108BFloat16ES2_fLi11ELb0ELb0ELi64EEEvPT0_PKT_iiiPKbib.num_named_barrier, 0
	.set _ZN12_GLOBAL__N_120softmax_warp_forwardIN3c108BFloat16ES2_fLi11ELb0ELb0ELi64EEEvPT0_PKT_iiiPKbib.private_seg_size, 0
	.set _ZN12_GLOBAL__N_120softmax_warp_forwardIN3c108BFloat16ES2_fLi11ELb0ELb0ELi64EEEvPT0_PKT_iiiPKbib.uses_vcc, 1
	.set _ZN12_GLOBAL__N_120softmax_warp_forwardIN3c108BFloat16ES2_fLi11ELb0ELb0ELi64EEEvPT0_PKT_iiiPKbib.uses_flat_scratch, 0
	.set _ZN12_GLOBAL__N_120softmax_warp_forwardIN3c108BFloat16ES2_fLi11ELb0ELb0ELi64EEEvPT0_PKT_iiiPKbib.has_dyn_sized_stack, 0
	.set _ZN12_GLOBAL__N_120softmax_warp_forwardIN3c108BFloat16ES2_fLi11ELb0ELb0ELi64EEEvPT0_PKT_iiiPKbib.has_recursion, 0
	.set _ZN12_GLOBAL__N_120softmax_warp_forwardIN3c108BFloat16ES2_fLi11ELb0ELb0ELi64EEEvPT0_PKT_iiiPKbib.has_indirect_call, 0
	.section	.AMDGPU.csdata,"",@progbits
; Kernel info:
; codeLenInByte = 11340
; TotalNumSgprs: 46
; NumVgprs: 46
; ScratchSize: 0
; MemoryBound: 0
; FloatMode: 240
; IeeeMode: 1
; LDSByteSize: 0 bytes/workgroup (compile time only)
; SGPRBlocks: 0
; VGPRBlocks: 5
; NumSGPRsForWavesPerEU: 46
; NumVGPRsForWavesPerEU: 46
; Occupancy: 16
; WaveLimiterHint : 0
; COMPUTE_PGM_RSRC2:SCRATCH_EN: 0
; COMPUTE_PGM_RSRC2:USER_SGPR: 6
; COMPUTE_PGM_RSRC2:TRAP_HANDLER: 0
; COMPUTE_PGM_RSRC2:TGID_X_EN: 1
; COMPUTE_PGM_RSRC2:TGID_Y_EN: 0
; COMPUTE_PGM_RSRC2:TGID_Z_EN: 0
; COMPUTE_PGM_RSRC2:TIDIG_COMP_CNT: 1
	.section	.text._ZN12_GLOBAL__N_120softmax_warp_forwardIN3c108BFloat16ES2_fLi11ELb0ELb0ELi32EEEvPT0_PKT_iiiPKbib,"axG",@progbits,_ZN12_GLOBAL__N_120softmax_warp_forwardIN3c108BFloat16ES2_fLi11ELb0ELb0ELi32EEEvPT0_PKT_iiiPKbib,comdat
	.globl	_ZN12_GLOBAL__N_120softmax_warp_forwardIN3c108BFloat16ES2_fLi11ELb0ELb0ELi32EEEvPT0_PKT_iiiPKbib ; -- Begin function _ZN12_GLOBAL__N_120softmax_warp_forwardIN3c108BFloat16ES2_fLi11ELb0ELb0ELi32EEEvPT0_PKT_iiiPKbib
	.p2align	8
	.type	_ZN12_GLOBAL__N_120softmax_warp_forwardIN3c108BFloat16ES2_fLi11ELb0ELb0ELi32EEEvPT0_PKT_iiiPKbib,@function
_ZN12_GLOBAL__N_120softmax_warp_forwardIN3c108BFloat16ES2_fLi11ELb0ELb0ELi32EEEvPT0_PKT_iiiPKbib: ; @_ZN12_GLOBAL__N_120softmax_warp_forwardIN3c108BFloat16ES2_fLi11ELb0ELb0ELi32EEEvPT0_PKT_iiiPKbib
; %bb.0:
	s_clause 0x1
	s_load_dword s0, s[4:5], 0x3c
	s_load_dwordx8 s[68:75], s[4:5], 0x0
	v_mov_b32_e32 v15, 0xff800000
	v_mov_b32_e32 v14, 0xff800000
	s_waitcnt lgkmcnt(0)
	s_lshr_b32 s0, s0, 16
	v_cmp_gt_i32_e32 vcc_lo, s74, v0
	v_mad_u64_u32 v[1:2], null, s6, s0, v[1:2]
	v_mad_u64_u32 v[2:3], null, v1, s73, v[0:1]
	v_sub_nc_u32_e32 v5, s72, v1
	v_cmp_lt_i32_e64 s64, 0, v5
	v_ashrrev_i32_e32 v3, 31, v2
	s_and_b32 s1, s64, vcc_lo
	v_lshlrev_b64 v[1:2], 1, v[2:3]
	v_add_co_u32 v3, s0, s70, v1
	v_add_co_ci_u32_e64 v4, null, s71, v2, s0
	s_and_saveexec_b32 s0, s1
	s_cbranch_execz .LBB481_2
; %bb.1:
	global_load_ushort v6, v[3:4], off
	s_waitcnt vmcnt(0)
	v_lshlrev_b32_e32 v14, 16, v6
.LBB481_2:
	s_or_b32 exec_lo, exec_lo, s0
	v_add_nc_u32_e32 v6, 32, v0
	v_cmp_gt_i32_e64 s63, s74, v6
	s_and_b32 s1, s64, s63
	s_and_saveexec_b32 s0, s1
	s_cbranch_execz .LBB481_4
; %bb.3:
	global_load_ushort v6, v[3:4], off offset:64
	s_waitcnt vmcnt(0)
	v_lshlrev_b32_e32 v15, 16, v6
.LBB481_4:
	s_or_b32 exec_lo, exec_lo, s0
	v_add_nc_u32_e32 v6, 64, v0
	v_mov_b32_e32 v18, 0xff800000
	v_mov_b32_e32 v17, 0xff800000
	v_cmp_gt_i32_e64 s62, s74, v6
	s_and_b32 s1, s64, s62
	s_and_saveexec_b32 s0, s1
	s_cbranch_execz .LBB481_6
; %bb.5:
	global_load_ushort v6, v[3:4], off offset:128
	s_waitcnt vmcnt(0)
	v_lshlrev_b32_e32 v17, 16, v6
.LBB481_6:
	s_or_b32 exec_lo, exec_lo, s0
	v_add_nc_u32_e32 v6, 0x60, v0
	v_cmp_gt_i32_e64 s61, s74, v6
	s_and_b32 s1, s64, s61
	s_and_saveexec_b32 s0, s1
	s_cbranch_execz .LBB481_8
; %bb.7:
	global_load_ushort v6, v[3:4], off offset:192
	s_waitcnt vmcnt(0)
	v_lshlrev_b32_e32 v18, 16, v6
.LBB481_8:
	s_or_b32 exec_lo, exec_lo, s0
	v_add_nc_u32_e32 v6, 0x80, v0
	v_mov_b32_e32 v21, 0xff800000
	v_mov_b32_e32 v19, 0xff800000
	v_cmp_gt_i32_e64 s60, s74, v6
	s_and_b32 s1, s64, s60
	s_and_saveexec_b32 s0, s1
	s_cbranch_execz .LBB481_10
; %bb.9:
	global_load_ushort v6, v[3:4], off offset:256
	s_waitcnt vmcnt(0)
	v_lshlrev_b32_e32 v19, 16, v6
.LBB481_10:
	;; [unrolled: 24-line block ×15, first 2 shown]
	s_or_b32 exec_lo, exec_lo, s0
	v_add_nc_u32_e32 v6, 0x3e0, v0
	v_cmp_gt_i32_e64 s33, s74, v6
	s_and_b32 s1, s64, s33
	s_and_saveexec_b32 s0, s1
	s_cbranch_execz .LBB481_64
; %bb.63:
	global_load_ushort v6, v[3:4], off offset:1984
	s_waitcnt vmcnt(0)
	v_lshlrev_b32_e32 v59, 16, v6
.LBB481_64:
	s_or_b32 exec_lo, exec_lo, s0
	v_or_b32_e32 v6, 0x400, v0
	v_mov_b32_e32 v62, 0xff800000
	v_mov_b32_e32 v58, 0xff800000
	v_cmp_gt_i32_e64 s31, s74, v6
	s_and_b32 s0, s64, s31
	s_and_saveexec_b32 s1, s0
	s_cbranch_execz .LBB481_66
; %bb.65:
	v_add_co_u32 v6, s0, 0x800, v3
	v_add_co_ci_u32_e64 v7, null, 0, v4, s0
	global_load_ushort v6, v[6:7], off
	s_waitcnt vmcnt(0)
	v_lshlrev_b32_e32 v58, 16, v6
.LBB481_66:
	s_or_b32 exec_lo, exec_lo, s1
	v_add_nc_u32_e32 v6, 0x420, v0
	v_cmp_gt_i32_e64 s30, s74, v6
	s_and_b32 s0, s64, s30
	s_and_saveexec_b32 s1, s0
	s_cbranch_execz .LBB481_68
; %bb.67:
	v_add_co_u32 v6, s0, 0x800, v3
	v_add_co_ci_u32_e64 v7, null, 0, v4, s0
	global_load_ushort v6, v[6:7], off offset:64
	s_waitcnt vmcnt(0)
	v_lshlrev_b32_e32 v62, 16, v6
.LBB481_68:
	s_or_b32 exec_lo, exec_lo, s1
	v_add_nc_u32_e32 v6, 0x440, v0
	v_mov_b32_e32 v64, 0xff800000
	v_mov_b32_e32 v60, 0xff800000
	v_cmp_gt_i32_e64 s29, s74, v6
	s_and_b32 s0, s64, s29
	s_and_saveexec_b32 s1, s0
	s_cbranch_execz .LBB481_70
; %bb.69:
	v_add_co_u32 v6, s0, 0x800, v3
	v_add_co_ci_u32_e64 v7, null, 0, v4, s0
	global_load_ushort v6, v[6:7], off offset:128
	s_waitcnt vmcnt(0)
	v_lshlrev_b32_e32 v60, 16, v6
.LBB481_70:
	s_or_b32 exec_lo, exec_lo, s1
	v_add_nc_u32_e32 v6, 0x460, v0
	v_cmp_gt_i32_e64 s28, s74, v6
	s_and_b32 s0, s64, s28
	s_and_saveexec_b32 s1, s0
	s_cbranch_execz .LBB481_72
; %bb.71:
	v_add_co_u32 v6, s0, 0x800, v3
	v_add_co_ci_u32_e64 v7, null, 0, v4, s0
	global_load_ushort v6, v[6:7], off offset:192
	s_waitcnt vmcnt(0)
	v_lshlrev_b32_e32 v64, 16, v6
.LBB481_72:
	s_or_b32 exec_lo, exec_lo, s1
	v_add_nc_u32_e32 v6, 0x480, v0
	v_mov_b32_e32 v66, 0xff800000
	v_mov_b32_e32 v63, 0xff800000
	v_cmp_gt_i32_e64 s27, s74, v6
	s_and_b32 s0, s64, s27
	s_and_saveexec_b32 s1, s0
	s_cbranch_execz .LBB481_74
; %bb.73:
	v_add_co_u32 v6, s0, 0x800, v3
	v_add_co_ci_u32_e64 v7, null, 0, v4, s0
	global_load_ushort v6, v[6:7], off offset:256
	s_waitcnt vmcnt(0)
	v_lshlrev_b32_e32 v63, 16, v6
.LBB481_74:
	;; [unrolled: 28-line block ×15, first 2 shown]
	s_or_b32 exec_lo, exec_lo, s65
	v_add_nc_u32_e32 v0, 0x7e0, v0
	v_cmp_gt_i32_e64 s0, s74, v0
	s_and_b32 s64, s64, s0
	s_and_saveexec_b32 s65, s64
	s_cbranch_execz .LBB481_128
; %bb.127:
	v_add_co_u32 v3, s64, 0x800, v3
	v_add_co_ci_u32_e64 v4, null, 0, v4, s64
	global_load_ushort v0, v[3:4], off offset:1984
	s_waitcnt vmcnt(0)
	v_lshlrev_b32_e32 v7, 16, v0
.LBB481_128:
	s_or_b32 exec_lo, exec_lo, s65
	v_cmp_gt_f32_e64 s64, v14, v15
	v_mbcnt_lo_u32_b32 v20, -1, 0
	s_mov_b32 s65, exec_lo
	v_cndmask_b32_e64 v0, v15, v14, s64
	v_cmp_gt_f32_e64 s64, v0, v17
	v_cndmask_b32_e64 v0, v17, v0, s64
	v_cmp_gt_f32_e64 s64, v0, v18
	;; [unrolled: 2-line block ×62, first 2 shown]
	v_cndmask_b32_e64 v3, v7, v0, s64
	v_xor_b32_e32 v0, 16, v20
	v_cmp_gt_i32_e64 s64, 32, v0
	v_cndmask_b32_e64 v0, v20, v0, s64
	v_lshlrev_b32_e32 v0, 2, v0
	ds_bpermute_b32 v4, v0, v3
	s_waitcnt lgkmcnt(0)
	v_cmp_lt_f32_e64 s64, v3, v4
	v_cndmask_b32_e64 v4, v3, v4, s64
	v_xor_b32_e32 v3, 8, v20
	v_cmp_gt_i32_e64 s64, 32, v3
	v_cndmask_b32_e64 v3, v20, v3, s64
	v_lshlrev_b32_e32 v3, 2, v3
	ds_bpermute_b32 v6, v3, v4
	s_waitcnt lgkmcnt(0)
	v_cmp_lt_f32_e64 s64, v4, v6
	;; [unrolled: 8-line block ×5, first 2 shown]
	v_cndmask_b32_e64 v69, v69, v73, s64
	v_sub_f32_e32 v14, v14, v69
	v_sub_f32_e32 v15, v15, v69
	;; [unrolled: 1-line block ×5, first 2 shown]
	v_mul_f32_e32 v73, 0x3fb8aa3b, v14
	v_cmp_ngt_f32_e64 s64, 0xc2ce8ed0, v14
	v_sub_f32_e32 v21, v21, v69
	v_sub_f32_e32 v22, v22, v69
	;; [unrolled: 1-line block ×3, first 2 shown]
	v_fma_f32 v74, 0x3fb8aa3b, v14, -v73
	v_rndne_f32_e32 v75, v73
	v_sub_f32_e32 v24, v24, v69
	v_sub_f32_e32 v25, v25, v69
	;; [unrolled: 1-line block ×3, first 2 shown]
	v_fmac_f32_e32 v74, 0x32a5705f, v14
	v_sub_f32_e32 v73, v73, v75
	v_sub_f32_e32 v27, v27, v69
	;; [unrolled: 1-line block ×5, first 2 shown]
	v_add_f32_e32 v73, v73, v74
	v_cvt_i32_f32_e32 v74, v75
	v_sub_f32_e32 v31, v31, v69
	v_sub_f32_e32 v32, v32, v69
	;; [unrolled: 1-line block ×3, first 2 shown]
	v_exp_f32_e32 v73, v73
	v_sub_f32_e32 v34, v34, v69
	v_sub_f32_e32 v35, v35, v69
	;; [unrolled: 1-line block ×9, first 2 shown]
	v_ldexp_f32 v73, v73, v74
	v_sub_f32_e32 v53, v53, v69
	v_sub_f32_e32 v52, v52, v69
	;; [unrolled: 1-line block ×4, first 2 shown]
	v_cndmask_b32_e64 v73, 0, v73, s64
	v_cmp_nlt_f32_e64 s64, 0x42b17218, v14
	v_sub_f32_e32 v59, v59, v69
	v_sub_f32_e32 v58, v58, v69
	;; [unrolled: 1-line block ×4, first 2 shown]
	v_cndmask_b32_e64 v14, 0x7f800000, v73, s64
	v_mul_f32_e32 v73, 0x3fb8aa3b, v15
	v_cmp_ngt_f32_e64 s64, 0xc2ce8ed0, v15
	v_sub_f32_e32 v64, v64, v69
	v_sub_f32_e32 v63, v63, v69
	;; [unrolled: 1-line block ×3, first 2 shown]
	v_fma_f32 v74, 0x3fb8aa3b, v15, -v73
	v_rndne_f32_e32 v75, v73
	v_sub_f32_e32 v65, v65, v69
	v_sub_f32_e32 v68, v68, v69
	;; [unrolled: 1-line block ×3, first 2 shown]
	v_fmac_f32_e32 v74, 0x32a5705f, v15
	v_sub_f32_e32 v73, v73, v75
	v_sub_f32_e32 v71, v71, v69
	;; [unrolled: 1-line block ×5, first 2 shown]
	v_add_f32_e32 v73, v73, v74
	v_cvt_i32_f32_e32 v74, v75
	v_sub_f32_e32 v56, v56, v69
	v_sub_f32_e32 v55, v55, v69
	;; [unrolled: 1-line block ×3, first 2 shown]
	v_exp_f32_e32 v73, v73
	v_sub_f32_e32 v48, v48, v69
	v_sub_f32_e32 v47, v47, v69
	;; [unrolled: 1-line block ×9, first 2 shown]
	v_ldexp_f32 v73, v73, v74
	v_mul_f32_e32 v74, 0x3fb8aa3b, v17
	v_sub_f32_e32 v13, v13, v69
	v_sub_f32_e32 v12, v12, v69
	;; [unrolled: 1-line block ×3, first 2 shown]
	v_cndmask_b32_e64 v73, 0, v73, s64
	v_fma_f32 v75, 0x3fb8aa3b, v17, -v74
	v_rndne_f32_e32 v76, v74
	v_cmp_nlt_f32_e64 s64, 0x42b17218, v15
	v_sub_f32_e32 v10, v10, v69
	v_sub_f32_e32 v9, v9, v69
	v_fmac_f32_e32 v75, 0x32a5705f, v17
	v_sub_f32_e32 v74, v74, v76
	v_cndmask_b32_e64 v15, 0x7f800000, v73, s64
	v_cmp_ngt_f32_e64 s64, 0xc2ce8ed0, v17
	v_sub_f32_e32 v8, v8, v69
	v_sub_f32_e32 v7, v7, v69
	v_add_f32_e32 v74, v74, v75
	v_cvt_i32_f32_e32 v75, v76
	v_add_f32_e32 v73, v14, v15
	v_mul_f32_e32 v69, 0x3fb8aa3b, v7
	v_exp_f32_e32 v74, v74
	v_ldexp_f32 v74, v74, v75
	v_cndmask_b32_e64 v74, 0, v74, s64
	v_cmp_nlt_f32_e64 s64, 0x42b17218, v17
	v_cndmask_b32_e64 v17, 0x7f800000, v74, s64
	v_mul_f32_e32 v74, 0x3fb8aa3b, v18
	v_cmp_ngt_f32_e64 s64, 0xc2ce8ed0, v18
	v_add_f32_e32 v73, v73, v17
	v_fma_f32 v75, 0x3fb8aa3b, v18, -v74
	v_rndne_f32_e32 v76, v74
	v_fmac_f32_e32 v75, 0x32a5705f, v18
	v_sub_f32_e32 v74, v74, v76
	v_add_f32_e32 v74, v74, v75
	v_cvt_i32_f32_e32 v75, v76
	v_exp_f32_e32 v74, v74
	v_ldexp_f32 v74, v74, v75
	v_cndmask_b32_e64 v74, 0, v74, s64
	v_cmp_nlt_f32_e64 s64, 0x42b17218, v18
	v_cndmask_b32_e64 v18, 0x7f800000, v74, s64
	v_mul_f32_e32 v74, 0x3fb8aa3b, v19
	v_cmp_ngt_f32_e64 s64, 0xc2ce8ed0, v19
	v_add_f32_e32 v73, v73, v18
	v_fma_f32 v75, 0x3fb8aa3b, v19, -v74
	v_rndne_f32_e32 v76, v74
	v_fmac_f32_e32 v75, 0x32a5705f, v19
	v_sub_f32_e32 v74, v74, v76
	v_add_f32_e32 v74, v74, v75
	v_cvt_i32_f32_e32 v75, v76
	;; [unrolled: 14-line block ×60, first 2 shown]
	v_exp_f32_e32 v74, v74
	v_ldexp_f32 v74, v74, v75
	v_rndne_f32_e32 v75, v69
	v_cndmask_b32_e64 v74, 0, v74, s64
	v_cmp_nlt_f32_e64 s64, 0x42b17218, v8
	v_cndmask_b32_e64 v8, 0x7f800000, v74, s64
	v_fma_f32 v74, 0x3fb8aa3b, v7, -v69
	v_sub_f32_e32 v69, v69, v75
	v_cmp_ngt_f32_e64 s64, 0xc2ce8ed0, v7
	v_add_f32_e32 v73, v73, v8
	v_fmac_f32_e32 v74, 0x32a5705f, v7
	v_add_f32_e32 v69, v69, v74
	v_cvt_i32_f32_e32 v74, v75
	v_exp_f32_e32 v69, v69
	v_ldexp_f32 v69, v69, v74
	v_cndmask_b32_e64 v69, 0, v69, s64
	v_cmp_nlt_f32_e64 s64, 0x42b17218, v7
	v_cndmask_b32_e64 v7, 0x7f800000, v69, s64
	v_add_f32_e32 v69, v73, v7
	ds_bpermute_b32 v0, v0, v69
	s_waitcnt lgkmcnt(0)
	v_add_f32_e32 v0, v69, v0
	ds_bpermute_b32 v3, v3, v0
	s_waitcnt lgkmcnt(0)
	;; [unrolled: 3-line block ×4, first 2 shown]
	v_add_f32_e32 v0, v0, v3
	ds_bpermute_b32 v3, v20, v0
	v_cmpx_lt_i32_e32 0, v5
	s_cbranch_execz .LBB481_322
; %bb.129:
	s_and_b32 exec_lo, exec_lo, vcc_lo
	s_cbranch_execz .LBB481_322
; %bb.130:
	s_waitcnt lgkmcnt(0)
	v_add_f32_e32 v3, v0, v3
	v_mov_b32_e32 v4, 0x7fc0
	v_cmp_neq_f32_e64 s64, 0, v3
	s_and_saveexec_b32 s65, s64
	s_cbranch_execz .LBB481_132
; %bb.131:
	v_div_scale_f32 v0, null, v3, v3, v14
	v_div_scale_f32 v6, vcc_lo, v14, v3, v14
	v_rcp_f32_e32 v4, v0
	v_fma_f32 v5, -v0, v4, 1.0
	v_fmac_f32_e32 v4, v5, v4
	v_mul_f32_e32 v5, v6, v4
	v_fma_f32 v20, -v0, v5, v6
	v_fmac_f32_e32 v5, v20, v4
	v_fma_f32 v0, -v0, v5, v6
	v_div_fmas_f32 v0, v0, v4, v5
	v_div_fixup_f32 v0, v0, v3, v14
	v_bfe_u32 v4, v0, 16, 1
	v_cmp_o_f32_e32 vcc_lo, v0, v0
	v_add3_u32 v0, v0, v4, 0x7fff
	v_mov_b32_e32 v4, 0x7fc0
	v_cndmask_b32_sdwa v4, v4, v0, vcc_lo dst_sel:DWORD dst_unused:UNUSED_PAD src0_sel:DWORD src1_sel:WORD_1
.LBB481_132:
	s_or_b32 exec_lo, exec_lo, s65
	v_add_co_u32 v0, vcc_lo, s68, v1
	v_add_co_ci_u32_e64 v1, null, s69, v2, vcc_lo
	global_store_short v[0:1], v4, off
	s_and_b32 exec_lo, exec_lo, s63
	s_cbranch_execz .LBB481_322
; %bb.133:
	v_mov_b32_e32 v2, 0x7fc0
	s_and_saveexec_b32 s63, s64
	s_cbranch_execz .LBB481_135
; %bb.134:
	v_div_scale_f32 v2, null, v3, v3, v15
	v_div_scale_f32 v6, vcc_lo, v15, v3, v15
	v_rcp_f32_e32 v4, v2
	v_fma_f32 v5, -v2, v4, 1.0
	v_fmac_f32_e32 v4, v5, v4
	v_mul_f32_e32 v5, v6, v4
	v_fma_f32 v14, -v2, v5, v6
	v_fmac_f32_e32 v5, v14, v4
	v_fma_f32 v2, -v2, v5, v6
	v_div_fmas_f32 v2, v2, v4, v5
	v_div_fixup_f32 v2, v2, v3, v15
	v_bfe_u32 v4, v2, 16, 1
	v_cmp_o_f32_e32 vcc_lo, v2, v2
	v_add3_u32 v2, v2, v4, 0x7fff
	v_mov_b32_e32 v4, 0x7fc0
	v_cndmask_b32_sdwa v2, v4, v2, vcc_lo dst_sel:DWORD dst_unused:UNUSED_PAD src0_sel:DWORD src1_sel:WORD_1
.LBB481_135:
	s_or_b32 exec_lo, exec_lo, s63
	global_store_short v[0:1], v2, off offset:64
	s_and_b32 exec_lo, exec_lo, s62
	s_cbranch_execz .LBB481_322
; %bb.136:
	v_mov_b32_e32 v2, 0x7fc0
	s_and_saveexec_b32 s62, s64
	s_cbranch_execz .LBB481_138
; %bb.137:
	v_div_scale_f32 v2, null, v3, v3, v17
	v_div_scale_f32 v6, vcc_lo, v17, v3, v17
	v_rcp_f32_e32 v4, v2
	v_fma_f32 v5, -v2, v4, 1.0
	v_fmac_f32_e32 v4, v5, v4
	v_mul_f32_e32 v5, v6, v4
	v_fma_f32 v14, -v2, v5, v6
	v_fmac_f32_e32 v5, v14, v4
	v_fma_f32 v2, -v2, v5, v6
	v_div_fmas_f32 v2, v2, v4, v5
	v_div_fixup_f32 v2, v2, v3, v17
	v_bfe_u32 v4, v2, 16, 1
	v_cmp_o_f32_e32 vcc_lo, v2, v2
	v_add3_u32 v2, v2, v4, 0x7fff
	v_mov_b32_e32 v4, 0x7fc0
	v_cndmask_b32_sdwa v2, v4, v2, vcc_lo dst_sel:DWORD dst_unused:UNUSED_PAD src0_sel:DWORD src1_sel:WORD_1
.LBB481_138:
	s_or_b32 exec_lo, exec_lo, s62
	global_store_short v[0:1], v2, off offset:128
	;; [unrolled: 26-line block ×31, first 2 shown]
	s_and_b32 exec_lo, exec_lo, s31
	s_cbranch_execz .LBB481_322
; %bb.226:
	v_mov_b32_e32 v2, 0x7fc0
	s_and_saveexec_b32 s31, s64
	s_cbranch_execz .LBB481_228
; %bb.227:
	v_div_scale_f32 v2, null, v3, v3, v58
	v_div_scale_f32 v6, vcc_lo, v58, v3, v58
	v_rcp_f32_e32 v4, v2
	v_fma_f32 v5, -v2, v4, 1.0
	v_fmac_f32_e32 v4, v5, v4
	v_mul_f32_e32 v5, v6, v4
	v_fma_f32 v14, -v2, v5, v6
	v_fmac_f32_e32 v5, v14, v4
	v_fma_f32 v2, -v2, v5, v6
	v_div_fmas_f32 v2, v2, v4, v5
	v_div_fixup_f32 v2, v2, v3, v58
	v_bfe_u32 v4, v2, 16, 1
	v_cmp_o_f32_e32 vcc_lo, v2, v2
	v_add3_u32 v2, v2, v4, 0x7fff
	v_mov_b32_e32 v4, 0x7fc0
	v_cndmask_b32_sdwa v2, v4, v2, vcc_lo dst_sel:DWORD dst_unused:UNUSED_PAD src0_sel:DWORD src1_sel:WORD_1
.LBB481_228:
	s_or_b32 exec_lo, exec_lo, s31
	v_add_co_u32 v0, vcc_lo, 0x800, v0
	v_add_co_ci_u32_e64 v1, null, 0, v1, vcc_lo
	global_store_short v[0:1], v2, off
	s_and_b32 exec_lo, exec_lo, s30
	s_cbranch_execz .LBB481_322
; %bb.229:
	v_mov_b32_e32 v2, 0x7fc0
	s_and_saveexec_b32 s30, s64
	s_cbranch_execz .LBB481_231
; %bb.230:
	v_div_scale_f32 v2, null, v3, v3, v62
	v_div_scale_f32 v6, vcc_lo, v62, v3, v62
	v_rcp_f32_e32 v4, v2
	v_fma_f32 v5, -v2, v4, 1.0
	v_fmac_f32_e32 v4, v5, v4
	v_mul_f32_e32 v5, v6, v4
	v_fma_f32 v14, -v2, v5, v6
	v_fmac_f32_e32 v5, v14, v4
	v_fma_f32 v2, -v2, v5, v6
	v_div_fmas_f32 v2, v2, v4, v5
	v_div_fixup_f32 v2, v2, v3, v62
	v_bfe_u32 v4, v2, 16, 1
	v_cmp_o_f32_e32 vcc_lo, v2, v2
	v_add3_u32 v2, v2, v4, 0x7fff
	v_mov_b32_e32 v4, 0x7fc0
	v_cndmask_b32_sdwa v2, v4, v2, vcc_lo dst_sel:DWORD dst_unused:UNUSED_PAD src0_sel:DWORD src1_sel:WORD_1
.LBB481_231:
	s_or_b32 exec_lo, exec_lo, s30
	global_store_short v[0:1], v2, off offset:64
	s_and_b32 exec_lo, exec_lo, s29
	s_cbranch_execz .LBB481_322
; %bb.232:
	v_mov_b32_e32 v2, 0x7fc0
	s_and_saveexec_b32 s29, s64
	s_cbranch_execz .LBB481_234
; %bb.233:
	v_div_scale_f32 v2, null, v3, v3, v60
	v_div_scale_f32 v6, vcc_lo, v60, v3, v60
	v_rcp_f32_e32 v4, v2
	v_fma_f32 v5, -v2, v4, 1.0
	v_fmac_f32_e32 v4, v5, v4
	v_mul_f32_e32 v5, v6, v4
	v_fma_f32 v14, -v2, v5, v6
	v_fmac_f32_e32 v5, v14, v4
	v_fma_f32 v2, -v2, v5, v6
	v_div_fmas_f32 v2, v2, v4, v5
	v_div_fixup_f32 v2, v2, v3, v60
	v_bfe_u32 v4, v2, 16, 1
	v_cmp_o_f32_e32 vcc_lo, v2, v2
	v_add3_u32 v2, v2, v4, 0x7fff
	v_mov_b32_e32 v4, 0x7fc0
	v_cndmask_b32_sdwa v2, v4, v2, vcc_lo dst_sel:DWORD dst_unused:UNUSED_PAD src0_sel:DWORD src1_sel:WORD_1
.LBB481_234:
	s_or_b32 exec_lo, exec_lo, s29
	global_store_short v[0:1], v2, off offset:128
	;; [unrolled: 26-line block ×31, first 2 shown]
.LBB481_322:
	s_endpgm
	.section	.rodata,"a",@progbits
	.p2align	6, 0x0
	.amdhsa_kernel _ZN12_GLOBAL__N_120softmax_warp_forwardIN3c108BFloat16ES2_fLi11ELb0ELb0ELi32EEEvPT0_PKT_iiiPKbib
		.amdhsa_group_segment_fixed_size 0
		.amdhsa_private_segment_fixed_size 0
		.amdhsa_kernarg_size 304
		.amdhsa_user_sgpr_count 6
		.amdhsa_user_sgpr_private_segment_buffer 1
		.amdhsa_user_sgpr_dispatch_ptr 0
		.amdhsa_user_sgpr_queue_ptr 0
		.amdhsa_user_sgpr_kernarg_segment_ptr 1
		.amdhsa_user_sgpr_dispatch_id 0
		.amdhsa_user_sgpr_flat_scratch_init 0
		.amdhsa_user_sgpr_private_segment_size 0
		.amdhsa_wavefront_size32 1
		.amdhsa_uses_dynamic_stack 0
		.amdhsa_system_sgpr_private_segment_wavefront_offset 0
		.amdhsa_system_sgpr_workgroup_id_x 1
		.amdhsa_system_sgpr_workgroup_id_y 0
		.amdhsa_system_sgpr_workgroup_id_z 0
		.amdhsa_system_sgpr_workgroup_info 0
		.amdhsa_system_vgpr_workitem_id 1
		.amdhsa_next_free_vgpr 77
		.amdhsa_next_free_sgpr 76
		.amdhsa_reserve_vcc 1
		.amdhsa_reserve_flat_scratch 0
		.amdhsa_float_round_mode_32 0
		.amdhsa_float_round_mode_16_64 0
		.amdhsa_float_denorm_mode_32 3
		.amdhsa_float_denorm_mode_16_64 3
		.amdhsa_dx10_clamp 1
		.amdhsa_ieee_mode 1
		.amdhsa_fp16_overflow 0
		.amdhsa_workgroup_processor_mode 1
		.amdhsa_memory_ordered 1
		.amdhsa_forward_progress 1
		.amdhsa_shared_vgpr_count 0
		.amdhsa_exception_fp_ieee_invalid_op 0
		.amdhsa_exception_fp_denorm_src 0
		.amdhsa_exception_fp_ieee_div_zero 0
		.amdhsa_exception_fp_ieee_overflow 0
		.amdhsa_exception_fp_ieee_underflow 0
		.amdhsa_exception_fp_ieee_inexact 0
		.amdhsa_exception_int_div_zero 0
	.end_amdhsa_kernel
	.section	.text._ZN12_GLOBAL__N_120softmax_warp_forwardIN3c108BFloat16ES2_fLi11ELb0ELb0ELi32EEEvPT0_PKT_iiiPKbib,"axG",@progbits,_ZN12_GLOBAL__N_120softmax_warp_forwardIN3c108BFloat16ES2_fLi11ELb0ELb0ELi32EEEvPT0_PKT_iiiPKbib,comdat
.Lfunc_end481:
	.size	_ZN12_GLOBAL__N_120softmax_warp_forwardIN3c108BFloat16ES2_fLi11ELb0ELb0ELi32EEEvPT0_PKT_iiiPKbib, .Lfunc_end481-_ZN12_GLOBAL__N_120softmax_warp_forwardIN3c108BFloat16ES2_fLi11ELb0ELb0ELi32EEEvPT0_PKT_iiiPKbib
                                        ; -- End function
	.set _ZN12_GLOBAL__N_120softmax_warp_forwardIN3c108BFloat16ES2_fLi11ELb0ELb0ELi32EEEvPT0_PKT_iiiPKbib.num_vgpr, 77
	.set _ZN12_GLOBAL__N_120softmax_warp_forwardIN3c108BFloat16ES2_fLi11ELb0ELb0ELi32EEEvPT0_PKT_iiiPKbib.num_agpr, 0
	.set _ZN12_GLOBAL__N_120softmax_warp_forwardIN3c108BFloat16ES2_fLi11ELb0ELb0ELi32EEEvPT0_PKT_iiiPKbib.numbered_sgpr, 76
	.set _ZN12_GLOBAL__N_120softmax_warp_forwardIN3c108BFloat16ES2_fLi11ELb0ELb0ELi32EEEvPT0_PKT_iiiPKbib.num_named_barrier, 0
	.set _ZN12_GLOBAL__N_120softmax_warp_forwardIN3c108BFloat16ES2_fLi11ELb0ELb0ELi32EEEvPT0_PKT_iiiPKbib.private_seg_size, 0
	.set _ZN12_GLOBAL__N_120softmax_warp_forwardIN3c108BFloat16ES2_fLi11ELb0ELb0ELi32EEEvPT0_PKT_iiiPKbib.uses_vcc, 1
	.set _ZN12_GLOBAL__N_120softmax_warp_forwardIN3c108BFloat16ES2_fLi11ELb0ELb0ELi32EEEvPT0_PKT_iiiPKbib.uses_flat_scratch, 0
	.set _ZN12_GLOBAL__N_120softmax_warp_forwardIN3c108BFloat16ES2_fLi11ELb0ELb0ELi32EEEvPT0_PKT_iiiPKbib.has_dyn_sized_stack, 0
	.set _ZN12_GLOBAL__N_120softmax_warp_forwardIN3c108BFloat16ES2_fLi11ELb0ELb0ELi32EEEvPT0_PKT_iiiPKbib.has_recursion, 0
	.set _ZN12_GLOBAL__N_120softmax_warp_forwardIN3c108BFloat16ES2_fLi11ELb0ELb0ELi32EEEvPT0_PKT_iiiPKbib.has_indirect_call, 0
	.section	.AMDGPU.csdata,"",@progbits
; Kernel info:
; codeLenInByte = 22084
; TotalNumSgprs: 78
; NumVgprs: 77
; ScratchSize: 0
; MemoryBound: 0
; FloatMode: 240
; IeeeMode: 1
; LDSByteSize: 0 bytes/workgroup (compile time only)
; SGPRBlocks: 0
; VGPRBlocks: 9
; NumSGPRsForWavesPerEU: 78
; NumVGPRsForWavesPerEU: 77
; Occupancy: 12
; WaveLimiterHint : 0
; COMPUTE_PGM_RSRC2:SCRATCH_EN: 0
; COMPUTE_PGM_RSRC2:USER_SGPR: 6
; COMPUTE_PGM_RSRC2:TRAP_HANDLER: 0
; COMPUTE_PGM_RSRC2:TGID_X_EN: 1
; COMPUTE_PGM_RSRC2:TGID_Y_EN: 0
; COMPUTE_PGM_RSRC2:TGID_Z_EN: 0
; COMPUTE_PGM_RSRC2:TIDIG_COMP_CNT: 1
	.section	.text._ZN2at6native12_GLOBAL__N_123cunn_SoftMaxForwardGmemILi8EN3c108BFloat16EfS4_NS1_29SoftMaxForwardWithMulEpilogueElEEvPT2_PKT0_T4_,"axG",@progbits,_ZN2at6native12_GLOBAL__N_123cunn_SoftMaxForwardGmemILi8EN3c108BFloat16EfS4_NS1_29SoftMaxForwardWithMulEpilogueElEEvPT2_PKT0_T4_,comdat
	.globl	_ZN2at6native12_GLOBAL__N_123cunn_SoftMaxForwardGmemILi8EN3c108BFloat16EfS4_NS1_29SoftMaxForwardWithMulEpilogueElEEvPT2_PKT0_T4_ ; -- Begin function _ZN2at6native12_GLOBAL__N_123cunn_SoftMaxForwardGmemILi8EN3c108BFloat16EfS4_NS1_29SoftMaxForwardWithMulEpilogueElEEvPT2_PKT0_T4_
	.p2align	8
	.type	_ZN2at6native12_GLOBAL__N_123cunn_SoftMaxForwardGmemILi8EN3c108BFloat16EfS4_NS1_29SoftMaxForwardWithMulEpilogueElEEvPT2_PKT0_T4_,@function
_ZN2at6native12_GLOBAL__N_123cunn_SoftMaxForwardGmemILi8EN3c108BFloat16EfS4_NS1_29SoftMaxForwardWithMulEpilogueElEEvPT2_PKT0_T4_: ; @_ZN2at6native12_GLOBAL__N_123cunn_SoftMaxForwardGmemILi8EN3c108BFloat16EfS4_NS1_29SoftMaxForwardWithMulEpilogueElEEvPT2_PKT0_T4_
; %bb.0:
	s_clause 0x1
	s_load_dwordx2 s[12:13], s[4:5], 0x10
	s_load_dwordx4 s[8:11], s[4:5], 0x0
	v_mov_b32_e32 v1, 0
	v_lshlrev_b32_e32 v2, 3, v0
	v_mov_b32_e32 v7, 0xff7fffff
	v_lshlrev_b32_e32 v6, 4, v0
	v_mov_b32_e32 v3, v1
	s_waitcnt lgkmcnt(0)
	v_cmp_gt_i64_e64 s0, s[12:13], v[2:3]
	s_mul_i32 s1, s13, s6
	s_mul_hi_u32 s2, s12, s6
	s_mul_i32 s6, s12, s6
	s_add_i32 s7, s2, s1
	s_and_saveexec_b32 s2, s0
	s_cbranch_execz .LBB482_4
; %bb.1:
	s_load_dword s1, s[4:5], 0x24
	s_lshl_b64 s[14:15], s[6:7], 1
	v_mov_b32_e32 v5, v1
	v_mov_b32_e32 v7, 0xff7fffff
	;; [unrolled: 1-line block ×3, first 2 shown]
	s_waitcnt lgkmcnt(0)
	s_and_b32 s3, s1, 0xffff
	s_add_u32 s1, s10, s14
	s_addc_u32 s14, s11, s15
	v_add_co_u32 v2, s1, s1, v6
	v_add_co_ci_u32_e64 v3, null, s14, 0, s1
	s_mov_b32 s14, 0
	v_add_co_u32 v2, vcc_lo, v2, 14
	v_add_co_ci_u32_e64 v3, null, 0, v3, vcc_lo
	s_lshl_b32 s15, s3, 4
	s_inst_prefetch 0x1
	.p2align	6
.LBB482_2:                              ; =>This Inner Loop Header: Depth=1
	global_load_dwordx4 v[8:11], v[2:3], off offset:-14
	v_add_co_u32 v4, vcc_lo, v4, s3
	v_add_co_ci_u32_e64 v5, null, 0, v5, vcc_lo
	v_add_co_u32 v2, s1, v2, s15
	v_add_co_ci_u32_e64 v3, null, 0, v3, s1
	s_waitcnt vmcnt(0)
	v_lshlrev_b32_e32 v12, 16, v8
	v_and_b32_e32 v8, 0xffff0000, v8
	v_lshlrev_b32_e32 v13, 16, v9
	v_and_b32_e32 v9, 0xffff0000, v9
	;; [unrolled: 2-line block ×3, first 2 shown]
	v_max3_f32 v12, v7, v12, v8
	v_lshlrev_b64 v[7:8], 3, v[4:5]
	v_max3_f32 v9, v12, v13, v9
	v_cmp_le_i64_e32 vcc_lo, s[12:13], v[7:8]
	v_lshlrev_b32_e32 v7, 16, v11
	v_and_b32_e32 v8, 0xffff0000, v11
	v_max3_f32 v9, v9, v14, v10
	s_or_b32 s14, vcc_lo, s14
	v_max3_f32 v7, v9, v7, v8
	s_andn2_b32 exec_lo, exec_lo, s14
	s_cbranch_execnz .LBB482_2
; %bb.3:
	s_inst_prefetch 0x2
	s_or_b32 exec_lo, exec_lo, s14
.LBB482_4:
	s_or_b32 exec_lo, exec_lo, s2
	v_mbcnt_lo_u32_b32 v2, -1, 0
	v_lshrrev_b32_e32 v13, 3, v0
	s_barrier
	buffer_gl0_inv
	v_lshl_or_b32 v8, v2, 2, 64
	v_cmp_gt_u32_e32 vcc_lo, 24, v2
	ds_bpermute_b32 v3, v8, v7
	v_cndmask_b32_e64 v4, 0, 8, vcc_lo
	v_add_lshl_u32 v9, v4, v2, 2
	s_waitcnt lgkmcnt(0)
	v_cmp_lt_f32_e32 vcc_lo, v7, v3
	v_cndmask_b32_e32 v3, v7, v3, vcc_lo
	v_cmp_gt_u32_e32 vcc_lo, 28, v2
	ds_bpermute_b32 v4, v9, v3
	v_cndmask_b32_e64 v5, 0, 4, vcc_lo
	v_add_lshl_u32 v10, v5, v2, 2
	s_waitcnt lgkmcnt(0)
	v_cmp_lt_f32_e32 vcc_lo, v3, v4
	v_cndmask_b32_e32 v3, v3, v4, vcc_lo
	;; [unrolled: 7-line block ×3, first 2 shown]
	v_cmp_ne_u32_e32 vcc_lo, 31, v2
	ds_bpermute_b32 v4, v11, v3
	v_add_co_ci_u32_e64 v5, null, 0, v2, vcc_lo
	v_lshlrev_b32_e32 v12, 2, v5
	s_waitcnt lgkmcnt(0)
	v_cmp_lt_f32_e32 vcc_lo, v3, v4
	v_cndmask_b32_e32 v2, v3, v4, vcc_lo
	v_and_b32_e32 v3, 31, v0
	ds_bpermute_b32 v4, v12, v2
	v_cmp_eq_u32_e32 vcc_lo, 0, v3
	s_and_saveexec_b32 s2, vcc_lo
	s_cbranch_execz .LBB482_6
; %bb.5:
	s_waitcnt lgkmcnt(0)
	v_cmp_lt_f32_e64 s1, v2, v4
	v_add_nc_u32_e32 v5, 0, v13
	v_cndmask_b32_e64 v2, v2, v4, s1
	ds_write_b32 v5, v2
.LBB482_6:
	s_or_b32 exec_lo, exec_lo, s2
	s_waitcnt lgkmcnt(0)
	s_barrier
	buffer_gl0_inv
	s_load_dword s14, s[4:5], 0x24
	v_mov_b32_e32 v2, 0xff7fffff
	v_lshl_add_u32 v14, v3, 2, 0
	s_waitcnt lgkmcnt(0)
	s_bfe_u32 s1, s14, 0xb0005
	v_cmp_gt_u32_e64 s1, s1, v0
	s_and_saveexec_b32 s2, s1
	s_cbranch_execnz .LBB482_24
; %bb.7:
	s_or_b32 exec_lo, exec_lo, s2
	v_cmp_gt_u32_e64 s2, 32, v0
	s_and_saveexec_b32 s4, s2
	s_cbranch_execnz .LBB482_25
.LBB482_8:
	s_or_b32 exec_lo, exec_lo, s4
	v_cmp_eq_u32_e64 s3, 0, v0
	s_and_saveexec_b32 s4, s3
	s_cbranch_execz .LBB482_10
.LBB482_9:
	v_mov_b32_e32 v3, 0
	s_waitcnt lgkmcnt(0)
	ds_write_b32 v3, v2
.LBB482_10:
	s_or_b32 exec_lo, exec_lo, s4
	v_mov_b32_e32 v15, 0
	s_waitcnt lgkmcnt(0)
	s_barrier
	buffer_gl0_inv
	s_mov_b32 s16, 0
	ds_read_b32 v7, v15
	s_and_saveexec_b32 s15, s0
	s_cbranch_execz .LBB482_14
; %bb.11:
	s_lshl_b64 s[4:5], s[6:7], 1
	s_and_b32 s17, s14, 0xffff
	s_add_u32 s4, s10, s4
	s_addc_u32 s5, s11, s5
	v_add_co_u32 v2, s4, s4, v6
	v_add_co_ci_u32_e64 v3, null, s5, 0, s4
	v_mov_b32_e32 v5, v1
	v_add_co_u32 v2, s4, v2, 14
	v_mov_b32_e32 v15, 0
	v_add_co_ci_u32_e64 v3, null, 0, v3, s4
	v_mov_b32_e32 v4, v0
	s_lshl_b32 s18, s17, 4
.LBB482_12:                             ; =>This Inner Loop Header: Depth=1
	global_load_dwordx4 v[16:19], v[2:3], off offset:-14
	v_add_co_u32 v4, s4, v4, s17
	v_add_co_ci_u32_e64 v5, null, 0, v5, s4
	v_add_co_u32 v2, s5, v2, s18
	v_add_co_ci_u32_e64 v3, null, 0, v3, s5
	s_waitcnt vmcnt(0)
	v_lshlrev_b32_e32 v20, 16, v16
	v_and_b32_e32 v16, 0xffff0000, v16
	v_lshlrev_b32_e32 v21, 16, v17
	v_and_b32_e32 v17, 0xffff0000, v17
	v_lshlrev_b32_e32 v22, 16, v18
	s_waitcnt lgkmcnt(0)
	v_sub_f32_e32 v20, v20, v7
	v_sub_f32_e32 v16, v16, v7
	;; [unrolled: 1-line block ×4, first 2 shown]
	v_and_b32_e32 v18, 0xffff0000, v18
	v_mul_f32_e32 v20, 0x3fb8aa3b, v20
	v_mul_f32_e32 v16, 0x3fb8aa3b, v16
	;; [unrolled: 1-line block ×3, first 2 shown]
	v_sub_f32_e32 v22, v22, v7
	v_mul_f32_e32 v17, 0x3fb8aa3b, v17
	v_exp_f32_e32 v20, v20
	v_exp_f32_e32 v16, v16
	;; [unrolled: 1-line block ×3, first 2 shown]
	v_lshlrev_b32_e32 v23, 16, v19
	v_sub_f32_e32 v18, v18, v7
	v_exp_f32_e32 v17, v17
	v_and_b32_e32 v19, 0xffff0000, v19
	v_mul_f32_e32 v18, 0x3fb8aa3b, v18
	v_add_f32_e32 v15, v15, v20
	v_mul_f32_e32 v20, 0x3fb8aa3b, v22
	v_sub_f32_e32 v19, v19, v7
	v_exp_f32_e32 v18, v18
	v_add_f32_e32 v15, v15, v16
	v_sub_f32_e32 v16, v23, v7
	v_exp_f32_e32 v20, v20
	v_add_f32_e32 v15, v15, v21
	v_mul_f32_e32 v16, 0x3fb8aa3b, v16
	v_add_f32_e32 v15, v15, v17
	v_mul_f32_e32 v17, 0x3fb8aa3b, v19
	v_exp_f32_e32 v19, v16
	v_add_f32_e32 v20, v15, v20
	v_lshlrev_b64 v[15:16], 3, v[4:5]
	v_exp_f32_e32 v17, v17
	v_add_f32_e32 v18, v20, v18
	v_cmp_le_i64_e64 s4, s[12:13], v[15:16]
	v_add_f32_e32 v15, v18, v19
	s_or_b32 s16, s4, s16
	v_add_f32_e32 v15, v15, v17
	s_andn2_b32 exec_lo, exec_lo, s16
	s_cbranch_execnz .LBB482_12
; %bb.13:
	s_or_b32 exec_lo, exec_lo, s16
.LBB482_14:
	s_or_b32 exec_lo, exec_lo, s15
	ds_bpermute_b32 v2, v8, v15
	s_waitcnt lgkmcnt(0)
	s_barrier
	buffer_gl0_inv
	v_add_f32_e32 v2, v15, v2
	ds_bpermute_b32 v3, v9, v2
	s_waitcnt lgkmcnt(0)
	v_add_f32_e32 v2, v2, v3
	ds_bpermute_b32 v3, v10, v2
	s_waitcnt lgkmcnt(0)
	;; [unrolled: 3-line block ×3, first 2 shown]
	v_add_f32_e32 v2, v2, v3
	ds_bpermute_b32 v3, v12, v2
	s_and_saveexec_b32 s4, vcc_lo
	s_cbranch_execz .LBB482_16
; %bb.15:
	v_add_nc_u32_e32 v4, 0, v13
	s_waitcnt lgkmcnt(0)
	v_add_f32_e32 v2, v2, v3
	ds_write_b32 v4, v2
.LBB482_16:
	s_or_b32 exec_lo, exec_lo, s4
	v_mov_b32_e32 v2, 0
	s_waitcnt lgkmcnt(0)
	s_barrier
	buffer_gl0_inv
	s_and_saveexec_b32 s4, s1
	s_cbranch_execnz .LBB482_26
; %bb.17:
	s_or_b32 exec_lo, exec_lo, s4
	s_and_saveexec_b32 s1, s2
	s_cbranch_execnz .LBB482_27
.LBB482_18:
	s_or_b32 exec_lo, exec_lo, s1
	s_and_saveexec_b32 s1, s3
	s_cbranch_execz .LBB482_20
.LBB482_19:
	s_waitcnt lgkmcnt(0)
	v_div_scale_f32 v3, null, v2, v2, 1.0
	v_div_scale_f32 v8, vcc_lo, 1.0, v2, 1.0
	v_rcp_f32_e32 v4, v3
	v_fma_f32 v5, -v3, v4, 1.0
	v_fmac_f32_e32 v4, v5, v4
	v_mul_f32_e32 v5, v8, v4
	v_fma_f32 v9, -v3, v5, v8
	v_fmac_f32_e32 v5, v9, v4
	v_fma_f32 v3, -v3, v5, v8
	v_div_fmas_f32 v3, v3, v4, v5
	v_div_fixup_f32 v2, v3, v2, 1.0
	v_mov_b32_e32 v3, 0
	ds_write_b32 v3, v2
.LBB482_20:
	s_or_b32 exec_lo, exec_lo, s1
	s_waitcnt lgkmcnt(0)
	s_barrier
	buffer_gl0_inv
	s_and_saveexec_b32 s1, s0
	s_cbranch_execz .LBB482_23
; %bb.21:
	v_mov_b32_e32 v2, 0
	s_lshl_b64 s[0:1], s[6:7], 1
	v_mov_b32_e32 v3, 1
	s_add_u32 s7, s10, s0
	s_addc_u32 s10, s11, s1
	ds_read_b32 v2, v2
	s_add_u32 s8, s8, s0
	s_addc_u32 s9, s9, s1
	s_and_b32 s11, s14, 0xffff
	s_mov_b32 s14, 0
	s_lshl_b32 s15, s11, 4
.LBB482_22:                             ; =>This Inner Loop Header: Depth=1
	v_add_co_u32 v4, s0, s7, v6
	v_add_co_ci_u32_e64 v5, null, s10, 0, s0
	v_add_co_u32 v0, vcc_lo, v0, s11
	v_add_co_ci_u32_e64 v1, null, 0, v1, vcc_lo
	global_load_dwordx4 v[8:11], v[4:5], off
	v_add_co_u32 v4, s0, s8, v6
	v_add_co_ci_u32_e64 v5, null, s9, 0, s0
	v_lshlrev_b64 v[12:13], 3, v[0:1]
	s_add_u32 s7, s7, s15
	s_addc_u32 s10, s10, 0
	s_add_u32 s8, s8, s15
	s_addc_u32 s9, s9, 0
	s_waitcnt vmcnt(0)
	v_lshlrev_b32_e32 v14, 16, v8
	v_and_b32_e32 v8, 0xffff0000, v8
	v_lshlrev_b32_e32 v15, 16, v9
	v_and_b32_e32 v9, 0xffff0000, v9
	;; [unrolled: 2-line block ×4, first 2 shown]
	v_sub_f32_e32 v14, v14, v7
	v_sub_f32_e32 v8, v8, v7
	;; [unrolled: 1-line block ×8, first 2 shown]
	v_mul_f32_e32 v14, 0x3fb8aa3b, v14
	v_mul_f32_e32 v8, 0x3fb8aa3b, v8
	;; [unrolled: 1-line block ×8, first 2 shown]
	v_exp_f32_e32 v14, v14
	v_exp_f32_e32 v8, v8
	;; [unrolled: 1-line block ×8, first 2 shown]
	s_waitcnt lgkmcnt(0)
	v_mul_f32_e32 v14, v2, v14
	v_mul_f32_e32 v8, v2, v8
	;; [unrolled: 1-line block ×8, first 2 shown]
	v_and_b32_sdwa v18, v8, v3 dst_sel:DWORD dst_unused:UNUSED_PAD src0_sel:WORD_1 src1_sel:DWORD
	v_and_b32_sdwa v19, v14, v3 dst_sel:DWORD dst_unused:UNUSED_PAD src0_sel:WORD_1 src1_sel:DWORD
	;; [unrolled: 1-line block ×8, first 2 shown]
	v_add3_u32 v18, v8, v18, 0x7fff
	v_add3_u32 v19, v14, v19, 0x7fff
	;; [unrolled: 1-line block ×8, first 2 shown]
	v_lshrrev_b32_e32 v19, 16, v19
	v_lshrrev_b32_e32 v18, 16, v18
	v_cmp_o_f32_e32 vcc_lo, v8, v8
	v_lshrrev_b32_e32 v8, 16, v21
	v_lshrrev_b32_e32 v20, 16, v20
	v_cmp_o_f32_e64 s0, v15, v15
	v_cmp_o_f32_e64 s1, v9, v9
	v_lshrrev_b32_e32 v9, 16, v23
	v_lshrrev_b32_e32 v15, 16, v22
	v_cmp_o_f32_e64 s2, v16, v16
	v_cmp_o_f32_e64 s3, v10, v10
	;; [unrolled: 4-line block ×3, first 2 shown]
	v_cmp_o_f32_e64 s6, v14, v14
	v_cndmask_b32_e64 v8, 0x7fc0, v8, s0
	v_cndmask_b32_e64 v9, 0x7fc0, v9, s2
	;; [unrolled: 1-line block ×7, first 2 shown]
	v_cndmask_b32_e32 v17, 0x7fc0, v18, vcc_lo
	v_cmp_le_i64_e32 vcc_lo, s[12:13], v[12:13]
	v_perm_b32 v11, v11, v10, 0x5040100
	v_perm_b32 v10, v15, v9, 0x5040100
	;; [unrolled: 1-line block ×4, first 2 shown]
	s_or_b32 s14, vcc_lo, s14
	global_store_dwordx4 v[4:5], v[8:11], off
	s_andn2_b32 exec_lo, exec_lo, s14
	s_cbranch_execnz .LBB482_22
.LBB482_23:
	s_endpgm
.LBB482_24:
	ds_read_b32 v2, v14
	s_or_b32 exec_lo, exec_lo, s2
	v_cmp_gt_u32_e64 s2, 32, v0
	s_and_saveexec_b32 s4, s2
	s_cbranch_execz .LBB482_8
.LBB482_25:
	s_waitcnt lgkmcnt(0)
	ds_bpermute_b32 v3, v8, v2
	s_waitcnt lgkmcnt(0)
	v_cmp_lt_f32_e64 s3, v2, v3
	v_cndmask_b32_e64 v2, v2, v3, s3
	ds_bpermute_b32 v3, v9, v2
	s_waitcnt lgkmcnt(0)
	v_cmp_lt_f32_e64 s3, v2, v3
	v_cndmask_b32_e64 v2, v2, v3, s3
	;; [unrolled: 4-line block ×5, first 2 shown]
	s_or_b32 exec_lo, exec_lo, s4
	v_cmp_eq_u32_e64 s3, 0, v0
	s_and_saveexec_b32 s4, s3
	s_cbranch_execnz .LBB482_9
	s_branch .LBB482_10
.LBB482_26:
	ds_read_b32 v2, v14
	s_or_b32 exec_lo, exec_lo, s4
	s_and_saveexec_b32 s1, s2
	s_cbranch_execz .LBB482_18
.LBB482_27:
	s_waitcnt lgkmcnt(0)
	ds_bpermute_b32 v3, v8, v2
	s_waitcnt lgkmcnt(0)
	v_add_f32_e32 v2, v2, v3
	ds_bpermute_b32 v3, v9, v2
	s_waitcnt lgkmcnt(0)
	v_add_f32_e32 v2, v2, v3
	ds_bpermute_b32 v3, v10, v2
	s_waitcnt lgkmcnt(0)
	v_add_f32_e32 v2, v2, v3
	ds_bpermute_b32 v3, v11, v2
	s_waitcnt lgkmcnt(0)
	v_add_f32_e32 v2, v2, v3
	ds_bpermute_b32 v3, v12, v2
	s_waitcnt lgkmcnt(0)
	v_add_f32_e32 v2, v2, v3
	s_or_b32 exec_lo, exec_lo, s1
	s_and_saveexec_b32 s1, s3
	s_cbranch_execnz .LBB482_19
	s_branch .LBB482_20
	.section	.rodata,"a",@progbits
	.p2align	6, 0x0
	.amdhsa_kernel _ZN2at6native12_GLOBAL__N_123cunn_SoftMaxForwardGmemILi8EN3c108BFloat16EfS4_NS1_29SoftMaxForwardWithMulEpilogueElEEvPT2_PKT0_T4_
		.amdhsa_group_segment_fixed_size 0
		.amdhsa_private_segment_fixed_size 0
		.amdhsa_kernarg_size 280
		.amdhsa_user_sgpr_count 6
		.amdhsa_user_sgpr_private_segment_buffer 1
		.amdhsa_user_sgpr_dispatch_ptr 0
		.amdhsa_user_sgpr_queue_ptr 0
		.amdhsa_user_sgpr_kernarg_segment_ptr 1
		.amdhsa_user_sgpr_dispatch_id 0
		.amdhsa_user_sgpr_flat_scratch_init 0
		.amdhsa_user_sgpr_private_segment_size 0
		.amdhsa_wavefront_size32 1
		.amdhsa_uses_dynamic_stack 0
		.amdhsa_system_sgpr_private_segment_wavefront_offset 0
		.amdhsa_system_sgpr_workgroup_id_x 1
		.amdhsa_system_sgpr_workgroup_id_y 0
		.amdhsa_system_sgpr_workgroup_id_z 0
		.amdhsa_system_sgpr_workgroup_info 0
		.amdhsa_system_vgpr_workitem_id 0
		.amdhsa_next_free_vgpr 26
		.amdhsa_next_free_sgpr 19
		.amdhsa_reserve_vcc 1
		.amdhsa_reserve_flat_scratch 0
		.amdhsa_float_round_mode_32 0
		.amdhsa_float_round_mode_16_64 0
		.amdhsa_float_denorm_mode_32 3
		.amdhsa_float_denorm_mode_16_64 3
		.amdhsa_dx10_clamp 1
		.amdhsa_ieee_mode 1
		.amdhsa_fp16_overflow 0
		.amdhsa_workgroup_processor_mode 1
		.amdhsa_memory_ordered 1
		.amdhsa_forward_progress 1
		.amdhsa_shared_vgpr_count 0
		.amdhsa_exception_fp_ieee_invalid_op 0
		.amdhsa_exception_fp_denorm_src 0
		.amdhsa_exception_fp_ieee_div_zero 0
		.amdhsa_exception_fp_ieee_overflow 0
		.amdhsa_exception_fp_ieee_underflow 0
		.amdhsa_exception_fp_ieee_inexact 0
		.amdhsa_exception_int_div_zero 0
	.end_amdhsa_kernel
	.section	.text._ZN2at6native12_GLOBAL__N_123cunn_SoftMaxForwardGmemILi8EN3c108BFloat16EfS4_NS1_29SoftMaxForwardWithMulEpilogueElEEvPT2_PKT0_T4_,"axG",@progbits,_ZN2at6native12_GLOBAL__N_123cunn_SoftMaxForwardGmemILi8EN3c108BFloat16EfS4_NS1_29SoftMaxForwardWithMulEpilogueElEEvPT2_PKT0_T4_,comdat
.Lfunc_end482:
	.size	_ZN2at6native12_GLOBAL__N_123cunn_SoftMaxForwardGmemILi8EN3c108BFloat16EfS4_NS1_29SoftMaxForwardWithMulEpilogueElEEvPT2_PKT0_T4_, .Lfunc_end482-_ZN2at6native12_GLOBAL__N_123cunn_SoftMaxForwardGmemILi8EN3c108BFloat16EfS4_NS1_29SoftMaxForwardWithMulEpilogueElEEvPT2_PKT0_T4_
                                        ; -- End function
	.set _ZN2at6native12_GLOBAL__N_123cunn_SoftMaxForwardGmemILi8EN3c108BFloat16EfS4_NS1_29SoftMaxForwardWithMulEpilogueElEEvPT2_PKT0_T4_.num_vgpr, 26
	.set _ZN2at6native12_GLOBAL__N_123cunn_SoftMaxForwardGmemILi8EN3c108BFloat16EfS4_NS1_29SoftMaxForwardWithMulEpilogueElEEvPT2_PKT0_T4_.num_agpr, 0
	.set _ZN2at6native12_GLOBAL__N_123cunn_SoftMaxForwardGmemILi8EN3c108BFloat16EfS4_NS1_29SoftMaxForwardWithMulEpilogueElEEvPT2_PKT0_T4_.numbered_sgpr, 19
	.set _ZN2at6native12_GLOBAL__N_123cunn_SoftMaxForwardGmemILi8EN3c108BFloat16EfS4_NS1_29SoftMaxForwardWithMulEpilogueElEEvPT2_PKT0_T4_.num_named_barrier, 0
	.set _ZN2at6native12_GLOBAL__N_123cunn_SoftMaxForwardGmemILi8EN3c108BFloat16EfS4_NS1_29SoftMaxForwardWithMulEpilogueElEEvPT2_PKT0_T4_.private_seg_size, 0
	.set _ZN2at6native12_GLOBAL__N_123cunn_SoftMaxForwardGmemILi8EN3c108BFloat16EfS4_NS1_29SoftMaxForwardWithMulEpilogueElEEvPT2_PKT0_T4_.uses_vcc, 1
	.set _ZN2at6native12_GLOBAL__N_123cunn_SoftMaxForwardGmemILi8EN3c108BFloat16EfS4_NS1_29SoftMaxForwardWithMulEpilogueElEEvPT2_PKT0_T4_.uses_flat_scratch, 0
	.set _ZN2at6native12_GLOBAL__N_123cunn_SoftMaxForwardGmemILi8EN3c108BFloat16EfS4_NS1_29SoftMaxForwardWithMulEpilogueElEEvPT2_PKT0_T4_.has_dyn_sized_stack, 0
	.set _ZN2at6native12_GLOBAL__N_123cunn_SoftMaxForwardGmemILi8EN3c108BFloat16EfS4_NS1_29SoftMaxForwardWithMulEpilogueElEEvPT2_PKT0_T4_.has_recursion, 0
	.set _ZN2at6native12_GLOBAL__N_123cunn_SoftMaxForwardGmemILi8EN3c108BFloat16EfS4_NS1_29SoftMaxForwardWithMulEpilogueElEEvPT2_PKT0_T4_.has_indirect_call, 0
	.section	.AMDGPU.csdata,"",@progbits
; Kernel info:
; codeLenInByte = 2496
; TotalNumSgprs: 21
; NumVgprs: 26
; ScratchSize: 0
; MemoryBound: 0
; FloatMode: 240
; IeeeMode: 1
; LDSByteSize: 0 bytes/workgroup (compile time only)
; SGPRBlocks: 0
; VGPRBlocks: 3
; NumSGPRsForWavesPerEU: 21
; NumVGPRsForWavesPerEU: 26
; Occupancy: 16
; WaveLimiterHint : 0
; COMPUTE_PGM_RSRC2:SCRATCH_EN: 0
; COMPUTE_PGM_RSRC2:USER_SGPR: 6
; COMPUTE_PGM_RSRC2:TRAP_HANDLER: 0
; COMPUTE_PGM_RSRC2:TGID_X_EN: 1
; COMPUTE_PGM_RSRC2:TGID_Y_EN: 0
; COMPUTE_PGM_RSRC2:TGID_Z_EN: 0
; COMPUTE_PGM_RSRC2:TIDIG_COMP_CNT: 0
	.section	.text._ZN2at6native12_GLOBAL__N_123cunn_SoftMaxForwardFastILi8EN3c108BFloat16EfS4_NS1_29SoftMaxForwardWithMulEpilogueEEEvPT2_PKT0_i,"axG",@progbits,_ZN2at6native12_GLOBAL__N_123cunn_SoftMaxForwardFastILi8EN3c108BFloat16EfS4_NS1_29SoftMaxForwardWithMulEpilogueEEEvPT2_PKT0_i,comdat
	.globl	_ZN2at6native12_GLOBAL__N_123cunn_SoftMaxForwardFastILi8EN3c108BFloat16EfS4_NS1_29SoftMaxForwardWithMulEpilogueEEEvPT2_PKT0_i ; -- Begin function _ZN2at6native12_GLOBAL__N_123cunn_SoftMaxForwardFastILi8EN3c108BFloat16EfS4_NS1_29SoftMaxForwardWithMulEpilogueEEEvPT2_PKT0_i
	.p2align	8
	.type	_ZN2at6native12_GLOBAL__N_123cunn_SoftMaxForwardFastILi8EN3c108BFloat16EfS4_NS1_29SoftMaxForwardWithMulEpilogueEEEvPT2_PKT0_i,@function
_ZN2at6native12_GLOBAL__N_123cunn_SoftMaxForwardFastILi8EN3c108BFloat16EfS4_NS1_29SoftMaxForwardWithMulEpilogueEEEvPT2_PKT0_i: ; @_ZN2at6native12_GLOBAL__N_123cunn_SoftMaxForwardFastILi8EN3c108BFloat16EfS4_NS1_29SoftMaxForwardWithMulEpilogueEEEvPT2_PKT0_i
; %bb.0:
	s_clause 0x1
	s_load_dword s7, s[4:5], 0x10
	s_load_dwordx4 s[8:11], s[4:5], 0x0
	s_mov_b32 s15, 0
	s_waitcnt lgkmcnt(0)
	s_ashr_i32 s0, s7, 31
	s_mul_hi_u32 s1, s7, s6
	s_mul_i32 s2, s0, s6
	s_mul_i32 s0, s7, s6
	s_add_i32 s1, s1, s2
	s_lshl_b64 s[12:13], s[0:1], 1
	s_add_u32 s10, s10, s12
	s_addc_u32 s11, s11, s13
	s_bfe_u32 s14, s10, 0x30001
	s_cmp_lg_u32 s14, 0
	v_cmp_le_u32_e64 s0, s14, v0
	s_cselect_b32 s18, -1, 0
	s_add_u32 s2, s4, 24
	s_addc_u32 s3, s5, 0
	s_and_b32 vcc_lo, exec_lo, s18
	s_cbranch_vccz .LBB483_25
; %bb.1:
	s_lshl_b64 s[2:3], s[14:15], 1
	v_mov_b32_e32 v5, 0xff7fffff
	s_sub_u32 s16, s10, s2
	s_subb_u32 s17, s11, s3
	s_add_i32 s1, s14, s7
	v_cmp_gt_i32_e32 vcc_lo, s1, v0
	s_and_b32 s2, s0, vcc_lo
	s_and_saveexec_b32 s0, s2
	s_cbranch_execz .LBB483_3
; %bb.2:
	v_lshlrev_b32_e32 v1, 1, v0
	global_load_ushort v1, v1, s[16:17]
	s_waitcnt vmcnt(0)
	v_lshlrev_b32_e32 v1, 16, v1
	v_max_f32_e32 v1, v1, v1
	v_max_f32_e32 v5, 0xff7fffff, v1
.LBB483_3:
	s_or_b32 exec_lo, exec_lo, s0
	s_load_dword s0, s[4:5], 0x24
	s_add_u32 s2, s4, 24
	s_addc_u32 s3, s5, 0
	s_waitcnt lgkmcnt(0)
	s_and_b32 s0, s0, 0xffff
	v_sub_nc_u32_e64 v1, s1, s0 clamp
	s_lshl_b32 s0, s0, 1
	s_add_u32 s0, s16, s0
	s_addc_u32 s1, s17, 0
	v_readfirstlane_b32 s15, v1
	s_branch .LBB483_5
.LBB483_4:
	v_mov_b32_e32 v5, 0xff7fffff
	s_mov_b32 s15, s7
	s_mov_b64 s[0:1], s[10:11]
.LBB483_5:
	s_load_dword s16, s[2:3], 0x0
	v_mov_b32_e32 v1, 0
	v_lshlrev_b32_e32 v11, 3, v0
	s_waitcnt lgkmcnt(0)
	s_cmp_lt_u32 s6, s16
	s_cselect_b32 s16, 12, 18
	s_add_u32 s2, s2, s16
	s_addc_u32 s3, s3, 0
	global_load_ushort v3, v1, s[2:3]
	s_waitcnt vmcnt(0)
	v_readfirstlane_b32 s2, v3
	s_lshl_b32 s2, s2, 3
	v_cvt_f32_u32_e32 v1, s2
	s_sub_i32 s16, 0, s2
	v_rcp_iflag_f32_e32 v1, v1
	v_mul_f32_e32 v1, 0x4f7ffffe, v1
	v_cvt_u32_f32_e32 v1, v1
	v_readfirstlane_b32 s3, v1
	s_mul_i32 s16, s16, s3
	s_mul_hi_u32 s16, s3, s16
	s_add_i32 s3, s3, s16
	s_mul_hi_u32 s3, s15, s3
	s_mul_i32 s3, s3, s2
	s_sub_i32 s3, s15, s3
	s_sub_i32 s16, s3, s2
	s_cmp_ge_u32 s3, s2
	s_cselect_b32 s3, s16, s3
	s_sub_i32 s16, s3, s2
	s_cmp_ge_u32 s3, s2
	s_cselect_b32 s2, s16, s3
	s_mov_b32 s16, 0
	s_sub_i32 s2, s15, s2
	s_mov_b32 s3, exec_lo
	v_cmpx_gt_i32_e64 s2, v11
	s_cbranch_execz .LBB483_9
; %bb.6:
	v_mov_b32_e32 v1, v0
	s_inst_prefetch 0x1
	.p2align	6
.LBB483_7:                              ; =>This Inner Loop Header: Depth=1
	v_ashrrev_i32_e32 v2, 31, v1
	v_lshlrev_b64 v[6:7], 4, v[1:2]
	v_add_nc_u32_e32 v1, v1, v3
	v_add_co_u32 v6, vcc_lo, s0, v6
	v_add_co_ci_u32_e64 v7, null, s1, v7, vcc_lo
	global_load_dwordx4 v[6:9], v[6:7], off
	s_waitcnt vmcnt(0)
	v_lshlrev_b32_e32 v2, 16, v6
	v_and_b32_e32 v4, 0xffff0000, v6
	v_lshlrev_b32_e32 v6, 16, v7
	v_and_b32_e32 v7, 0xffff0000, v7
	v_max3_f32 v2, v5, v2, v4
	v_lshlrev_b32_e32 v4, 16, v8
	v_and_b32_e32 v5, 0xffff0000, v8
	v_and_b32_e32 v8, 0xffff0000, v9
	v_max3_f32 v2, v2, v6, v7
	v_lshlrev_b32_e32 v6, 3, v1
	v_lshlrev_b32_e32 v7, 16, v9
	v_max3_f32 v2, v2, v4, v5
	v_cmp_le_i32_e32 vcc_lo, s2, v6
	v_max3_f32 v5, v2, v7, v8
	s_or_b32 s16, vcc_lo, s16
	s_andn2_b32 exec_lo, exec_lo, s16
	s_cbranch_execnz .LBB483_7
; %bb.8:
	s_inst_prefetch 0x2
	s_or_b32 exec_lo, exec_lo, s16
.LBB483_9:
	s_or_b32 exec_lo, exec_lo, s3
	v_add_nc_u32_e32 v1, s2, v0
	s_mov_b32 s2, exec_lo
	v_cmpx_gt_i32_e64 s15, v1
	s_cbranch_execz .LBB483_13
; %bb.10:
	s_mov_b32 s3, 0
	.p2align	6
.LBB483_11:                             ; =>This Inner Loop Header: Depth=1
	v_ashrrev_i32_e32 v2, 31, v1
	v_max_f32_e32 v4, v5, v5
	v_lshlrev_b64 v[6:7], 1, v[1:2]
	v_add_nc_u32_e32 v1, v1, v3
	v_add_co_u32 v6, vcc_lo, s0, v6
	v_add_co_ci_u32_e64 v7, null, s1, v7, vcc_lo
	v_cmp_le_i32_e32 vcc_lo, s15, v1
	global_load_ushort v2, v[6:7], off
	s_or_b32 s3, vcc_lo, s3
	s_waitcnt vmcnt(0)
	v_lshlrev_b32_e32 v2, 16, v2
	v_max_f32_e32 v2, v2, v2
	v_max_f32_e32 v5, v4, v2
	s_andn2_b32 exec_lo, exec_lo, s3
	s_cbranch_execnz .LBB483_11
; %bb.12:
	s_or_b32 exec_lo, exec_lo, s3
.LBB483_13:
	s_or_b32 exec_lo, exec_lo, s2
	v_mbcnt_lo_u32_b32 v1, -1, 0
	v_lshrrev_b32_e32 v9, 3, v0
	s_barrier
	buffer_gl0_inv
	v_lshl_or_b32 v3, v1, 2, 64
	v_cmp_gt_u32_e32 vcc_lo, 24, v1
	ds_bpermute_b32 v2, v3, v5
	v_cndmask_b32_e64 v4, 0, 8, vcc_lo
	v_add_lshl_u32 v4, v4, v1, 2
	s_waitcnt lgkmcnt(0)
	v_cmp_lt_f32_e32 vcc_lo, v5, v2
	v_cndmask_b32_e32 v2, v5, v2, vcc_lo
	v_cmp_gt_u32_e32 vcc_lo, 28, v1
	ds_bpermute_b32 v6, v4, v2
	v_cndmask_b32_e64 v5, 0, 4, vcc_lo
	v_add_lshl_u32 v5, v5, v1, 2
	s_waitcnt lgkmcnt(0)
	v_cmp_lt_f32_e32 vcc_lo, v2, v6
	v_cndmask_b32_e32 v2, v2, v6, vcc_lo
	;; [unrolled: 7-line block ×3, first 2 shown]
	v_cmp_ne_u32_e32 vcc_lo, 31, v1
	ds_bpermute_b32 v7, v6, v2
	v_add_co_ci_u32_e64 v8, null, 0, v1, vcc_lo
	v_lshlrev_b32_e32 v8, 2, v8
	s_waitcnt lgkmcnt(0)
	v_cmp_lt_f32_e32 vcc_lo, v2, v7
	v_cndmask_b32_e32 v1, v2, v7, vcc_lo
	v_and_b32_e32 v2, 31, v0
	ds_bpermute_b32 v7, v8, v1
	v_cmp_eq_u32_e64 s0, 0, v2
	s_and_saveexec_b32 s1, s0
	s_cbranch_execz .LBB483_15
; %bb.14:
	s_waitcnt lgkmcnt(0)
	v_cmp_lt_f32_e32 vcc_lo, v1, v7
	v_add_nc_u32_e32 v10, 0, v9
	v_cndmask_b32_e32 v1, v1, v7, vcc_lo
	ds_write_b32 v10, v1
.LBB483_15:
	s_or_b32 exec_lo, exec_lo, s1
	s_waitcnt lgkmcnt(0)
	s_barrier
	buffer_gl0_inv
	s_load_dword s20, s[4:5], 0x24
	s_add_u32 s16, s4, 24
	s_addc_u32 s17, s5, 0
	v_mov_b32_e32 v1, 0xff7fffff
	v_lshl_add_u32 v10, v2, 2, 0
	s_waitcnt lgkmcnt(0)
	s_bfe_u32 s1, s20, 0xb0005
	v_cmp_gt_u32_e64 s1, s1, v0
	s_and_saveexec_b32 s2, s1
	s_cbranch_execnz .LBB483_23
; %bb.16:
	s_or_b32 exec_lo, exec_lo, s2
	v_cmp_gt_u32_e64 s2, 32, v0
	s_and_saveexec_b32 s3, s2
	s_cbranch_execnz .LBB483_24
.LBB483_17:
	s_or_b32 exec_lo, exec_lo, s3
	v_cmp_eq_u32_e64 s3, 0, v0
	s_and_saveexec_b32 s4, s3
	s_cbranch_execz .LBB483_19
.LBB483_18:
	v_mov_b32_e32 v2, 0
	s_waitcnt lgkmcnt(0)
	ds_write_b32 v2, v1
.LBB483_19:
	s_or_b32 exec_lo, exec_lo, s4
	v_mov_b32_e32 v12, 0
	s_waitcnt lgkmcnt(0)
	s_barrier
	buffer_gl0_inv
	s_andn2_b32 vcc_lo, exec_lo, s18
	ds_read_b32 v7, v12
	s_mov_b32 s15, 0
	s_cbranch_vccnz .LBB483_26
; %bb.20:
	s_lshl_b64 s[4:5], s[14:15], 1
	v_cmp_le_u32_e32 vcc_lo, s14, v0
	s_sub_u32 s18, s10, s4
	s_subb_u32 s19, s11, s5
	s_add_i32 s5, s14, s7
	v_mov_b32_e32 v12, 0
	v_cmp_gt_i32_e64 s4, s5, v0
	s_and_b32 s14, vcc_lo, s4
	s_and_saveexec_b32 s4, s14
	s_cbranch_execz .LBB483_22
; %bb.21:
	v_lshlrev_b32_e32 v1, 1, v0
	global_load_ushort v1, v1, s[18:19]
	s_waitcnt vmcnt(0)
	v_lshlrev_b32_e32 v1, 16, v1
	s_waitcnt lgkmcnt(0)
	v_sub_f32_e32 v1, v1, v7
	v_mul_f32_e32 v1, 0x3fb8aa3b, v1
	v_exp_f32_e32 v1, v1
	v_add_f32_e32 v12, 0, v1
.LBB483_22:
	s_or_b32 exec_lo, exec_lo, s4
	s_and_b32 s4, 0xffff, s20
	v_sub_nc_u32_e64 v1, s5, s4 clamp
	s_lshl_b32 s4, s4, 1
	s_add_u32 s4, s18, s4
	s_addc_u32 s5, s19, 0
	v_readfirstlane_b32 s14, v1
	s_branch .LBB483_27
.LBB483_23:
	ds_read_b32 v1, v10
	s_or_b32 exec_lo, exec_lo, s2
	v_cmp_gt_u32_e64 s2, 32, v0
	s_and_saveexec_b32 s3, s2
	s_cbranch_execz .LBB483_17
.LBB483_24:
	s_waitcnt lgkmcnt(0)
	ds_bpermute_b32 v2, v3, v1
	s_waitcnt lgkmcnt(0)
	v_cmp_lt_f32_e32 vcc_lo, v1, v2
	v_cndmask_b32_e32 v1, v1, v2, vcc_lo
	ds_bpermute_b32 v2, v4, v1
	s_waitcnt lgkmcnt(0)
	v_cmp_lt_f32_e32 vcc_lo, v1, v2
	v_cndmask_b32_e32 v1, v1, v2, vcc_lo
	;; [unrolled: 4-line block ×5, first 2 shown]
	s_or_b32 exec_lo, exec_lo, s3
	v_cmp_eq_u32_e64 s3, 0, v0
	s_and_saveexec_b32 s4, s3
	s_cbranch_execnz .LBB483_18
	s_branch .LBB483_19
.LBB483_25:
                                        ; implicit-def: $sgpr0_sgpr1
                                        ; implicit-def: $sgpr15
                                        ; implicit-def: $vgpr5
	s_cbranch_execnz .LBB483_4
	s_branch .LBB483_5
.LBB483_26:
	s_mov_b64 s[4:5], s[10:11]
	s_mov_b32 s14, s7
.LBB483_27:
	s_load_dword s15, s[16:17], 0x0
	v_mov_b32_e32 v1, 0
	s_waitcnt lgkmcnt(0)
	s_cmp_lt_u32 s6, s15
	s_cselect_b32 s6, 12, 18
	s_add_u32 s16, s16, s6
	s_addc_u32 s17, s17, 0
	global_load_ushort v13, v1, s[16:17]
	s_waitcnt vmcnt(0)
	v_readfirstlane_b32 s6, v13
	s_lshl_b32 s6, s6, 3
	v_cvt_f32_u32_e32 v1, s6
	s_sub_i32 s16, 0, s6
	v_rcp_iflag_f32_e32 v1, v1
	v_mul_f32_e32 v1, 0x4f7ffffe, v1
	v_cvt_u32_f32_e32 v1, v1
	v_readfirstlane_b32 s15, v1
	s_mul_i32 s16, s16, s15
	s_mul_hi_u32 s16, s15, s16
	s_add_i32 s15, s15, s16
	s_mul_hi_u32 s15, s14, s15
	s_mul_i32 s15, s15, s6
	s_sub_i32 s15, s14, s15
	s_sub_i32 s16, s15, s6
	s_cmp_ge_u32 s15, s6
	s_cselect_b32 s15, s16, s15
	s_sub_i32 s16, s15, s6
	s_cmp_ge_u32 s15, s6
	s_cselect_b32 s6, s16, s15
	s_mov_b32 s16, 0
	s_sub_i32 s6, s14, s6
	s_mov_b32 s15, exec_lo
	v_cmpx_gt_i32_e64 s6, v11
	s_cbranch_execz .LBB483_31
; %bb.28:
	v_mov_b32_e32 v1, v0
.LBB483_29:                             ; =>This Inner Loop Header: Depth=1
	v_ashrrev_i32_e32 v2, 31, v1
	v_lshlrev_b64 v[14:15], 4, v[1:2]
	v_add_nc_u32_e32 v1, v1, v13
	v_add_co_u32 v14, vcc_lo, s4, v14
	v_add_co_ci_u32_e64 v15, null, s5, v15, vcc_lo
	global_load_dwordx4 v[14:17], v[14:15], off
	s_waitcnt vmcnt(0)
	v_lshlrev_b32_e32 v2, 16, v14
	v_and_b32_e32 v11, 0xffff0000, v14
	v_lshlrev_b32_e32 v14, 16, v15
	v_and_b32_e32 v15, 0xffff0000, v15
	v_lshlrev_b32_e32 v18, 16, v16
	v_sub_f32_e32 v2, v2, v7
	v_sub_f32_e32 v11, v11, v7
	;; [unrolled: 1-line block ×4, first 2 shown]
	v_and_b32_e32 v16, 0xffff0000, v16
	v_mul_f32_e32 v2, 0x3fb8aa3b, v2
	v_mul_f32_e32 v11, 0x3fb8aa3b, v11
	;; [unrolled: 1-line block ×3, first 2 shown]
	v_sub_f32_e32 v18, v18, v7
	v_mul_f32_e32 v15, 0x3fb8aa3b, v15
	v_exp_f32_e32 v2, v2
	v_exp_f32_e32 v11, v11
	;; [unrolled: 1-line block ×3, first 2 shown]
	v_sub_f32_e32 v16, v16, v7
	v_mul_f32_e32 v18, 0x3fb8aa3b, v18
	v_exp_f32_e32 v15, v15
	v_mul_f32_e32 v16, 0x3fb8aa3b, v16
	v_add_f32_e32 v2, v12, v2
	v_lshlrev_b32_e32 v12, 16, v17
	v_add_f32_e32 v2, v2, v11
	v_and_b32_e32 v11, 0xffff0000, v17
	v_sub_f32_e32 v12, v12, v7
	v_exp_f32_e32 v17, v18
	v_add_f32_e32 v2, v2, v14
	v_sub_f32_e32 v11, v11, v7
	v_mul_f32_e32 v12, 0x3fb8aa3b, v12
	v_exp_f32_e32 v14, v16
	v_add_f32_e32 v2, v2, v15
	v_mul_f32_e32 v11, 0x3fb8aa3b, v11
	v_exp_f32_e32 v12, v12
	v_add_f32_e32 v2, v2, v17
	v_exp_f32_e32 v11, v11
	v_add_f32_e32 v2, v2, v14
	v_lshlrev_b32_e32 v14, 3, v1
	v_add_f32_e32 v2, v2, v12
	v_cmp_le_i32_e32 vcc_lo, s6, v14
	v_add_f32_e32 v12, v2, v11
	s_or_b32 s16, vcc_lo, s16
	s_andn2_b32 exec_lo, exec_lo, s16
	s_cbranch_execnz .LBB483_29
; %bb.30:
	s_or_b32 exec_lo, exec_lo, s16
.LBB483_31:
	s_or_b32 exec_lo, exec_lo, s15
	v_add_nc_u32_e32 v1, s6, v0
	s_mov_b32 s6, exec_lo
	v_cmpx_gt_i32_e64 s14, v1
	s_cbranch_execz .LBB483_35
; %bb.32:
	s_mov_b32 s15, 0
	.p2align	6
.LBB483_33:                             ; =>This Inner Loop Header: Depth=1
	v_ashrrev_i32_e32 v2, 31, v1
	v_lshlrev_b64 v[14:15], 1, v[1:2]
	v_add_nc_u32_e32 v1, v1, v13
	v_add_co_u32 v14, vcc_lo, s4, v14
	v_add_co_ci_u32_e64 v15, null, s5, v15, vcc_lo
	v_cmp_le_i32_e32 vcc_lo, s14, v1
	global_load_ushort v2, v[14:15], off
	s_or_b32 s15, vcc_lo, s15
	s_waitcnt vmcnt(0)
	v_lshlrev_b32_e32 v2, 16, v2
	v_sub_f32_e32 v2, v2, v7
	v_mul_f32_e32 v2, 0x3fb8aa3b, v2
	v_exp_f32_e32 v2, v2
	v_add_f32_e32 v12, v12, v2
	s_andn2_b32 exec_lo, exec_lo, s15
	s_cbranch_execnz .LBB483_33
; %bb.34:
	s_or_b32 exec_lo, exec_lo, s15
.LBB483_35:
	s_or_b32 exec_lo, exec_lo, s6
	ds_bpermute_b32 v1, v3, v12
	s_waitcnt lgkmcnt(0)
	s_barrier
	buffer_gl0_inv
	v_add_f32_e32 v1, v12, v1
	ds_bpermute_b32 v2, v4, v1
	s_waitcnt lgkmcnt(0)
	v_add_f32_e32 v1, v1, v2
	ds_bpermute_b32 v2, v5, v1
	s_waitcnt lgkmcnt(0)
	;; [unrolled: 3-line block ×3, first 2 shown]
	v_add_f32_e32 v1, v1, v2
	ds_bpermute_b32 v2, v8, v1
	s_and_saveexec_b32 s4, s0
	s_cbranch_execz .LBB483_37
; %bb.36:
	v_add_nc_u32_e32 v9, 0, v9
	s_waitcnt lgkmcnt(0)
	v_add_f32_e32 v1, v1, v2
	ds_write_b32 v9, v1
.LBB483_37:
	s_or_b32 exec_lo, exec_lo, s4
	v_mov_b32_e32 v1, 0
	s_waitcnt lgkmcnt(0)
	s_barrier
	buffer_gl0_inv
	s_and_saveexec_b32 s0, s1
	s_cbranch_execnz .LBB483_45
; %bb.38:
	s_or_b32 exec_lo, exec_lo, s0
	s_and_saveexec_b32 s0, s2
	s_cbranch_execnz .LBB483_46
.LBB483_39:
	s_or_b32 exec_lo, exec_lo, s0
	s_and_saveexec_b32 s0, s3
	s_cbranch_execz .LBB483_41
.LBB483_40:
	s_waitcnt lgkmcnt(0)
	v_div_scale_f32 v2, null, v1, v1, 1.0
	v_div_scale_f32 v5, vcc_lo, 1.0, v1, 1.0
	v_rcp_f32_e32 v3, v2
	v_fma_f32 v4, -v2, v3, 1.0
	v_fmac_f32_e32 v3, v4, v3
	v_mul_f32_e32 v4, v5, v3
	v_fma_f32 v6, -v2, v4, v5
	v_fmac_f32_e32 v4, v6, v3
	v_fma_f32 v2, -v2, v4, v5
	v_div_fmas_f32 v2, v2, v3, v4
	v_div_fixup_f32 v1, v2, v1, 1.0
	v_mov_b32_e32 v2, 0
	ds_write_b32 v2, v1
.LBB483_41:
	s_or_b32 exec_lo, exec_lo, s0
	s_waitcnt lgkmcnt(0)
	s_barrier
	buffer_gl0_inv
	s_mov_b32 s0, exec_lo
	v_cmpx_gt_i32_e64 s7, v0
	s_cbranch_execz .LBB483_44
; %bb.42:
	v_mov_b32_e32 v1, 0
	v_mov_b32_e32 v3, 0x7fc0
	s_and_b32 s2, 0xffff, s20
	s_add_u32 s3, s8, s12
	s_mov_b32 s1, 0
	ds_read_b32 v2, v1
	s_addc_u32 s4, s9, s13
	s_inst_prefetch 0x1
	.p2align	6
.LBB483_43:                             ; =>This Inner Loop Header: Depth=1
	v_ashrrev_i32_e32 v1, 31, v0
	v_lshlrev_b64 v[4:5], 1, v[0:1]
	v_add_nc_u32_e32 v0, s2, v0
	v_cmp_le_i32_e64 s0, s7, v0
	v_add_co_u32 v8, vcc_lo, s10, v4
	v_add_co_ci_u32_e64 v9, null, s11, v5, vcc_lo
	s_or_b32 s1, s0, s1
	global_load_ushort v1, v[8:9], off
	s_waitcnt vmcnt(0)
	v_lshlrev_b32_e32 v1, 16, v1
	v_sub_f32_e32 v1, v1, v7
	v_mul_f32_e32 v1, 0x3fb8aa3b, v1
	v_exp_f32_e32 v1, v1
	s_waitcnt lgkmcnt(0)
	v_mul_f32_e32 v1, v2, v1
	v_bfe_u32 v6, v1, 16, 1
	v_cmp_o_f32_e32 vcc_lo, v1, v1
	v_add3_u32 v1, v1, v6, 0x7fff
	v_cndmask_b32_sdwa v1, v3, v1, vcc_lo dst_sel:DWORD dst_unused:UNUSED_PAD src0_sel:DWORD src1_sel:WORD_1
	v_add_co_u32 v4, vcc_lo, s3, v4
	v_add_co_ci_u32_e64 v5, null, s4, v5, vcc_lo
	global_store_short v[4:5], v1, off
	s_andn2_b32 exec_lo, exec_lo, s1
	s_cbranch_execnz .LBB483_43
.LBB483_44:
	s_inst_prefetch 0x2
	s_endpgm
.LBB483_45:
	ds_read_b32 v1, v10
	s_or_b32 exec_lo, exec_lo, s0
	s_and_saveexec_b32 s0, s2
	s_cbranch_execz .LBB483_39
.LBB483_46:
	s_waitcnt lgkmcnt(0)
	ds_bpermute_b32 v2, v3, v1
	s_waitcnt lgkmcnt(0)
	v_add_f32_e32 v1, v1, v2
	ds_bpermute_b32 v2, v4, v1
	s_waitcnt lgkmcnt(0)
	v_add_f32_e32 v1, v1, v2
	;; [unrolled: 3-line block ×5, first 2 shown]
	s_or_b32 exec_lo, exec_lo, s0
	s_and_saveexec_b32 s0, s3
	s_cbranch_execnz .LBB483_40
	s_branch .LBB483_41
	.section	.rodata,"a",@progbits
	.p2align	6, 0x0
	.amdhsa_kernel _ZN2at6native12_GLOBAL__N_123cunn_SoftMaxForwardFastILi8EN3c108BFloat16EfS4_NS1_29SoftMaxForwardWithMulEpilogueEEEvPT2_PKT0_i
		.amdhsa_group_segment_fixed_size 0
		.amdhsa_private_segment_fixed_size 0
		.amdhsa_kernarg_size 280
		.amdhsa_user_sgpr_count 6
		.amdhsa_user_sgpr_private_segment_buffer 1
		.amdhsa_user_sgpr_dispatch_ptr 0
		.amdhsa_user_sgpr_queue_ptr 0
		.amdhsa_user_sgpr_kernarg_segment_ptr 1
		.amdhsa_user_sgpr_dispatch_id 0
		.amdhsa_user_sgpr_flat_scratch_init 0
		.amdhsa_user_sgpr_private_segment_size 0
		.amdhsa_wavefront_size32 1
		.amdhsa_uses_dynamic_stack 0
		.amdhsa_system_sgpr_private_segment_wavefront_offset 0
		.amdhsa_system_sgpr_workgroup_id_x 1
		.amdhsa_system_sgpr_workgroup_id_y 0
		.amdhsa_system_sgpr_workgroup_id_z 0
		.amdhsa_system_sgpr_workgroup_info 0
		.amdhsa_system_vgpr_workitem_id 0
		.amdhsa_next_free_vgpr 19
		.amdhsa_next_free_sgpr 21
		.amdhsa_reserve_vcc 1
		.amdhsa_reserve_flat_scratch 0
		.amdhsa_float_round_mode_32 0
		.amdhsa_float_round_mode_16_64 0
		.amdhsa_float_denorm_mode_32 3
		.amdhsa_float_denorm_mode_16_64 3
		.amdhsa_dx10_clamp 1
		.amdhsa_ieee_mode 1
		.amdhsa_fp16_overflow 0
		.amdhsa_workgroup_processor_mode 1
		.amdhsa_memory_ordered 1
		.amdhsa_forward_progress 1
		.amdhsa_shared_vgpr_count 0
		.amdhsa_exception_fp_ieee_invalid_op 0
		.amdhsa_exception_fp_denorm_src 0
		.amdhsa_exception_fp_ieee_div_zero 0
		.amdhsa_exception_fp_ieee_overflow 0
		.amdhsa_exception_fp_ieee_underflow 0
		.amdhsa_exception_fp_ieee_inexact 0
		.amdhsa_exception_int_div_zero 0
	.end_amdhsa_kernel
	.section	.text._ZN2at6native12_GLOBAL__N_123cunn_SoftMaxForwardFastILi8EN3c108BFloat16EfS4_NS1_29SoftMaxForwardWithMulEpilogueEEEvPT2_PKT0_i,"axG",@progbits,_ZN2at6native12_GLOBAL__N_123cunn_SoftMaxForwardFastILi8EN3c108BFloat16EfS4_NS1_29SoftMaxForwardWithMulEpilogueEEEvPT2_PKT0_i,comdat
.Lfunc_end483:
	.size	_ZN2at6native12_GLOBAL__N_123cunn_SoftMaxForwardFastILi8EN3c108BFloat16EfS4_NS1_29SoftMaxForwardWithMulEpilogueEEEvPT2_PKT0_i, .Lfunc_end483-_ZN2at6native12_GLOBAL__N_123cunn_SoftMaxForwardFastILi8EN3c108BFloat16EfS4_NS1_29SoftMaxForwardWithMulEpilogueEEEvPT2_PKT0_i
                                        ; -- End function
	.set _ZN2at6native12_GLOBAL__N_123cunn_SoftMaxForwardFastILi8EN3c108BFloat16EfS4_NS1_29SoftMaxForwardWithMulEpilogueEEEvPT2_PKT0_i.num_vgpr, 19
	.set _ZN2at6native12_GLOBAL__N_123cunn_SoftMaxForwardFastILi8EN3c108BFloat16EfS4_NS1_29SoftMaxForwardWithMulEpilogueEEEvPT2_PKT0_i.num_agpr, 0
	.set _ZN2at6native12_GLOBAL__N_123cunn_SoftMaxForwardFastILi8EN3c108BFloat16EfS4_NS1_29SoftMaxForwardWithMulEpilogueEEEvPT2_PKT0_i.numbered_sgpr, 21
	.set _ZN2at6native12_GLOBAL__N_123cunn_SoftMaxForwardFastILi8EN3c108BFloat16EfS4_NS1_29SoftMaxForwardWithMulEpilogueEEEvPT2_PKT0_i.num_named_barrier, 0
	.set _ZN2at6native12_GLOBAL__N_123cunn_SoftMaxForwardFastILi8EN3c108BFloat16EfS4_NS1_29SoftMaxForwardWithMulEpilogueEEEvPT2_PKT0_i.private_seg_size, 0
	.set _ZN2at6native12_GLOBAL__N_123cunn_SoftMaxForwardFastILi8EN3c108BFloat16EfS4_NS1_29SoftMaxForwardWithMulEpilogueEEEvPT2_PKT0_i.uses_vcc, 1
	.set _ZN2at6native12_GLOBAL__N_123cunn_SoftMaxForwardFastILi8EN3c108BFloat16EfS4_NS1_29SoftMaxForwardWithMulEpilogueEEEvPT2_PKT0_i.uses_flat_scratch, 0
	.set _ZN2at6native12_GLOBAL__N_123cunn_SoftMaxForwardFastILi8EN3c108BFloat16EfS4_NS1_29SoftMaxForwardWithMulEpilogueEEEvPT2_PKT0_i.has_dyn_sized_stack, 0
	.set _ZN2at6native12_GLOBAL__N_123cunn_SoftMaxForwardFastILi8EN3c108BFloat16EfS4_NS1_29SoftMaxForwardWithMulEpilogueEEEvPT2_PKT0_i.has_recursion, 0
	.set _ZN2at6native12_GLOBAL__N_123cunn_SoftMaxForwardFastILi8EN3c108BFloat16EfS4_NS1_29SoftMaxForwardWithMulEpilogueEEEvPT2_PKT0_i.has_indirect_call, 0
	.section	.AMDGPU.csdata,"",@progbits
; Kernel info:
; codeLenInByte = 2644
; TotalNumSgprs: 23
; NumVgprs: 19
; ScratchSize: 0
; MemoryBound: 0
; FloatMode: 240
; IeeeMode: 1
; LDSByteSize: 0 bytes/workgroup (compile time only)
; SGPRBlocks: 0
; VGPRBlocks: 2
; NumSGPRsForWavesPerEU: 23
; NumVGPRsForWavesPerEU: 19
; Occupancy: 16
; WaveLimiterHint : 0
; COMPUTE_PGM_RSRC2:SCRATCH_EN: 0
; COMPUTE_PGM_RSRC2:USER_SGPR: 6
; COMPUTE_PGM_RSRC2:TRAP_HANDLER: 0
; COMPUTE_PGM_RSRC2:TGID_X_EN: 1
; COMPUTE_PGM_RSRC2:TGID_Y_EN: 0
; COMPUTE_PGM_RSRC2:TGID_Z_EN: 0
; COMPUTE_PGM_RSRC2:TIDIG_COMP_CNT: 0
	.section	.text._ZN12_GLOBAL__N_120softmax_warp_forwardIN3c108BFloat16EffLi0ELb0ELb0ELi64EEEvPT0_PKT_iiiPKbib,"axG",@progbits,_ZN12_GLOBAL__N_120softmax_warp_forwardIN3c108BFloat16EffLi0ELb0ELb0ELi64EEEvPT0_PKT_iiiPKbib,comdat
	.globl	_ZN12_GLOBAL__N_120softmax_warp_forwardIN3c108BFloat16EffLi0ELb0ELb0ELi64EEEvPT0_PKT_iiiPKbib ; -- Begin function _ZN12_GLOBAL__N_120softmax_warp_forwardIN3c108BFloat16EffLi0ELb0ELb0ELi64EEEvPT0_PKT_iiiPKbib
	.p2align	8
	.type	_ZN12_GLOBAL__N_120softmax_warp_forwardIN3c108BFloat16EffLi0ELb0ELb0ELi64EEEvPT0_PKT_iiiPKbib,@function
_ZN12_GLOBAL__N_120softmax_warp_forwardIN3c108BFloat16EffLi0ELb0ELb0ELi64EEEvPT0_PKT_iiiPKbib: ; @_ZN12_GLOBAL__N_120softmax_warp_forwardIN3c108BFloat16EffLi0ELb0ELb0ELi64EEEvPT0_PKT_iiiPKbib
; %bb.0:
	s_clause 0x1
	s_load_dword s0, s[4:5], 0x3c
	s_load_dwordx8 s[8:15], s[4:5], 0x0
	v_mov_b32_e32 v6, 0xff800000
	v_mov_b32_e32 v7, 0xff800000
	s_waitcnt lgkmcnt(0)
	s_lshr_b32 s0, s0, 16
	s_and_b32 s0, s0, 0xffff
	s_mul_i32 s6, s6, s0
	v_cmp_gt_i32_e64 s0, s14, v0
	v_add_lshl_u32 v3, s6, v1, 1
	v_mad_u64_u32 v[1:2], null, v3, s13, v[0:1]
	v_sub_nc_u32_e32 v5, s12, v3
	v_cmp_lt_i32_e32 vcc_lo, 0, v5
	v_ashrrev_i32_e32 v2, 31, v1
	s_and_b32 s2, s0, vcc_lo
	v_lshlrev_b64 v[3:4], 1, v[1:2]
	v_add_co_u32 v3, s1, s10, v3
	v_add_co_ci_u32_e64 v4, null, s11, v4, s1
	s_and_saveexec_b32 s1, s2
	s_cbranch_execz .LBB484_2
; %bb.1:
	global_load_ushort v0, v[3:4], off
	s_waitcnt vmcnt(0)
	v_lshlrev_b32_e32 v7, 16, v0
.LBB484_2:
	s_or_b32 exec_lo, exec_lo, s1
	v_cmp_lt_i32_e64 s1, 1, v5
	s_and_b32 s1, s0, s1
	s_and_saveexec_b32 s2, s1
	s_cbranch_execz .LBB484_4
; %bb.3:
	s_mov_b32 s15, 0
	s_lshl_b64 s[4:5], s[14:15], 1
	v_add_co_u32 v3, s1, v3, s4
	v_add_co_ci_u32_e64 v4, null, s5, v4, s1
	global_load_ushort v0, v[3:4], off
	s_waitcnt vmcnt(0)
	v_lshlrev_b32_e32 v6, 16, v0
.LBB484_4:
	s_or_b32 exec_lo, exec_lo, s2
	s_and_saveexec_b32 s1, vcc_lo
	s_cbranch_execz .LBB484_9
; %bb.5:
	v_lshlrev_b64 v[0:1], 2, v[1:2]
	v_add_co_u32 v0, vcc_lo, s8, v0
	v_add_co_ci_u32_e64 v1, null, s9, v1, vcc_lo
	s_and_saveexec_b32 s1, s0
	s_cbranch_execz .LBB484_7
; %bb.6:
	v_sub_f32_e32 v2, v7, v7
	v_mul_f32_e32 v3, 0x3fb8aa3b, v2
	v_cmp_ngt_f32_e32 vcc_lo, 0xc2ce8ed0, v2
	v_rndne_f32_e32 v4, v3
	v_fma_f32 v7, 0x3fb8aa3b, v2, -v3
	v_sub_f32_e32 v3, v3, v4
	v_fmamk_f32 v7, v2, 0x32a5705f, v7
	v_cvt_i32_f32_e32 v4, v4
	v_add_f32_e32 v3, v3, v7
	v_exp_f32_e32 v3, v3
	v_ldexp_f32 v3, v3, v4
	v_cndmask_b32_e32 v3, 0, v3, vcc_lo
	v_cmp_nlt_f32_e32 vcc_lo, 0x42b17218, v2
	v_cndmask_b32_e32 v2, 0x7f800000, v3, vcc_lo
	v_div_scale_f32 v3, vcc_lo, v2, v2, v2
	v_rcp_f32_e32 v4, v3
	v_fma_f32 v7, -v3, v4, 1.0
	v_fmac_f32_e32 v4, v7, v4
	v_mul_f32_e32 v7, v3, v4
	v_fma_f32 v8, -v3, v7, v3
	v_fmac_f32_e32 v7, v8, v4
	v_fma_f32 v3, -v3, v7, v3
	v_div_fmas_f32 v3, v3, v4, v7
	v_cmp_neq_f32_e32 vcc_lo, 0, v2
	v_div_fixup_f32 v3, v3, v2, v2
	v_cndmask_b32_e32 v2, 0x7fc00000, v3, vcc_lo
	global_store_dword v[0:1], v2, off
.LBB484_7:
	s_or_b32 exec_lo, exec_lo, s1
	v_cmp_ne_u32_e32 vcc_lo, 1, v5
	s_and_b32 s0, vcc_lo, s0
	s_and_b32 exec_lo, exec_lo, s0
	s_cbranch_execz .LBB484_9
; %bb.8:
	v_sub_f32_e32 v2, v6, v6
	s_mov_b32 s15, 0
	s_lshl_b64 s[0:1], s[14:15], 2
	v_mul_f32_e32 v3, 0x3fb8aa3b, v2
	v_cmp_ngt_f32_e32 vcc_lo, 0xc2ce8ed0, v2
	v_rndne_f32_e32 v4, v3
	v_fma_f32 v5, 0x3fb8aa3b, v2, -v3
	v_sub_f32_e32 v3, v3, v4
	v_fmamk_f32 v5, v2, 0x32a5705f, v5
	v_cvt_i32_f32_e32 v4, v4
	v_add_f32_e32 v3, v3, v5
	v_exp_f32_e32 v3, v3
	v_ldexp_f32 v3, v3, v4
	v_cndmask_b32_e32 v3, 0, v3, vcc_lo
	v_cmp_nlt_f32_e32 vcc_lo, 0x42b17218, v2
	v_cndmask_b32_e32 v2, 0x7f800000, v3, vcc_lo
	v_div_scale_f32 v3, vcc_lo, v2, v2, v2
	v_rcp_f32_e32 v4, v3
	v_fma_f32 v5, -v3, v4, 1.0
	v_fmac_f32_e32 v4, v5, v4
	v_mul_f32_e32 v5, v3, v4
	v_fma_f32 v6, -v3, v5, v3
	v_fmac_f32_e32 v5, v6, v4
	v_fma_f32 v3, -v3, v5, v3
	v_div_fmas_f32 v3, v3, v4, v5
	v_add_co_u32 v0, vcc_lo, v0, s0
	v_add_co_ci_u32_e64 v1, null, s1, v1, vcc_lo
	v_div_fixup_f32 v3, v3, v2, v2
	v_cmp_neq_f32_e32 vcc_lo, 0, v2
	v_cndmask_b32_e32 v2, 0x7fc00000, v3, vcc_lo
	global_store_dword v[0:1], v2, off
.LBB484_9:
	s_endpgm
	.section	.rodata,"a",@progbits
	.p2align	6, 0x0
	.amdhsa_kernel _ZN12_GLOBAL__N_120softmax_warp_forwardIN3c108BFloat16EffLi0ELb0ELb0ELi64EEEvPT0_PKT_iiiPKbib
		.amdhsa_group_segment_fixed_size 0
		.amdhsa_private_segment_fixed_size 0
		.amdhsa_kernarg_size 304
		.amdhsa_user_sgpr_count 6
		.amdhsa_user_sgpr_private_segment_buffer 1
		.amdhsa_user_sgpr_dispatch_ptr 0
		.amdhsa_user_sgpr_queue_ptr 0
		.amdhsa_user_sgpr_kernarg_segment_ptr 1
		.amdhsa_user_sgpr_dispatch_id 0
		.amdhsa_user_sgpr_flat_scratch_init 0
		.amdhsa_user_sgpr_private_segment_size 0
		.amdhsa_wavefront_size32 1
		.amdhsa_uses_dynamic_stack 0
		.amdhsa_system_sgpr_private_segment_wavefront_offset 0
		.amdhsa_system_sgpr_workgroup_id_x 1
		.amdhsa_system_sgpr_workgroup_id_y 0
		.amdhsa_system_sgpr_workgroup_id_z 0
		.amdhsa_system_sgpr_workgroup_info 0
		.amdhsa_system_vgpr_workitem_id 1
		.amdhsa_next_free_vgpr 9
		.amdhsa_next_free_sgpr 16
		.amdhsa_reserve_vcc 1
		.amdhsa_reserve_flat_scratch 0
		.amdhsa_float_round_mode_32 0
		.amdhsa_float_round_mode_16_64 0
		.amdhsa_float_denorm_mode_32 3
		.amdhsa_float_denorm_mode_16_64 3
		.amdhsa_dx10_clamp 1
		.amdhsa_ieee_mode 1
		.amdhsa_fp16_overflow 0
		.amdhsa_workgroup_processor_mode 1
		.amdhsa_memory_ordered 1
		.amdhsa_forward_progress 1
		.amdhsa_shared_vgpr_count 0
		.amdhsa_exception_fp_ieee_invalid_op 0
		.amdhsa_exception_fp_denorm_src 0
		.amdhsa_exception_fp_ieee_div_zero 0
		.amdhsa_exception_fp_ieee_overflow 0
		.amdhsa_exception_fp_ieee_underflow 0
		.amdhsa_exception_fp_ieee_inexact 0
		.amdhsa_exception_int_div_zero 0
	.end_amdhsa_kernel
	.section	.text._ZN12_GLOBAL__N_120softmax_warp_forwardIN3c108BFloat16EffLi0ELb0ELb0ELi64EEEvPT0_PKT_iiiPKbib,"axG",@progbits,_ZN12_GLOBAL__N_120softmax_warp_forwardIN3c108BFloat16EffLi0ELb0ELb0ELi64EEEvPT0_PKT_iiiPKbib,comdat
.Lfunc_end484:
	.size	_ZN12_GLOBAL__N_120softmax_warp_forwardIN3c108BFloat16EffLi0ELb0ELb0ELi64EEEvPT0_PKT_iiiPKbib, .Lfunc_end484-_ZN12_GLOBAL__N_120softmax_warp_forwardIN3c108BFloat16EffLi0ELb0ELb0ELi64EEEvPT0_PKT_iiiPKbib
                                        ; -- End function
	.set _ZN12_GLOBAL__N_120softmax_warp_forwardIN3c108BFloat16EffLi0ELb0ELb0ELi64EEEvPT0_PKT_iiiPKbib.num_vgpr, 9
	.set _ZN12_GLOBAL__N_120softmax_warp_forwardIN3c108BFloat16EffLi0ELb0ELb0ELi64EEEvPT0_PKT_iiiPKbib.num_agpr, 0
	.set _ZN12_GLOBAL__N_120softmax_warp_forwardIN3c108BFloat16EffLi0ELb0ELb0ELi64EEEvPT0_PKT_iiiPKbib.numbered_sgpr, 16
	.set _ZN12_GLOBAL__N_120softmax_warp_forwardIN3c108BFloat16EffLi0ELb0ELb0ELi64EEEvPT0_PKT_iiiPKbib.num_named_barrier, 0
	.set _ZN12_GLOBAL__N_120softmax_warp_forwardIN3c108BFloat16EffLi0ELb0ELb0ELi64EEEvPT0_PKT_iiiPKbib.private_seg_size, 0
	.set _ZN12_GLOBAL__N_120softmax_warp_forwardIN3c108BFloat16EffLi0ELb0ELb0ELi64EEEvPT0_PKT_iiiPKbib.uses_vcc, 1
	.set _ZN12_GLOBAL__N_120softmax_warp_forwardIN3c108BFloat16EffLi0ELb0ELb0ELi64EEEvPT0_PKT_iiiPKbib.uses_flat_scratch, 0
	.set _ZN12_GLOBAL__N_120softmax_warp_forwardIN3c108BFloat16EffLi0ELb0ELb0ELi64EEEvPT0_PKT_iiiPKbib.has_dyn_sized_stack, 0
	.set _ZN12_GLOBAL__N_120softmax_warp_forwardIN3c108BFloat16EffLi0ELb0ELb0ELi64EEEvPT0_PKT_iiiPKbib.has_recursion, 0
	.set _ZN12_GLOBAL__N_120softmax_warp_forwardIN3c108BFloat16EffLi0ELb0ELb0ELi64EEEvPT0_PKT_iiiPKbib.has_indirect_call, 0
	.section	.AMDGPU.csdata,"",@progbits
; Kernel info:
; codeLenInByte = 644
; TotalNumSgprs: 18
; NumVgprs: 9
; ScratchSize: 0
; MemoryBound: 0
; FloatMode: 240
; IeeeMode: 1
; LDSByteSize: 0 bytes/workgroup (compile time only)
; SGPRBlocks: 0
; VGPRBlocks: 1
; NumSGPRsForWavesPerEU: 18
; NumVGPRsForWavesPerEU: 9
; Occupancy: 16
; WaveLimiterHint : 0
; COMPUTE_PGM_RSRC2:SCRATCH_EN: 0
; COMPUTE_PGM_RSRC2:USER_SGPR: 6
; COMPUTE_PGM_RSRC2:TRAP_HANDLER: 0
; COMPUTE_PGM_RSRC2:TGID_X_EN: 1
; COMPUTE_PGM_RSRC2:TGID_Y_EN: 0
; COMPUTE_PGM_RSRC2:TGID_Z_EN: 0
; COMPUTE_PGM_RSRC2:TIDIG_COMP_CNT: 1
	.section	.text._ZN12_GLOBAL__N_120softmax_warp_forwardIN3c108BFloat16EffLi0ELb0ELb0ELi32EEEvPT0_PKT_iiiPKbib,"axG",@progbits,_ZN12_GLOBAL__N_120softmax_warp_forwardIN3c108BFloat16EffLi0ELb0ELb0ELi32EEEvPT0_PKT_iiiPKbib,comdat
	.globl	_ZN12_GLOBAL__N_120softmax_warp_forwardIN3c108BFloat16EffLi0ELb0ELb0ELi32EEEvPT0_PKT_iiiPKbib ; -- Begin function _ZN12_GLOBAL__N_120softmax_warp_forwardIN3c108BFloat16EffLi0ELb0ELb0ELi32EEEvPT0_PKT_iiiPKbib
	.p2align	8
	.type	_ZN12_GLOBAL__N_120softmax_warp_forwardIN3c108BFloat16EffLi0ELb0ELb0ELi32EEEvPT0_PKT_iiiPKbib,@function
_ZN12_GLOBAL__N_120softmax_warp_forwardIN3c108BFloat16EffLi0ELb0ELb0ELi32EEEvPT0_PKT_iiiPKbib: ; @_ZN12_GLOBAL__N_120softmax_warp_forwardIN3c108BFloat16EffLi0ELb0ELb0ELi32EEEvPT0_PKT_iiiPKbib
; %bb.0:
	s_clause 0x1
	s_load_dword s0, s[4:5], 0x3c
	s_load_dwordx8 s[8:15], s[4:5], 0x0
	v_mov_b32_e32 v6, 0xff800000
	v_mov_b32_e32 v7, 0xff800000
	s_waitcnt lgkmcnt(0)
	s_lshr_b32 s0, s0, 16
	s_and_b32 s0, s0, 0xffff
	s_mul_i32 s6, s6, s0
	v_cmp_gt_i32_e64 s0, s14, v0
	v_add_lshl_u32 v3, s6, v1, 1
	v_mad_u64_u32 v[1:2], null, v3, s13, v[0:1]
	v_sub_nc_u32_e32 v5, s12, v3
	v_cmp_lt_i32_e32 vcc_lo, 0, v5
	v_ashrrev_i32_e32 v2, 31, v1
	s_and_b32 s2, s0, vcc_lo
	v_lshlrev_b64 v[3:4], 1, v[1:2]
	v_add_co_u32 v3, s1, s10, v3
	v_add_co_ci_u32_e64 v4, null, s11, v4, s1
	s_and_saveexec_b32 s1, s2
	s_cbranch_execz .LBB485_2
; %bb.1:
	global_load_ushort v0, v[3:4], off
	s_waitcnt vmcnt(0)
	v_lshlrev_b32_e32 v7, 16, v0
.LBB485_2:
	s_or_b32 exec_lo, exec_lo, s1
	v_cmp_lt_i32_e64 s1, 1, v5
	s_and_b32 s1, s0, s1
	s_and_saveexec_b32 s2, s1
	s_cbranch_execz .LBB485_4
; %bb.3:
	s_mov_b32 s15, 0
	s_lshl_b64 s[4:5], s[14:15], 1
	v_add_co_u32 v3, s1, v3, s4
	v_add_co_ci_u32_e64 v4, null, s5, v4, s1
	global_load_ushort v0, v[3:4], off
	s_waitcnt vmcnt(0)
	v_lshlrev_b32_e32 v6, 16, v0
.LBB485_4:
	s_or_b32 exec_lo, exec_lo, s2
	s_and_saveexec_b32 s1, vcc_lo
	s_cbranch_execz .LBB485_9
; %bb.5:
	v_lshlrev_b64 v[0:1], 2, v[1:2]
	v_add_co_u32 v0, vcc_lo, s8, v0
	v_add_co_ci_u32_e64 v1, null, s9, v1, vcc_lo
	s_and_saveexec_b32 s1, s0
	s_cbranch_execz .LBB485_7
; %bb.6:
	v_sub_f32_e32 v2, v7, v7
	v_mul_f32_e32 v3, 0x3fb8aa3b, v2
	v_cmp_ngt_f32_e32 vcc_lo, 0xc2ce8ed0, v2
	v_rndne_f32_e32 v4, v3
	v_fma_f32 v7, 0x3fb8aa3b, v2, -v3
	v_sub_f32_e32 v3, v3, v4
	v_fmamk_f32 v7, v2, 0x32a5705f, v7
	v_cvt_i32_f32_e32 v4, v4
	v_add_f32_e32 v3, v3, v7
	v_exp_f32_e32 v3, v3
	v_ldexp_f32 v3, v3, v4
	v_cndmask_b32_e32 v3, 0, v3, vcc_lo
	v_cmp_nlt_f32_e32 vcc_lo, 0x42b17218, v2
	v_cndmask_b32_e32 v2, 0x7f800000, v3, vcc_lo
	v_div_scale_f32 v3, vcc_lo, v2, v2, v2
	v_rcp_f32_e32 v4, v3
	v_fma_f32 v7, -v3, v4, 1.0
	v_fmac_f32_e32 v4, v7, v4
	v_mul_f32_e32 v7, v3, v4
	v_fma_f32 v8, -v3, v7, v3
	v_fmac_f32_e32 v7, v8, v4
	v_fma_f32 v3, -v3, v7, v3
	v_div_fmas_f32 v3, v3, v4, v7
	v_cmp_neq_f32_e32 vcc_lo, 0, v2
	v_div_fixup_f32 v3, v3, v2, v2
	v_cndmask_b32_e32 v2, 0x7fc00000, v3, vcc_lo
	global_store_dword v[0:1], v2, off
.LBB485_7:
	s_or_b32 exec_lo, exec_lo, s1
	v_cmp_ne_u32_e32 vcc_lo, 1, v5
	s_and_b32 s0, vcc_lo, s0
	s_and_b32 exec_lo, exec_lo, s0
	s_cbranch_execz .LBB485_9
; %bb.8:
	v_sub_f32_e32 v2, v6, v6
	s_mov_b32 s15, 0
	s_lshl_b64 s[0:1], s[14:15], 2
	v_mul_f32_e32 v3, 0x3fb8aa3b, v2
	v_cmp_ngt_f32_e32 vcc_lo, 0xc2ce8ed0, v2
	v_rndne_f32_e32 v4, v3
	v_fma_f32 v5, 0x3fb8aa3b, v2, -v3
	v_sub_f32_e32 v3, v3, v4
	v_fmamk_f32 v5, v2, 0x32a5705f, v5
	v_cvt_i32_f32_e32 v4, v4
	v_add_f32_e32 v3, v3, v5
	v_exp_f32_e32 v3, v3
	v_ldexp_f32 v3, v3, v4
	v_cndmask_b32_e32 v3, 0, v3, vcc_lo
	v_cmp_nlt_f32_e32 vcc_lo, 0x42b17218, v2
	v_cndmask_b32_e32 v2, 0x7f800000, v3, vcc_lo
	v_div_scale_f32 v3, vcc_lo, v2, v2, v2
	v_rcp_f32_e32 v4, v3
	v_fma_f32 v5, -v3, v4, 1.0
	v_fmac_f32_e32 v4, v5, v4
	v_mul_f32_e32 v5, v3, v4
	v_fma_f32 v6, -v3, v5, v3
	v_fmac_f32_e32 v5, v6, v4
	v_fma_f32 v3, -v3, v5, v3
	v_div_fmas_f32 v3, v3, v4, v5
	v_add_co_u32 v0, vcc_lo, v0, s0
	v_add_co_ci_u32_e64 v1, null, s1, v1, vcc_lo
	v_div_fixup_f32 v3, v3, v2, v2
	v_cmp_neq_f32_e32 vcc_lo, 0, v2
	v_cndmask_b32_e32 v2, 0x7fc00000, v3, vcc_lo
	global_store_dword v[0:1], v2, off
.LBB485_9:
	s_endpgm
	.section	.rodata,"a",@progbits
	.p2align	6, 0x0
	.amdhsa_kernel _ZN12_GLOBAL__N_120softmax_warp_forwardIN3c108BFloat16EffLi0ELb0ELb0ELi32EEEvPT0_PKT_iiiPKbib
		.amdhsa_group_segment_fixed_size 0
		.amdhsa_private_segment_fixed_size 0
		.amdhsa_kernarg_size 304
		.amdhsa_user_sgpr_count 6
		.amdhsa_user_sgpr_private_segment_buffer 1
		.amdhsa_user_sgpr_dispatch_ptr 0
		.amdhsa_user_sgpr_queue_ptr 0
		.amdhsa_user_sgpr_kernarg_segment_ptr 1
		.amdhsa_user_sgpr_dispatch_id 0
		.amdhsa_user_sgpr_flat_scratch_init 0
		.amdhsa_user_sgpr_private_segment_size 0
		.amdhsa_wavefront_size32 1
		.amdhsa_uses_dynamic_stack 0
		.amdhsa_system_sgpr_private_segment_wavefront_offset 0
		.amdhsa_system_sgpr_workgroup_id_x 1
		.amdhsa_system_sgpr_workgroup_id_y 0
		.amdhsa_system_sgpr_workgroup_id_z 0
		.amdhsa_system_sgpr_workgroup_info 0
		.amdhsa_system_vgpr_workitem_id 1
		.amdhsa_next_free_vgpr 9
		.amdhsa_next_free_sgpr 16
		.amdhsa_reserve_vcc 1
		.amdhsa_reserve_flat_scratch 0
		.amdhsa_float_round_mode_32 0
		.amdhsa_float_round_mode_16_64 0
		.amdhsa_float_denorm_mode_32 3
		.amdhsa_float_denorm_mode_16_64 3
		.amdhsa_dx10_clamp 1
		.amdhsa_ieee_mode 1
		.amdhsa_fp16_overflow 0
		.amdhsa_workgroup_processor_mode 1
		.amdhsa_memory_ordered 1
		.amdhsa_forward_progress 1
		.amdhsa_shared_vgpr_count 0
		.amdhsa_exception_fp_ieee_invalid_op 0
		.amdhsa_exception_fp_denorm_src 0
		.amdhsa_exception_fp_ieee_div_zero 0
		.amdhsa_exception_fp_ieee_overflow 0
		.amdhsa_exception_fp_ieee_underflow 0
		.amdhsa_exception_fp_ieee_inexact 0
		.amdhsa_exception_int_div_zero 0
	.end_amdhsa_kernel
	.section	.text._ZN12_GLOBAL__N_120softmax_warp_forwardIN3c108BFloat16EffLi0ELb0ELb0ELi32EEEvPT0_PKT_iiiPKbib,"axG",@progbits,_ZN12_GLOBAL__N_120softmax_warp_forwardIN3c108BFloat16EffLi0ELb0ELb0ELi32EEEvPT0_PKT_iiiPKbib,comdat
.Lfunc_end485:
	.size	_ZN12_GLOBAL__N_120softmax_warp_forwardIN3c108BFloat16EffLi0ELb0ELb0ELi32EEEvPT0_PKT_iiiPKbib, .Lfunc_end485-_ZN12_GLOBAL__N_120softmax_warp_forwardIN3c108BFloat16EffLi0ELb0ELb0ELi32EEEvPT0_PKT_iiiPKbib
                                        ; -- End function
	.set _ZN12_GLOBAL__N_120softmax_warp_forwardIN3c108BFloat16EffLi0ELb0ELb0ELi32EEEvPT0_PKT_iiiPKbib.num_vgpr, 9
	.set _ZN12_GLOBAL__N_120softmax_warp_forwardIN3c108BFloat16EffLi0ELb0ELb0ELi32EEEvPT0_PKT_iiiPKbib.num_agpr, 0
	.set _ZN12_GLOBAL__N_120softmax_warp_forwardIN3c108BFloat16EffLi0ELb0ELb0ELi32EEEvPT0_PKT_iiiPKbib.numbered_sgpr, 16
	.set _ZN12_GLOBAL__N_120softmax_warp_forwardIN3c108BFloat16EffLi0ELb0ELb0ELi32EEEvPT0_PKT_iiiPKbib.num_named_barrier, 0
	.set _ZN12_GLOBAL__N_120softmax_warp_forwardIN3c108BFloat16EffLi0ELb0ELb0ELi32EEEvPT0_PKT_iiiPKbib.private_seg_size, 0
	.set _ZN12_GLOBAL__N_120softmax_warp_forwardIN3c108BFloat16EffLi0ELb0ELb0ELi32EEEvPT0_PKT_iiiPKbib.uses_vcc, 1
	.set _ZN12_GLOBAL__N_120softmax_warp_forwardIN3c108BFloat16EffLi0ELb0ELb0ELi32EEEvPT0_PKT_iiiPKbib.uses_flat_scratch, 0
	.set _ZN12_GLOBAL__N_120softmax_warp_forwardIN3c108BFloat16EffLi0ELb0ELb0ELi32EEEvPT0_PKT_iiiPKbib.has_dyn_sized_stack, 0
	.set _ZN12_GLOBAL__N_120softmax_warp_forwardIN3c108BFloat16EffLi0ELb0ELb0ELi32EEEvPT0_PKT_iiiPKbib.has_recursion, 0
	.set _ZN12_GLOBAL__N_120softmax_warp_forwardIN3c108BFloat16EffLi0ELb0ELb0ELi32EEEvPT0_PKT_iiiPKbib.has_indirect_call, 0
	.section	.AMDGPU.csdata,"",@progbits
; Kernel info:
; codeLenInByte = 644
; TotalNumSgprs: 18
; NumVgprs: 9
; ScratchSize: 0
; MemoryBound: 0
; FloatMode: 240
; IeeeMode: 1
; LDSByteSize: 0 bytes/workgroup (compile time only)
; SGPRBlocks: 0
; VGPRBlocks: 1
; NumSGPRsForWavesPerEU: 18
; NumVGPRsForWavesPerEU: 9
; Occupancy: 16
; WaveLimiterHint : 0
; COMPUTE_PGM_RSRC2:SCRATCH_EN: 0
; COMPUTE_PGM_RSRC2:USER_SGPR: 6
; COMPUTE_PGM_RSRC2:TRAP_HANDLER: 0
; COMPUTE_PGM_RSRC2:TGID_X_EN: 1
; COMPUTE_PGM_RSRC2:TGID_Y_EN: 0
; COMPUTE_PGM_RSRC2:TGID_Z_EN: 0
; COMPUTE_PGM_RSRC2:TIDIG_COMP_CNT: 1
	.section	.text._ZN12_GLOBAL__N_120softmax_warp_forwardIN3c108BFloat16EffLi1ELb0ELb0ELi64EEEvPT0_PKT_iiiPKbib,"axG",@progbits,_ZN12_GLOBAL__N_120softmax_warp_forwardIN3c108BFloat16EffLi1ELb0ELb0ELi64EEEvPT0_PKT_iiiPKbib,comdat
	.globl	_ZN12_GLOBAL__N_120softmax_warp_forwardIN3c108BFloat16EffLi1ELb0ELb0ELi64EEEvPT0_PKT_iiiPKbib ; -- Begin function _ZN12_GLOBAL__N_120softmax_warp_forwardIN3c108BFloat16EffLi1ELb0ELb0ELi64EEEvPT0_PKT_iiiPKbib
	.p2align	8
	.type	_ZN12_GLOBAL__N_120softmax_warp_forwardIN3c108BFloat16EffLi1ELb0ELb0ELi64EEEvPT0_PKT_iiiPKbib,@function
_ZN12_GLOBAL__N_120softmax_warp_forwardIN3c108BFloat16EffLi1ELb0ELb0ELi64EEEvPT0_PKT_iiiPKbib: ; @_ZN12_GLOBAL__N_120softmax_warp_forwardIN3c108BFloat16EffLi1ELb0ELb0ELi64EEEvPT0_PKT_iiiPKbib
; %bb.0:
	s_clause 0x1
	s_load_dword s0, s[4:5], 0x3c
	s_load_dwordx8 s[8:15], s[4:5], 0x0
	v_mov_b32_e32 v6, 0xff800000
	s_waitcnt lgkmcnt(0)
	s_lshr_b32 s0, s0, 16
	s_and_b32 s0, s0, 0xffff
	s_mul_i32 s6, s6, s0
	v_cmp_gt_i32_e64 s0, s14, v0
	v_add_lshl_u32 v3, s6, v1, 1
	v_mad_u64_u32 v[1:2], null, v3, s13, v[0:1]
	v_sub_nc_u32_e32 v5, s12, v3
	v_mov_b32_e32 v0, 0xff800000
	v_cmp_lt_i32_e32 vcc_lo, 0, v5
	v_ashrrev_i32_e32 v2, 31, v1
	s_and_b32 s2, s0, vcc_lo
	v_lshlrev_b64 v[3:4], 1, v[1:2]
	v_add_co_u32 v3, s1, s10, v3
	v_add_co_ci_u32_e64 v4, null, s11, v4, s1
	s_and_saveexec_b32 s1, s2
	s_cbranch_execz .LBB486_2
; %bb.1:
	global_load_ushort v0, v[3:4], off
	s_waitcnt vmcnt(0)
	v_lshlrev_b32_e32 v0, 16, v0
.LBB486_2:
	s_or_b32 exec_lo, exec_lo, s1
	v_cmp_lt_i32_e64 s1, 1, v5
	s_and_b32 s1, s0, s1
	s_and_saveexec_b32 s2, s1
	s_cbranch_execz .LBB486_4
; %bb.3:
	s_mov_b32 s15, 0
	s_lshl_b64 s[4:5], s[14:15], 1
	v_add_co_u32 v3, s1, v3, s4
	v_add_co_ci_u32_e64 v4, null, s5, v4, s1
	global_load_ushort v3, v[3:4], off
	s_waitcnt vmcnt(0)
	v_lshlrev_b32_e32 v6, 16, v3
.LBB486_4:
	s_or_b32 exec_lo, exec_lo, s2
	v_mbcnt_lo_u32_b32 v3, -1, 0
	v_and_b32_e32 v4, 30, v3
	v_xor_b32_e32 v7, 1, v3
	v_add_nc_u32_e32 v4, 2, v4
	v_cmp_lt_i32_e64 s1, v7, v4
	v_cndmask_b32_e64 v3, v3, v7, s1
	v_lshlrev_b32_e32 v4, 2, v3
	ds_bpermute_b32 v3, v4, v0
	ds_bpermute_b32 v7, v4, v6
	s_waitcnt lgkmcnt(1)
	v_cmp_lt_f32_e64 s1, v0, v3
	v_cndmask_b32_e64 v3, v0, v3, s1
	s_waitcnt lgkmcnt(0)
	v_cmp_lt_f32_e64 s1, v6, v7
	v_sub_f32_e32 v0, v0, v3
	v_cndmask_b32_e64 v7, v6, v7, s1
	v_cmp_ngt_f32_e64 s1, 0xc2ce8ed0, v0
	v_sub_f32_e32 v3, v6, v7
	v_mul_f32_e32 v6, 0x3fb8aa3b, v0
	v_mul_f32_e32 v7, 0x3fb8aa3b, v3
	v_fma_f32 v8, 0x3fb8aa3b, v0, -v6
	v_rndne_f32_e32 v9, v6
	v_fma_f32 v10, 0x3fb8aa3b, v3, -v7
	v_rndne_f32_e32 v11, v7
	v_fmac_f32_e32 v8, 0x32a5705f, v0
	v_sub_f32_e32 v6, v6, v9
	v_fmac_f32_e32 v10, 0x32a5705f, v3
	v_sub_f32_e32 v7, v7, v11
	v_add_f32_e32 v6, v6, v8
	v_cvt_i32_f32_e32 v8, v9
	v_cvt_i32_f32_e32 v9, v11
	v_add_f32_e32 v7, v7, v10
	v_exp_f32_e32 v6, v6
	v_exp_f32_e32 v7, v7
	v_ldexp_f32 v6, v6, v8
	v_ldexp_f32 v7, v7, v9
	v_cndmask_b32_e64 v6, 0, v6, s1
	v_cmp_ngt_f32_e64 s1, 0xc2ce8ed0, v3
	v_cndmask_b32_e64 v7, 0, v7, s1
	v_cmp_nlt_f32_e64 s1, 0x42b17218, v0
	v_cndmask_b32_e64 v6, 0x7f800000, v6, s1
	v_cmp_nlt_f32_e64 s1, 0x42b17218, v3
	v_cndmask_b32_e64 v3, 0x7f800000, v7, s1
	ds_bpermute_b32 v7, v4, v6
	ds_bpermute_b32 v4, v4, v3
	s_and_saveexec_b32 s1, vcc_lo
	s_cbranch_execz .LBB486_9
; %bb.5:
	v_lshlrev_b64 v[0:1], 2, v[1:2]
	v_add_co_u32 v0, vcc_lo, s8, v0
	v_add_co_ci_u32_e64 v1, null, s9, v1, vcc_lo
	s_and_saveexec_b32 s1, s0
	s_cbranch_execz .LBB486_7
; %bb.6:
	s_waitcnt lgkmcnt(1)
	v_add_f32_e32 v2, v6, v7
	v_div_scale_f32 v7, null, v2, v2, v6
	v_rcp_f32_e32 v8, v7
	v_fma_f32 v9, -v7, v8, 1.0
	v_fmac_f32_e32 v8, v9, v8
	v_div_scale_f32 v9, vcc_lo, v6, v2, v6
	v_mul_f32_e32 v10, v9, v8
	v_fma_f32 v11, -v7, v10, v9
	v_fmac_f32_e32 v10, v11, v8
	v_fma_f32 v7, -v7, v10, v9
	v_div_fmas_f32 v7, v7, v8, v10
	v_cmp_neq_f32_e32 vcc_lo, 0, v2
	v_div_fixup_f32 v6, v7, v2, v6
	v_cndmask_b32_e32 v2, 0x7fc00000, v6, vcc_lo
	global_store_dword v[0:1], v2, off
.LBB486_7:
	s_or_b32 exec_lo, exec_lo, s1
	v_cmp_ne_u32_e32 vcc_lo, 1, v5
	s_and_b32 s0, vcc_lo, s0
	s_and_b32 exec_lo, exec_lo, s0
	s_cbranch_execz .LBB486_9
; %bb.8:
	s_waitcnt lgkmcnt(0)
	v_add_f32_e32 v2, v3, v4
	s_mov_b32 s15, 0
	s_lshl_b64 s[0:1], s[14:15], 2
	v_div_scale_f32 v4, null, v2, v2, v3
	v_div_scale_f32 v7, vcc_lo, v3, v2, v3
	v_rcp_f32_e32 v5, v4
	v_fma_f32 v6, -v4, v5, 1.0
	v_fmac_f32_e32 v5, v6, v5
	v_mul_f32_e32 v6, v7, v5
	v_fma_f32 v8, -v4, v6, v7
	v_fmac_f32_e32 v6, v8, v5
	v_fma_f32 v4, -v4, v6, v7
	v_div_fmas_f32 v4, v4, v5, v6
	v_add_co_u32 v0, vcc_lo, v0, s0
	v_add_co_ci_u32_e64 v1, null, s1, v1, vcc_lo
	v_div_fixup_f32 v3, v4, v2, v3
	v_cmp_neq_f32_e32 vcc_lo, 0, v2
	v_cndmask_b32_e32 v2, 0x7fc00000, v3, vcc_lo
	global_store_dword v[0:1], v2, off
.LBB486_9:
	s_endpgm
	.section	.rodata,"a",@progbits
	.p2align	6, 0x0
	.amdhsa_kernel _ZN12_GLOBAL__N_120softmax_warp_forwardIN3c108BFloat16EffLi1ELb0ELb0ELi64EEEvPT0_PKT_iiiPKbib
		.amdhsa_group_segment_fixed_size 0
		.amdhsa_private_segment_fixed_size 0
		.amdhsa_kernarg_size 304
		.amdhsa_user_sgpr_count 6
		.amdhsa_user_sgpr_private_segment_buffer 1
		.amdhsa_user_sgpr_dispatch_ptr 0
		.amdhsa_user_sgpr_queue_ptr 0
		.amdhsa_user_sgpr_kernarg_segment_ptr 1
		.amdhsa_user_sgpr_dispatch_id 0
		.amdhsa_user_sgpr_flat_scratch_init 0
		.amdhsa_user_sgpr_private_segment_size 0
		.amdhsa_wavefront_size32 1
		.amdhsa_uses_dynamic_stack 0
		.amdhsa_system_sgpr_private_segment_wavefront_offset 0
		.amdhsa_system_sgpr_workgroup_id_x 1
		.amdhsa_system_sgpr_workgroup_id_y 0
		.amdhsa_system_sgpr_workgroup_id_z 0
		.amdhsa_system_sgpr_workgroup_info 0
		.amdhsa_system_vgpr_workitem_id 1
		.amdhsa_next_free_vgpr 12
		.amdhsa_next_free_sgpr 16
		.amdhsa_reserve_vcc 1
		.amdhsa_reserve_flat_scratch 0
		.amdhsa_float_round_mode_32 0
		.amdhsa_float_round_mode_16_64 0
		.amdhsa_float_denorm_mode_32 3
		.amdhsa_float_denorm_mode_16_64 3
		.amdhsa_dx10_clamp 1
		.amdhsa_ieee_mode 1
		.amdhsa_fp16_overflow 0
		.amdhsa_workgroup_processor_mode 1
		.amdhsa_memory_ordered 1
		.amdhsa_forward_progress 1
		.amdhsa_shared_vgpr_count 0
		.amdhsa_exception_fp_ieee_invalid_op 0
		.amdhsa_exception_fp_denorm_src 0
		.amdhsa_exception_fp_ieee_div_zero 0
		.amdhsa_exception_fp_ieee_overflow 0
		.amdhsa_exception_fp_ieee_underflow 0
		.amdhsa_exception_fp_ieee_inexact 0
		.amdhsa_exception_int_div_zero 0
	.end_amdhsa_kernel
	.section	.text._ZN12_GLOBAL__N_120softmax_warp_forwardIN3c108BFloat16EffLi1ELb0ELb0ELi64EEEvPT0_PKT_iiiPKbib,"axG",@progbits,_ZN12_GLOBAL__N_120softmax_warp_forwardIN3c108BFloat16EffLi1ELb0ELb0ELi64EEEvPT0_PKT_iiiPKbib,comdat
.Lfunc_end486:
	.size	_ZN12_GLOBAL__N_120softmax_warp_forwardIN3c108BFloat16EffLi1ELb0ELb0ELi64EEEvPT0_PKT_iiiPKbib, .Lfunc_end486-_ZN12_GLOBAL__N_120softmax_warp_forwardIN3c108BFloat16EffLi1ELb0ELb0ELi64EEEvPT0_PKT_iiiPKbib
                                        ; -- End function
	.set _ZN12_GLOBAL__N_120softmax_warp_forwardIN3c108BFloat16EffLi1ELb0ELb0ELi64EEEvPT0_PKT_iiiPKbib.num_vgpr, 12
	.set _ZN12_GLOBAL__N_120softmax_warp_forwardIN3c108BFloat16EffLi1ELb0ELb0ELi64EEEvPT0_PKT_iiiPKbib.num_agpr, 0
	.set _ZN12_GLOBAL__N_120softmax_warp_forwardIN3c108BFloat16EffLi1ELb0ELb0ELi64EEEvPT0_PKT_iiiPKbib.numbered_sgpr, 16
	.set _ZN12_GLOBAL__N_120softmax_warp_forwardIN3c108BFloat16EffLi1ELb0ELb0ELi64EEEvPT0_PKT_iiiPKbib.num_named_barrier, 0
	.set _ZN12_GLOBAL__N_120softmax_warp_forwardIN3c108BFloat16EffLi1ELb0ELb0ELi64EEEvPT0_PKT_iiiPKbib.private_seg_size, 0
	.set _ZN12_GLOBAL__N_120softmax_warp_forwardIN3c108BFloat16EffLi1ELb0ELb0ELi64EEEvPT0_PKT_iiiPKbib.uses_vcc, 1
	.set _ZN12_GLOBAL__N_120softmax_warp_forwardIN3c108BFloat16EffLi1ELb0ELb0ELi64EEEvPT0_PKT_iiiPKbib.uses_flat_scratch, 0
	.set _ZN12_GLOBAL__N_120softmax_warp_forwardIN3c108BFloat16EffLi1ELb0ELb0ELi64EEEvPT0_PKT_iiiPKbib.has_dyn_sized_stack, 0
	.set _ZN12_GLOBAL__N_120softmax_warp_forwardIN3c108BFloat16EffLi1ELb0ELb0ELi64EEEvPT0_PKT_iiiPKbib.has_recursion, 0
	.set _ZN12_GLOBAL__N_120softmax_warp_forwardIN3c108BFloat16EffLi1ELb0ELb0ELi64EEEvPT0_PKT_iiiPKbib.has_indirect_call, 0
	.section	.AMDGPU.csdata,"",@progbits
; Kernel info:
; codeLenInByte = 820
; TotalNumSgprs: 18
; NumVgprs: 12
; ScratchSize: 0
; MemoryBound: 0
; FloatMode: 240
; IeeeMode: 1
; LDSByteSize: 0 bytes/workgroup (compile time only)
; SGPRBlocks: 0
; VGPRBlocks: 1
; NumSGPRsForWavesPerEU: 18
; NumVGPRsForWavesPerEU: 12
; Occupancy: 16
; WaveLimiterHint : 0
; COMPUTE_PGM_RSRC2:SCRATCH_EN: 0
; COMPUTE_PGM_RSRC2:USER_SGPR: 6
; COMPUTE_PGM_RSRC2:TRAP_HANDLER: 0
; COMPUTE_PGM_RSRC2:TGID_X_EN: 1
; COMPUTE_PGM_RSRC2:TGID_Y_EN: 0
; COMPUTE_PGM_RSRC2:TGID_Z_EN: 0
; COMPUTE_PGM_RSRC2:TIDIG_COMP_CNT: 1
	.section	.text._ZN12_GLOBAL__N_120softmax_warp_forwardIN3c108BFloat16EffLi1ELb0ELb0ELi32EEEvPT0_PKT_iiiPKbib,"axG",@progbits,_ZN12_GLOBAL__N_120softmax_warp_forwardIN3c108BFloat16EffLi1ELb0ELb0ELi32EEEvPT0_PKT_iiiPKbib,comdat
	.globl	_ZN12_GLOBAL__N_120softmax_warp_forwardIN3c108BFloat16EffLi1ELb0ELb0ELi32EEEvPT0_PKT_iiiPKbib ; -- Begin function _ZN12_GLOBAL__N_120softmax_warp_forwardIN3c108BFloat16EffLi1ELb0ELb0ELi32EEEvPT0_PKT_iiiPKbib
	.p2align	8
	.type	_ZN12_GLOBAL__N_120softmax_warp_forwardIN3c108BFloat16EffLi1ELb0ELb0ELi32EEEvPT0_PKT_iiiPKbib,@function
_ZN12_GLOBAL__N_120softmax_warp_forwardIN3c108BFloat16EffLi1ELb0ELb0ELi32EEEvPT0_PKT_iiiPKbib: ; @_ZN12_GLOBAL__N_120softmax_warp_forwardIN3c108BFloat16EffLi1ELb0ELb0ELi32EEEvPT0_PKT_iiiPKbib
; %bb.0:
	s_clause 0x1
	s_load_dword s0, s[4:5], 0x3c
	s_load_dwordx8 s[8:15], s[4:5], 0x0
	v_mov_b32_e32 v6, 0xff800000
	s_waitcnt lgkmcnt(0)
	s_lshr_b32 s0, s0, 16
	s_and_b32 s0, s0, 0xffff
	s_mul_i32 s6, s6, s0
	v_cmp_gt_i32_e64 s0, s14, v0
	v_add_lshl_u32 v3, s6, v1, 1
	v_mad_u64_u32 v[1:2], null, v3, s13, v[0:1]
	v_sub_nc_u32_e32 v5, s12, v3
	v_mov_b32_e32 v0, 0xff800000
	v_cmp_lt_i32_e32 vcc_lo, 0, v5
	v_ashrrev_i32_e32 v2, 31, v1
	s_and_b32 s2, s0, vcc_lo
	v_lshlrev_b64 v[3:4], 1, v[1:2]
	v_add_co_u32 v3, s1, s10, v3
	v_add_co_ci_u32_e64 v4, null, s11, v4, s1
	s_and_saveexec_b32 s1, s2
	s_cbranch_execz .LBB487_2
; %bb.1:
	global_load_ushort v0, v[3:4], off
	s_waitcnt vmcnt(0)
	v_lshlrev_b32_e32 v0, 16, v0
.LBB487_2:
	s_or_b32 exec_lo, exec_lo, s1
	v_cmp_lt_i32_e64 s1, 1, v5
	s_and_b32 s1, s0, s1
	s_and_saveexec_b32 s2, s1
	s_cbranch_execz .LBB487_4
; %bb.3:
	s_mov_b32 s15, 0
	s_lshl_b64 s[4:5], s[14:15], 1
	v_add_co_u32 v3, s1, v3, s4
	v_add_co_ci_u32_e64 v4, null, s5, v4, s1
	global_load_ushort v3, v[3:4], off
	s_waitcnt vmcnt(0)
	v_lshlrev_b32_e32 v6, 16, v3
.LBB487_4:
	s_or_b32 exec_lo, exec_lo, s2
	v_mbcnt_lo_u32_b32 v3, -1, 0
	v_and_b32_e32 v4, 30, v3
	v_xor_b32_e32 v7, 1, v3
	v_add_nc_u32_e32 v4, 2, v4
	v_cmp_lt_i32_e64 s1, v7, v4
	v_cndmask_b32_e64 v3, v3, v7, s1
	v_lshlrev_b32_e32 v4, 2, v3
	ds_bpermute_b32 v3, v4, v0
	ds_bpermute_b32 v7, v4, v6
	s_waitcnt lgkmcnt(1)
	v_cmp_lt_f32_e64 s1, v0, v3
	v_cndmask_b32_e64 v3, v0, v3, s1
	s_waitcnt lgkmcnt(0)
	v_cmp_lt_f32_e64 s1, v6, v7
	v_sub_f32_e32 v0, v0, v3
	v_cndmask_b32_e64 v7, v6, v7, s1
	v_cmp_ngt_f32_e64 s1, 0xc2ce8ed0, v0
	v_sub_f32_e32 v3, v6, v7
	v_mul_f32_e32 v6, 0x3fb8aa3b, v0
	v_mul_f32_e32 v7, 0x3fb8aa3b, v3
	v_fma_f32 v8, 0x3fb8aa3b, v0, -v6
	v_rndne_f32_e32 v9, v6
	v_fma_f32 v10, 0x3fb8aa3b, v3, -v7
	v_rndne_f32_e32 v11, v7
	v_fmac_f32_e32 v8, 0x32a5705f, v0
	v_sub_f32_e32 v6, v6, v9
	v_fmac_f32_e32 v10, 0x32a5705f, v3
	v_sub_f32_e32 v7, v7, v11
	v_add_f32_e32 v6, v6, v8
	v_cvt_i32_f32_e32 v8, v9
	v_cvt_i32_f32_e32 v9, v11
	v_add_f32_e32 v7, v7, v10
	v_exp_f32_e32 v6, v6
	v_exp_f32_e32 v7, v7
	v_ldexp_f32 v6, v6, v8
	v_ldexp_f32 v7, v7, v9
	v_cndmask_b32_e64 v6, 0, v6, s1
	v_cmp_ngt_f32_e64 s1, 0xc2ce8ed0, v3
	v_cndmask_b32_e64 v7, 0, v7, s1
	v_cmp_nlt_f32_e64 s1, 0x42b17218, v0
	v_cndmask_b32_e64 v6, 0x7f800000, v6, s1
	v_cmp_nlt_f32_e64 s1, 0x42b17218, v3
	v_cndmask_b32_e64 v3, 0x7f800000, v7, s1
	ds_bpermute_b32 v7, v4, v6
	ds_bpermute_b32 v4, v4, v3
	s_and_saveexec_b32 s1, vcc_lo
	s_cbranch_execz .LBB487_9
; %bb.5:
	v_lshlrev_b64 v[0:1], 2, v[1:2]
	v_add_co_u32 v0, vcc_lo, s8, v0
	v_add_co_ci_u32_e64 v1, null, s9, v1, vcc_lo
	s_and_saveexec_b32 s1, s0
	s_cbranch_execz .LBB487_7
; %bb.6:
	s_waitcnt lgkmcnt(1)
	v_add_f32_e32 v2, v6, v7
	v_div_scale_f32 v7, null, v2, v2, v6
	v_rcp_f32_e32 v8, v7
	v_fma_f32 v9, -v7, v8, 1.0
	v_fmac_f32_e32 v8, v9, v8
	v_div_scale_f32 v9, vcc_lo, v6, v2, v6
	v_mul_f32_e32 v10, v9, v8
	v_fma_f32 v11, -v7, v10, v9
	v_fmac_f32_e32 v10, v11, v8
	v_fma_f32 v7, -v7, v10, v9
	v_div_fmas_f32 v7, v7, v8, v10
	v_cmp_neq_f32_e32 vcc_lo, 0, v2
	v_div_fixup_f32 v6, v7, v2, v6
	v_cndmask_b32_e32 v2, 0x7fc00000, v6, vcc_lo
	global_store_dword v[0:1], v2, off
.LBB487_7:
	s_or_b32 exec_lo, exec_lo, s1
	v_cmp_ne_u32_e32 vcc_lo, 1, v5
	s_and_b32 s0, vcc_lo, s0
	s_and_b32 exec_lo, exec_lo, s0
	s_cbranch_execz .LBB487_9
; %bb.8:
	s_waitcnt lgkmcnt(0)
	v_add_f32_e32 v2, v3, v4
	s_mov_b32 s15, 0
	s_lshl_b64 s[0:1], s[14:15], 2
	v_div_scale_f32 v4, null, v2, v2, v3
	v_div_scale_f32 v7, vcc_lo, v3, v2, v3
	v_rcp_f32_e32 v5, v4
	v_fma_f32 v6, -v4, v5, 1.0
	v_fmac_f32_e32 v5, v6, v5
	v_mul_f32_e32 v6, v7, v5
	v_fma_f32 v8, -v4, v6, v7
	v_fmac_f32_e32 v6, v8, v5
	v_fma_f32 v4, -v4, v6, v7
	v_div_fmas_f32 v4, v4, v5, v6
	v_add_co_u32 v0, vcc_lo, v0, s0
	v_add_co_ci_u32_e64 v1, null, s1, v1, vcc_lo
	v_div_fixup_f32 v3, v4, v2, v3
	v_cmp_neq_f32_e32 vcc_lo, 0, v2
	v_cndmask_b32_e32 v2, 0x7fc00000, v3, vcc_lo
	global_store_dword v[0:1], v2, off
.LBB487_9:
	s_endpgm
	.section	.rodata,"a",@progbits
	.p2align	6, 0x0
	.amdhsa_kernel _ZN12_GLOBAL__N_120softmax_warp_forwardIN3c108BFloat16EffLi1ELb0ELb0ELi32EEEvPT0_PKT_iiiPKbib
		.amdhsa_group_segment_fixed_size 0
		.amdhsa_private_segment_fixed_size 0
		.amdhsa_kernarg_size 304
		.amdhsa_user_sgpr_count 6
		.amdhsa_user_sgpr_private_segment_buffer 1
		.amdhsa_user_sgpr_dispatch_ptr 0
		.amdhsa_user_sgpr_queue_ptr 0
		.amdhsa_user_sgpr_kernarg_segment_ptr 1
		.amdhsa_user_sgpr_dispatch_id 0
		.amdhsa_user_sgpr_flat_scratch_init 0
		.amdhsa_user_sgpr_private_segment_size 0
		.amdhsa_wavefront_size32 1
		.amdhsa_uses_dynamic_stack 0
		.amdhsa_system_sgpr_private_segment_wavefront_offset 0
		.amdhsa_system_sgpr_workgroup_id_x 1
		.amdhsa_system_sgpr_workgroup_id_y 0
		.amdhsa_system_sgpr_workgroup_id_z 0
		.amdhsa_system_sgpr_workgroup_info 0
		.amdhsa_system_vgpr_workitem_id 1
		.amdhsa_next_free_vgpr 12
		.amdhsa_next_free_sgpr 16
		.amdhsa_reserve_vcc 1
		.amdhsa_reserve_flat_scratch 0
		.amdhsa_float_round_mode_32 0
		.amdhsa_float_round_mode_16_64 0
		.amdhsa_float_denorm_mode_32 3
		.amdhsa_float_denorm_mode_16_64 3
		.amdhsa_dx10_clamp 1
		.amdhsa_ieee_mode 1
		.amdhsa_fp16_overflow 0
		.amdhsa_workgroup_processor_mode 1
		.amdhsa_memory_ordered 1
		.amdhsa_forward_progress 1
		.amdhsa_shared_vgpr_count 0
		.amdhsa_exception_fp_ieee_invalid_op 0
		.amdhsa_exception_fp_denorm_src 0
		.amdhsa_exception_fp_ieee_div_zero 0
		.amdhsa_exception_fp_ieee_overflow 0
		.amdhsa_exception_fp_ieee_underflow 0
		.amdhsa_exception_fp_ieee_inexact 0
		.amdhsa_exception_int_div_zero 0
	.end_amdhsa_kernel
	.section	.text._ZN12_GLOBAL__N_120softmax_warp_forwardIN3c108BFloat16EffLi1ELb0ELb0ELi32EEEvPT0_PKT_iiiPKbib,"axG",@progbits,_ZN12_GLOBAL__N_120softmax_warp_forwardIN3c108BFloat16EffLi1ELb0ELb0ELi32EEEvPT0_PKT_iiiPKbib,comdat
.Lfunc_end487:
	.size	_ZN12_GLOBAL__N_120softmax_warp_forwardIN3c108BFloat16EffLi1ELb0ELb0ELi32EEEvPT0_PKT_iiiPKbib, .Lfunc_end487-_ZN12_GLOBAL__N_120softmax_warp_forwardIN3c108BFloat16EffLi1ELb0ELb0ELi32EEEvPT0_PKT_iiiPKbib
                                        ; -- End function
	.set _ZN12_GLOBAL__N_120softmax_warp_forwardIN3c108BFloat16EffLi1ELb0ELb0ELi32EEEvPT0_PKT_iiiPKbib.num_vgpr, 12
	.set _ZN12_GLOBAL__N_120softmax_warp_forwardIN3c108BFloat16EffLi1ELb0ELb0ELi32EEEvPT0_PKT_iiiPKbib.num_agpr, 0
	.set _ZN12_GLOBAL__N_120softmax_warp_forwardIN3c108BFloat16EffLi1ELb0ELb0ELi32EEEvPT0_PKT_iiiPKbib.numbered_sgpr, 16
	.set _ZN12_GLOBAL__N_120softmax_warp_forwardIN3c108BFloat16EffLi1ELb0ELb0ELi32EEEvPT0_PKT_iiiPKbib.num_named_barrier, 0
	.set _ZN12_GLOBAL__N_120softmax_warp_forwardIN3c108BFloat16EffLi1ELb0ELb0ELi32EEEvPT0_PKT_iiiPKbib.private_seg_size, 0
	.set _ZN12_GLOBAL__N_120softmax_warp_forwardIN3c108BFloat16EffLi1ELb0ELb0ELi32EEEvPT0_PKT_iiiPKbib.uses_vcc, 1
	.set _ZN12_GLOBAL__N_120softmax_warp_forwardIN3c108BFloat16EffLi1ELb0ELb0ELi32EEEvPT0_PKT_iiiPKbib.uses_flat_scratch, 0
	.set _ZN12_GLOBAL__N_120softmax_warp_forwardIN3c108BFloat16EffLi1ELb0ELb0ELi32EEEvPT0_PKT_iiiPKbib.has_dyn_sized_stack, 0
	.set _ZN12_GLOBAL__N_120softmax_warp_forwardIN3c108BFloat16EffLi1ELb0ELb0ELi32EEEvPT0_PKT_iiiPKbib.has_recursion, 0
	.set _ZN12_GLOBAL__N_120softmax_warp_forwardIN3c108BFloat16EffLi1ELb0ELb0ELi32EEEvPT0_PKT_iiiPKbib.has_indirect_call, 0
	.section	.AMDGPU.csdata,"",@progbits
; Kernel info:
; codeLenInByte = 820
; TotalNumSgprs: 18
; NumVgprs: 12
; ScratchSize: 0
; MemoryBound: 0
; FloatMode: 240
; IeeeMode: 1
; LDSByteSize: 0 bytes/workgroup (compile time only)
; SGPRBlocks: 0
; VGPRBlocks: 1
; NumSGPRsForWavesPerEU: 18
; NumVGPRsForWavesPerEU: 12
; Occupancy: 16
; WaveLimiterHint : 0
; COMPUTE_PGM_RSRC2:SCRATCH_EN: 0
; COMPUTE_PGM_RSRC2:USER_SGPR: 6
; COMPUTE_PGM_RSRC2:TRAP_HANDLER: 0
; COMPUTE_PGM_RSRC2:TGID_X_EN: 1
; COMPUTE_PGM_RSRC2:TGID_Y_EN: 0
; COMPUTE_PGM_RSRC2:TGID_Z_EN: 0
; COMPUTE_PGM_RSRC2:TIDIG_COMP_CNT: 1
	.section	.text._ZN12_GLOBAL__N_120softmax_warp_forwardIN3c108BFloat16EffLi2ELb0ELb0ELi64EEEvPT0_PKT_iiiPKbib,"axG",@progbits,_ZN12_GLOBAL__N_120softmax_warp_forwardIN3c108BFloat16EffLi2ELb0ELb0ELi64EEEvPT0_PKT_iiiPKbib,comdat
	.globl	_ZN12_GLOBAL__N_120softmax_warp_forwardIN3c108BFloat16EffLi2ELb0ELb0ELi64EEEvPT0_PKT_iiiPKbib ; -- Begin function _ZN12_GLOBAL__N_120softmax_warp_forwardIN3c108BFloat16EffLi2ELb0ELb0ELi64EEEvPT0_PKT_iiiPKbib
	.p2align	8
	.type	_ZN12_GLOBAL__N_120softmax_warp_forwardIN3c108BFloat16EffLi2ELb0ELb0ELi64EEEvPT0_PKT_iiiPKbib,@function
_ZN12_GLOBAL__N_120softmax_warp_forwardIN3c108BFloat16EffLi2ELb0ELb0ELi64EEEvPT0_PKT_iiiPKbib: ; @_ZN12_GLOBAL__N_120softmax_warp_forwardIN3c108BFloat16EffLi2ELb0ELb0ELi64EEEvPT0_PKT_iiiPKbib
; %bb.0:
	s_clause 0x1
	s_load_dword s0, s[4:5], 0x3c
	s_load_dwordx8 s[8:15], s[4:5], 0x0
	v_mov_b32_e32 v6, 0xff800000
	s_waitcnt lgkmcnt(0)
	s_lshr_b32 s0, s0, 16
	s_and_b32 s0, s0, 0xffff
	s_mul_i32 s6, s6, s0
	v_cmp_gt_i32_e64 s0, s14, v0
	v_add_lshl_u32 v3, s6, v1, 1
	v_mad_u64_u32 v[1:2], null, v3, s13, v[0:1]
	v_sub_nc_u32_e32 v5, s12, v3
	v_mov_b32_e32 v0, 0xff800000
	v_cmp_lt_i32_e32 vcc_lo, 0, v5
	v_ashrrev_i32_e32 v2, 31, v1
	s_and_b32 s2, s0, vcc_lo
	v_lshlrev_b64 v[3:4], 1, v[1:2]
	v_add_co_u32 v3, s1, s10, v3
	v_add_co_ci_u32_e64 v4, null, s11, v4, s1
	s_and_saveexec_b32 s1, s2
	s_cbranch_execz .LBB488_2
; %bb.1:
	global_load_ushort v0, v[3:4], off
	s_waitcnt vmcnt(0)
	v_lshlrev_b32_e32 v0, 16, v0
.LBB488_2:
	s_or_b32 exec_lo, exec_lo, s1
	v_cmp_lt_i32_e64 s1, 1, v5
	s_and_b32 s1, s0, s1
	s_and_saveexec_b32 s2, s1
	s_cbranch_execz .LBB488_4
; %bb.3:
	s_mov_b32 s15, 0
	s_lshl_b64 s[4:5], s[14:15], 1
	v_add_co_u32 v3, s1, v3, s4
	v_add_co_ci_u32_e64 v4, null, s5, v4, s1
	global_load_ushort v3, v[3:4], off
	s_waitcnt vmcnt(0)
	v_lshlrev_b32_e32 v6, 16, v3
.LBB488_4:
	s_or_b32 exec_lo, exec_lo, s2
	v_mbcnt_lo_u32_b32 v3, -1, 0
	v_and_b32_e32 v4, 28, v3
	v_xor_b32_e32 v7, 2, v3
	v_xor_b32_e32 v10, 1, v3
	v_add_nc_u32_e32 v4, 4, v4
	v_cmp_lt_i32_e64 s1, v7, v4
	v_cndmask_b32_e64 v7, v3, v7, s1
	v_cmp_lt_i32_e64 s1, v10, v4
	v_lshlrev_b32_e32 v8, 2, v7
	v_cndmask_b32_e64 v3, v3, v10, s1
	ds_bpermute_b32 v7, v8, v0
	ds_bpermute_b32 v9, v8, v6
	v_lshlrev_b32_e32 v10, 2, v3
	s_waitcnt lgkmcnt(1)
	v_cmp_lt_f32_e64 s1, v0, v7
	v_cndmask_b32_e64 v3, v0, v7, s1
	s_waitcnt lgkmcnt(0)
	v_cmp_lt_f32_e64 s1, v6, v9
	ds_bpermute_b32 v7, v10, v3
	v_cndmask_b32_e64 v4, v6, v9, s1
	ds_bpermute_b32 v9, v10, v4
	s_waitcnt lgkmcnt(1)
	v_cmp_lt_f32_e64 s1, v3, v7
	v_cndmask_b32_e64 v3, v3, v7, s1
	s_waitcnt lgkmcnt(0)
	v_cmp_lt_f32_e64 s1, v4, v9
	v_sub_f32_e32 v0, v0, v3
	v_cndmask_b32_e64 v4, v4, v9, s1
	v_cmp_ngt_f32_e64 s1, 0xc2ce8ed0, v0
	v_sub_f32_e32 v3, v6, v4
	v_mul_f32_e32 v4, 0x3fb8aa3b, v0
	v_mul_f32_e32 v6, 0x3fb8aa3b, v3
	v_fma_f32 v7, 0x3fb8aa3b, v0, -v4
	v_rndne_f32_e32 v9, v4
	v_fma_f32 v11, 0x3fb8aa3b, v3, -v6
	v_rndne_f32_e32 v12, v6
	v_fmac_f32_e32 v7, 0x32a5705f, v0
	v_sub_f32_e32 v4, v4, v9
	v_fmac_f32_e32 v11, 0x32a5705f, v3
	v_sub_f32_e32 v6, v6, v12
	v_add_f32_e32 v4, v4, v7
	v_cvt_i32_f32_e32 v7, v9
	v_cvt_i32_f32_e32 v9, v12
	v_add_f32_e32 v6, v6, v11
	v_exp_f32_e32 v4, v4
	v_exp_f32_e32 v6, v6
	v_ldexp_f32 v4, v4, v7
	v_ldexp_f32 v6, v6, v9
	v_cndmask_b32_e64 v4, 0, v4, s1
	v_cmp_ngt_f32_e64 s1, 0xc2ce8ed0, v3
	v_cndmask_b32_e64 v6, 0, v6, s1
	v_cmp_nlt_f32_e64 s1, 0x42b17218, v0
	v_cndmask_b32_e64 v7, 0x7f800000, v4, s1
	v_cmp_nlt_f32_e64 s1, 0x42b17218, v3
	ds_bpermute_b32 v0, v8, v7
	v_cndmask_b32_e64 v3, 0x7f800000, v6, s1
	ds_bpermute_b32 v4, v8, v3
	s_waitcnt lgkmcnt(1)
	v_add_f32_e32 v8, v7, v0
	ds_bpermute_b32 v9, v10, v8
	s_waitcnt lgkmcnt(1)
	v_add_f32_e32 v4, v3, v4
	ds_bpermute_b32 v6, v10, v4
	s_and_saveexec_b32 s1, vcc_lo
	s_cbranch_execz .LBB488_9
; %bb.5:
	v_lshlrev_b64 v[0:1], 2, v[1:2]
	v_add_co_u32 v0, vcc_lo, s8, v0
	v_add_co_ci_u32_e64 v1, null, s9, v1, vcc_lo
	s_and_saveexec_b32 s1, s0
	s_cbranch_execz .LBB488_7
; %bb.6:
	s_waitcnt lgkmcnt(1)
	v_add_f32_e32 v2, v8, v9
	v_div_scale_f32 v8, null, v2, v2, v7
	v_rcp_f32_e32 v9, v8
	v_fma_f32 v10, -v8, v9, 1.0
	v_fmac_f32_e32 v9, v10, v9
	v_div_scale_f32 v10, vcc_lo, v7, v2, v7
	v_mul_f32_e32 v11, v10, v9
	v_fma_f32 v12, -v8, v11, v10
	v_fmac_f32_e32 v11, v12, v9
	v_fma_f32 v8, -v8, v11, v10
	v_div_fmas_f32 v8, v8, v9, v11
	v_cmp_neq_f32_e32 vcc_lo, 0, v2
	v_div_fixup_f32 v7, v8, v2, v7
	v_cndmask_b32_e32 v2, 0x7fc00000, v7, vcc_lo
	global_store_dword v[0:1], v2, off
.LBB488_7:
	s_or_b32 exec_lo, exec_lo, s1
	v_cmp_ne_u32_e32 vcc_lo, 1, v5
	s_and_b32 s0, vcc_lo, s0
	s_and_b32 exec_lo, exec_lo, s0
	s_cbranch_execz .LBB488_9
; %bb.8:
	s_waitcnt lgkmcnt(0)
	v_add_f32_e32 v2, v4, v6
	s_mov_b32 s15, 0
	s_lshl_b64 s[0:1], s[14:15], 2
	v_div_scale_f32 v4, null, v2, v2, v3
	v_div_scale_f32 v7, vcc_lo, v3, v2, v3
	v_rcp_f32_e32 v5, v4
	v_fma_f32 v6, -v4, v5, 1.0
	v_fmac_f32_e32 v5, v6, v5
	v_mul_f32_e32 v6, v7, v5
	v_fma_f32 v8, -v4, v6, v7
	v_fmac_f32_e32 v6, v8, v5
	v_fma_f32 v4, -v4, v6, v7
	v_div_fmas_f32 v4, v4, v5, v6
	v_add_co_u32 v0, vcc_lo, v0, s0
	v_add_co_ci_u32_e64 v1, null, s1, v1, vcc_lo
	v_div_fixup_f32 v3, v4, v2, v3
	v_cmp_neq_f32_e32 vcc_lo, 0, v2
	v_cndmask_b32_e32 v2, 0x7fc00000, v3, vcc_lo
	global_store_dword v[0:1], v2, off
.LBB488_9:
	s_endpgm
	.section	.rodata,"a",@progbits
	.p2align	6, 0x0
	.amdhsa_kernel _ZN12_GLOBAL__N_120softmax_warp_forwardIN3c108BFloat16EffLi2ELb0ELb0ELi64EEEvPT0_PKT_iiiPKbib
		.amdhsa_group_segment_fixed_size 0
		.amdhsa_private_segment_fixed_size 0
		.amdhsa_kernarg_size 304
		.amdhsa_user_sgpr_count 6
		.amdhsa_user_sgpr_private_segment_buffer 1
		.amdhsa_user_sgpr_dispatch_ptr 0
		.amdhsa_user_sgpr_queue_ptr 0
		.amdhsa_user_sgpr_kernarg_segment_ptr 1
		.amdhsa_user_sgpr_dispatch_id 0
		.amdhsa_user_sgpr_flat_scratch_init 0
		.amdhsa_user_sgpr_private_segment_size 0
		.amdhsa_wavefront_size32 1
		.amdhsa_uses_dynamic_stack 0
		.amdhsa_system_sgpr_private_segment_wavefront_offset 0
		.amdhsa_system_sgpr_workgroup_id_x 1
		.amdhsa_system_sgpr_workgroup_id_y 0
		.amdhsa_system_sgpr_workgroup_id_z 0
		.amdhsa_system_sgpr_workgroup_info 0
		.amdhsa_system_vgpr_workitem_id 1
		.amdhsa_next_free_vgpr 13
		.amdhsa_next_free_sgpr 16
		.amdhsa_reserve_vcc 1
		.amdhsa_reserve_flat_scratch 0
		.amdhsa_float_round_mode_32 0
		.amdhsa_float_round_mode_16_64 0
		.amdhsa_float_denorm_mode_32 3
		.amdhsa_float_denorm_mode_16_64 3
		.amdhsa_dx10_clamp 1
		.amdhsa_ieee_mode 1
		.amdhsa_fp16_overflow 0
		.amdhsa_workgroup_processor_mode 1
		.amdhsa_memory_ordered 1
		.amdhsa_forward_progress 1
		.amdhsa_shared_vgpr_count 0
		.amdhsa_exception_fp_ieee_invalid_op 0
		.amdhsa_exception_fp_denorm_src 0
		.amdhsa_exception_fp_ieee_div_zero 0
		.amdhsa_exception_fp_ieee_overflow 0
		.amdhsa_exception_fp_ieee_underflow 0
		.amdhsa_exception_fp_ieee_inexact 0
		.amdhsa_exception_int_div_zero 0
	.end_amdhsa_kernel
	.section	.text._ZN12_GLOBAL__N_120softmax_warp_forwardIN3c108BFloat16EffLi2ELb0ELb0ELi64EEEvPT0_PKT_iiiPKbib,"axG",@progbits,_ZN12_GLOBAL__N_120softmax_warp_forwardIN3c108BFloat16EffLi2ELb0ELb0ELi64EEEvPT0_PKT_iiiPKbib,comdat
.Lfunc_end488:
	.size	_ZN12_GLOBAL__N_120softmax_warp_forwardIN3c108BFloat16EffLi2ELb0ELb0ELi64EEEvPT0_PKT_iiiPKbib, .Lfunc_end488-_ZN12_GLOBAL__N_120softmax_warp_forwardIN3c108BFloat16EffLi2ELb0ELb0ELi64EEEvPT0_PKT_iiiPKbib
                                        ; -- End function
	.set _ZN12_GLOBAL__N_120softmax_warp_forwardIN3c108BFloat16EffLi2ELb0ELb0ELi64EEEvPT0_PKT_iiiPKbib.num_vgpr, 13
	.set _ZN12_GLOBAL__N_120softmax_warp_forwardIN3c108BFloat16EffLi2ELb0ELb0ELi64EEEvPT0_PKT_iiiPKbib.num_agpr, 0
	.set _ZN12_GLOBAL__N_120softmax_warp_forwardIN3c108BFloat16EffLi2ELb0ELb0ELi64EEEvPT0_PKT_iiiPKbib.numbered_sgpr, 16
	.set _ZN12_GLOBAL__N_120softmax_warp_forwardIN3c108BFloat16EffLi2ELb0ELb0ELi64EEEvPT0_PKT_iiiPKbib.num_named_barrier, 0
	.set _ZN12_GLOBAL__N_120softmax_warp_forwardIN3c108BFloat16EffLi2ELb0ELb0ELi64EEEvPT0_PKT_iiiPKbib.private_seg_size, 0
	.set _ZN12_GLOBAL__N_120softmax_warp_forwardIN3c108BFloat16EffLi2ELb0ELb0ELi64EEEvPT0_PKT_iiiPKbib.uses_vcc, 1
	.set _ZN12_GLOBAL__N_120softmax_warp_forwardIN3c108BFloat16EffLi2ELb0ELb0ELi64EEEvPT0_PKT_iiiPKbib.uses_flat_scratch, 0
	.set _ZN12_GLOBAL__N_120softmax_warp_forwardIN3c108BFloat16EffLi2ELb0ELb0ELi64EEEvPT0_PKT_iiiPKbib.has_dyn_sized_stack, 0
	.set _ZN12_GLOBAL__N_120softmax_warp_forwardIN3c108BFloat16EffLi2ELb0ELb0ELi64EEEvPT0_PKT_iiiPKbib.has_recursion, 0
	.set _ZN12_GLOBAL__N_120softmax_warp_forwardIN3c108BFloat16EffLi2ELb0ELb0ELi64EEEvPT0_PKT_iiiPKbib.has_indirect_call, 0
	.section	.AMDGPU.csdata,"",@progbits
; Kernel info:
; codeLenInByte = 932
; TotalNumSgprs: 18
; NumVgprs: 13
; ScratchSize: 0
; MemoryBound: 0
; FloatMode: 240
; IeeeMode: 1
; LDSByteSize: 0 bytes/workgroup (compile time only)
; SGPRBlocks: 0
; VGPRBlocks: 1
; NumSGPRsForWavesPerEU: 18
; NumVGPRsForWavesPerEU: 13
; Occupancy: 16
; WaveLimiterHint : 0
; COMPUTE_PGM_RSRC2:SCRATCH_EN: 0
; COMPUTE_PGM_RSRC2:USER_SGPR: 6
; COMPUTE_PGM_RSRC2:TRAP_HANDLER: 0
; COMPUTE_PGM_RSRC2:TGID_X_EN: 1
; COMPUTE_PGM_RSRC2:TGID_Y_EN: 0
; COMPUTE_PGM_RSRC2:TGID_Z_EN: 0
; COMPUTE_PGM_RSRC2:TIDIG_COMP_CNT: 1
	.section	.text._ZN12_GLOBAL__N_120softmax_warp_forwardIN3c108BFloat16EffLi2ELb0ELb0ELi32EEEvPT0_PKT_iiiPKbib,"axG",@progbits,_ZN12_GLOBAL__N_120softmax_warp_forwardIN3c108BFloat16EffLi2ELb0ELb0ELi32EEEvPT0_PKT_iiiPKbib,comdat
	.globl	_ZN12_GLOBAL__N_120softmax_warp_forwardIN3c108BFloat16EffLi2ELb0ELb0ELi32EEEvPT0_PKT_iiiPKbib ; -- Begin function _ZN12_GLOBAL__N_120softmax_warp_forwardIN3c108BFloat16EffLi2ELb0ELb0ELi32EEEvPT0_PKT_iiiPKbib
	.p2align	8
	.type	_ZN12_GLOBAL__N_120softmax_warp_forwardIN3c108BFloat16EffLi2ELb0ELb0ELi32EEEvPT0_PKT_iiiPKbib,@function
_ZN12_GLOBAL__N_120softmax_warp_forwardIN3c108BFloat16EffLi2ELb0ELb0ELi32EEEvPT0_PKT_iiiPKbib: ; @_ZN12_GLOBAL__N_120softmax_warp_forwardIN3c108BFloat16EffLi2ELb0ELb0ELi32EEEvPT0_PKT_iiiPKbib
; %bb.0:
	s_clause 0x1
	s_load_dword s0, s[4:5], 0x3c
	s_load_dwordx8 s[8:15], s[4:5], 0x0
	v_mov_b32_e32 v6, 0xff800000
	s_waitcnt lgkmcnt(0)
	s_lshr_b32 s0, s0, 16
	s_and_b32 s0, s0, 0xffff
	s_mul_i32 s6, s6, s0
	v_cmp_gt_i32_e64 s0, s14, v0
	v_add_lshl_u32 v3, s6, v1, 1
	v_mad_u64_u32 v[1:2], null, v3, s13, v[0:1]
	v_sub_nc_u32_e32 v5, s12, v3
	v_mov_b32_e32 v0, 0xff800000
	v_cmp_lt_i32_e32 vcc_lo, 0, v5
	v_ashrrev_i32_e32 v2, 31, v1
	s_and_b32 s2, s0, vcc_lo
	v_lshlrev_b64 v[3:4], 1, v[1:2]
	v_add_co_u32 v3, s1, s10, v3
	v_add_co_ci_u32_e64 v4, null, s11, v4, s1
	s_and_saveexec_b32 s1, s2
	s_cbranch_execz .LBB489_2
; %bb.1:
	global_load_ushort v0, v[3:4], off
	s_waitcnt vmcnt(0)
	v_lshlrev_b32_e32 v0, 16, v0
.LBB489_2:
	s_or_b32 exec_lo, exec_lo, s1
	v_cmp_lt_i32_e64 s1, 1, v5
	s_and_b32 s1, s0, s1
	s_and_saveexec_b32 s2, s1
	s_cbranch_execz .LBB489_4
; %bb.3:
	s_mov_b32 s15, 0
	s_lshl_b64 s[4:5], s[14:15], 1
	v_add_co_u32 v3, s1, v3, s4
	v_add_co_ci_u32_e64 v4, null, s5, v4, s1
	global_load_ushort v3, v[3:4], off
	s_waitcnt vmcnt(0)
	v_lshlrev_b32_e32 v6, 16, v3
.LBB489_4:
	s_or_b32 exec_lo, exec_lo, s2
	v_mbcnt_lo_u32_b32 v3, -1, 0
	v_and_b32_e32 v4, 28, v3
	v_xor_b32_e32 v7, 2, v3
	v_xor_b32_e32 v10, 1, v3
	v_add_nc_u32_e32 v4, 4, v4
	v_cmp_lt_i32_e64 s1, v7, v4
	v_cndmask_b32_e64 v7, v3, v7, s1
	v_cmp_lt_i32_e64 s1, v10, v4
	v_lshlrev_b32_e32 v8, 2, v7
	v_cndmask_b32_e64 v3, v3, v10, s1
	ds_bpermute_b32 v7, v8, v0
	ds_bpermute_b32 v9, v8, v6
	v_lshlrev_b32_e32 v10, 2, v3
	s_waitcnt lgkmcnt(1)
	v_cmp_lt_f32_e64 s1, v0, v7
	v_cndmask_b32_e64 v3, v0, v7, s1
	s_waitcnt lgkmcnt(0)
	v_cmp_lt_f32_e64 s1, v6, v9
	ds_bpermute_b32 v7, v10, v3
	v_cndmask_b32_e64 v4, v6, v9, s1
	ds_bpermute_b32 v9, v10, v4
	s_waitcnt lgkmcnt(1)
	v_cmp_lt_f32_e64 s1, v3, v7
	v_cndmask_b32_e64 v3, v3, v7, s1
	s_waitcnt lgkmcnt(0)
	v_cmp_lt_f32_e64 s1, v4, v9
	v_sub_f32_e32 v0, v0, v3
	v_cndmask_b32_e64 v4, v4, v9, s1
	v_cmp_ngt_f32_e64 s1, 0xc2ce8ed0, v0
	v_sub_f32_e32 v3, v6, v4
	v_mul_f32_e32 v4, 0x3fb8aa3b, v0
	v_mul_f32_e32 v6, 0x3fb8aa3b, v3
	v_fma_f32 v7, 0x3fb8aa3b, v0, -v4
	v_rndne_f32_e32 v9, v4
	v_fma_f32 v11, 0x3fb8aa3b, v3, -v6
	v_rndne_f32_e32 v12, v6
	v_fmac_f32_e32 v7, 0x32a5705f, v0
	v_sub_f32_e32 v4, v4, v9
	v_fmac_f32_e32 v11, 0x32a5705f, v3
	v_sub_f32_e32 v6, v6, v12
	v_add_f32_e32 v4, v4, v7
	v_cvt_i32_f32_e32 v7, v9
	v_cvt_i32_f32_e32 v9, v12
	v_add_f32_e32 v6, v6, v11
	v_exp_f32_e32 v4, v4
	v_exp_f32_e32 v6, v6
	v_ldexp_f32 v4, v4, v7
	v_ldexp_f32 v6, v6, v9
	v_cndmask_b32_e64 v4, 0, v4, s1
	v_cmp_ngt_f32_e64 s1, 0xc2ce8ed0, v3
	v_cndmask_b32_e64 v6, 0, v6, s1
	v_cmp_nlt_f32_e64 s1, 0x42b17218, v0
	v_cndmask_b32_e64 v7, 0x7f800000, v4, s1
	v_cmp_nlt_f32_e64 s1, 0x42b17218, v3
	ds_bpermute_b32 v0, v8, v7
	v_cndmask_b32_e64 v3, 0x7f800000, v6, s1
	ds_bpermute_b32 v4, v8, v3
	s_waitcnt lgkmcnt(1)
	v_add_f32_e32 v8, v7, v0
	ds_bpermute_b32 v9, v10, v8
	s_waitcnt lgkmcnt(1)
	v_add_f32_e32 v4, v3, v4
	ds_bpermute_b32 v6, v10, v4
	s_and_saveexec_b32 s1, vcc_lo
	s_cbranch_execz .LBB489_9
; %bb.5:
	v_lshlrev_b64 v[0:1], 2, v[1:2]
	v_add_co_u32 v0, vcc_lo, s8, v0
	v_add_co_ci_u32_e64 v1, null, s9, v1, vcc_lo
	s_and_saveexec_b32 s1, s0
	s_cbranch_execz .LBB489_7
; %bb.6:
	s_waitcnt lgkmcnt(1)
	v_add_f32_e32 v2, v8, v9
	v_div_scale_f32 v8, null, v2, v2, v7
	v_rcp_f32_e32 v9, v8
	v_fma_f32 v10, -v8, v9, 1.0
	v_fmac_f32_e32 v9, v10, v9
	v_div_scale_f32 v10, vcc_lo, v7, v2, v7
	v_mul_f32_e32 v11, v10, v9
	v_fma_f32 v12, -v8, v11, v10
	v_fmac_f32_e32 v11, v12, v9
	v_fma_f32 v8, -v8, v11, v10
	v_div_fmas_f32 v8, v8, v9, v11
	v_cmp_neq_f32_e32 vcc_lo, 0, v2
	v_div_fixup_f32 v7, v8, v2, v7
	v_cndmask_b32_e32 v2, 0x7fc00000, v7, vcc_lo
	global_store_dword v[0:1], v2, off
.LBB489_7:
	s_or_b32 exec_lo, exec_lo, s1
	v_cmp_ne_u32_e32 vcc_lo, 1, v5
	s_and_b32 s0, vcc_lo, s0
	s_and_b32 exec_lo, exec_lo, s0
	s_cbranch_execz .LBB489_9
; %bb.8:
	s_waitcnt lgkmcnt(0)
	v_add_f32_e32 v2, v4, v6
	s_mov_b32 s15, 0
	s_lshl_b64 s[0:1], s[14:15], 2
	v_div_scale_f32 v4, null, v2, v2, v3
	v_div_scale_f32 v7, vcc_lo, v3, v2, v3
	v_rcp_f32_e32 v5, v4
	v_fma_f32 v6, -v4, v5, 1.0
	v_fmac_f32_e32 v5, v6, v5
	v_mul_f32_e32 v6, v7, v5
	v_fma_f32 v8, -v4, v6, v7
	v_fmac_f32_e32 v6, v8, v5
	v_fma_f32 v4, -v4, v6, v7
	v_div_fmas_f32 v4, v4, v5, v6
	v_add_co_u32 v0, vcc_lo, v0, s0
	v_add_co_ci_u32_e64 v1, null, s1, v1, vcc_lo
	v_div_fixup_f32 v3, v4, v2, v3
	v_cmp_neq_f32_e32 vcc_lo, 0, v2
	v_cndmask_b32_e32 v2, 0x7fc00000, v3, vcc_lo
	global_store_dword v[0:1], v2, off
.LBB489_9:
	s_endpgm
	.section	.rodata,"a",@progbits
	.p2align	6, 0x0
	.amdhsa_kernel _ZN12_GLOBAL__N_120softmax_warp_forwardIN3c108BFloat16EffLi2ELb0ELb0ELi32EEEvPT0_PKT_iiiPKbib
		.amdhsa_group_segment_fixed_size 0
		.amdhsa_private_segment_fixed_size 0
		.amdhsa_kernarg_size 304
		.amdhsa_user_sgpr_count 6
		.amdhsa_user_sgpr_private_segment_buffer 1
		.amdhsa_user_sgpr_dispatch_ptr 0
		.amdhsa_user_sgpr_queue_ptr 0
		.amdhsa_user_sgpr_kernarg_segment_ptr 1
		.amdhsa_user_sgpr_dispatch_id 0
		.amdhsa_user_sgpr_flat_scratch_init 0
		.amdhsa_user_sgpr_private_segment_size 0
		.amdhsa_wavefront_size32 1
		.amdhsa_uses_dynamic_stack 0
		.amdhsa_system_sgpr_private_segment_wavefront_offset 0
		.amdhsa_system_sgpr_workgroup_id_x 1
		.amdhsa_system_sgpr_workgroup_id_y 0
		.amdhsa_system_sgpr_workgroup_id_z 0
		.amdhsa_system_sgpr_workgroup_info 0
		.amdhsa_system_vgpr_workitem_id 1
		.amdhsa_next_free_vgpr 13
		.amdhsa_next_free_sgpr 16
		.amdhsa_reserve_vcc 1
		.amdhsa_reserve_flat_scratch 0
		.amdhsa_float_round_mode_32 0
		.amdhsa_float_round_mode_16_64 0
		.amdhsa_float_denorm_mode_32 3
		.amdhsa_float_denorm_mode_16_64 3
		.amdhsa_dx10_clamp 1
		.amdhsa_ieee_mode 1
		.amdhsa_fp16_overflow 0
		.amdhsa_workgroup_processor_mode 1
		.amdhsa_memory_ordered 1
		.amdhsa_forward_progress 1
		.amdhsa_shared_vgpr_count 0
		.amdhsa_exception_fp_ieee_invalid_op 0
		.amdhsa_exception_fp_denorm_src 0
		.amdhsa_exception_fp_ieee_div_zero 0
		.amdhsa_exception_fp_ieee_overflow 0
		.amdhsa_exception_fp_ieee_underflow 0
		.amdhsa_exception_fp_ieee_inexact 0
		.amdhsa_exception_int_div_zero 0
	.end_amdhsa_kernel
	.section	.text._ZN12_GLOBAL__N_120softmax_warp_forwardIN3c108BFloat16EffLi2ELb0ELb0ELi32EEEvPT0_PKT_iiiPKbib,"axG",@progbits,_ZN12_GLOBAL__N_120softmax_warp_forwardIN3c108BFloat16EffLi2ELb0ELb0ELi32EEEvPT0_PKT_iiiPKbib,comdat
.Lfunc_end489:
	.size	_ZN12_GLOBAL__N_120softmax_warp_forwardIN3c108BFloat16EffLi2ELb0ELb0ELi32EEEvPT0_PKT_iiiPKbib, .Lfunc_end489-_ZN12_GLOBAL__N_120softmax_warp_forwardIN3c108BFloat16EffLi2ELb0ELb0ELi32EEEvPT0_PKT_iiiPKbib
                                        ; -- End function
	.set _ZN12_GLOBAL__N_120softmax_warp_forwardIN3c108BFloat16EffLi2ELb0ELb0ELi32EEEvPT0_PKT_iiiPKbib.num_vgpr, 13
	.set _ZN12_GLOBAL__N_120softmax_warp_forwardIN3c108BFloat16EffLi2ELb0ELb0ELi32EEEvPT0_PKT_iiiPKbib.num_agpr, 0
	.set _ZN12_GLOBAL__N_120softmax_warp_forwardIN3c108BFloat16EffLi2ELb0ELb0ELi32EEEvPT0_PKT_iiiPKbib.numbered_sgpr, 16
	.set _ZN12_GLOBAL__N_120softmax_warp_forwardIN3c108BFloat16EffLi2ELb0ELb0ELi32EEEvPT0_PKT_iiiPKbib.num_named_barrier, 0
	.set _ZN12_GLOBAL__N_120softmax_warp_forwardIN3c108BFloat16EffLi2ELb0ELb0ELi32EEEvPT0_PKT_iiiPKbib.private_seg_size, 0
	.set _ZN12_GLOBAL__N_120softmax_warp_forwardIN3c108BFloat16EffLi2ELb0ELb0ELi32EEEvPT0_PKT_iiiPKbib.uses_vcc, 1
	.set _ZN12_GLOBAL__N_120softmax_warp_forwardIN3c108BFloat16EffLi2ELb0ELb0ELi32EEEvPT0_PKT_iiiPKbib.uses_flat_scratch, 0
	.set _ZN12_GLOBAL__N_120softmax_warp_forwardIN3c108BFloat16EffLi2ELb0ELb0ELi32EEEvPT0_PKT_iiiPKbib.has_dyn_sized_stack, 0
	.set _ZN12_GLOBAL__N_120softmax_warp_forwardIN3c108BFloat16EffLi2ELb0ELb0ELi32EEEvPT0_PKT_iiiPKbib.has_recursion, 0
	.set _ZN12_GLOBAL__N_120softmax_warp_forwardIN3c108BFloat16EffLi2ELb0ELb0ELi32EEEvPT0_PKT_iiiPKbib.has_indirect_call, 0
	.section	.AMDGPU.csdata,"",@progbits
; Kernel info:
; codeLenInByte = 932
; TotalNumSgprs: 18
; NumVgprs: 13
; ScratchSize: 0
; MemoryBound: 0
; FloatMode: 240
; IeeeMode: 1
; LDSByteSize: 0 bytes/workgroup (compile time only)
; SGPRBlocks: 0
; VGPRBlocks: 1
; NumSGPRsForWavesPerEU: 18
; NumVGPRsForWavesPerEU: 13
; Occupancy: 16
; WaveLimiterHint : 0
; COMPUTE_PGM_RSRC2:SCRATCH_EN: 0
; COMPUTE_PGM_RSRC2:USER_SGPR: 6
; COMPUTE_PGM_RSRC2:TRAP_HANDLER: 0
; COMPUTE_PGM_RSRC2:TGID_X_EN: 1
; COMPUTE_PGM_RSRC2:TGID_Y_EN: 0
; COMPUTE_PGM_RSRC2:TGID_Z_EN: 0
; COMPUTE_PGM_RSRC2:TIDIG_COMP_CNT: 1
	.section	.text._ZN12_GLOBAL__N_120softmax_warp_forwardIN3c108BFloat16EffLi3ELb0ELb0ELi64EEEvPT0_PKT_iiiPKbib,"axG",@progbits,_ZN12_GLOBAL__N_120softmax_warp_forwardIN3c108BFloat16EffLi3ELb0ELb0ELi64EEEvPT0_PKT_iiiPKbib,comdat
	.globl	_ZN12_GLOBAL__N_120softmax_warp_forwardIN3c108BFloat16EffLi3ELb0ELb0ELi64EEEvPT0_PKT_iiiPKbib ; -- Begin function _ZN12_GLOBAL__N_120softmax_warp_forwardIN3c108BFloat16EffLi3ELb0ELb0ELi64EEEvPT0_PKT_iiiPKbib
	.p2align	8
	.type	_ZN12_GLOBAL__N_120softmax_warp_forwardIN3c108BFloat16EffLi3ELb0ELb0ELi64EEEvPT0_PKT_iiiPKbib,@function
_ZN12_GLOBAL__N_120softmax_warp_forwardIN3c108BFloat16EffLi3ELb0ELb0ELi64EEEvPT0_PKT_iiiPKbib: ; @_ZN12_GLOBAL__N_120softmax_warp_forwardIN3c108BFloat16EffLi3ELb0ELb0ELi64EEEvPT0_PKT_iiiPKbib
; %bb.0:
	s_clause 0x1
	s_load_dword s0, s[4:5], 0x3c
	s_load_dwordx8 s[8:15], s[4:5], 0x0
	v_mov_b32_e32 v6, 0xff800000
	s_waitcnt lgkmcnt(0)
	s_lshr_b32 s0, s0, 16
	s_and_b32 s0, s0, 0xffff
	s_mul_i32 s6, s6, s0
	v_cmp_gt_i32_e64 s0, s14, v0
	v_add_lshl_u32 v3, s6, v1, 1
	v_mad_u64_u32 v[1:2], null, v3, s13, v[0:1]
	v_sub_nc_u32_e32 v5, s12, v3
	v_mov_b32_e32 v0, 0xff800000
	v_cmp_lt_i32_e32 vcc_lo, 0, v5
	v_ashrrev_i32_e32 v2, 31, v1
	s_and_b32 s2, s0, vcc_lo
	v_lshlrev_b64 v[3:4], 1, v[1:2]
	v_add_co_u32 v3, s1, s10, v3
	v_add_co_ci_u32_e64 v4, null, s11, v4, s1
	s_and_saveexec_b32 s1, s2
	s_cbranch_execz .LBB490_2
; %bb.1:
	global_load_ushort v0, v[3:4], off
	s_waitcnt vmcnt(0)
	v_lshlrev_b32_e32 v0, 16, v0
.LBB490_2:
	s_or_b32 exec_lo, exec_lo, s1
	v_cmp_lt_i32_e64 s1, 1, v5
	s_and_b32 s1, s0, s1
	s_and_saveexec_b32 s2, s1
	s_cbranch_execz .LBB490_4
; %bb.3:
	s_mov_b32 s15, 0
	s_lshl_b64 s[4:5], s[14:15], 1
	v_add_co_u32 v3, s1, v3, s4
	v_add_co_ci_u32_e64 v4, null, s5, v4, s1
	global_load_ushort v3, v[3:4], off
	s_waitcnt vmcnt(0)
	v_lshlrev_b32_e32 v6, 16, v3
.LBB490_4:
	s_or_b32 exec_lo, exec_lo, s2
	v_mbcnt_lo_u32_b32 v3, -1, 0
	v_and_b32_e32 v4, 24, v3
	v_xor_b32_e32 v7, 4, v3
	v_xor_b32_e32 v10, 2, v3
	;; [unrolled: 1-line block ×3, first 2 shown]
	v_add_nc_u32_e32 v4, 8, v4
	v_cmp_lt_i32_e64 s1, v7, v4
	v_cndmask_b32_e64 v7, v3, v7, s1
	v_cmp_lt_i32_e64 s1, v10, v4
	v_lshlrev_b32_e32 v8, 2, v7
	v_cndmask_b32_e64 v10, v3, v10, s1
	ds_bpermute_b32 v7, v8, v0
	ds_bpermute_b32 v9, v8, v6
	v_lshlrev_b32_e32 v10, 2, v10
	s_waitcnt lgkmcnt(1)
	v_cmp_lt_f32_e64 s1, v0, v7
	v_cndmask_b32_e64 v7, v0, v7, s1
	s_waitcnt lgkmcnt(0)
	v_cmp_lt_f32_e64 s1, v6, v9
	ds_bpermute_b32 v11, v10, v7
	v_cndmask_b32_e64 v9, v6, v9, s1
	v_cmp_lt_i32_e64 s1, v13, v4
	ds_bpermute_b32 v12, v10, v9
	v_cndmask_b32_e64 v3, v3, v13, s1
	v_lshlrev_b32_e32 v13, 2, v3
	s_waitcnt lgkmcnt(1)
	v_cmp_lt_f32_e64 s1, v7, v11
	v_cndmask_b32_e64 v3, v7, v11, s1
	s_waitcnt lgkmcnt(0)
	v_cmp_lt_f32_e64 s1, v9, v12
	ds_bpermute_b32 v7, v13, v3
	v_cndmask_b32_e64 v4, v9, v12, s1
	ds_bpermute_b32 v9, v13, v4
	s_waitcnt lgkmcnt(1)
	v_cmp_lt_f32_e64 s1, v3, v7
	v_cndmask_b32_e64 v3, v3, v7, s1
	s_waitcnt lgkmcnt(0)
	v_cmp_lt_f32_e64 s1, v4, v9
	v_sub_f32_e32 v0, v0, v3
	v_cndmask_b32_e64 v4, v4, v9, s1
	v_cmp_ngt_f32_e64 s1, 0xc2ce8ed0, v0
	v_sub_f32_e32 v3, v6, v4
	v_mul_f32_e32 v4, 0x3fb8aa3b, v0
	v_mul_f32_e32 v6, 0x3fb8aa3b, v3
	v_fma_f32 v7, 0x3fb8aa3b, v0, -v4
	v_rndne_f32_e32 v9, v4
	v_fma_f32 v11, 0x3fb8aa3b, v3, -v6
	v_rndne_f32_e32 v12, v6
	v_fmac_f32_e32 v7, 0x32a5705f, v0
	v_sub_f32_e32 v4, v4, v9
	v_fmac_f32_e32 v11, 0x32a5705f, v3
	v_sub_f32_e32 v6, v6, v12
	v_add_f32_e32 v4, v4, v7
	v_cvt_i32_f32_e32 v7, v9
	v_cvt_i32_f32_e32 v9, v12
	v_add_f32_e32 v6, v6, v11
	v_exp_f32_e32 v4, v4
	v_exp_f32_e32 v6, v6
	v_ldexp_f32 v4, v4, v7
	v_ldexp_f32 v6, v6, v9
	v_cndmask_b32_e64 v4, 0, v4, s1
	v_cmp_ngt_f32_e64 s1, 0xc2ce8ed0, v3
	v_cndmask_b32_e64 v6, 0, v6, s1
	v_cmp_nlt_f32_e64 s1, 0x42b17218, v0
	v_cndmask_b32_e64 v7, 0x7f800000, v4, s1
	v_cmp_nlt_f32_e64 s1, 0x42b17218, v3
	ds_bpermute_b32 v0, v8, v7
	v_cndmask_b32_e64 v3, 0x7f800000, v6, s1
	ds_bpermute_b32 v4, v8, v3
	s_waitcnt lgkmcnt(1)
	v_add_f32_e32 v0, v7, v0
	ds_bpermute_b32 v6, v10, v0
	s_waitcnt lgkmcnt(1)
	v_add_f32_e32 v4, v3, v4
	;; [unrolled: 3-line block ×3, first 2 shown]
	s_waitcnt lgkmcnt(0)
	v_add_f32_e32 v4, v4, v9
	ds_bpermute_b32 v9, v13, v8
	ds_bpermute_b32 v6, v13, v4
	s_and_saveexec_b32 s1, vcc_lo
	s_cbranch_execz .LBB490_9
; %bb.5:
	v_lshlrev_b64 v[0:1], 2, v[1:2]
	v_add_co_u32 v0, vcc_lo, s8, v0
	v_add_co_ci_u32_e64 v1, null, s9, v1, vcc_lo
	s_and_saveexec_b32 s1, s0
	s_cbranch_execz .LBB490_7
; %bb.6:
	s_waitcnt lgkmcnt(1)
	v_add_f32_e32 v2, v8, v9
	v_div_scale_f32 v8, null, v2, v2, v7
	v_rcp_f32_e32 v9, v8
	v_fma_f32 v10, -v8, v9, 1.0
	v_fmac_f32_e32 v9, v10, v9
	v_div_scale_f32 v10, vcc_lo, v7, v2, v7
	v_mul_f32_e32 v11, v10, v9
	v_fma_f32 v12, -v8, v11, v10
	v_fmac_f32_e32 v11, v12, v9
	v_fma_f32 v8, -v8, v11, v10
	v_div_fmas_f32 v8, v8, v9, v11
	v_cmp_neq_f32_e32 vcc_lo, 0, v2
	v_div_fixup_f32 v7, v8, v2, v7
	v_cndmask_b32_e32 v2, 0x7fc00000, v7, vcc_lo
	global_store_dword v[0:1], v2, off
.LBB490_7:
	s_or_b32 exec_lo, exec_lo, s1
	v_cmp_ne_u32_e32 vcc_lo, 1, v5
	s_and_b32 s0, vcc_lo, s0
	s_and_b32 exec_lo, exec_lo, s0
	s_cbranch_execz .LBB490_9
; %bb.8:
	s_waitcnt lgkmcnt(0)
	v_add_f32_e32 v2, v4, v6
	s_mov_b32 s15, 0
	s_lshl_b64 s[0:1], s[14:15], 2
	v_div_scale_f32 v4, null, v2, v2, v3
	v_div_scale_f32 v7, vcc_lo, v3, v2, v3
	v_rcp_f32_e32 v5, v4
	v_fma_f32 v6, -v4, v5, 1.0
	v_fmac_f32_e32 v5, v6, v5
	v_mul_f32_e32 v6, v7, v5
	v_fma_f32 v8, -v4, v6, v7
	v_fmac_f32_e32 v6, v8, v5
	v_fma_f32 v4, -v4, v6, v7
	v_div_fmas_f32 v4, v4, v5, v6
	v_add_co_u32 v0, vcc_lo, v0, s0
	v_add_co_ci_u32_e64 v1, null, s1, v1, vcc_lo
	v_div_fixup_f32 v3, v4, v2, v3
	v_cmp_neq_f32_e32 vcc_lo, 0, v2
	v_cndmask_b32_e32 v2, 0x7fc00000, v3, vcc_lo
	global_store_dword v[0:1], v2, off
.LBB490_9:
	s_endpgm
	.section	.rodata,"a",@progbits
	.p2align	6, 0x0
	.amdhsa_kernel _ZN12_GLOBAL__N_120softmax_warp_forwardIN3c108BFloat16EffLi3ELb0ELb0ELi64EEEvPT0_PKT_iiiPKbib
		.amdhsa_group_segment_fixed_size 0
		.amdhsa_private_segment_fixed_size 0
		.amdhsa_kernarg_size 304
		.amdhsa_user_sgpr_count 6
		.amdhsa_user_sgpr_private_segment_buffer 1
		.amdhsa_user_sgpr_dispatch_ptr 0
		.amdhsa_user_sgpr_queue_ptr 0
		.amdhsa_user_sgpr_kernarg_segment_ptr 1
		.amdhsa_user_sgpr_dispatch_id 0
		.amdhsa_user_sgpr_flat_scratch_init 0
		.amdhsa_user_sgpr_private_segment_size 0
		.amdhsa_wavefront_size32 1
		.amdhsa_uses_dynamic_stack 0
		.amdhsa_system_sgpr_private_segment_wavefront_offset 0
		.amdhsa_system_sgpr_workgroup_id_x 1
		.amdhsa_system_sgpr_workgroup_id_y 0
		.amdhsa_system_sgpr_workgroup_id_z 0
		.amdhsa_system_sgpr_workgroup_info 0
		.amdhsa_system_vgpr_workitem_id 1
		.amdhsa_next_free_vgpr 14
		.amdhsa_next_free_sgpr 16
		.amdhsa_reserve_vcc 1
		.amdhsa_reserve_flat_scratch 0
		.amdhsa_float_round_mode_32 0
		.amdhsa_float_round_mode_16_64 0
		.amdhsa_float_denorm_mode_32 3
		.amdhsa_float_denorm_mode_16_64 3
		.amdhsa_dx10_clamp 1
		.amdhsa_ieee_mode 1
		.amdhsa_fp16_overflow 0
		.amdhsa_workgroup_processor_mode 1
		.amdhsa_memory_ordered 1
		.amdhsa_forward_progress 1
		.amdhsa_shared_vgpr_count 0
		.amdhsa_exception_fp_ieee_invalid_op 0
		.amdhsa_exception_fp_denorm_src 0
		.amdhsa_exception_fp_ieee_div_zero 0
		.amdhsa_exception_fp_ieee_overflow 0
		.amdhsa_exception_fp_ieee_underflow 0
		.amdhsa_exception_fp_ieee_inexact 0
		.amdhsa_exception_int_div_zero 0
	.end_amdhsa_kernel
	.section	.text._ZN12_GLOBAL__N_120softmax_warp_forwardIN3c108BFloat16EffLi3ELb0ELb0ELi64EEEvPT0_PKT_iiiPKbib,"axG",@progbits,_ZN12_GLOBAL__N_120softmax_warp_forwardIN3c108BFloat16EffLi3ELb0ELb0ELi64EEEvPT0_PKT_iiiPKbib,comdat
.Lfunc_end490:
	.size	_ZN12_GLOBAL__N_120softmax_warp_forwardIN3c108BFloat16EffLi3ELb0ELb0ELi64EEEvPT0_PKT_iiiPKbib, .Lfunc_end490-_ZN12_GLOBAL__N_120softmax_warp_forwardIN3c108BFloat16EffLi3ELb0ELb0ELi64EEEvPT0_PKT_iiiPKbib
                                        ; -- End function
	.set _ZN12_GLOBAL__N_120softmax_warp_forwardIN3c108BFloat16EffLi3ELb0ELb0ELi64EEEvPT0_PKT_iiiPKbib.num_vgpr, 14
	.set _ZN12_GLOBAL__N_120softmax_warp_forwardIN3c108BFloat16EffLi3ELb0ELb0ELi64EEEvPT0_PKT_iiiPKbib.num_agpr, 0
	.set _ZN12_GLOBAL__N_120softmax_warp_forwardIN3c108BFloat16EffLi3ELb0ELb0ELi64EEEvPT0_PKT_iiiPKbib.numbered_sgpr, 16
	.set _ZN12_GLOBAL__N_120softmax_warp_forwardIN3c108BFloat16EffLi3ELb0ELb0ELi64EEEvPT0_PKT_iiiPKbib.num_named_barrier, 0
	.set _ZN12_GLOBAL__N_120softmax_warp_forwardIN3c108BFloat16EffLi3ELb0ELb0ELi64EEEvPT0_PKT_iiiPKbib.private_seg_size, 0
	.set _ZN12_GLOBAL__N_120softmax_warp_forwardIN3c108BFloat16EffLi3ELb0ELb0ELi64EEEvPT0_PKT_iiiPKbib.uses_vcc, 1
	.set _ZN12_GLOBAL__N_120softmax_warp_forwardIN3c108BFloat16EffLi3ELb0ELb0ELi64EEEvPT0_PKT_iiiPKbib.uses_flat_scratch, 0
	.set _ZN12_GLOBAL__N_120softmax_warp_forwardIN3c108BFloat16EffLi3ELb0ELb0ELi64EEEvPT0_PKT_iiiPKbib.has_dyn_sized_stack, 0
	.set _ZN12_GLOBAL__N_120softmax_warp_forwardIN3c108BFloat16EffLi3ELb0ELb0ELi64EEEvPT0_PKT_iiiPKbib.has_recursion, 0
	.set _ZN12_GLOBAL__N_120softmax_warp_forwardIN3c108BFloat16EffLi3ELb0ELb0ELi64EEEvPT0_PKT_iiiPKbib.has_indirect_call, 0
	.section	.AMDGPU.csdata,"",@progbits
; Kernel info:
; codeLenInByte = 1044
; TotalNumSgprs: 18
; NumVgprs: 14
; ScratchSize: 0
; MemoryBound: 0
; FloatMode: 240
; IeeeMode: 1
; LDSByteSize: 0 bytes/workgroup (compile time only)
; SGPRBlocks: 0
; VGPRBlocks: 1
; NumSGPRsForWavesPerEU: 18
; NumVGPRsForWavesPerEU: 14
; Occupancy: 16
; WaveLimiterHint : 0
; COMPUTE_PGM_RSRC2:SCRATCH_EN: 0
; COMPUTE_PGM_RSRC2:USER_SGPR: 6
; COMPUTE_PGM_RSRC2:TRAP_HANDLER: 0
; COMPUTE_PGM_RSRC2:TGID_X_EN: 1
; COMPUTE_PGM_RSRC2:TGID_Y_EN: 0
; COMPUTE_PGM_RSRC2:TGID_Z_EN: 0
; COMPUTE_PGM_RSRC2:TIDIG_COMP_CNT: 1
	.section	.text._ZN12_GLOBAL__N_120softmax_warp_forwardIN3c108BFloat16EffLi3ELb0ELb0ELi32EEEvPT0_PKT_iiiPKbib,"axG",@progbits,_ZN12_GLOBAL__N_120softmax_warp_forwardIN3c108BFloat16EffLi3ELb0ELb0ELi32EEEvPT0_PKT_iiiPKbib,comdat
	.globl	_ZN12_GLOBAL__N_120softmax_warp_forwardIN3c108BFloat16EffLi3ELb0ELb0ELi32EEEvPT0_PKT_iiiPKbib ; -- Begin function _ZN12_GLOBAL__N_120softmax_warp_forwardIN3c108BFloat16EffLi3ELb0ELb0ELi32EEEvPT0_PKT_iiiPKbib
	.p2align	8
	.type	_ZN12_GLOBAL__N_120softmax_warp_forwardIN3c108BFloat16EffLi3ELb0ELb0ELi32EEEvPT0_PKT_iiiPKbib,@function
_ZN12_GLOBAL__N_120softmax_warp_forwardIN3c108BFloat16EffLi3ELb0ELb0ELi32EEEvPT0_PKT_iiiPKbib: ; @_ZN12_GLOBAL__N_120softmax_warp_forwardIN3c108BFloat16EffLi3ELb0ELb0ELi32EEEvPT0_PKT_iiiPKbib
; %bb.0:
	s_clause 0x1
	s_load_dword s0, s[4:5], 0x3c
	s_load_dwordx8 s[8:15], s[4:5], 0x0
	v_mov_b32_e32 v6, 0xff800000
	s_waitcnt lgkmcnt(0)
	s_lshr_b32 s0, s0, 16
	s_and_b32 s0, s0, 0xffff
	s_mul_i32 s6, s6, s0
	v_cmp_gt_i32_e64 s0, s14, v0
	v_add_lshl_u32 v3, s6, v1, 1
	v_mad_u64_u32 v[1:2], null, v3, s13, v[0:1]
	v_sub_nc_u32_e32 v5, s12, v3
	v_mov_b32_e32 v0, 0xff800000
	v_cmp_lt_i32_e32 vcc_lo, 0, v5
	v_ashrrev_i32_e32 v2, 31, v1
	s_and_b32 s2, s0, vcc_lo
	v_lshlrev_b64 v[3:4], 1, v[1:2]
	v_add_co_u32 v3, s1, s10, v3
	v_add_co_ci_u32_e64 v4, null, s11, v4, s1
	s_and_saveexec_b32 s1, s2
	s_cbranch_execz .LBB491_2
; %bb.1:
	global_load_ushort v0, v[3:4], off
	s_waitcnt vmcnt(0)
	v_lshlrev_b32_e32 v0, 16, v0
.LBB491_2:
	s_or_b32 exec_lo, exec_lo, s1
	v_cmp_lt_i32_e64 s1, 1, v5
	s_and_b32 s1, s0, s1
	s_and_saveexec_b32 s2, s1
	s_cbranch_execz .LBB491_4
; %bb.3:
	s_mov_b32 s15, 0
	s_lshl_b64 s[4:5], s[14:15], 1
	v_add_co_u32 v3, s1, v3, s4
	v_add_co_ci_u32_e64 v4, null, s5, v4, s1
	global_load_ushort v3, v[3:4], off
	s_waitcnt vmcnt(0)
	v_lshlrev_b32_e32 v6, 16, v3
.LBB491_4:
	s_or_b32 exec_lo, exec_lo, s2
	v_mbcnt_lo_u32_b32 v3, -1, 0
	v_and_b32_e32 v4, 24, v3
	v_xor_b32_e32 v7, 4, v3
	v_xor_b32_e32 v10, 2, v3
	;; [unrolled: 1-line block ×3, first 2 shown]
	v_add_nc_u32_e32 v4, 8, v4
	v_cmp_lt_i32_e64 s1, v7, v4
	v_cndmask_b32_e64 v7, v3, v7, s1
	v_cmp_lt_i32_e64 s1, v10, v4
	v_lshlrev_b32_e32 v8, 2, v7
	v_cndmask_b32_e64 v10, v3, v10, s1
	ds_bpermute_b32 v7, v8, v0
	ds_bpermute_b32 v9, v8, v6
	v_lshlrev_b32_e32 v10, 2, v10
	s_waitcnt lgkmcnt(1)
	v_cmp_lt_f32_e64 s1, v0, v7
	v_cndmask_b32_e64 v7, v0, v7, s1
	s_waitcnt lgkmcnt(0)
	v_cmp_lt_f32_e64 s1, v6, v9
	ds_bpermute_b32 v11, v10, v7
	v_cndmask_b32_e64 v9, v6, v9, s1
	v_cmp_lt_i32_e64 s1, v13, v4
	ds_bpermute_b32 v12, v10, v9
	v_cndmask_b32_e64 v3, v3, v13, s1
	v_lshlrev_b32_e32 v13, 2, v3
	s_waitcnt lgkmcnt(1)
	v_cmp_lt_f32_e64 s1, v7, v11
	v_cndmask_b32_e64 v3, v7, v11, s1
	s_waitcnt lgkmcnt(0)
	v_cmp_lt_f32_e64 s1, v9, v12
	ds_bpermute_b32 v7, v13, v3
	v_cndmask_b32_e64 v4, v9, v12, s1
	ds_bpermute_b32 v9, v13, v4
	s_waitcnt lgkmcnt(1)
	v_cmp_lt_f32_e64 s1, v3, v7
	v_cndmask_b32_e64 v3, v3, v7, s1
	s_waitcnt lgkmcnt(0)
	v_cmp_lt_f32_e64 s1, v4, v9
	v_sub_f32_e32 v0, v0, v3
	v_cndmask_b32_e64 v4, v4, v9, s1
	v_cmp_ngt_f32_e64 s1, 0xc2ce8ed0, v0
	v_sub_f32_e32 v3, v6, v4
	v_mul_f32_e32 v4, 0x3fb8aa3b, v0
	v_mul_f32_e32 v6, 0x3fb8aa3b, v3
	v_fma_f32 v7, 0x3fb8aa3b, v0, -v4
	v_rndne_f32_e32 v9, v4
	v_fma_f32 v11, 0x3fb8aa3b, v3, -v6
	v_rndne_f32_e32 v12, v6
	v_fmac_f32_e32 v7, 0x32a5705f, v0
	v_sub_f32_e32 v4, v4, v9
	v_fmac_f32_e32 v11, 0x32a5705f, v3
	v_sub_f32_e32 v6, v6, v12
	v_add_f32_e32 v4, v4, v7
	v_cvt_i32_f32_e32 v7, v9
	v_cvt_i32_f32_e32 v9, v12
	v_add_f32_e32 v6, v6, v11
	v_exp_f32_e32 v4, v4
	v_exp_f32_e32 v6, v6
	v_ldexp_f32 v4, v4, v7
	v_ldexp_f32 v6, v6, v9
	v_cndmask_b32_e64 v4, 0, v4, s1
	v_cmp_ngt_f32_e64 s1, 0xc2ce8ed0, v3
	v_cndmask_b32_e64 v6, 0, v6, s1
	v_cmp_nlt_f32_e64 s1, 0x42b17218, v0
	v_cndmask_b32_e64 v7, 0x7f800000, v4, s1
	v_cmp_nlt_f32_e64 s1, 0x42b17218, v3
	ds_bpermute_b32 v0, v8, v7
	v_cndmask_b32_e64 v3, 0x7f800000, v6, s1
	ds_bpermute_b32 v4, v8, v3
	s_waitcnt lgkmcnt(1)
	v_add_f32_e32 v0, v7, v0
	ds_bpermute_b32 v6, v10, v0
	s_waitcnt lgkmcnt(1)
	v_add_f32_e32 v4, v3, v4
	;; [unrolled: 3-line block ×3, first 2 shown]
	s_waitcnt lgkmcnt(0)
	v_add_f32_e32 v4, v4, v9
	ds_bpermute_b32 v9, v13, v8
	ds_bpermute_b32 v6, v13, v4
	s_and_saveexec_b32 s1, vcc_lo
	s_cbranch_execz .LBB491_9
; %bb.5:
	v_lshlrev_b64 v[0:1], 2, v[1:2]
	v_add_co_u32 v0, vcc_lo, s8, v0
	v_add_co_ci_u32_e64 v1, null, s9, v1, vcc_lo
	s_and_saveexec_b32 s1, s0
	s_cbranch_execz .LBB491_7
; %bb.6:
	s_waitcnt lgkmcnt(1)
	v_add_f32_e32 v2, v8, v9
	v_div_scale_f32 v8, null, v2, v2, v7
	v_rcp_f32_e32 v9, v8
	v_fma_f32 v10, -v8, v9, 1.0
	v_fmac_f32_e32 v9, v10, v9
	v_div_scale_f32 v10, vcc_lo, v7, v2, v7
	v_mul_f32_e32 v11, v10, v9
	v_fma_f32 v12, -v8, v11, v10
	v_fmac_f32_e32 v11, v12, v9
	v_fma_f32 v8, -v8, v11, v10
	v_div_fmas_f32 v8, v8, v9, v11
	v_cmp_neq_f32_e32 vcc_lo, 0, v2
	v_div_fixup_f32 v7, v8, v2, v7
	v_cndmask_b32_e32 v2, 0x7fc00000, v7, vcc_lo
	global_store_dword v[0:1], v2, off
.LBB491_7:
	s_or_b32 exec_lo, exec_lo, s1
	v_cmp_ne_u32_e32 vcc_lo, 1, v5
	s_and_b32 s0, vcc_lo, s0
	s_and_b32 exec_lo, exec_lo, s0
	s_cbranch_execz .LBB491_9
; %bb.8:
	s_waitcnt lgkmcnt(0)
	v_add_f32_e32 v2, v4, v6
	s_mov_b32 s15, 0
	s_lshl_b64 s[0:1], s[14:15], 2
	v_div_scale_f32 v4, null, v2, v2, v3
	v_div_scale_f32 v7, vcc_lo, v3, v2, v3
	v_rcp_f32_e32 v5, v4
	v_fma_f32 v6, -v4, v5, 1.0
	v_fmac_f32_e32 v5, v6, v5
	v_mul_f32_e32 v6, v7, v5
	v_fma_f32 v8, -v4, v6, v7
	v_fmac_f32_e32 v6, v8, v5
	v_fma_f32 v4, -v4, v6, v7
	v_div_fmas_f32 v4, v4, v5, v6
	v_add_co_u32 v0, vcc_lo, v0, s0
	v_add_co_ci_u32_e64 v1, null, s1, v1, vcc_lo
	v_div_fixup_f32 v3, v4, v2, v3
	v_cmp_neq_f32_e32 vcc_lo, 0, v2
	v_cndmask_b32_e32 v2, 0x7fc00000, v3, vcc_lo
	global_store_dword v[0:1], v2, off
.LBB491_9:
	s_endpgm
	.section	.rodata,"a",@progbits
	.p2align	6, 0x0
	.amdhsa_kernel _ZN12_GLOBAL__N_120softmax_warp_forwardIN3c108BFloat16EffLi3ELb0ELb0ELi32EEEvPT0_PKT_iiiPKbib
		.amdhsa_group_segment_fixed_size 0
		.amdhsa_private_segment_fixed_size 0
		.amdhsa_kernarg_size 304
		.amdhsa_user_sgpr_count 6
		.amdhsa_user_sgpr_private_segment_buffer 1
		.amdhsa_user_sgpr_dispatch_ptr 0
		.amdhsa_user_sgpr_queue_ptr 0
		.amdhsa_user_sgpr_kernarg_segment_ptr 1
		.amdhsa_user_sgpr_dispatch_id 0
		.amdhsa_user_sgpr_flat_scratch_init 0
		.amdhsa_user_sgpr_private_segment_size 0
		.amdhsa_wavefront_size32 1
		.amdhsa_uses_dynamic_stack 0
		.amdhsa_system_sgpr_private_segment_wavefront_offset 0
		.amdhsa_system_sgpr_workgroup_id_x 1
		.amdhsa_system_sgpr_workgroup_id_y 0
		.amdhsa_system_sgpr_workgroup_id_z 0
		.amdhsa_system_sgpr_workgroup_info 0
		.amdhsa_system_vgpr_workitem_id 1
		.amdhsa_next_free_vgpr 14
		.amdhsa_next_free_sgpr 16
		.amdhsa_reserve_vcc 1
		.amdhsa_reserve_flat_scratch 0
		.amdhsa_float_round_mode_32 0
		.amdhsa_float_round_mode_16_64 0
		.amdhsa_float_denorm_mode_32 3
		.amdhsa_float_denorm_mode_16_64 3
		.amdhsa_dx10_clamp 1
		.amdhsa_ieee_mode 1
		.amdhsa_fp16_overflow 0
		.amdhsa_workgroup_processor_mode 1
		.amdhsa_memory_ordered 1
		.amdhsa_forward_progress 1
		.amdhsa_shared_vgpr_count 0
		.amdhsa_exception_fp_ieee_invalid_op 0
		.amdhsa_exception_fp_denorm_src 0
		.amdhsa_exception_fp_ieee_div_zero 0
		.amdhsa_exception_fp_ieee_overflow 0
		.amdhsa_exception_fp_ieee_underflow 0
		.amdhsa_exception_fp_ieee_inexact 0
		.amdhsa_exception_int_div_zero 0
	.end_amdhsa_kernel
	.section	.text._ZN12_GLOBAL__N_120softmax_warp_forwardIN3c108BFloat16EffLi3ELb0ELb0ELi32EEEvPT0_PKT_iiiPKbib,"axG",@progbits,_ZN12_GLOBAL__N_120softmax_warp_forwardIN3c108BFloat16EffLi3ELb0ELb0ELi32EEEvPT0_PKT_iiiPKbib,comdat
.Lfunc_end491:
	.size	_ZN12_GLOBAL__N_120softmax_warp_forwardIN3c108BFloat16EffLi3ELb0ELb0ELi32EEEvPT0_PKT_iiiPKbib, .Lfunc_end491-_ZN12_GLOBAL__N_120softmax_warp_forwardIN3c108BFloat16EffLi3ELb0ELb0ELi32EEEvPT0_PKT_iiiPKbib
                                        ; -- End function
	.set _ZN12_GLOBAL__N_120softmax_warp_forwardIN3c108BFloat16EffLi3ELb0ELb0ELi32EEEvPT0_PKT_iiiPKbib.num_vgpr, 14
	.set _ZN12_GLOBAL__N_120softmax_warp_forwardIN3c108BFloat16EffLi3ELb0ELb0ELi32EEEvPT0_PKT_iiiPKbib.num_agpr, 0
	.set _ZN12_GLOBAL__N_120softmax_warp_forwardIN3c108BFloat16EffLi3ELb0ELb0ELi32EEEvPT0_PKT_iiiPKbib.numbered_sgpr, 16
	.set _ZN12_GLOBAL__N_120softmax_warp_forwardIN3c108BFloat16EffLi3ELb0ELb0ELi32EEEvPT0_PKT_iiiPKbib.num_named_barrier, 0
	.set _ZN12_GLOBAL__N_120softmax_warp_forwardIN3c108BFloat16EffLi3ELb0ELb0ELi32EEEvPT0_PKT_iiiPKbib.private_seg_size, 0
	.set _ZN12_GLOBAL__N_120softmax_warp_forwardIN3c108BFloat16EffLi3ELb0ELb0ELi32EEEvPT0_PKT_iiiPKbib.uses_vcc, 1
	.set _ZN12_GLOBAL__N_120softmax_warp_forwardIN3c108BFloat16EffLi3ELb0ELb0ELi32EEEvPT0_PKT_iiiPKbib.uses_flat_scratch, 0
	.set _ZN12_GLOBAL__N_120softmax_warp_forwardIN3c108BFloat16EffLi3ELb0ELb0ELi32EEEvPT0_PKT_iiiPKbib.has_dyn_sized_stack, 0
	.set _ZN12_GLOBAL__N_120softmax_warp_forwardIN3c108BFloat16EffLi3ELb0ELb0ELi32EEEvPT0_PKT_iiiPKbib.has_recursion, 0
	.set _ZN12_GLOBAL__N_120softmax_warp_forwardIN3c108BFloat16EffLi3ELb0ELb0ELi32EEEvPT0_PKT_iiiPKbib.has_indirect_call, 0
	.section	.AMDGPU.csdata,"",@progbits
; Kernel info:
; codeLenInByte = 1044
; TotalNumSgprs: 18
; NumVgprs: 14
; ScratchSize: 0
; MemoryBound: 0
; FloatMode: 240
; IeeeMode: 1
; LDSByteSize: 0 bytes/workgroup (compile time only)
; SGPRBlocks: 0
; VGPRBlocks: 1
; NumSGPRsForWavesPerEU: 18
; NumVGPRsForWavesPerEU: 14
; Occupancy: 16
; WaveLimiterHint : 0
; COMPUTE_PGM_RSRC2:SCRATCH_EN: 0
; COMPUTE_PGM_RSRC2:USER_SGPR: 6
; COMPUTE_PGM_RSRC2:TRAP_HANDLER: 0
; COMPUTE_PGM_RSRC2:TGID_X_EN: 1
; COMPUTE_PGM_RSRC2:TGID_Y_EN: 0
; COMPUTE_PGM_RSRC2:TGID_Z_EN: 0
; COMPUTE_PGM_RSRC2:TIDIG_COMP_CNT: 1
	.section	.text._ZN12_GLOBAL__N_120softmax_warp_forwardIN3c108BFloat16EffLi4ELb0ELb0ELi64EEEvPT0_PKT_iiiPKbib,"axG",@progbits,_ZN12_GLOBAL__N_120softmax_warp_forwardIN3c108BFloat16EffLi4ELb0ELb0ELi64EEEvPT0_PKT_iiiPKbib,comdat
	.globl	_ZN12_GLOBAL__N_120softmax_warp_forwardIN3c108BFloat16EffLi4ELb0ELb0ELi64EEEvPT0_PKT_iiiPKbib ; -- Begin function _ZN12_GLOBAL__N_120softmax_warp_forwardIN3c108BFloat16EffLi4ELb0ELb0ELi64EEEvPT0_PKT_iiiPKbib
	.p2align	8
	.type	_ZN12_GLOBAL__N_120softmax_warp_forwardIN3c108BFloat16EffLi4ELb0ELb0ELi64EEEvPT0_PKT_iiiPKbib,@function
_ZN12_GLOBAL__N_120softmax_warp_forwardIN3c108BFloat16EffLi4ELb0ELb0ELi64EEEvPT0_PKT_iiiPKbib: ; @_ZN12_GLOBAL__N_120softmax_warp_forwardIN3c108BFloat16EffLi4ELb0ELb0ELi64EEEvPT0_PKT_iiiPKbib
; %bb.0:
	s_clause 0x1
	s_load_dword s0, s[4:5], 0x3c
	s_load_dwordx8 s[8:15], s[4:5], 0x0
	v_mov_b32_e32 v6, 0xff800000
	s_waitcnt lgkmcnt(0)
	s_lshr_b32 s0, s0, 16
	s_and_b32 s0, s0, 0xffff
	s_mul_i32 s6, s6, s0
	v_cmp_gt_i32_e64 s0, s14, v0
	v_add_lshl_u32 v3, s6, v1, 1
	v_mad_u64_u32 v[1:2], null, v3, s13, v[0:1]
	v_sub_nc_u32_e32 v5, s12, v3
	v_mov_b32_e32 v0, 0xff800000
	v_cmp_lt_i32_e32 vcc_lo, 0, v5
	v_ashrrev_i32_e32 v2, 31, v1
	s_and_b32 s2, s0, vcc_lo
	v_lshlrev_b64 v[3:4], 1, v[1:2]
	v_add_co_u32 v3, s1, s10, v3
	v_add_co_ci_u32_e64 v4, null, s11, v4, s1
	s_and_saveexec_b32 s1, s2
	s_cbranch_execz .LBB492_2
; %bb.1:
	global_load_ushort v0, v[3:4], off
	s_waitcnt vmcnt(0)
	v_lshlrev_b32_e32 v0, 16, v0
.LBB492_2:
	s_or_b32 exec_lo, exec_lo, s1
	v_cmp_lt_i32_e64 s1, 1, v5
	s_and_b32 s1, s0, s1
	s_and_saveexec_b32 s2, s1
	s_cbranch_execz .LBB492_4
; %bb.3:
	s_mov_b32 s15, 0
	s_lshl_b64 s[4:5], s[14:15], 1
	v_add_co_u32 v3, s1, v3, s4
	v_add_co_ci_u32_e64 v4, null, s5, v4, s1
	global_load_ushort v3, v[3:4], off
	s_waitcnt vmcnt(0)
	v_lshlrev_b32_e32 v6, 16, v3
.LBB492_4:
	s_or_b32 exec_lo, exec_lo, s2
	v_mbcnt_lo_u32_b32 v3, -1, 0
	v_and_b32_e32 v4, 16, v3
	v_xor_b32_e32 v7, 8, v3
	v_xor_b32_e32 v10, 4, v3
	;; [unrolled: 1-line block ×4, first 2 shown]
	v_add_nc_u32_e32 v4, 16, v4
	v_cmp_lt_i32_e64 s1, v7, v4
	v_cndmask_b32_e64 v7, v3, v7, s1
	v_cmp_lt_i32_e64 s1, v10, v4
	v_lshlrev_b32_e32 v7, 2, v7
	v_cndmask_b32_e64 v10, v3, v10, s1
	ds_bpermute_b32 v8, v7, v0
	ds_bpermute_b32 v9, v7, v6
	v_lshlrev_b32_e32 v10, 2, v10
	s_waitcnt lgkmcnt(1)
	v_cmp_lt_f32_e64 s1, v0, v8
	v_cndmask_b32_e64 v8, v0, v8, s1
	s_waitcnt lgkmcnt(0)
	v_cmp_lt_f32_e64 s1, v6, v9
	ds_bpermute_b32 v11, v10, v8
	v_cndmask_b32_e64 v9, v6, v9, s1
	v_cmp_lt_i32_e64 s1, v13, v4
	ds_bpermute_b32 v12, v10, v9
	v_cndmask_b32_e64 v13, v3, v13, s1
	v_lshlrev_b32_e32 v13, 2, v13
	s_waitcnt lgkmcnt(1)
	v_cmp_lt_f32_e64 s1, v8, v11
	v_cndmask_b32_e64 v8, v8, v11, s1
	s_waitcnt lgkmcnt(0)
	v_cmp_lt_f32_e64 s1, v9, v12
	ds_bpermute_b32 v11, v13, v8
	v_cndmask_b32_e64 v9, v9, v12, s1
	v_cmp_lt_i32_e64 s1, v14, v4
	ds_bpermute_b32 v12, v13, v9
	v_cndmask_b32_e64 v3, v3, v14, s1
	v_lshlrev_b32_e32 v14, 2, v3
	s_waitcnt lgkmcnt(1)
	v_cmp_lt_f32_e64 s1, v8, v11
	v_cndmask_b32_e64 v3, v8, v11, s1
	s_waitcnt lgkmcnt(0)
	v_cmp_lt_f32_e64 s1, v9, v12
	ds_bpermute_b32 v8, v14, v3
	v_cndmask_b32_e64 v4, v9, v12, s1
	ds_bpermute_b32 v9, v14, v4
	s_waitcnt lgkmcnt(1)
	v_cmp_lt_f32_e64 s1, v3, v8
	v_cndmask_b32_e64 v3, v3, v8, s1
	s_waitcnt lgkmcnt(0)
	v_cmp_lt_f32_e64 s1, v4, v9
	v_sub_f32_e32 v0, v0, v3
	v_cndmask_b32_e64 v4, v4, v9, s1
	v_cmp_ngt_f32_e64 s1, 0xc2ce8ed0, v0
	v_sub_f32_e32 v3, v6, v4
	v_mul_f32_e32 v4, 0x3fb8aa3b, v0
	v_mul_f32_e32 v6, 0x3fb8aa3b, v3
	v_fma_f32 v8, 0x3fb8aa3b, v0, -v4
	v_rndne_f32_e32 v9, v4
	v_fma_f32 v11, 0x3fb8aa3b, v3, -v6
	v_rndne_f32_e32 v12, v6
	v_fmac_f32_e32 v8, 0x32a5705f, v0
	v_sub_f32_e32 v4, v4, v9
	v_fmac_f32_e32 v11, 0x32a5705f, v3
	v_sub_f32_e32 v6, v6, v12
	v_add_f32_e32 v4, v4, v8
	v_cvt_i32_f32_e32 v8, v9
	v_cvt_i32_f32_e32 v9, v12
	v_add_f32_e32 v6, v6, v11
	v_exp_f32_e32 v4, v4
	v_exp_f32_e32 v6, v6
	v_ldexp_f32 v4, v4, v8
	v_ldexp_f32 v6, v6, v9
	v_cndmask_b32_e64 v4, 0, v4, s1
	v_cmp_ngt_f32_e64 s1, 0xc2ce8ed0, v3
	v_cndmask_b32_e64 v6, 0, v6, s1
	v_cmp_nlt_f32_e64 s1, 0x42b17218, v0
	v_cndmask_b32_e64 v4, 0x7f800000, v4, s1
	v_cmp_nlt_f32_e64 s1, 0x42b17218, v3
	ds_bpermute_b32 v0, v7, v4
	v_cndmask_b32_e64 v3, 0x7f800000, v6, s1
	ds_bpermute_b32 v6, v7, v3
	s_waitcnt lgkmcnt(1)
	v_add_f32_e32 v0, v4, v0
	ds_bpermute_b32 v7, v10, v0
	s_waitcnt lgkmcnt(1)
	v_add_f32_e32 v6, v3, v6
	;; [unrolled: 3-line block ×5, first 2 shown]
	s_waitcnt lgkmcnt(0)
	v_add_f32_e32 v6, v6, v9
	ds_bpermute_b32 v9, v14, v8
	ds_bpermute_b32 v7, v14, v6
	s_and_saveexec_b32 s1, vcc_lo
	s_cbranch_execz .LBB492_9
; %bb.5:
	v_lshlrev_b64 v[0:1], 2, v[1:2]
	v_add_co_u32 v0, vcc_lo, s8, v0
	v_add_co_ci_u32_e64 v1, null, s9, v1, vcc_lo
	s_and_saveexec_b32 s1, s0
	s_cbranch_execz .LBB492_7
; %bb.6:
	s_waitcnt lgkmcnt(1)
	v_add_f32_e32 v2, v8, v9
	v_div_scale_f32 v8, null, v2, v2, v4
	v_rcp_f32_e32 v9, v8
	v_fma_f32 v10, -v8, v9, 1.0
	v_fmac_f32_e32 v9, v10, v9
	v_div_scale_f32 v10, vcc_lo, v4, v2, v4
	v_mul_f32_e32 v11, v10, v9
	v_fma_f32 v12, -v8, v11, v10
	v_fmac_f32_e32 v11, v12, v9
	v_fma_f32 v8, -v8, v11, v10
	v_div_fmas_f32 v8, v8, v9, v11
	v_cmp_neq_f32_e32 vcc_lo, 0, v2
	v_div_fixup_f32 v4, v8, v2, v4
	v_cndmask_b32_e32 v2, 0x7fc00000, v4, vcc_lo
	global_store_dword v[0:1], v2, off
.LBB492_7:
	s_or_b32 exec_lo, exec_lo, s1
	v_cmp_ne_u32_e32 vcc_lo, 1, v5
	s_and_b32 s0, vcc_lo, s0
	s_and_b32 exec_lo, exec_lo, s0
	s_cbranch_execz .LBB492_9
; %bb.8:
	s_waitcnt lgkmcnt(0)
	v_add_f32_e32 v2, v6, v7
	s_mov_b32 s15, 0
	s_lshl_b64 s[0:1], s[14:15], 2
	v_div_scale_f32 v4, null, v2, v2, v3
	v_div_scale_f32 v7, vcc_lo, v3, v2, v3
	v_rcp_f32_e32 v5, v4
	v_fma_f32 v6, -v4, v5, 1.0
	v_fmac_f32_e32 v5, v6, v5
	v_mul_f32_e32 v6, v7, v5
	v_fma_f32 v8, -v4, v6, v7
	v_fmac_f32_e32 v6, v8, v5
	v_fma_f32 v4, -v4, v6, v7
	v_div_fmas_f32 v4, v4, v5, v6
	v_add_co_u32 v0, vcc_lo, v0, s0
	v_add_co_ci_u32_e64 v1, null, s1, v1, vcc_lo
	v_div_fixup_f32 v3, v4, v2, v3
	v_cmp_neq_f32_e32 vcc_lo, 0, v2
	v_cndmask_b32_e32 v2, 0x7fc00000, v3, vcc_lo
	global_store_dword v[0:1], v2, off
.LBB492_9:
	s_endpgm
	.section	.rodata,"a",@progbits
	.p2align	6, 0x0
	.amdhsa_kernel _ZN12_GLOBAL__N_120softmax_warp_forwardIN3c108BFloat16EffLi4ELb0ELb0ELi64EEEvPT0_PKT_iiiPKbib
		.amdhsa_group_segment_fixed_size 0
		.amdhsa_private_segment_fixed_size 0
		.amdhsa_kernarg_size 304
		.amdhsa_user_sgpr_count 6
		.amdhsa_user_sgpr_private_segment_buffer 1
		.amdhsa_user_sgpr_dispatch_ptr 0
		.amdhsa_user_sgpr_queue_ptr 0
		.amdhsa_user_sgpr_kernarg_segment_ptr 1
		.amdhsa_user_sgpr_dispatch_id 0
		.amdhsa_user_sgpr_flat_scratch_init 0
		.amdhsa_user_sgpr_private_segment_size 0
		.amdhsa_wavefront_size32 1
		.amdhsa_uses_dynamic_stack 0
		.amdhsa_system_sgpr_private_segment_wavefront_offset 0
		.amdhsa_system_sgpr_workgroup_id_x 1
		.amdhsa_system_sgpr_workgroup_id_y 0
		.amdhsa_system_sgpr_workgroup_id_z 0
		.amdhsa_system_sgpr_workgroup_info 0
		.amdhsa_system_vgpr_workitem_id 1
		.amdhsa_next_free_vgpr 15
		.amdhsa_next_free_sgpr 16
		.amdhsa_reserve_vcc 1
		.amdhsa_reserve_flat_scratch 0
		.amdhsa_float_round_mode_32 0
		.amdhsa_float_round_mode_16_64 0
		.amdhsa_float_denorm_mode_32 3
		.amdhsa_float_denorm_mode_16_64 3
		.amdhsa_dx10_clamp 1
		.amdhsa_ieee_mode 1
		.amdhsa_fp16_overflow 0
		.amdhsa_workgroup_processor_mode 1
		.amdhsa_memory_ordered 1
		.amdhsa_forward_progress 1
		.amdhsa_shared_vgpr_count 0
		.amdhsa_exception_fp_ieee_invalid_op 0
		.amdhsa_exception_fp_denorm_src 0
		.amdhsa_exception_fp_ieee_div_zero 0
		.amdhsa_exception_fp_ieee_overflow 0
		.amdhsa_exception_fp_ieee_underflow 0
		.amdhsa_exception_fp_ieee_inexact 0
		.amdhsa_exception_int_div_zero 0
	.end_amdhsa_kernel
	.section	.text._ZN12_GLOBAL__N_120softmax_warp_forwardIN3c108BFloat16EffLi4ELb0ELb0ELi64EEEvPT0_PKT_iiiPKbib,"axG",@progbits,_ZN12_GLOBAL__N_120softmax_warp_forwardIN3c108BFloat16EffLi4ELb0ELb0ELi64EEEvPT0_PKT_iiiPKbib,comdat
.Lfunc_end492:
	.size	_ZN12_GLOBAL__N_120softmax_warp_forwardIN3c108BFloat16EffLi4ELb0ELb0ELi64EEEvPT0_PKT_iiiPKbib, .Lfunc_end492-_ZN12_GLOBAL__N_120softmax_warp_forwardIN3c108BFloat16EffLi4ELb0ELb0ELi64EEEvPT0_PKT_iiiPKbib
                                        ; -- End function
	.set _ZN12_GLOBAL__N_120softmax_warp_forwardIN3c108BFloat16EffLi4ELb0ELb0ELi64EEEvPT0_PKT_iiiPKbib.num_vgpr, 15
	.set _ZN12_GLOBAL__N_120softmax_warp_forwardIN3c108BFloat16EffLi4ELb0ELb0ELi64EEEvPT0_PKT_iiiPKbib.num_agpr, 0
	.set _ZN12_GLOBAL__N_120softmax_warp_forwardIN3c108BFloat16EffLi4ELb0ELb0ELi64EEEvPT0_PKT_iiiPKbib.numbered_sgpr, 16
	.set _ZN12_GLOBAL__N_120softmax_warp_forwardIN3c108BFloat16EffLi4ELb0ELb0ELi64EEEvPT0_PKT_iiiPKbib.num_named_barrier, 0
	.set _ZN12_GLOBAL__N_120softmax_warp_forwardIN3c108BFloat16EffLi4ELb0ELb0ELi64EEEvPT0_PKT_iiiPKbib.private_seg_size, 0
	.set _ZN12_GLOBAL__N_120softmax_warp_forwardIN3c108BFloat16EffLi4ELb0ELb0ELi64EEEvPT0_PKT_iiiPKbib.uses_vcc, 1
	.set _ZN12_GLOBAL__N_120softmax_warp_forwardIN3c108BFloat16EffLi4ELb0ELb0ELi64EEEvPT0_PKT_iiiPKbib.uses_flat_scratch, 0
	.set _ZN12_GLOBAL__N_120softmax_warp_forwardIN3c108BFloat16EffLi4ELb0ELb0ELi64EEEvPT0_PKT_iiiPKbib.has_dyn_sized_stack, 0
	.set _ZN12_GLOBAL__N_120softmax_warp_forwardIN3c108BFloat16EffLi4ELb0ELb0ELi64EEEvPT0_PKT_iiiPKbib.has_recursion, 0
	.set _ZN12_GLOBAL__N_120softmax_warp_forwardIN3c108BFloat16EffLi4ELb0ELb0ELi64EEEvPT0_PKT_iiiPKbib.has_indirect_call, 0
	.section	.AMDGPU.csdata,"",@progbits
; Kernel info:
; codeLenInByte = 1156
; TotalNumSgprs: 18
; NumVgprs: 15
; ScratchSize: 0
; MemoryBound: 0
; FloatMode: 240
; IeeeMode: 1
; LDSByteSize: 0 bytes/workgroup (compile time only)
; SGPRBlocks: 0
; VGPRBlocks: 1
; NumSGPRsForWavesPerEU: 18
; NumVGPRsForWavesPerEU: 15
; Occupancy: 16
; WaveLimiterHint : 0
; COMPUTE_PGM_RSRC2:SCRATCH_EN: 0
; COMPUTE_PGM_RSRC2:USER_SGPR: 6
; COMPUTE_PGM_RSRC2:TRAP_HANDLER: 0
; COMPUTE_PGM_RSRC2:TGID_X_EN: 1
; COMPUTE_PGM_RSRC2:TGID_Y_EN: 0
; COMPUTE_PGM_RSRC2:TGID_Z_EN: 0
; COMPUTE_PGM_RSRC2:TIDIG_COMP_CNT: 1
	.section	.text._ZN12_GLOBAL__N_120softmax_warp_forwardIN3c108BFloat16EffLi4ELb0ELb0ELi32EEEvPT0_PKT_iiiPKbib,"axG",@progbits,_ZN12_GLOBAL__N_120softmax_warp_forwardIN3c108BFloat16EffLi4ELb0ELb0ELi32EEEvPT0_PKT_iiiPKbib,comdat
	.globl	_ZN12_GLOBAL__N_120softmax_warp_forwardIN3c108BFloat16EffLi4ELb0ELb0ELi32EEEvPT0_PKT_iiiPKbib ; -- Begin function _ZN12_GLOBAL__N_120softmax_warp_forwardIN3c108BFloat16EffLi4ELb0ELb0ELi32EEEvPT0_PKT_iiiPKbib
	.p2align	8
	.type	_ZN12_GLOBAL__N_120softmax_warp_forwardIN3c108BFloat16EffLi4ELb0ELb0ELi32EEEvPT0_PKT_iiiPKbib,@function
_ZN12_GLOBAL__N_120softmax_warp_forwardIN3c108BFloat16EffLi4ELb0ELb0ELi32EEEvPT0_PKT_iiiPKbib: ; @_ZN12_GLOBAL__N_120softmax_warp_forwardIN3c108BFloat16EffLi4ELb0ELb0ELi32EEEvPT0_PKT_iiiPKbib
; %bb.0:
	s_clause 0x1
	s_load_dword s0, s[4:5], 0x3c
	s_load_dwordx8 s[8:15], s[4:5], 0x0
	v_mov_b32_e32 v6, 0xff800000
	s_waitcnt lgkmcnt(0)
	s_lshr_b32 s0, s0, 16
	s_and_b32 s0, s0, 0xffff
	s_mul_i32 s6, s6, s0
	v_cmp_gt_i32_e64 s0, s14, v0
	v_add_lshl_u32 v3, s6, v1, 1
	v_mad_u64_u32 v[1:2], null, v3, s13, v[0:1]
	v_sub_nc_u32_e32 v5, s12, v3
	v_mov_b32_e32 v0, 0xff800000
	v_cmp_lt_i32_e32 vcc_lo, 0, v5
	v_ashrrev_i32_e32 v2, 31, v1
	s_and_b32 s2, s0, vcc_lo
	v_lshlrev_b64 v[3:4], 1, v[1:2]
	v_add_co_u32 v3, s1, s10, v3
	v_add_co_ci_u32_e64 v4, null, s11, v4, s1
	s_and_saveexec_b32 s1, s2
	s_cbranch_execz .LBB493_2
; %bb.1:
	global_load_ushort v0, v[3:4], off
	s_waitcnt vmcnt(0)
	v_lshlrev_b32_e32 v0, 16, v0
.LBB493_2:
	s_or_b32 exec_lo, exec_lo, s1
	v_cmp_lt_i32_e64 s1, 1, v5
	s_and_b32 s1, s0, s1
	s_and_saveexec_b32 s2, s1
	s_cbranch_execz .LBB493_4
; %bb.3:
	s_mov_b32 s15, 0
	s_lshl_b64 s[4:5], s[14:15], 1
	v_add_co_u32 v3, s1, v3, s4
	v_add_co_ci_u32_e64 v4, null, s5, v4, s1
	global_load_ushort v3, v[3:4], off
	s_waitcnt vmcnt(0)
	v_lshlrev_b32_e32 v6, 16, v3
.LBB493_4:
	s_or_b32 exec_lo, exec_lo, s2
	v_mbcnt_lo_u32_b32 v3, -1, 0
	v_and_b32_e32 v4, 16, v3
	v_xor_b32_e32 v7, 8, v3
	v_xor_b32_e32 v10, 4, v3
	;; [unrolled: 1-line block ×4, first 2 shown]
	v_add_nc_u32_e32 v4, 16, v4
	v_cmp_lt_i32_e64 s1, v7, v4
	v_cndmask_b32_e64 v7, v3, v7, s1
	v_cmp_lt_i32_e64 s1, v10, v4
	v_lshlrev_b32_e32 v7, 2, v7
	v_cndmask_b32_e64 v10, v3, v10, s1
	ds_bpermute_b32 v8, v7, v0
	ds_bpermute_b32 v9, v7, v6
	v_lshlrev_b32_e32 v10, 2, v10
	s_waitcnt lgkmcnt(1)
	v_cmp_lt_f32_e64 s1, v0, v8
	v_cndmask_b32_e64 v8, v0, v8, s1
	s_waitcnt lgkmcnt(0)
	v_cmp_lt_f32_e64 s1, v6, v9
	ds_bpermute_b32 v11, v10, v8
	v_cndmask_b32_e64 v9, v6, v9, s1
	v_cmp_lt_i32_e64 s1, v13, v4
	ds_bpermute_b32 v12, v10, v9
	v_cndmask_b32_e64 v13, v3, v13, s1
	v_lshlrev_b32_e32 v13, 2, v13
	s_waitcnt lgkmcnt(1)
	v_cmp_lt_f32_e64 s1, v8, v11
	v_cndmask_b32_e64 v8, v8, v11, s1
	s_waitcnt lgkmcnt(0)
	v_cmp_lt_f32_e64 s1, v9, v12
	ds_bpermute_b32 v11, v13, v8
	v_cndmask_b32_e64 v9, v9, v12, s1
	v_cmp_lt_i32_e64 s1, v14, v4
	ds_bpermute_b32 v12, v13, v9
	v_cndmask_b32_e64 v3, v3, v14, s1
	v_lshlrev_b32_e32 v14, 2, v3
	s_waitcnt lgkmcnt(1)
	v_cmp_lt_f32_e64 s1, v8, v11
	v_cndmask_b32_e64 v3, v8, v11, s1
	s_waitcnt lgkmcnt(0)
	v_cmp_lt_f32_e64 s1, v9, v12
	ds_bpermute_b32 v8, v14, v3
	v_cndmask_b32_e64 v4, v9, v12, s1
	ds_bpermute_b32 v9, v14, v4
	s_waitcnt lgkmcnt(1)
	v_cmp_lt_f32_e64 s1, v3, v8
	v_cndmask_b32_e64 v3, v3, v8, s1
	s_waitcnt lgkmcnt(0)
	v_cmp_lt_f32_e64 s1, v4, v9
	v_sub_f32_e32 v0, v0, v3
	v_cndmask_b32_e64 v4, v4, v9, s1
	v_cmp_ngt_f32_e64 s1, 0xc2ce8ed0, v0
	v_sub_f32_e32 v3, v6, v4
	v_mul_f32_e32 v4, 0x3fb8aa3b, v0
	v_mul_f32_e32 v6, 0x3fb8aa3b, v3
	v_fma_f32 v8, 0x3fb8aa3b, v0, -v4
	v_rndne_f32_e32 v9, v4
	v_fma_f32 v11, 0x3fb8aa3b, v3, -v6
	v_rndne_f32_e32 v12, v6
	v_fmac_f32_e32 v8, 0x32a5705f, v0
	v_sub_f32_e32 v4, v4, v9
	v_fmac_f32_e32 v11, 0x32a5705f, v3
	v_sub_f32_e32 v6, v6, v12
	v_add_f32_e32 v4, v4, v8
	v_cvt_i32_f32_e32 v8, v9
	v_cvt_i32_f32_e32 v9, v12
	v_add_f32_e32 v6, v6, v11
	v_exp_f32_e32 v4, v4
	v_exp_f32_e32 v6, v6
	v_ldexp_f32 v4, v4, v8
	v_ldexp_f32 v6, v6, v9
	v_cndmask_b32_e64 v4, 0, v4, s1
	v_cmp_ngt_f32_e64 s1, 0xc2ce8ed0, v3
	v_cndmask_b32_e64 v6, 0, v6, s1
	v_cmp_nlt_f32_e64 s1, 0x42b17218, v0
	v_cndmask_b32_e64 v4, 0x7f800000, v4, s1
	v_cmp_nlt_f32_e64 s1, 0x42b17218, v3
	ds_bpermute_b32 v0, v7, v4
	v_cndmask_b32_e64 v3, 0x7f800000, v6, s1
	ds_bpermute_b32 v6, v7, v3
	s_waitcnt lgkmcnt(1)
	v_add_f32_e32 v0, v4, v0
	ds_bpermute_b32 v7, v10, v0
	s_waitcnt lgkmcnt(1)
	v_add_f32_e32 v6, v3, v6
	;; [unrolled: 3-line block ×5, first 2 shown]
	s_waitcnt lgkmcnt(0)
	v_add_f32_e32 v6, v6, v9
	ds_bpermute_b32 v9, v14, v8
	ds_bpermute_b32 v7, v14, v6
	s_and_saveexec_b32 s1, vcc_lo
	s_cbranch_execz .LBB493_9
; %bb.5:
	v_lshlrev_b64 v[0:1], 2, v[1:2]
	v_add_co_u32 v0, vcc_lo, s8, v0
	v_add_co_ci_u32_e64 v1, null, s9, v1, vcc_lo
	s_and_saveexec_b32 s1, s0
	s_cbranch_execz .LBB493_7
; %bb.6:
	s_waitcnt lgkmcnt(1)
	v_add_f32_e32 v2, v8, v9
	v_div_scale_f32 v8, null, v2, v2, v4
	v_rcp_f32_e32 v9, v8
	v_fma_f32 v10, -v8, v9, 1.0
	v_fmac_f32_e32 v9, v10, v9
	v_div_scale_f32 v10, vcc_lo, v4, v2, v4
	v_mul_f32_e32 v11, v10, v9
	v_fma_f32 v12, -v8, v11, v10
	v_fmac_f32_e32 v11, v12, v9
	v_fma_f32 v8, -v8, v11, v10
	v_div_fmas_f32 v8, v8, v9, v11
	v_cmp_neq_f32_e32 vcc_lo, 0, v2
	v_div_fixup_f32 v4, v8, v2, v4
	v_cndmask_b32_e32 v2, 0x7fc00000, v4, vcc_lo
	global_store_dword v[0:1], v2, off
.LBB493_7:
	s_or_b32 exec_lo, exec_lo, s1
	v_cmp_ne_u32_e32 vcc_lo, 1, v5
	s_and_b32 s0, vcc_lo, s0
	s_and_b32 exec_lo, exec_lo, s0
	s_cbranch_execz .LBB493_9
; %bb.8:
	s_waitcnt lgkmcnt(0)
	v_add_f32_e32 v2, v6, v7
	s_mov_b32 s15, 0
	s_lshl_b64 s[0:1], s[14:15], 2
	v_div_scale_f32 v4, null, v2, v2, v3
	v_div_scale_f32 v7, vcc_lo, v3, v2, v3
	v_rcp_f32_e32 v5, v4
	v_fma_f32 v6, -v4, v5, 1.0
	v_fmac_f32_e32 v5, v6, v5
	v_mul_f32_e32 v6, v7, v5
	v_fma_f32 v8, -v4, v6, v7
	v_fmac_f32_e32 v6, v8, v5
	v_fma_f32 v4, -v4, v6, v7
	v_div_fmas_f32 v4, v4, v5, v6
	v_add_co_u32 v0, vcc_lo, v0, s0
	v_add_co_ci_u32_e64 v1, null, s1, v1, vcc_lo
	v_div_fixup_f32 v3, v4, v2, v3
	v_cmp_neq_f32_e32 vcc_lo, 0, v2
	v_cndmask_b32_e32 v2, 0x7fc00000, v3, vcc_lo
	global_store_dword v[0:1], v2, off
.LBB493_9:
	s_endpgm
	.section	.rodata,"a",@progbits
	.p2align	6, 0x0
	.amdhsa_kernel _ZN12_GLOBAL__N_120softmax_warp_forwardIN3c108BFloat16EffLi4ELb0ELb0ELi32EEEvPT0_PKT_iiiPKbib
		.amdhsa_group_segment_fixed_size 0
		.amdhsa_private_segment_fixed_size 0
		.amdhsa_kernarg_size 304
		.amdhsa_user_sgpr_count 6
		.amdhsa_user_sgpr_private_segment_buffer 1
		.amdhsa_user_sgpr_dispatch_ptr 0
		.amdhsa_user_sgpr_queue_ptr 0
		.amdhsa_user_sgpr_kernarg_segment_ptr 1
		.amdhsa_user_sgpr_dispatch_id 0
		.amdhsa_user_sgpr_flat_scratch_init 0
		.amdhsa_user_sgpr_private_segment_size 0
		.amdhsa_wavefront_size32 1
		.amdhsa_uses_dynamic_stack 0
		.amdhsa_system_sgpr_private_segment_wavefront_offset 0
		.amdhsa_system_sgpr_workgroup_id_x 1
		.amdhsa_system_sgpr_workgroup_id_y 0
		.amdhsa_system_sgpr_workgroup_id_z 0
		.amdhsa_system_sgpr_workgroup_info 0
		.amdhsa_system_vgpr_workitem_id 1
		.amdhsa_next_free_vgpr 15
		.amdhsa_next_free_sgpr 16
		.amdhsa_reserve_vcc 1
		.amdhsa_reserve_flat_scratch 0
		.amdhsa_float_round_mode_32 0
		.amdhsa_float_round_mode_16_64 0
		.amdhsa_float_denorm_mode_32 3
		.amdhsa_float_denorm_mode_16_64 3
		.amdhsa_dx10_clamp 1
		.amdhsa_ieee_mode 1
		.amdhsa_fp16_overflow 0
		.amdhsa_workgroup_processor_mode 1
		.amdhsa_memory_ordered 1
		.amdhsa_forward_progress 1
		.amdhsa_shared_vgpr_count 0
		.amdhsa_exception_fp_ieee_invalid_op 0
		.amdhsa_exception_fp_denorm_src 0
		.amdhsa_exception_fp_ieee_div_zero 0
		.amdhsa_exception_fp_ieee_overflow 0
		.amdhsa_exception_fp_ieee_underflow 0
		.amdhsa_exception_fp_ieee_inexact 0
		.amdhsa_exception_int_div_zero 0
	.end_amdhsa_kernel
	.section	.text._ZN12_GLOBAL__N_120softmax_warp_forwardIN3c108BFloat16EffLi4ELb0ELb0ELi32EEEvPT0_PKT_iiiPKbib,"axG",@progbits,_ZN12_GLOBAL__N_120softmax_warp_forwardIN3c108BFloat16EffLi4ELb0ELb0ELi32EEEvPT0_PKT_iiiPKbib,comdat
.Lfunc_end493:
	.size	_ZN12_GLOBAL__N_120softmax_warp_forwardIN3c108BFloat16EffLi4ELb0ELb0ELi32EEEvPT0_PKT_iiiPKbib, .Lfunc_end493-_ZN12_GLOBAL__N_120softmax_warp_forwardIN3c108BFloat16EffLi4ELb0ELb0ELi32EEEvPT0_PKT_iiiPKbib
                                        ; -- End function
	.set _ZN12_GLOBAL__N_120softmax_warp_forwardIN3c108BFloat16EffLi4ELb0ELb0ELi32EEEvPT0_PKT_iiiPKbib.num_vgpr, 15
	.set _ZN12_GLOBAL__N_120softmax_warp_forwardIN3c108BFloat16EffLi4ELb0ELb0ELi32EEEvPT0_PKT_iiiPKbib.num_agpr, 0
	.set _ZN12_GLOBAL__N_120softmax_warp_forwardIN3c108BFloat16EffLi4ELb0ELb0ELi32EEEvPT0_PKT_iiiPKbib.numbered_sgpr, 16
	.set _ZN12_GLOBAL__N_120softmax_warp_forwardIN3c108BFloat16EffLi4ELb0ELb0ELi32EEEvPT0_PKT_iiiPKbib.num_named_barrier, 0
	.set _ZN12_GLOBAL__N_120softmax_warp_forwardIN3c108BFloat16EffLi4ELb0ELb0ELi32EEEvPT0_PKT_iiiPKbib.private_seg_size, 0
	.set _ZN12_GLOBAL__N_120softmax_warp_forwardIN3c108BFloat16EffLi4ELb0ELb0ELi32EEEvPT0_PKT_iiiPKbib.uses_vcc, 1
	.set _ZN12_GLOBAL__N_120softmax_warp_forwardIN3c108BFloat16EffLi4ELb0ELb0ELi32EEEvPT0_PKT_iiiPKbib.uses_flat_scratch, 0
	.set _ZN12_GLOBAL__N_120softmax_warp_forwardIN3c108BFloat16EffLi4ELb0ELb0ELi32EEEvPT0_PKT_iiiPKbib.has_dyn_sized_stack, 0
	.set _ZN12_GLOBAL__N_120softmax_warp_forwardIN3c108BFloat16EffLi4ELb0ELb0ELi32EEEvPT0_PKT_iiiPKbib.has_recursion, 0
	.set _ZN12_GLOBAL__N_120softmax_warp_forwardIN3c108BFloat16EffLi4ELb0ELb0ELi32EEEvPT0_PKT_iiiPKbib.has_indirect_call, 0
	.section	.AMDGPU.csdata,"",@progbits
; Kernel info:
; codeLenInByte = 1156
; TotalNumSgprs: 18
; NumVgprs: 15
; ScratchSize: 0
; MemoryBound: 0
; FloatMode: 240
; IeeeMode: 1
; LDSByteSize: 0 bytes/workgroup (compile time only)
; SGPRBlocks: 0
; VGPRBlocks: 1
; NumSGPRsForWavesPerEU: 18
; NumVGPRsForWavesPerEU: 15
; Occupancy: 16
; WaveLimiterHint : 0
; COMPUTE_PGM_RSRC2:SCRATCH_EN: 0
; COMPUTE_PGM_RSRC2:USER_SGPR: 6
; COMPUTE_PGM_RSRC2:TRAP_HANDLER: 0
; COMPUTE_PGM_RSRC2:TGID_X_EN: 1
; COMPUTE_PGM_RSRC2:TGID_Y_EN: 0
; COMPUTE_PGM_RSRC2:TGID_Z_EN: 0
; COMPUTE_PGM_RSRC2:TIDIG_COMP_CNT: 1
	.section	.text._ZN12_GLOBAL__N_120softmax_warp_forwardIN3c108BFloat16EffLi5ELb0ELb0ELi64EEEvPT0_PKT_iiiPKbib,"axG",@progbits,_ZN12_GLOBAL__N_120softmax_warp_forwardIN3c108BFloat16EffLi5ELb0ELb0ELi64EEEvPT0_PKT_iiiPKbib,comdat
	.globl	_ZN12_GLOBAL__N_120softmax_warp_forwardIN3c108BFloat16EffLi5ELb0ELb0ELi64EEEvPT0_PKT_iiiPKbib ; -- Begin function _ZN12_GLOBAL__N_120softmax_warp_forwardIN3c108BFloat16EffLi5ELb0ELb0ELi64EEEvPT0_PKT_iiiPKbib
	.p2align	8
	.type	_ZN12_GLOBAL__N_120softmax_warp_forwardIN3c108BFloat16EffLi5ELb0ELb0ELi64EEEvPT0_PKT_iiiPKbib,@function
_ZN12_GLOBAL__N_120softmax_warp_forwardIN3c108BFloat16EffLi5ELb0ELb0ELi64EEEvPT0_PKT_iiiPKbib: ; @_ZN12_GLOBAL__N_120softmax_warp_forwardIN3c108BFloat16EffLi5ELb0ELb0ELi64EEEvPT0_PKT_iiiPKbib
; %bb.0:
	s_clause 0x1
	s_load_dword s0, s[4:5], 0x3c
	s_load_dwordx8 s[8:15], s[4:5], 0x0
	v_mov_b32_e32 v6, 0xff800000
	s_waitcnt lgkmcnt(0)
	s_lshr_b32 s0, s0, 16
	s_and_b32 s0, s0, 0xffff
	s_mul_i32 s6, s6, s0
	v_cmp_gt_i32_e64 s0, s14, v0
	v_add_lshl_u32 v3, s6, v1, 1
	v_mad_u64_u32 v[1:2], null, v3, s13, v[0:1]
	v_sub_nc_u32_e32 v5, s12, v3
	v_mov_b32_e32 v0, 0xff800000
	v_cmp_lt_i32_e32 vcc_lo, 0, v5
	v_ashrrev_i32_e32 v2, 31, v1
	s_and_b32 s2, s0, vcc_lo
	v_lshlrev_b64 v[3:4], 1, v[1:2]
	v_add_co_u32 v3, s1, s10, v3
	v_add_co_ci_u32_e64 v4, null, s11, v4, s1
	s_and_saveexec_b32 s1, s2
	s_cbranch_execz .LBB494_2
; %bb.1:
	global_load_ushort v0, v[3:4], off
	s_waitcnt vmcnt(0)
	v_lshlrev_b32_e32 v0, 16, v0
.LBB494_2:
	s_or_b32 exec_lo, exec_lo, s1
	v_cmp_lt_i32_e64 s1, 1, v5
	s_and_b32 s1, s0, s1
	s_and_saveexec_b32 s2, s1
	s_cbranch_execz .LBB494_4
; %bb.3:
	s_mov_b32 s15, 0
	s_lshl_b64 s[4:5], s[14:15], 1
	v_add_co_u32 v3, s1, v3, s4
	v_add_co_ci_u32_e64 v4, null, s5, v4, s1
	global_load_ushort v3, v[3:4], off
	s_waitcnt vmcnt(0)
	v_lshlrev_b32_e32 v6, 16, v3
.LBB494_4:
	s_or_b32 exec_lo, exec_lo, s2
	v_mbcnt_lo_u32_b32 v3, -1, 0
	v_xor_b32_e32 v4, 16, v3
	v_xor_b32_e32 v9, 8, v3
	;; [unrolled: 1-line block ×5, first 2 shown]
	v_cmp_gt_i32_e64 s1, 32, v4
	v_cndmask_b32_e64 v4, v3, v4, s1
	v_cmp_gt_i32_e64 s1, 32, v9
	v_lshlrev_b32_e32 v7, 2, v4
	v_cndmask_b32_e64 v9, v3, v9, s1
	ds_bpermute_b32 v4, v7, v0
	ds_bpermute_b32 v8, v7, v6
	v_lshlrev_b32_e32 v9, 2, v9
	s_waitcnt lgkmcnt(1)
	v_cmp_lt_f32_e64 s1, v0, v4
	v_cndmask_b32_e64 v4, v0, v4, s1
	s_waitcnt lgkmcnt(0)
	v_cmp_lt_f32_e64 s1, v6, v8
	ds_bpermute_b32 v10, v9, v4
	v_cndmask_b32_e64 v8, v6, v8, s1
	v_cmp_gt_i32_e64 s1, 32, v12
	ds_bpermute_b32 v11, v9, v8
	v_cndmask_b32_e64 v12, v3, v12, s1
	v_lshlrev_b32_e32 v12, 2, v12
	s_waitcnt lgkmcnt(1)
	v_cmp_lt_f32_e64 s1, v4, v10
	v_cndmask_b32_e64 v4, v4, v10, s1
	s_waitcnt lgkmcnt(0)
	v_cmp_lt_f32_e64 s1, v8, v11
	ds_bpermute_b32 v10, v12, v4
	v_cndmask_b32_e64 v8, v8, v11, s1
	v_cmp_gt_i32_e64 s1, 32, v13
	ds_bpermute_b32 v11, v12, v8
	v_cndmask_b32_e64 v13, v3, v13, s1
	v_lshlrev_b32_e32 v13, 2, v13
	s_waitcnt lgkmcnt(1)
	v_cmp_lt_f32_e64 s1, v4, v10
	v_cndmask_b32_e64 v4, v4, v10, s1
	s_waitcnt lgkmcnt(0)
	v_cmp_lt_f32_e64 s1, v8, v11
	ds_bpermute_b32 v10, v13, v4
	v_cndmask_b32_e64 v8, v8, v11, s1
	v_cmp_gt_i32_e64 s1, 32, v14
	ds_bpermute_b32 v11, v13, v8
	v_cndmask_b32_e64 v3, v3, v14, s1
	v_lshlrev_b32_e32 v14, 2, v3
	s_waitcnt lgkmcnt(1)
	v_cmp_lt_f32_e64 s1, v4, v10
	v_cndmask_b32_e64 v3, v4, v10, s1
	s_waitcnt lgkmcnt(0)
	v_cmp_lt_f32_e64 s1, v8, v11
	v_cndmask_b32_e64 v4, v8, v11, s1
	ds_bpermute_b32 v8, v14, v3
	ds_bpermute_b32 v10, v14, v4
	s_waitcnt lgkmcnt(1)
	v_cmp_lt_f32_e64 s1, v3, v8
	v_cndmask_b32_e64 v3, v3, v8, s1
	s_waitcnt lgkmcnt(0)
	v_cmp_lt_f32_e64 s1, v4, v10
	v_sub_f32_e32 v0, v0, v3
	v_cndmask_b32_e64 v4, v4, v10, s1
	v_cmp_ngt_f32_e64 s1, 0xc2ce8ed0, v0
	v_sub_f32_e32 v3, v6, v4
	v_mul_f32_e32 v4, 0x3fb8aa3b, v0
	v_mul_f32_e32 v6, 0x3fb8aa3b, v3
	v_fma_f32 v8, 0x3fb8aa3b, v0, -v4
	v_rndne_f32_e32 v10, v4
	v_fma_f32 v11, 0x3fb8aa3b, v3, -v6
	v_rndne_f32_e32 v15, v6
	v_fmac_f32_e32 v8, 0x32a5705f, v0
	v_sub_f32_e32 v4, v4, v10
	v_fmac_f32_e32 v11, 0x32a5705f, v3
	v_sub_f32_e32 v6, v6, v15
	v_add_f32_e32 v4, v4, v8
	v_cvt_i32_f32_e32 v8, v10
	v_cvt_i32_f32_e32 v10, v15
	v_add_f32_e32 v6, v6, v11
	v_exp_f32_e32 v4, v4
	v_exp_f32_e32 v6, v6
	v_ldexp_f32 v4, v4, v8
	v_ldexp_f32 v6, v6, v10
	v_cndmask_b32_e64 v4, 0, v4, s1
	v_cmp_ngt_f32_e64 s1, 0xc2ce8ed0, v3
	v_cndmask_b32_e64 v6, 0, v6, s1
	v_cmp_nlt_f32_e64 s1, 0x42b17218, v0
	v_cndmask_b32_e64 v4, 0x7f800000, v4, s1
	v_cmp_nlt_f32_e64 s1, 0x42b17218, v3
	ds_bpermute_b32 v0, v7, v4
	v_cndmask_b32_e64 v3, 0x7f800000, v6, s1
	ds_bpermute_b32 v6, v7, v3
	s_waitcnt lgkmcnt(1)
	v_add_f32_e32 v0, v4, v0
	ds_bpermute_b32 v7, v9, v0
	s_waitcnt lgkmcnt(1)
	v_add_f32_e32 v6, v3, v6
	;; [unrolled: 3-line block ×7, first 2 shown]
	s_waitcnt lgkmcnt(0)
	v_add_f32_e32 v6, v6, v9
	ds_bpermute_b32 v9, v14, v8
	ds_bpermute_b32 v7, v14, v6
	s_and_saveexec_b32 s1, vcc_lo
	s_cbranch_execz .LBB494_9
; %bb.5:
	v_lshlrev_b64 v[0:1], 2, v[1:2]
	v_add_co_u32 v0, vcc_lo, s8, v0
	v_add_co_ci_u32_e64 v1, null, s9, v1, vcc_lo
	s_and_saveexec_b32 s1, s0
	s_cbranch_execz .LBB494_7
; %bb.6:
	s_waitcnt lgkmcnt(1)
	v_add_f32_e32 v2, v8, v9
	v_div_scale_f32 v8, null, v2, v2, v4
	v_rcp_f32_e32 v9, v8
	v_fma_f32 v10, -v8, v9, 1.0
	v_fmac_f32_e32 v9, v10, v9
	v_div_scale_f32 v10, vcc_lo, v4, v2, v4
	v_mul_f32_e32 v11, v10, v9
	v_fma_f32 v12, -v8, v11, v10
	v_fmac_f32_e32 v11, v12, v9
	v_fma_f32 v8, -v8, v11, v10
	v_div_fmas_f32 v8, v8, v9, v11
	v_cmp_neq_f32_e32 vcc_lo, 0, v2
	v_div_fixup_f32 v4, v8, v2, v4
	v_cndmask_b32_e32 v2, 0x7fc00000, v4, vcc_lo
	global_store_dword v[0:1], v2, off
.LBB494_7:
	s_or_b32 exec_lo, exec_lo, s1
	v_cmp_ne_u32_e32 vcc_lo, 1, v5
	s_and_b32 s0, vcc_lo, s0
	s_and_b32 exec_lo, exec_lo, s0
	s_cbranch_execz .LBB494_9
; %bb.8:
	s_waitcnt lgkmcnt(0)
	v_add_f32_e32 v2, v6, v7
	s_mov_b32 s15, 0
	s_lshl_b64 s[0:1], s[14:15], 2
	v_div_scale_f32 v4, null, v2, v2, v3
	v_div_scale_f32 v7, vcc_lo, v3, v2, v3
	v_rcp_f32_e32 v5, v4
	v_fma_f32 v6, -v4, v5, 1.0
	v_fmac_f32_e32 v5, v6, v5
	v_mul_f32_e32 v6, v7, v5
	v_fma_f32 v8, -v4, v6, v7
	v_fmac_f32_e32 v6, v8, v5
	v_fma_f32 v4, -v4, v6, v7
	v_div_fmas_f32 v4, v4, v5, v6
	v_add_co_u32 v0, vcc_lo, v0, s0
	v_add_co_ci_u32_e64 v1, null, s1, v1, vcc_lo
	v_div_fixup_f32 v3, v4, v2, v3
	v_cmp_neq_f32_e32 vcc_lo, 0, v2
	v_cndmask_b32_e32 v2, 0x7fc00000, v3, vcc_lo
	global_store_dword v[0:1], v2, off
.LBB494_9:
	s_endpgm
	.section	.rodata,"a",@progbits
	.p2align	6, 0x0
	.amdhsa_kernel _ZN12_GLOBAL__N_120softmax_warp_forwardIN3c108BFloat16EffLi5ELb0ELb0ELi64EEEvPT0_PKT_iiiPKbib
		.amdhsa_group_segment_fixed_size 0
		.amdhsa_private_segment_fixed_size 0
		.amdhsa_kernarg_size 304
		.amdhsa_user_sgpr_count 6
		.amdhsa_user_sgpr_private_segment_buffer 1
		.amdhsa_user_sgpr_dispatch_ptr 0
		.amdhsa_user_sgpr_queue_ptr 0
		.amdhsa_user_sgpr_kernarg_segment_ptr 1
		.amdhsa_user_sgpr_dispatch_id 0
		.amdhsa_user_sgpr_flat_scratch_init 0
		.amdhsa_user_sgpr_private_segment_size 0
		.amdhsa_wavefront_size32 1
		.amdhsa_uses_dynamic_stack 0
		.amdhsa_system_sgpr_private_segment_wavefront_offset 0
		.amdhsa_system_sgpr_workgroup_id_x 1
		.amdhsa_system_sgpr_workgroup_id_y 0
		.amdhsa_system_sgpr_workgroup_id_z 0
		.amdhsa_system_sgpr_workgroup_info 0
		.amdhsa_system_vgpr_workitem_id 1
		.amdhsa_next_free_vgpr 16
		.amdhsa_next_free_sgpr 16
		.amdhsa_reserve_vcc 1
		.amdhsa_reserve_flat_scratch 0
		.amdhsa_float_round_mode_32 0
		.amdhsa_float_round_mode_16_64 0
		.amdhsa_float_denorm_mode_32 3
		.amdhsa_float_denorm_mode_16_64 3
		.amdhsa_dx10_clamp 1
		.amdhsa_ieee_mode 1
		.amdhsa_fp16_overflow 0
		.amdhsa_workgroup_processor_mode 1
		.amdhsa_memory_ordered 1
		.amdhsa_forward_progress 1
		.amdhsa_shared_vgpr_count 0
		.amdhsa_exception_fp_ieee_invalid_op 0
		.amdhsa_exception_fp_denorm_src 0
		.amdhsa_exception_fp_ieee_div_zero 0
		.amdhsa_exception_fp_ieee_overflow 0
		.amdhsa_exception_fp_ieee_underflow 0
		.amdhsa_exception_fp_ieee_inexact 0
		.amdhsa_exception_int_div_zero 0
	.end_amdhsa_kernel
	.section	.text._ZN12_GLOBAL__N_120softmax_warp_forwardIN3c108BFloat16EffLi5ELb0ELb0ELi64EEEvPT0_PKT_iiiPKbib,"axG",@progbits,_ZN12_GLOBAL__N_120softmax_warp_forwardIN3c108BFloat16EffLi5ELb0ELb0ELi64EEEvPT0_PKT_iiiPKbib,comdat
.Lfunc_end494:
	.size	_ZN12_GLOBAL__N_120softmax_warp_forwardIN3c108BFloat16EffLi5ELb0ELb0ELi64EEEvPT0_PKT_iiiPKbib, .Lfunc_end494-_ZN12_GLOBAL__N_120softmax_warp_forwardIN3c108BFloat16EffLi5ELb0ELb0ELi64EEEvPT0_PKT_iiiPKbib
                                        ; -- End function
	.set _ZN12_GLOBAL__N_120softmax_warp_forwardIN3c108BFloat16EffLi5ELb0ELb0ELi64EEEvPT0_PKT_iiiPKbib.num_vgpr, 16
	.set _ZN12_GLOBAL__N_120softmax_warp_forwardIN3c108BFloat16EffLi5ELb0ELb0ELi64EEEvPT0_PKT_iiiPKbib.num_agpr, 0
	.set _ZN12_GLOBAL__N_120softmax_warp_forwardIN3c108BFloat16EffLi5ELb0ELb0ELi64EEEvPT0_PKT_iiiPKbib.numbered_sgpr, 16
	.set _ZN12_GLOBAL__N_120softmax_warp_forwardIN3c108BFloat16EffLi5ELb0ELb0ELi64EEEvPT0_PKT_iiiPKbib.num_named_barrier, 0
	.set _ZN12_GLOBAL__N_120softmax_warp_forwardIN3c108BFloat16EffLi5ELb0ELb0ELi64EEEvPT0_PKT_iiiPKbib.private_seg_size, 0
	.set _ZN12_GLOBAL__N_120softmax_warp_forwardIN3c108BFloat16EffLi5ELb0ELb0ELi64EEEvPT0_PKT_iiiPKbib.uses_vcc, 1
	.set _ZN12_GLOBAL__N_120softmax_warp_forwardIN3c108BFloat16EffLi5ELb0ELb0ELi64EEEvPT0_PKT_iiiPKbib.uses_flat_scratch, 0
	.set _ZN12_GLOBAL__N_120softmax_warp_forwardIN3c108BFloat16EffLi5ELb0ELb0ELi64EEEvPT0_PKT_iiiPKbib.has_dyn_sized_stack, 0
	.set _ZN12_GLOBAL__N_120softmax_warp_forwardIN3c108BFloat16EffLi5ELb0ELb0ELi64EEEvPT0_PKT_iiiPKbib.has_recursion, 0
	.set _ZN12_GLOBAL__N_120softmax_warp_forwardIN3c108BFloat16EffLi5ELb0ELb0ELi64EEEvPT0_PKT_iiiPKbib.has_indirect_call, 0
	.section	.AMDGPU.csdata,"",@progbits
; Kernel info:
; codeLenInByte = 1260
; TotalNumSgprs: 18
; NumVgprs: 16
; ScratchSize: 0
; MemoryBound: 0
; FloatMode: 240
; IeeeMode: 1
; LDSByteSize: 0 bytes/workgroup (compile time only)
; SGPRBlocks: 0
; VGPRBlocks: 1
; NumSGPRsForWavesPerEU: 18
; NumVGPRsForWavesPerEU: 16
; Occupancy: 16
; WaveLimiterHint : 0
; COMPUTE_PGM_RSRC2:SCRATCH_EN: 0
; COMPUTE_PGM_RSRC2:USER_SGPR: 6
; COMPUTE_PGM_RSRC2:TRAP_HANDLER: 0
; COMPUTE_PGM_RSRC2:TGID_X_EN: 1
; COMPUTE_PGM_RSRC2:TGID_Y_EN: 0
; COMPUTE_PGM_RSRC2:TGID_Z_EN: 0
; COMPUTE_PGM_RSRC2:TIDIG_COMP_CNT: 1
	.section	.text._ZN12_GLOBAL__N_120softmax_warp_forwardIN3c108BFloat16EffLi5ELb0ELb0ELi32EEEvPT0_PKT_iiiPKbib,"axG",@progbits,_ZN12_GLOBAL__N_120softmax_warp_forwardIN3c108BFloat16EffLi5ELb0ELb0ELi32EEEvPT0_PKT_iiiPKbib,comdat
	.globl	_ZN12_GLOBAL__N_120softmax_warp_forwardIN3c108BFloat16EffLi5ELb0ELb0ELi32EEEvPT0_PKT_iiiPKbib ; -- Begin function _ZN12_GLOBAL__N_120softmax_warp_forwardIN3c108BFloat16EffLi5ELb0ELb0ELi32EEEvPT0_PKT_iiiPKbib
	.p2align	8
	.type	_ZN12_GLOBAL__N_120softmax_warp_forwardIN3c108BFloat16EffLi5ELb0ELb0ELi32EEEvPT0_PKT_iiiPKbib,@function
_ZN12_GLOBAL__N_120softmax_warp_forwardIN3c108BFloat16EffLi5ELb0ELb0ELi32EEEvPT0_PKT_iiiPKbib: ; @_ZN12_GLOBAL__N_120softmax_warp_forwardIN3c108BFloat16EffLi5ELb0ELb0ELi32EEEvPT0_PKT_iiiPKbib
; %bb.0:
	s_clause 0x1
	s_load_dword s0, s[4:5], 0x3c
	s_load_dwordx8 s[8:15], s[4:5], 0x0
	v_mov_b32_e32 v6, 0xff800000
	s_waitcnt lgkmcnt(0)
	s_lshr_b32 s0, s0, 16
	s_and_b32 s0, s0, 0xffff
	s_mul_i32 s6, s6, s0
	v_cmp_gt_i32_e64 s0, s14, v0
	v_add_lshl_u32 v3, s6, v1, 1
	v_mad_u64_u32 v[1:2], null, v3, s13, v[0:1]
	v_sub_nc_u32_e32 v5, s12, v3
	v_mov_b32_e32 v0, 0xff800000
	v_cmp_lt_i32_e32 vcc_lo, 0, v5
	v_ashrrev_i32_e32 v2, 31, v1
	s_and_b32 s2, s0, vcc_lo
	v_lshlrev_b64 v[3:4], 1, v[1:2]
	v_add_co_u32 v3, s1, s10, v3
	v_add_co_ci_u32_e64 v4, null, s11, v4, s1
	s_and_saveexec_b32 s1, s2
	s_cbranch_execz .LBB495_2
; %bb.1:
	global_load_ushort v0, v[3:4], off
	s_waitcnt vmcnt(0)
	v_lshlrev_b32_e32 v0, 16, v0
.LBB495_2:
	s_or_b32 exec_lo, exec_lo, s1
	v_cmp_lt_i32_e64 s1, 1, v5
	s_and_b32 s1, s0, s1
	s_and_saveexec_b32 s2, s1
	s_cbranch_execz .LBB495_4
; %bb.3:
	s_mov_b32 s15, 0
	s_lshl_b64 s[4:5], s[14:15], 1
	v_add_co_u32 v3, s1, v3, s4
	v_add_co_ci_u32_e64 v4, null, s5, v4, s1
	global_load_ushort v3, v[3:4], off
	s_waitcnt vmcnt(0)
	v_lshlrev_b32_e32 v6, 16, v3
.LBB495_4:
	s_or_b32 exec_lo, exec_lo, s2
	v_mbcnt_lo_u32_b32 v3, -1, 0
	v_xor_b32_e32 v4, 16, v3
	v_xor_b32_e32 v9, 8, v3
	;; [unrolled: 1-line block ×5, first 2 shown]
	v_cmp_gt_i32_e64 s1, 32, v4
	v_cndmask_b32_e64 v4, v3, v4, s1
	v_cmp_gt_i32_e64 s1, 32, v9
	v_lshlrev_b32_e32 v7, 2, v4
	v_cndmask_b32_e64 v9, v3, v9, s1
	ds_bpermute_b32 v4, v7, v0
	ds_bpermute_b32 v8, v7, v6
	v_lshlrev_b32_e32 v9, 2, v9
	s_waitcnt lgkmcnt(1)
	v_cmp_lt_f32_e64 s1, v0, v4
	v_cndmask_b32_e64 v4, v0, v4, s1
	s_waitcnt lgkmcnt(0)
	v_cmp_lt_f32_e64 s1, v6, v8
	ds_bpermute_b32 v10, v9, v4
	v_cndmask_b32_e64 v8, v6, v8, s1
	v_cmp_gt_i32_e64 s1, 32, v12
	ds_bpermute_b32 v11, v9, v8
	v_cndmask_b32_e64 v12, v3, v12, s1
	v_lshlrev_b32_e32 v12, 2, v12
	s_waitcnt lgkmcnt(1)
	v_cmp_lt_f32_e64 s1, v4, v10
	v_cndmask_b32_e64 v4, v4, v10, s1
	s_waitcnt lgkmcnt(0)
	v_cmp_lt_f32_e64 s1, v8, v11
	ds_bpermute_b32 v10, v12, v4
	v_cndmask_b32_e64 v8, v8, v11, s1
	v_cmp_gt_i32_e64 s1, 32, v13
	ds_bpermute_b32 v11, v12, v8
	v_cndmask_b32_e64 v13, v3, v13, s1
	;; [unrolled: 11-line block ×3, first 2 shown]
	v_lshlrev_b32_e32 v14, 2, v3
	s_waitcnt lgkmcnt(1)
	v_cmp_lt_f32_e64 s1, v4, v10
	v_cndmask_b32_e64 v3, v4, v10, s1
	s_waitcnt lgkmcnt(0)
	v_cmp_lt_f32_e64 s1, v8, v11
	v_cndmask_b32_e64 v4, v8, v11, s1
	ds_bpermute_b32 v8, v14, v3
	ds_bpermute_b32 v10, v14, v4
	s_waitcnt lgkmcnt(1)
	v_cmp_lt_f32_e64 s1, v3, v8
	v_cndmask_b32_e64 v3, v3, v8, s1
	s_waitcnt lgkmcnt(0)
	v_cmp_lt_f32_e64 s1, v4, v10
	v_sub_f32_e32 v0, v0, v3
	v_cndmask_b32_e64 v4, v4, v10, s1
	v_cmp_ngt_f32_e64 s1, 0xc2ce8ed0, v0
	v_sub_f32_e32 v3, v6, v4
	v_mul_f32_e32 v4, 0x3fb8aa3b, v0
	v_mul_f32_e32 v6, 0x3fb8aa3b, v3
	v_fma_f32 v8, 0x3fb8aa3b, v0, -v4
	v_rndne_f32_e32 v10, v4
	v_fma_f32 v11, 0x3fb8aa3b, v3, -v6
	v_rndne_f32_e32 v15, v6
	v_fmac_f32_e32 v8, 0x32a5705f, v0
	v_sub_f32_e32 v4, v4, v10
	v_fmac_f32_e32 v11, 0x32a5705f, v3
	v_sub_f32_e32 v6, v6, v15
	v_add_f32_e32 v4, v4, v8
	v_cvt_i32_f32_e32 v8, v10
	v_cvt_i32_f32_e32 v10, v15
	v_add_f32_e32 v6, v6, v11
	v_exp_f32_e32 v4, v4
	v_exp_f32_e32 v6, v6
	v_ldexp_f32 v4, v4, v8
	v_ldexp_f32 v6, v6, v10
	v_cndmask_b32_e64 v4, 0, v4, s1
	v_cmp_ngt_f32_e64 s1, 0xc2ce8ed0, v3
	v_cndmask_b32_e64 v6, 0, v6, s1
	v_cmp_nlt_f32_e64 s1, 0x42b17218, v0
	v_cndmask_b32_e64 v4, 0x7f800000, v4, s1
	v_cmp_nlt_f32_e64 s1, 0x42b17218, v3
	ds_bpermute_b32 v0, v7, v4
	v_cndmask_b32_e64 v3, 0x7f800000, v6, s1
	ds_bpermute_b32 v6, v7, v3
	s_waitcnt lgkmcnt(1)
	v_add_f32_e32 v0, v4, v0
	ds_bpermute_b32 v7, v9, v0
	s_waitcnt lgkmcnt(1)
	v_add_f32_e32 v6, v3, v6
	;; [unrolled: 3-line block ×7, first 2 shown]
	s_waitcnt lgkmcnt(0)
	v_add_f32_e32 v6, v6, v9
	ds_bpermute_b32 v9, v14, v8
	ds_bpermute_b32 v7, v14, v6
	s_and_saveexec_b32 s1, vcc_lo
	s_cbranch_execz .LBB495_9
; %bb.5:
	v_lshlrev_b64 v[0:1], 2, v[1:2]
	v_add_co_u32 v0, vcc_lo, s8, v0
	v_add_co_ci_u32_e64 v1, null, s9, v1, vcc_lo
	s_and_saveexec_b32 s1, s0
	s_cbranch_execz .LBB495_7
; %bb.6:
	s_waitcnt lgkmcnt(1)
	v_add_f32_e32 v2, v8, v9
	v_div_scale_f32 v8, null, v2, v2, v4
	v_rcp_f32_e32 v9, v8
	v_fma_f32 v10, -v8, v9, 1.0
	v_fmac_f32_e32 v9, v10, v9
	v_div_scale_f32 v10, vcc_lo, v4, v2, v4
	v_mul_f32_e32 v11, v10, v9
	v_fma_f32 v12, -v8, v11, v10
	v_fmac_f32_e32 v11, v12, v9
	v_fma_f32 v8, -v8, v11, v10
	v_div_fmas_f32 v8, v8, v9, v11
	v_cmp_neq_f32_e32 vcc_lo, 0, v2
	v_div_fixup_f32 v4, v8, v2, v4
	v_cndmask_b32_e32 v2, 0x7fc00000, v4, vcc_lo
	global_store_dword v[0:1], v2, off
.LBB495_7:
	s_or_b32 exec_lo, exec_lo, s1
	v_cmp_ne_u32_e32 vcc_lo, 1, v5
	s_and_b32 s0, vcc_lo, s0
	s_and_b32 exec_lo, exec_lo, s0
	s_cbranch_execz .LBB495_9
; %bb.8:
	s_waitcnt lgkmcnt(0)
	v_add_f32_e32 v2, v6, v7
	s_mov_b32 s15, 0
	s_lshl_b64 s[0:1], s[14:15], 2
	v_div_scale_f32 v4, null, v2, v2, v3
	v_div_scale_f32 v7, vcc_lo, v3, v2, v3
	v_rcp_f32_e32 v5, v4
	v_fma_f32 v6, -v4, v5, 1.0
	v_fmac_f32_e32 v5, v6, v5
	v_mul_f32_e32 v6, v7, v5
	v_fma_f32 v8, -v4, v6, v7
	v_fmac_f32_e32 v6, v8, v5
	v_fma_f32 v4, -v4, v6, v7
	v_div_fmas_f32 v4, v4, v5, v6
	v_add_co_u32 v0, vcc_lo, v0, s0
	v_add_co_ci_u32_e64 v1, null, s1, v1, vcc_lo
	v_div_fixup_f32 v3, v4, v2, v3
	v_cmp_neq_f32_e32 vcc_lo, 0, v2
	v_cndmask_b32_e32 v2, 0x7fc00000, v3, vcc_lo
	global_store_dword v[0:1], v2, off
.LBB495_9:
	s_endpgm
	.section	.rodata,"a",@progbits
	.p2align	6, 0x0
	.amdhsa_kernel _ZN12_GLOBAL__N_120softmax_warp_forwardIN3c108BFloat16EffLi5ELb0ELb0ELi32EEEvPT0_PKT_iiiPKbib
		.amdhsa_group_segment_fixed_size 0
		.amdhsa_private_segment_fixed_size 0
		.amdhsa_kernarg_size 304
		.amdhsa_user_sgpr_count 6
		.amdhsa_user_sgpr_private_segment_buffer 1
		.amdhsa_user_sgpr_dispatch_ptr 0
		.amdhsa_user_sgpr_queue_ptr 0
		.amdhsa_user_sgpr_kernarg_segment_ptr 1
		.amdhsa_user_sgpr_dispatch_id 0
		.amdhsa_user_sgpr_flat_scratch_init 0
		.amdhsa_user_sgpr_private_segment_size 0
		.amdhsa_wavefront_size32 1
		.amdhsa_uses_dynamic_stack 0
		.amdhsa_system_sgpr_private_segment_wavefront_offset 0
		.amdhsa_system_sgpr_workgroup_id_x 1
		.amdhsa_system_sgpr_workgroup_id_y 0
		.amdhsa_system_sgpr_workgroup_id_z 0
		.amdhsa_system_sgpr_workgroup_info 0
		.amdhsa_system_vgpr_workitem_id 1
		.amdhsa_next_free_vgpr 16
		.amdhsa_next_free_sgpr 16
		.amdhsa_reserve_vcc 1
		.amdhsa_reserve_flat_scratch 0
		.amdhsa_float_round_mode_32 0
		.amdhsa_float_round_mode_16_64 0
		.amdhsa_float_denorm_mode_32 3
		.amdhsa_float_denorm_mode_16_64 3
		.amdhsa_dx10_clamp 1
		.amdhsa_ieee_mode 1
		.amdhsa_fp16_overflow 0
		.amdhsa_workgroup_processor_mode 1
		.amdhsa_memory_ordered 1
		.amdhsa_forward_progress 1
		.amdhsa_shared_vgpr_count 0
		.amdhsa_exception_fp_ieee_invalid_op 0
		.amdhsa_exception_fp_denorm_src 0
		.amdhsa_exception_fp_ieee_div_zero 0
		.amdhsa_exception_fp_ieee_overflow 0
		.amdhsa_exception_fp_ieee_underflow 0
		.amdhsa_exception_fp_ieee_inexact 0
		.amdhsa_exception_int_div_zero 0
	.end_amdhsa_kernel
	.section	.text._ZN12_GLOBAL__N_120softmax_warp_forwardIN3c108BFloat16EffLi5ELb0ELb0ELi32EEEvPT0_PKT_iiiPKbib,"axG",@progbits,_ZN12_GLOBAL__N_120softmax_warp_forwardIN3c108BFloat16EffLi5ELb0ELb0ELi32EEEvPT0_PKT_iiiPKbib,comdat
.Lfunc_end495:
	.size	_ZN12_GLOBAL__N_120softmax_warp_forwardIN3c108BFloat16EffLi5ELb0ELb0ELi32EEEvPT0_PKT_iiiPKbib, .Lfunc_end495-_ZN12_GLOBAL__N_120softmax_warp_forwardIN3c108BFloat16EffLi5ELb0ELb0ELi32EEEvPT0_PKT_iiiPKbib
                                        ; -- End function
	.set _ZN12_GLOBAL__N_120softmax_warp_forwardIN3c108BFloat16EffLi5ELb0ELb0ELi32EEEvPT0_PKT_iiiPKbib.num_vgpr, 16
	.set _ZN12_GLOBAL__N_120softmax_warp_forwardIN3c108BFloat16EffLi5ELb0ELb0ELi32EEEvPT0_PKT_iiiPKbib.num_agpr, 0
	.set _ZN12_GLOBAL__N_120softmax_warp_forwardIN3c108BFloat16EffLi5ELb0ELb0ELi32EEEvPT0_PKT_iiiPKbib.numbered_sgpr, 16
	.set _ZN12_GLOBAL__N_120softmax_warp_forwardIN3c108BFloat16EffLi5ELb0ELb0ELi32EEEvPT0_PKT_iiiPKbib.num_named_barrier, 0
	.set _ZN12_GLOBAL__N_120softmax_warp_forwardIN3c108BFloat16EffLi5ELb0ELb0ELi32EEEvPT0_PKT_iiiPKbib.private_seg_size, 0
	.set _ZN12_GLOBAL__N_120softmax_warp_forwardIN3c108BFloat16EffLi5ELb0ELb0ELi32EEEvPT0_PKT_iiiPKbib.uses_vcc, 1
	.set _ZN12_GLOBAL__N_120softmax_warp_forwardIN3c108BFloat16EffLi5ELb0ELb0ELi32EEEvPT0_PKT_iiiPKbib.uses_flat_scratch, 0
	.set _ZN12_GLOBAL__N_120softmax_warp_forwardIN3c108BFloat16EffLi5ELb0ELb0ELi32EEEvPT0_PKT_iiiPKbib.has_dyn_sized_stack, 0
	.set _ZN12_GLOBAL__N_120softmax_warp_forwardIN3c108BFloat16EffLi5ELb0ELb0ELi32EEEvPT0_PKT_iiiPKbib.has_recursion, 0
	.set _ZN12_GLOBAL__N_120softmax_warp_forwardIN3c108BFloat16EffLi5ELb0ELb0ELi32EEEvPT0_PKT_iiiPKbib.has_indirect_call, 0
	.section	.AMDGPU.csdata,"",@progbits
; Kernel info:
; codeLenInByte = 1260
; TotalNumSgprs: 18
; NumVgprs: 16
; ScratchSize: 0
; MemoryBound: 0
; FloatMode: 240
; IeeeMode: 1
; LDSByteSize: 0 bytes/workgroup (compile time only)
; SGPRBlocks: 0
; VGPRBlocks: 1
; NumSGPRsForWavesPerEU: 18
; NumVGPRsForWavesPerEU: 16
; Occupancy: 16
; WaveLimiterHint : 0
; COMPUTE_PGM_RSRC2:SCRATCH_EN: 0
; COMPUTE_PGM_RSRC2:USER_SGPR: 6
; COMPUTE_PGM_RSRC2:TRAP_HANDLER: 0
; COMPUTE_PGM_RSRC2:TGID_X_EN: 1
; COMPUTE_PGM_RSRC2:TGID_Y_EN: 0
; COMPUTE_PGM_RSRC2:TGID_Z_EN: 0
; COMPUTE_PGM_RSRC2:TIDIG_COMP_CNT: 1
	.section	.text._ZN12_GLOBAL__N_120softmax_warp_forwardIN3c108BFloat16EffLi6ELb0ELb0ELi64EEEvPT0_PKT_iiiPKbib,"axG",@progbits,_ZN12_GLOBAL__N_120softmax_warp_forwardIN3c108BFloat16EffLi6ELb0ELb0ELi64EEEvPT0_PKT_iiiPKbib,comdat
	.globl	_ZN12_GLOBAL__N_120softmax_warp_forwardIN3c108BFloat16EffLi6ELb0ELb0ELi64EEEvPT0_PKT_iiiPKbib ; -- Begin function _ZN12_GLOBAL__N_120softmax_warp_forwardIN3c108BFloat16EffLi6ELb0ELb0ELi64EEEvPT0_PKT_iiiPKbib
	.p2align	8
	.type	_ZN12_GLOBAL__N_120softmax_warp_forwardIN3c108BFloat16EffLi6ELb0ELb0ELi64EEEvPT0_PKT_iiiPKbib,@function
_ZN12_GLOBAL__N_120softmax_warp_forwardIN3c108BFloat16EffLi6ELb0ELb0ELi64EEEvPT0_PKT_iiiPKbib: ; @_ZN12_GLOBAL__N_120softmax_warp_forwardIN3c108BFloat16EffLi6ELb0ELb0ELi64EEEvPT0_PKT_iiiPKbib
; %bb.0:
	s_clause 0x1
	s_load_dword s0, s[4:5], 0x3c
	s_load_dwordx8 s[8:15], s[4:5], 0x0
	v_mov_b32_e32 v6, 0xff800000
	s_waitcnt lgkmcnt(0)
	s_lshr_b32 s0, s0, 16
	s_and_b32 s0, s0, 0xffff
	s_mul_i32 s6, s6, s0
	v_cmp_gt_i32_e64 s0, s14, v0
	v_add_lshl_u32 v3, s6, v1, 1
	v_mad_u64_u32 v[1:2], null, v3, s13, v[0:1]
	v_sub_nc_u32_e32 v5, s12, v3
	v_mov_b32_e32 v0, 0xff800000
	v_cmp_lt_i32_e32 vcc_lo, 0, v5
	v_ashrrev_i32_e32 v2, 31, v1
	s_and_b32 s2, s0, vcc_lo
	v_lshlrev_b64 v[3:4], 1, v[1:2]
	v_add_co_u32 v3, s1, s10, v3
	v_add_co_ci_u32_e64 v4, null, s11, v4, s1
	s_and_saveexec_b32 s1, s2
	s_cbranch_execz .LBB496_2
; %bb.1:
	global_load_ushort v0, v[3:4], off
	s_waitcnt vmcnt(0)
	v_lshlrev_b32_e32 v0, 16, v0
.LBB496_2:
	s_or_b32 exec_lo, exec_lo, s1
	v_cmp_lt_i32_e64 s1, 1, v5
	s_and_b32 s1, s0, s1
	s_and_saveexec_b32 s2, s1
	s_cbranch_execz .LBB496_4
; %bb.3:
	s_mov_b32 s15, 0
	s_lshl_b64 s[4:5], s[14:15], 1
	v_add_co_u32 v3, s1, v3, s4
	v_add_co_ci_u32_e64 v4, null, s5, v4, s1
	global_load_ushort v3, v[3:4], off
	s_waitcnt vmcnt(0)
	v_lshlrev_b32_e32 v6, 16, v3
.LBB496_4:
	s_or_b32 exec_lo, exec_lo, s2
	v_mbcnt_lo_u32_b32 v3, -1, 0
	v_or_b32_e32 v4, 32, v3
	v_xor_b32_e32 v9, 16, v3
	v_xor_b32_e32 v12, 8, v3
	;; [unrolled: 1-line block ×4, first 2 shown]
	v_cmp_gt_i32_e64 s1, 64, v4
	v_xor_b32_e32 v15, 1, v3
	v_cndmask_b32_e64 v4, v3, v4, s1
	v_cmp_gt_i32_e64 s1, 64, v9
	v_lshlrev_b32_e32 v7, 2, v4
	v_cndmask_b32_e64 v9, v3, v9, s1
	ds_bpermute_b32 v4, v7, v0
	ds_bpermute_b32 v8, v7, v6
	v_lshlrev_b32_e32 v9, 2, v9
	s_waitcnt lgkmcnt(1)
	v_cmp_lt_f32_e64 s1, v0, v4
	v_cndmask_b32_e64 v4, v0, v4, s1
	s_waitcnt lgkmcnt(0)
	v_cmp_lt_f32_e64 s1, v6, v8
	ds_bpermute_b32 v10, v9, v4
	v_cndmask_b32_e64 v8, v6, v8, s1
	v_cmp_gt_i32_e64 s1, 64, v12
	ds_bpermute_b32 v11, v9, v8
	v_cndmask_b32_e64 v12, v3, v12, s1
	v_lshlrev_b32_e32 v12, 2, v12
	s_waitcnt lgkmcnt(1)
	v_cmp_lt_f32_e64 s1, v4, v10
	v_cndmask_b32_e64 v4, v4, v10, s1
	s_waitcnt lgkmcnt(0)
	v_cmp_lt_f32_e64 s1, v8, v11
	ds_bpermute_b32 v10, v12, v4
	v_cndmask_b32_e64 v8, v8, v11, s1
	v_cmp_gt_i32_e64 s1, 64, v13
	ds_bpermute_b32 v11, v12, v8
	v_cndmask_b32_e64 v13, v3, v13, s1
	;; [unrolled: 11-line block ×4, first 2 shown]
	v_lshlrev_b32_e32 v15, 2, v3
	s_waitcnt lgkmcnt(1)
	v_cmp_lt_f32_e64 s1, v4, v10
	v_cndmask_b32_e64 v3, v4, v10, s1
	s_waitcnt lgkmcnt(0)
	v_cmp_lt_f32_e64 s1, v8, v11
	v_cndmask_b32_e64 v4, v8, v11, s1
	ds_bpermute_b32 v8, v15, v3
	ds_bpermute_b32 v10, v15, v4
	s_waitcnt lgkmcnt(1)
	v_cmp_lt_f32_e64 s1, v3, v8
	v_cndmask_b32_e64 v3, v3, v8, s1
	s_waitcnt lgkmcnt(0)
	v_cmp_lt_f32_e64 s1, v4, v10
	v_sub_f32_e32 v0, v0, v3
	v_cndmask_b32_e64 v4, v4, v10, s1
	v_cmp_ngt_f32_e64 s1, 0xc2ce8ed0, v0
	v_sub_f32_e32 v3, v6, v4
	v_mul_f32_e32 v4, 0x3fb8aa3b, v0
	v_mul_f32_e32 v6, 0x3fb8aa3b, v3
	v_fma_f32 v8, 0x3fb8aa3b, v0, -v4
	v_rndne_f32_e32 v10, v4
	v_fma_f32 v11, 0x3fb8aa3b, v3, -v6
	v_rndne_f32_e32 v16, v6
	v_fmac_f32_e32 v8, 0x32a5705f, v0
	v_sub_f32_e32 v4, v4, v10
	v_fmac_f32_e32 v11, 0x32a5705f, v3
	v_sub_f32_e32 v6, v6, v16
	v_add_f32_e32 v4, v4, v8
	v_cvt_i32_f32_e32 v8, v10
	v_cvt_i32_f32_e32 v10, v16
	v_add_f32_e32 v6, v6, v11
	v_exp_f32_e32 v4, v4
	v_exp_f32_e32 v6, v6
	v_ldexp_f32 v4, v4, v8
	v_ldexp_f32 v6, v6, v10
	v_cndmask_b32_e64 v4, 0, v4, s1
	v_cmp_ngt_f32_e64 s1, 0xc2ce8ed0, v3
	v_cndmask_b32_e64 v6, 0, v6, s1
	v_cmp_nlt_f32_e64 s1, 0x42b17218, v0
	v_cndmask_b32_e64 v4, 0x7f800000, v4, s1
	v_cmp_nlt_f32_e64 s1, 0x42b17218, v3
	ds_bpermute_b32 v0, v7, v4
	v_cndmask_b32_e64 v3, 0x7f800000, v6, s1
	ds_bpermute_b32 v6, v7, v3
	s_waitcnt lgkmcnt(1)
	v_add_f32_e32 v0, v4, v0
	ds_bpermute_b32 v7, v9, v0
	s_waitcnt lgkmcnt(1)
	v_add_f32_e32 v6, v3, v6
	;; [unrolled: 3-line block ×9, first 2 shown]
	s_waitcnt lgkmcnt(0)
	v_add_f32_e32 v6, v6, v9
	ds_bpermute_b32 v9, v15, v8
	ds_bpermute_b32 v7, v15, v6
	s_and_saveexec_b32 s1, vcc_lo
	s_cbranch_execz .LBB496_9
; %bb.5:
	v_lshlrev_b64 v[0:1], 2, v[1:2]
	v_add_co_u32 v0, vcc_lo, s8, v0
	v_add_co_ci_u32_e64 v1, null, s9, v1, vcc_lo
	s_and_saveexec_b32 s1, s0
	s_cbranch_execz .LBB496_7
; %bb.6:
	s_waitcnt lgkmcnt(1)
	v_add_f32_e32 v2, v8, v9
	v_div_scale_f32 v8, null, v2, v2, v4
	v_rcp_f32_e32 v9, v8
	v_fma_f32 v10, -v8, v9, 1.0
	v_fmac_f32_e32 v9, v10, v9
	v_div_scale_f32 v10, vcc_lo, v4, v2, v4
	v_mul_f32_e32 v11, v10, v9
	v_fma_f32 v12, -v8, v11, v10
	v_fmac_f32_e32 v11, v12, v9
	v_fma_f32 v8, -v8, v11, v10
	v_div_fmas_f32 v8, v8, v9, v11
	v_cmp_neq_f32_e32 vcc_lo, 0, v2
	v_div_fixup_f32 v4, v8, v2, v4
	v_cndmask_b32_e32 v2, 0x7fc00000, v4, vcc_lo
	global_store_dword v[0:1], v2, off
.LBB496_7:
	s_or_b32 exec_lo, exec_lo, s1
	v_cmp_ne_u32_e32 vcc_lo, 1, v5
	s_and_b32 s0, vcc_lo, s0
	s_and_b32 exec_lo, exec_lo, s0
	s_cbranch_execz .LBB496_9
; %bb.8:
	s_waitcnt lgkmcnt(0)
	v_add_f32_e32 v2, v6, v7
	s_mov_b32 s15, 0
	s_lshl_b64 s[0:1], s[14:15], 2
	v_div_scale_f32 v4, null, v2, v2, v3
	v_div_scale_f32 v7, vcc_lo, v3, v2, v3
	v_rcp_f32_e32 v5, v4
	v_fma_f32 v6, -v4, v5, 1.0
	v_fmac_f32_e32 v5, v6, v5
	v_mul_f32_e32 v6, v7, v5
	v_fma_f32 v8, -v4, v6, v7
	v_fmac_f32_e32 v6, v8, v5
	v_fma_f32 v4, -v4, v6, v7
	v_div_fmas_f32 v4, v4, v5, v6
	v_add_co_u32 v0, vcc_lo, v0, s0
	v_add_co_ci_u32_e64 v1, null, s1, v1, vcc_lo
	v_div_fixup_f32 v3, v4, v2, v3
	v_cmp_neq_f32_e32 vcc_lo, 0, v2
	v_cndmask_b32_e32 v2, 0x7fc00000, v3, vcc_lo
	global_store_dword v[0:1], v2, off
.LBB496_9:
	s_endpgm
	.section	.rodata,"a",@progbits
	.p2align	6, 0x0
	.amdhsa_kernel _ZN12_GLOBAL__N_120softmax_warp_forwardIN3c108BFloat16EffLi6ELb0ELb0ELi64EEEvPT0_PKT_iiiPKbib
		.amdhsa_group_segment_fixed_size 0
		.amdhsa_private_segment_fixed_size 0
		.amdhsa_kernarg_size 304
		.amdhsa_user_sgpr_count 6
		.amdhsa_user_sgpr_private_segment_buffer 1
		.amdhsa_user_sgpr_dispatch_ptr 0
		.amdhsa_user_sgpr_queue_ptr 0
		.amdhsa_user_sgpr_kernarg_segment_ptr 1
		.amdhsa_user_sgpr_dispatch_id 0
		.amdhsa_user_sgpr_flat_scratch_init 0
		.amdhsa_user_sgpr_private_segment_size 0
		.amdhsa_wavefront_size32 1
		.amdhsa_uses_dynamic_stack 0
		.amdhsa_system_sgpr_private_segment_wavefront_offset 0
		.amdhsa_system_sgpr_workgroup_id_x 1
		.amdhsa_system_sgpr_workgroup_id_y 0
		.amdhsa_system_sgpr_workgroup_id_z 0
		.amdhsa_system_sgpr_workgroup_info 0
		.amdhsa_system_vgpr_workitem_id 1
		.amdhsa_next_free_vgpr 17
		.amdhsa_next_free_sgpr 16
		.amdhsa_reserve_vcc 1
		.amdhsa_reserve_flat_scratch 0
		.amdhsa_float_round_mode_32 0
		.amdhsa_float_round_mode_16_64 0
		.amdhsa_float_denorm_mode_32 3
		.amdhsa_float_denorm_mode_16_64 3
		.amdhsa_dx10_clamp 1
		.amdhsa_ieee_mode 1
		.amdhsa_fp16_overflow 0
		.amdhsa_workgroup_processor_mode 1
		.amdhsa_memory_ordered 1
		.amdhsa_forward_progress 1
		.amdhsa_shared_vgpr_count 0
		.amdhsa_exception_fp_ieee_invalid_op 0
		.amdhsa_exception_fp_denorm_src 0
		.amdhsa_exception_fp_ieee_div_zero 0
		.amdhsa_exception_fp_ieee_overflow 0
		.amdhsa_exception_fp_ieee_underflow 0
		.amdhsa_exception_fp_ieee_inexact 0
		.amdhsa_exception_int_div_zero 0
	.end_amdhsa_kernel
	.section	.text._ZN12_GLOBAL__N_120softmax_warp_forwardIN3c108BFloat16EffLi6ELb0ELb0ELi64EEEvPT0_PKT_iiiPKbib,"axG",@progbits,_ZN12_GLOBAL__N_120softmax_warp_forwardIN3c108BFloat16EffLi6ELb0ELb0ELi64EEEvPT0_PKT_iiiPKbib,comdat
.Lfunc_end496:
	.size	_ZN12_GLOBAL__N_120softmax_warp_forwardIN3c108BFloat16EffLi6ELb0ELb0ELi64EEEvPT0_PKT_iiiPKbib, .Lfunc_end496-_ZN12_GLOBAL__N_120softmax_warp_forwardIN3c108BFloat16EffLi6ELb0ELb0ELi64EEEvPT0_PKT_iiiPKbib
                                        ; -- End function
	.set _ZN12_GLOBAL__N_120softmax_warp_forwardIN3c108BFloat16EffLi6ELb0ELb0ELi64EEEvPT0_PKT_iiiPKbib.num_vgpr, 17
	.set _ZN12_GLOBAL__N_120softmax_warp_forwardIN3c108BFloat16EffLi6ELb0ELb0ELi64EEEvPT0_PKT_iiiPKbib.num_agpr, 0
	.set _ZN12_GLOBAL__N_120softmax_warp_forwardIN3c108BFloat16EffLi6ELb0ELb0ELi64EEEvPT0_PKT_iiiPKbib.numbered_sgpr, 16
	.set _ZN12_GLOBAL__N_120softmax_warp_forwardIN3c108BFloat16EffLi6ELb0ELb0ELi64EEEvPT0_PKT_iiiPKbib.num_named_barrier, 0
	.set _ZN12_GLOBAL__N_120softmax_warp_forwardIN3c108BFloat16EffLi6ELb0ELb0ELi64EEEvPT0_PKT_iiiPKbib.private_seg_size, 0
	.set _ZN12_GLOBAL__N_120softmax_warp_forwardIN3c108BFloat16EffLi6ELb0ELb0ELi64EEEvPT0_PKT_iiiPKbib.uses_vcc, 1
	.set _ZN12_GLOBAL__N_120softmax_warp_forwardIN3c108BFloat16EffLi6ELb0ELb0ELi64EEEvPT0_PKT_iiiPKbib.uses_flat_scratch, 0
	.set _ZN12_GLOBAL__N_120softmax_warp_forwardIN3c108BFloat16EffLi6ELb0ELb0ELi64EEEvPT0_PKT_iiiPKbib.has_dyn_sized_stack, 0
	.set _ZN12_GLOBAL__N_120softmax_warp_forwardIN3c108BFloat16EffLi6ELb0ELb0ELi64EEEvPT0_PKT_iiiPKbib.has_recursion, 0
	.set _ZN12_GLOBAL__N_120softmax_warp_forwardIN3c108BFloat16EffLi6ELb0ELb0ELi64EEEvPT0_PKT_iiiPKbib.has_indirect_call, 0
	.section	.AMDGPU.csdata,"",@progbits
; Kernel info:
; codeLenInByte = 1372
; TotalNumSgprs: 18
; NumVgprs: 17
; ScratchSize: 0
; MemoryBound: 0
; FloatMode: 240
; IeeeMode: 1
; LDSByteSize: 0 bytes/workgroup (compile time only)
; SGPRBlocks: 0
; VGPRBlocks: 2
; NumSGPRsForWavesPerEU: 18
; NumVGPRsForWavesPerEU: 17
; Occupancy: 16
; WaveLimiterHint : 0
; COMPUTE_PGM_RSRC2:SCRATCH_EN: 0
; COMPUTE_PGM_RSRC2:USER_SGPR: 6
; COMPUTE_PGM_RSRC2:TRAP_HANDLER: 0
; COMPUTE_PGM_RSRC2:TGID_X_EN: 1
; COMPUTE_PGM_RSRC2:TGID_Y_EN: 0
; COMPUTE_PGM_RSRC2:TGID_Z_EN: 0
; COMPUTE_PGM_RSRC2:TIDIG_COMP_CNT: 1
	.section	.text._ZN12_GLOBAL__N_120softmax_warp_forwardIN3c108BFloat16EffLi6ELb0ELb0ELi32EEEvPT0_PKT_iiiPKbib,"axG",@progbits,_ZN12_GLOBAL__N_120softmax_warp_forwardIN3c108BFloat16EffLi6ELb0ELb0ELi32EEEvPT0_PKT_iiiPKbib,comdat
	.globl	_ZN12_GLOBAL__N_120softmax_warp_forwardIN3c108BFloat16EffLi6ELb0ELb0ELi32EEEvPT0_PKT_iiiPKbib ; -- Begin function _ZN12_GLOBAL__N_120softmax_warp_forwardIN3c108BFloat16EffLi6ELb0ELb0ELi32EEEvPT0_PKT_iiiPKbib
	.p2align	8
	.type	_ZN12_GLOBAL__N_120softmax_warp_forwardIN3c108BFloat16EffLi6ELb0ELb0ELi32EEEvPT0_PKT_iiiPKbib,@function
_ZN12_GLOBAL__N_120softmax_warp_forwardIN3c108BFloat16EffLi6ELb0ELb0ELi32EEEvPT0_PKT_iiiPKbib: ; @_ZN12_GLOBAL__N_120softmax_warp_forwardIN3c108BFloat16EffLi6ELb0ELb0ELi32EEEvPT0_PKT_iiiPKbib
; %bb.0:
	s_clause 0x1
	s_load_dword s0, s[4:5], 0x3c
	s_load_dwordx8 s[8:15], s[4:5], 0x0
	v_mov_b32_e32 v6, 0xff800000
	v_mov_b32_e32 v7, 0xff800000
	s_waitcnt lgkmcnt(0)
	s_lshr_b32 s0, s0, 16
	v_cmp_gt_i32_e64 s1, s14, v0
	s_and_b32 s0, s0, 0xffff
	s_mul_i32 s6, s6, s0
	v_add_lshl_u32 v3, s6, v1, 1
	v_mad_u64_u32 v[1:2], null, v3, s13, v[0:1]
	v_sub_nc_u32_e32 v5, s12, v3
	v_cmp_lt_i32_e32 vcc_lo, 0, v5
	v_ashrrev_i32_e32 v2, 31, v1
	s_and_b32 s2, vcc_lo, s1
	v_lshlrev_b64 v[3:4], 1, v[1:2]
	v_add_co_u32 v3, s0, s10, v3
	v_add_co_ci_u32_e64 v4, null, s11, v4, s0
	s_and_saveexec_b32 s0, s2
	s_cbranch_execz .LBB497_2
; %bb.1:
	global_load_ushort v7, v[3:4], off
	s_waitcnt vmcnt(0)
	v_lshlrev_b32_e32 v7, 16, v7
.LBB497_2:
	s_or_b32 exec_lo, exec_lo, s0
	v_add_nc_u32_e32 v0, 32, v0
	v_cmp_gt_i32_e64 s0, s14, v0
	s_and_b32 s3, vcc_lo, s0
	s_and_saveexec_b32 s2, s3
	s_cbranch_execz .LBB497_4
; %bb.3:
	global_load_ushort v0, v[3:4], off offset:64
	s_waitcnt vmcnt(0)
	v_lshlrev_b32_e32 v6, 16, v0
.LBB497_4:
	s_or_b32 exec_lo, exec_lo, s2
	v_cmp_lt_i32_e64 s2, 1, v5
	v_mov_b32_e32 v0, 0xff800000
	v_mov_b32_e32 v8, 0xff800000
	s_and_b32 s3, s2, s1
	s_and_saveexec_b32 s4, s3
	s_cbranch_execz .LBB497_6
; %bb.5:
	s_mov_b32 s15, 0
	s_lshl_b64 s[6:7], s[14:15], 1
	v_add_co_u32 v8, s3, v3, s6
	v_add_co_ci_u32_e64 v9, null, s7, v4, s3
	global_load_ushort v8, v[8:9], off
	s_waitcnt vmcnt(0)
	v_lshlrev_b32_e32 v8, 16, v8
.LBB497_6:
	s_or_b32 exec_lo, exec_lo, s4
	s_and_b32 s2, s2, s0
	s_and_saveexec_b32 s3, s2
	s_cbranch_execz .LBB497_8
; %bb.7:
	s_mov_b32 s15, 0
	s_lshl_b64 s[4:5], s[14:15], 1
	v_add_co_u32 v3, s2, v3, s4
	v_add_co_ci_u32_e64 v4, null, s5, v4, s2
	global_load_ushort v0, v[3:4], off offset:64
	s_waitcnt vmcnt(0)
	v_lshlrev_b32_e32 v0, 16, v0
.LBB497_8:
	s_or_b32 exec_lo, exec_lo, s3
	v_mbcnt_lo_u32_b32 v3, -1, 0
	v_xor_b32_e32 v4, 16, v3
	v_xor_b32_e32 v13, 8, v3
	;; [unrolled: 1-line block ×5, first 2 shown]
	v_cmp_gt_i32_e64 s2, 32, v4
	v_cndmask_b32_e64 v4, v3, v4, s2
	v_cmp_gt_f32_e64 s2, v7, v6
	v_lshlrev_b32_e32 v10, 2, v4
	v_cndmask_b32_e64 v9, v6, v7, s2
	v_cmp_gt_f32_e64 s2, v8, v0
	ds_bpermute_b32 v11, v10, v9
	v_cndmask_b32_e64 v4, v0, v8, s2
	v_cmp_gt_i32_e64 s2, 32, v13
	ds_bpermute_b32 v12, v10, v4
	v_cndmask_b32_e64 v13, v3, v13, s2
	v_lshlrev_b32_e32 v13, 2, v13
	s_waitcnt lgkmcnt(1)
	v_cmp_lt_f32_e64 s2, v9, v11
	v_cndmask_b32_e64 v9, v9, v11, s2
	s_waitcnt lgkmcnt(0)
	v_cmp_lt_f32_e64 s2, v4, v12
	ds_bpermute_b32 v11, v13, v9
	v_cndmask_b32_e64 v4, v4, v12, s2
	v_cmp_gt_i32_e64 s2, 32, v14
	ds_bpermute_b32 v12, v13, v4
	v_cndmask_b32_e64 v14, v3, v14, s2
	v_lshlrev_b32_e32 v14, 2, v14
	s_waitcnt lgkmcnt(1)
	v_cmp_lt_f32_e64 s2, v9, v11
	v_cndmask_b32_e64 v9, v9, v11, s2
	s_waitcnt lgkmcnt(0)
	v_cmp_lt_f32_e64 s2, v4, v12
	;; [unrolled: 11-line block ×4, first 2 shown]
	ds_bpermute_b32 v9, v16, v3
	v_cndmask_b32_e64 v4, v4, v12, s2
	ds_bpermute_b32 v11, v16, v4
	s_waitcnt lgkmcnt(1)
	v_cmp_lt_f32_e64 s2, v3, v9
	v_cndmask_b32_e64 v3, v3, v9, s2
	s_waitcnt lgkmcnt(0)
	v_cmp_lt_f32_e64 s2, v4, v11
	v_sub_f32_e32 v7, v7, v3
	v_cndmask_b32_e64 v4, v4, v11, s2
	v_sub_f32_e32 v3, v6, v3
	v_cmp_ngt_f32_e64 s2, 0xc2ce8ed0, v7
	v_sub_f32_e32 v8, v8, v4
	v_sub_f32_e32 v0, v0, v4
	v_mul_f32_e32 v4, 0x3fb8aa3b, v7
	v_mul_f32_e32 v6, 0x3fb8aa3b, v3
	;; [unrolled: 1-line block ×4, first 2 shown]
	v_fma_f32 v12, 0x3fb8aa3b, v7, -v4
	v_rndne_f32_e32 v17, v4
	v_fma_f32 v18, 0x3fb8aa3b, v3, -v6
	v_rndne_f32_e32 v19, v6
	v_fma_f32 v20, 0x3fb8aa3b, v8, -v9
	v_fmac_f32_e32 v12, 0x32a5705f, v7
	v_sub_f32_e32 v4, v4, v17
	v_rndne_f32_e32 v21, v9
	v_fmac_f32_e32 v18, 0x32a5705f, v3
	v_sub_f32_e32 v6, v6, v19
	v_fma_f32 v22, 0x3fb8aa3b, v0, -v11
	v_add_f32_e32 v4, v4, v12
	v_rndne_f32_e32 v23, v11
	v_fmac_f32_e32 v20, 0x32a5705f, v8
	v_sub_f32_e32 v9, v9, v21
	v_add_f32_e32 v6, v6, v18
	v_exp_f32_e32 v4, v4
	v_fmac_f32_e32 v22, 0x32a5705f, v0
	v_sub_f32_e32 v11, v11, v23
	v_add_f32_e32 v9, v9, v20
	v_exp_f32_e32 v6, v6
	v_cvt_i32_f32_e32 v12, v17
	v_cvt_i32_f32_e32 v17, v19
	v_add_f32_e32 v11, v11, v22
	v_exp_f32_e32 v9, v9
	v_cvt_i32_f32_e32 v18, v21
	v_ldexp_f32 v4, v4, v12
	v_cvt_i32_f32_e32 v19, v23
	v_exp_f32_e32 v11, v11
	v_ldexp_f32 v6, v6, v17
	v_cndmask_b32_e64 v4, 0, v4, s2
	v_cmp_ngt_f32_e64 s2, 0xc2ce8ed0, v3
	v_ldexp_f32 v9, v9, v18
	v_cndmask_b32_e64 v6, 0, v6, s2
	v_cmp_ngt_f32_e64 s2, 0xc2ce8ed0, v8
	;; [unrolled: 3-line block ×3, first 2 shown]
	v_cndmask_b32_e64 v11, 0, v11, s2
	v_cmp_nlt_f32_e64 s2, 0x42b17218, v7
	v_cndmask_b32_e64 v9, 0x7f800000, v4, s2
	v_cmp_nlt_f32_e64 s2, 0x42b17218, v3
	;; [unrolled: 2-line block ×4, first 2 shown]
	v_add_f32_e32 v0, v9, v6
	v_cndmask_b32_e64 v3, 0x7f800000, v11, s2
	ds_bpermute_b32 v8, v10, v0
	v_add_f32_e32 v7, v4, v3
	ds_bpermute_b32 v10, v10, v7
	s_waitcnt lgkmcnt(1)
	v_add_f32_e32 v0, v0, v8
	ds_bpermute_b32 v8, v13, v0
	s_waitcnt lgkmcnt(1)
	v_add_f32_e32 v7, v7, v10
	ds_bpermute_b32 v10, v13, v7
	s_waitcnt lgkmcnt(1)
	v_add_f32_e32 v0, v0, v8
	ds_bpermute_b32 v8, v14, v0
	s_waitcnt lgkmcnt(1)
	v_add_f32_e32 v7, v7, v10
	ds_bpermute_b32 v10, v14, v7
	s_waitcnt lgkmcnt(1)
	v_add_f32_e32 v0, v0, v8
	ds_bpermute_b32 v8, v15, v0
	s_waitcnt lgkmcnt(1)
	v_add_f32_e32 v7, v7, v10
	ds_bpermute_b32 v11, v15, v7
	s_waitcnt lgkmcnt(1)
	v_add_f32_e32 v10, v0, v8
	s_waitcnt lgkmcnt(0)
	v_add_f32_e32 v7, v7, v11
	ds_bpermute_b32 v11, v16, v10
	ds_bpermute_b32 v8, v16, v7
	s_and_saveexec_b32 s2, vcc_lo
	s_cbranch_execz .LBB497_16
; %bb.9:
	v_lshlrev_b64 v[0:1], 2, v[1:2]
	v_add_co_u32 v0, vcc_lo, s8, v0
	v_add_co_ci_u32_e64 v1, null, s9, v1, vcc_lo
	s_and_saveexec_b32 s3, s1
	s_cbranch_execz .LBB497_12
; %bb.10:
	s_waitcnt lgkmcnt(1)
	v_add_f32_e32 v2, v10, v11
	v_div_scale_f32 v10, null, v2, v2, v9
	v_cmp_eq_f32_e64 s2, 0, v2
	v_rcp_f32_e32 v11, v10
	v_fma_f32 v12, -v10, v11, 1.0
	v_fmac_f32_e32 v11, v12, v11
	v_div_scale_f32 v12, vcc_lo, v9, v2, v9
	v_mul_f32_e32 v13, v12, v11
	v_fma_f32 v14, -v10, v13, v12
	v_fmac_f32_e32 v13, v14, v11
	v_fma_f32 v10, -v10, v13, v12
	v_div_fmas_f32 v10, v10, v11, v13
	v_div_fixup_f32 v9, v10, v2, v9
	v_cndmask_b32_e64 v9, v9, 0x7fc00000, s2
	global_store_dword v[0:1], v9, off
	s_and_b32 exec_lo, exec_lo, s0
	s_cbranch_execz .LBB497_12
; %bb.11:
	v_div_scale_f32 v9, null, v2, v2, v6
	v_rcp_f32_e32 v10, v9
	v_fma_f32 v11, -v9, v10, 1.0
	v_fmac_f32_e32 v10, v11, v10
	v_div_scale_f32 v11, vcc_lo, v6, v2, v6
	v_mul_f32_e32 v12, v11, v10
	v_fma_f32 v13, -v9, v12, v11
	v_fmac_f32_e32 v12, v13, v10
	v_fma_f32 v9, -v9, v12, v11
	v_div_fmas_f32 v9, v9, v10, v12
	v_div_fixup_f32 v2, v9, v2, v6
	v_cndmask_b32_e64 v2, v2, 0x7fc00000, s2
	global_store_dword v[0:1], v2, off offset:128
.LBB497_12:
	s_or_b32 exec_lo, exec_lo, s3
	v_cmp_ne_u32_e32 vcc_lo, 1, v5
	s_and_b32 exec_lo, exec_lo, vcc_lo
	s_cbranch_execz .LBB497_16
; %bb.13:
	s_and_b32 exec_lo, exec_lo, s1
	s_cbranch_execz .LBB497_16
; %bb.14:
	s_waitcnt lgkmcnt(0)
	v_add_f32_e32 v2, v7, v8
	s_mov_b32 s15, 0
	s_lshl_b64 s[2:3], s[14:15], 2
	v_div_scale_f32 v5, null, v2, v2, v4
	v_div_scale_f32 v8, vcc_lo, v4, v2, v4
	v_cmp_eq_f32_e64 s1, 0, v2
	v_rcp_f32_e32 v6, v5
	v_fma_f32 v7, -v5, v6, 1.0
	v_fmac_f32_e32 v6, v7, v6
	v_mul_f32_e32 v7, v8, v6
	v_fma_f32 v9, -v5, v7, v8
	v_fmac_f32_e32 v7, v9, v6
	v_fma_f32 v5, -v5, v7, v8
	v_div_fmas_f32 v5, v5, v6, v7
	v_add_co_u32 v0, vcc_lo, v0, s2
	v_add_co_ci_u32_e64 v1, null, s3, v1, vcc_lo
	v_div_fixup_f32 v4, v5, v2, v4
	v_cndmask_b32_e64 v4, v4, 0x7fc00000, s1
	global_store_dword v[0:1], v4, off
	s_and_b32 exec_lo, exec_lo, s0
	s_cbranch_execz .LBB497_16
; %bb.15:
	v_div_scale_f32 v4, null, v2, v2, v3
	v_rcp_f32_e32 v5, v4
	v_fma_f32 v6, -v4, v5, 1.0
	v_fmac_f32_e32 v5, v6, v5
	v_div_scale_f32 v6, vcc_lo, v3, v2, v3
	v_mul_f32_e32 v7, v6, v5
	v_fma_f32 v8, -v4, v7, v6
	v_fmac_f32_e32 v7, v8, v5
	v_fma_f32 v4, -v4, v7, v6
	v_div_fmas_f32 v4, v4, v5, v7
	v_div_fixup_f32 v2, v4, v2, v3
	v_cndmask_b32_e64 v2, v2, 0x7fc00000, s1
	global_store_dword v[0:1], v2, off offset:128
.LBB497_16:
	s_endpgm
	.section	.rodata,"a",@progbits
	.p2align	6, 0x0
	.amdhsa_kernel _ZN12_GLOBAL__N_120softmax_warp_forwardIN3c108BFloat16EffLi6ELb0ELb0ELi32EEEvPT0_PKT_iiiPKbib
		.amdhsa_group_segment_fixed_size 0
		.amdhsa_private_segment_fixed_size 0
		.amdhsa_kernarg_size 304
		.amdhsa_user_sgpr_count 6
		.amdhsa_user_sgpr_private_segment_buffer 1
		.amdhsa_user_sgpr_dispatch_ptr 0
		.amdhsa_user_sgpr_queue_ptr 0
		.amdhsa_user_sgpr_kernarg_segment_ptr 1
		.amdhsa_user_sgpr_dispatch_id 0
		.amdhsa_user_sgpr_flat_scratch_init 0
		.amdhsa_user_sgpr_private_segment_size 0
		.amdhsa_wavefront_size32 1
		.amdhsa_uses_dynamic_stack 0
		.amdhsa_system_sgpr_private_segment_wavefront_offset 0
		.amdhsa_system_sgpr_workgroup_id_x 1
		.amdhsa_system_sgpr_workgroup_id_y 0
		.amdhsa_system_sgpr_workgroup_id_z 0
		.amdhsa_system_sgpr_workgroup_info 0
		.amdhsa_system_vgpr_workitem_id 1
		.amdhsa_next_free_vgpr 24
		.amdhsa_next_free_sgpr 16
		.amdhsa_reserve_vcc 1
		.amdhsa_reserve_flat_scratch 0
		.amdhsa_float_round_mode_32 0
		.amdhsa_float_round_mode_16_64 0
		.amdhsa_float_denorm_mode_32 3
		.amdhsa_float_denorm_mode_16_64 3
		.amdhsa_dx10_clamp 1
		.amdhsa_ieee_mode 1
		.amdhsa_fp16_overflow 0
		.amdhsa_workgroup_processor_mode 1
		.amdhsa_memory_ordered 1
		.amdhsa_forward_progress 1
		.amdhsa_shared_vgpr_count 0
		.amdhsa_exception_fp_ieee_invalid_op 0
		.amdhsa_exception_fp_denorm_src 0
		.amdhsa_exception_fp_ieee_div_zero 0
		.amdhsa_exception_fp_ieee_overflow 0
		.amdhsa_exception_fp_ieee_underflow 0
		.amdhsa_exception_fp_ieee_inexact 0
		.amdhsa_exception_int_div_zero 0
	.end_amdhsa_kernel
	.section	.text._ZN12_GLOBAL__N_120softmax_warp_forwardIN3c108BFloat16EffLi6ELb0ELb0ELi32EEEvPT0_PKT_iiiPKbib,"axG",@progbits,_ZN12_GLOBAL__N_120softmax_warp_forwardIN3c108BFloat16EffLi6ELb0ELb0ELi32EEEvPT0_PKT_iiiPKbib,comdat
.Lfunc_end497:
	.size	_ZN12_GLOBAL__N_120softmax_warp_forwardIN3c108BFloat16EffLi6ELb0ELb0ELi32EEEvPT0_PKT_iiiPKbib, .Lfunc_end497-_ZN12_GLOBAL__N_120softmax_warp_forwardIN3c108BFloat16EffLi6ELb0ELb0ELi32EEEvPT0_PKT_iiiPKbib
                                        ; -- End function
	.set _ZN12_GLOBAL__N_120softmax_warp_forwardIN3c108BFloat16EffLi6ELb0ELb0ELi32EEEvPT0_PKT_iiiPKbib.num_vgpr, 24
	.set _ZN12_GLOBAL__N_120softmax_warp_forwardIN3c108BFloat16EffLi6ELb0ELb0ELi32EEEvPT0_PKT_iiiPKbib.num_agpr, 0
	.set _ZN12_GLOBAL__N_120softmax_warp_forwardIN3c108BFloat16EffLi6ELb0ELb0ELi32EEEvPT0_PKT_iiiPKbib.numbered_sgpr, 16
	.set _ZN12_GLOBAL__N_120softmax_warp_forwardIN3c108BFloat16EffLi6ELb0ELb0ELi32EEEvPT0_PKT_iiiPKbib.num_named_barrier, 0
	.set _ZN12_GLOBAL__N_120softmax_warp_forwardIN3c108BFloat16EffLi6ELb0ELb0ELi32EEEvPT0_PKT_iiiPKbib.private_seg_size, 0
	.set _ZN12_GLOBAL__N_120softmax_warp_forwardIN3c108BFloat16EffLi6ELb0ELb0ELi32EEEvPT0_PKT_iiiPKbib.uses_vcc, 1
	.set _ZN12_GLOBAL__N_120softmax_warp_forwardIN3c108BFloat16EffLi6ELb0ELb0ELi32EEEvPT0_PKT_iiiPKbib.uses_flat_scratch, 0
	.set _ZN12_GLOBAL__N_120softmax_warp_forwardIN3c108BFloat16EffLi6ELb0ELb0ELi32EEEvPT0_PKT_iiiPKbib.has_dyn_sized_stack, 0
	.set _ZN12_GLOBAL__N_120softmax_warp_forwardIN3c108BFloat16EffLi6ELb0ELb0ELi32EEEvPT0_PKT_iiiPKbib.has_recursion, 0
	.set _ZN12_GLOBAL__N_120softmax_warp_forwardIN3c108BFloat16EffLi6ELb0ELb0ELi32EEEvPT0_PKT_iiiPKbib.has_indirect_call, 0
	.section	.AMDGPU.csdata,"",@progbits
; Kernel info:
; codeLenInByte = 1844
; TotalNumSgprs: 18
; NumVgprs: 24
; ScratchSize: 0
; MemoryBound: 0
; FloatMode: 240
; IeeeMode: 1
; LDSByteSize: 0 bytes/workgroup (compile time only)
; SGPRBlocks: 0
; VGPRBlocks: 2
; NumSGPRsForWavesPerEU: 18
; NumVGPRsForWavesPerEU: 24
; Occupancy: 16
; WaveLimiterHint : 0
; COMPUTE_PGM_RSRC2:SCRATCH_EN: 0
; COMPUTE_PGM_RSRC2:USER_SGPR: 6
; COMPUTE_PGM_RSRC2:TRAP_HANDLER: 0
; COMPUTE_PGM_RSRC2:TGID_X_EN: 1
; COMPUTE_PGM_RSRC2:TGID_Y_EN: 0
; COMPUTE_PGM_RSRC2:TGID_Z_EN: 0
; COMPUTE_PGM_RSRC2:TIDIG_COMP_CNT: 1
	.section	.text._ZN12_GLOBAL__N_120softmax_warp_forwardIN3c108BFloat16EffLi7ELb0ELb0ELi64EEEvPT0_PKT_iiiPKbib,"axG",@progbits,_ZN12_GLOBAL__N_120softmax_warp_forwardIN3c108BFloat16EffLi7ELb0ELb0ELi64EEEvPT0_PKT_iiiPKbib,comdat
	.globl	_ZN12_GLOBAL__N_120softmax_warp_forwardIN3c108BFloat16EffLi7ELb0ELb0ELi64EEEvPT0_PKT_iiiPKbib ; -- Begin function _ZN12_GLOBAL__N_120softmax_warp_forwardIN3c108BFloat16EffLi7ELb0ELb0ELi64EEEvPT0_PKT_iiiPKbib
	.p2align	8
	.type	_ZN12_GLOBAL__N_120softmax_warp_forwardIN3c108BFloat16EffLi7ELb0ELb0ELi64EEEvPT0_PKT_iiiPKbib,@function
_ZN12_GLOBAL__N_120softmax_warp_forwardIN3c108BFloat16EffLi7ELb0ELb0ELi64EEEvPT0_PKT_iiiPKbib: ; @_ZN12_GLOBAL__N_120softmax_warp_forwardIN3c108BFloat16EffLi7ELb0ELb0ELi64EEEvPT0_PKT_iiiPKbib
; %bb.0:
	s_clause 0x1
	s_load_dword s0, s[4:5], 0x3c
	s_load_dwordx8 s[8:15], s[4:5], 0x0
	v_mov_b32_e32 v6, 0xff800000
	v_mov_b32_e32 v7, 0xff800000
	s_waitcnt lgkmcnt(0)
	s_lshr_b32 s0, s0, 16
	v_cmp_gt_i32_e64 s1, s14, v0
	s_and_b32 s0, s0, 0xffff
	s_mul_i32 s6, s6, s0
	v_add_lshl_u32 v3, s6, v1, 1
	v_mad_u64_u32 v[1:2], null, v3, s13, v[0:1]
	v_sub_nc_u32_e32 v5, s12, v3
	v_cmp_lt_i32_e32 vcc_lo, 0, v5
	v_ashrrev_i32_e32 v2, 31, v1
	s_and_b32 s2, vcc_lo, s1
	v_lshlrev_b64 v[3:4], 1, v[1:2]
	v_add_co_u32 v3, s0, s10, v3
	v_add_co_ci_u32_e64 v4, null, s11, v4, s0
	s_and_saveexec_b32 s0, s2
	s_cbranch_execz .LBB498_2
; %bb.1:
	global_load_ushort v7, v[3:4], off
	s_waitcnt vmcnt(0)
	v_lshlrev_b32_e32 v7, 16, v7
.LBB498_2:
	s_or_b32 exec_lo, exec_lo, s0
	v_add_nc_u32_e32 v0, 64, v0
	v_cmp_gt_i32_e64 s0, s14, v0
	s_and_b32 s3, vcc_lo, s0
	s_and_saveexec_b32 s2, s3
	s_cbranch_execz .LBB498_4
; %bb.3:
	global_load_ushort v0, v[3:4], off offset:128
	s_waitcnt vmcnt(0)
	v_lshlrev_b32_e32 v6, 16, v0
.LBB498_4:
	s_or_b32 exec_lo, exec_lo, s2
	v_cmp_lt_i32_e64 s2, 1, v5
	v_mov_b32_e32 v0, 0xff800000
	v_mov_b32_e32 v8, 0xff800000
	s_and_b32 s3, s2, s1
	s_and_saveexec_b32 s4, s3
	s_cbranch_execz .LBB498_6
; %bb.5:
	s_mov_b32 s15, 0
	s_lshl_b64 s[6:7], s[14:15], 1
	v_add_co_u32 v8, s3, v3, s6
	v_add_co_ci_u32_e64 v9, null, s7, v4, s3
	global_load_ushort v8, v[8:9], off
	s_waitcnt vmcnt(0)
	v_lshlrev_b32_e32 v8, 16, v8
.LBB498_6:
	s_or_b32 exec_lo, exec_lo, s4
	s_and_b32 s2, s2, s0
	s_and_saveexec_b32 s3, s2
	s_cbranch_execz .LBB498_8
; %bb.7:
	s_mov_b32 s15, 0
	s_lshl_b64 s[4:5], s[14:15], 1
	v_add_co_u32 v3, s2, v3, s4
	v_add_co_ci_u32_e64 v4, null, s5, v4, s2
	global_load_ushort v0, v[3:4], off offset:128
	s_waitcnt vmcnt(0)
	v_lshlrev_b32_e32 v0, 16, v0
.LBB498_8:
	s_or_b32 exec_lo, exec_lo, s3
	v_mbcnt_lo_u32_b32 v3, -1, 0
	v_or_b32_e32 v4, 32, v3
	v_xor_b32_e32 v13, 16, v3
	v_xor_b32_e32 v14, 8, v3
	v_xor_b32_e32 v15, 4, v3
	v_xor_b32_e32 v16, 2, v3
	v_cmp_gt_i32_e64 s2, 64, v4
	v_xor_b32_e32 v17, 1, v3
	v_cndmask_b32_e64 v4, v3, v4, s2
	v_cmp_gt_f32_e64 s2, v7, v6
	v_lshlrev_b32_e32 v10, 2, v4
	v_cndmask_b32_e64 v9, v6, v7, s2
	v_cmp_gt_f32_e64 s2, v8, v0
	ds_bpermute_b32 v11, v10, v9
	v_cndmask_b32_e64 v4, v0, v8, s2
	v_cmp_gt_i32_e64 s2, 64, v13
	ds_bpermute_b32 v12, v10, v4
	v_cndmask_b32_e64 v13, v3, v13, s2
	v_lshlrev_b32_e32 v13, 2, v13
	s_waitcnt lgkmcnt(1)
	v_cmp_lt_f32_e64 s2, v9, v11
	v_cndmask_b32_e64 v9, v9, v11, s2
	s_waitcnt lgkmcnt(0)
	v_cmp_lt_f32_e64 s2, v4, v12
	ds_bpermute_b32 v11, v13, v9
	v_cndmask_b32_e64 v4, v4, v12, s2
	v_cmp_gt_i32_e64 s2, 64, v14
	ds_bpermute_b32 v12, v13, v4
	v_cndmask_b32_e64 v14, v3, v14, s2
	v_lshlrev_b32_e32 v14, 2, v14
	s_waitcnt lgkmcnt(1)
	v_cmp_lt_f32_e64 s2, v9, v11
	v_cndmask_b32_e64 v9, v9, v11, s2
	s_waitcnt lgkmcnt(0)
	v_cmp_lt_f32_e64 s2, v4, v12
	;; [unrolled: 11-line block ×5, first 2 shown]
	ds_bpermute_b32 v9, v17, v3
	v_cndmask_b32_e64 v4, v4, v12, s2
	ds_bpermute_b32 v11, v17, v4
	s_waitcnt lgkmcnt(1)
	v_cmp_lt_f32_e64 s2, v3, v9
	v_cndmask_b32_e64 v3, v3, v9, s2
	s_waitcnt lgkmcnt(0)
	v_cmp_lt_f32_e64 s2, v4, v11
	v_sub_f32_e32 v7, v7, v3
	v_cndmask_b32_e64 v4, v4, v11, s2
	v_sub_f32_e32 v3, v6, v3
	v_cmp_ngt_f32_e64 s2, 0xc2ce8ed0, v7
	v_sub_f32_e32 v8, v8, v4
	v_sub_f32_e32 v0, v0, v4
	v_mul_f32_e32 v4, 0x3fb8aa3b, v7
	v_mul_f32_e32 v6, 0x3fb8aa3b, v3
	v_mul_f32_e32 v9, 0x3fb8aa3b, v8
	v_mul_f32_e32 v11, 0x3fb8aa3b, v0
	v_fma_f32 v12, 0x3fb8aa3b, v7, -v4
	v_rndne_f32_e32 v18, v4
	v_fma_f32 v19, 0x3fb8aa3b, v3, -v6
	v_rndne_f32_e32 v20, v6
	v_fma_f32 v21, 0x3fb8aa3b, v8, -v9
	v_fmac_f32_e32 v12, 0x32a5705f, v7
	v_sub_f32_e32 v4, v4, v18
	v_rndne_f32_e32 v22, v9
	v_fmac_f32_e32 v19, 0x32a5705f, v3
	v_sub_f32_e32 v6, v6, v20
	v_fma_f32 v23, 0x3fb8aa3b, v0, -v11
	v_add_f32_e32 v4, v4, v12
	v_rndne_f32_e32 v24, v11
	v_fmac_f32_e32 v21, 0x32a5705f, v8
	v_sub_f32_e32 v9, v9, v22
	v_add_f32_e32 v6, v6, v19
	v_exp_f32_e32 v4, v4
	v_fmac_f32_e32 v23, 0x32a5705f, v0
	v_sub_f32_e32 v11, v11, v24
	v_add_f32_e32 v9, v9, v21
	v_exp_f32_e32 v6, v6
	v_cvt_i32_f32_e32 v12, v18
	v_cvt_i32_f32_e32 v18, v20
	v_add_f32_e32 v11, v11, v23
	v_exp_f32_e32 v9, v9
	v_cvt_i32_f32_e32 v19, v22
	v_ldexp_f32 v4, v4, v12
	v_cvt_i32_f32_e32 v20, v24
	v_exp_f32_e32 v11, v11
	v_ldexp_f32 v6, v6, v18
	v_cndmask_b32_e64 v4, 0, v4, s2
	v_cmp_ngt_f32_e64 s2, 0xc2ce8ed0, v3
	v_ldexp_f32 v9, v9, v19
	v_cndmask_b32_e64 v6, 0, v6, s2
	v_cmp_ngt_f32_e64 s2, 0xc2ce8ed0, v8
	;; [unrolled: 3-line block ×3, first 2 shown]
	v_cndmask_b32_e64 v11, 0, v11, s2
	v_cmp_nlt_f32_e64 s2, 0x42b17218, v7
	v_cndmask_b32_e64 v9, 0x7f800000, v4, s2
	v_cmp_nlt_f32_e64 s2, 0x42b17218, v3
	;; [unrolled: 2-line block ×4, first 2 shown]
	v_add_f32_e32 v0, v9, v6
	v_cndmask_b32_e64 v3, 0x7f800000, v11, s2
	ds_bpermute_b32 v8, v10, v0
	v_add_f32_e32 v7, v4, v3
	ds_bpermute_b32 v10, v10, v7
	s_waitcnt lgkmcnt(1)
	v_add_f32_e32 v0, v0, v8
	ds_bpermute_b32 v8, v13, v0
	s_waitcnt lgkmcnt(1)
	;; [unrolled: 3-line block ×9, first 2 shown]
	v_add_f32_e32 v10, v0, v8
	s_waitcnt lgkmcnt(0)
	v_add_f32_e32 v7, v7, v11
	ds_bpermute_b32 v11, v17, v10
	ds_bpermute_b32 v8, v17, v7
	s_and_saveexec_b32 s2, vcc_lo
	s_cbranch_execz .LBB498_16
; %bb.9:
	v_lshlrev_b64 v[0:1], 2, v[1:2]
	v_add_co_u32 v0, vcc_lo, s8, v0
	v_add_co_ci_u32_e64 v1, null, s9, v1, vcc_lo
	s_and_saveexec_b32 s3, s1
	s_cbranch_execz .LBB498_12
; %bb.10:
	s_waitcnt lgkmcnt(1)
	v_add_f32_e32 v2, v10, v11
	v_div_scale_f32 v10, null, v2, v2, v9
	v_cmp_eq_f32_e64 s2, 0, v2
	v_rcp_f32_e32 v11, v10
	v_fma_f32 v12, -v10, v11, 1.0
	v_fmac_f32_e32 v11, v12, v11
	v_div_scale_f32 v12, vcc_lo, v9, v2, v9
	v_mul_f32_e32 v13, v12, v11
	v_fma_f32 v14, -v10, v13, v12
	v_fmac_f32_e32 v13, v14, v11
	v_fma_f32 v10, -v10, v13, v12
	v_div_fmas_f32 v10, v10, v11, v13
	v_div_fixup_f32 v9, v10, v2, v9
	v_cndmask_b32_e64 v9, v9, 0x7fc00000, s2
	global_store_dword v[0:1], v9, off
	s_and_b32 exec_lo, exec_lo, s0
	s_cbranch_execz .LBB498_12
; %bb.11:
	v_div_scale_f32 v9, null, v2, v2, v6
	v_rcp_f32_e32 v10, v9
	v_fma_f32 v11, -v9, v10, 1.0
	v_fmac_f32_e32 v10, v11, v10
	v_div_scale_f32 v11, vcc_lo, v6, v2, v6
	v_mul_f32_e32 v12, v11, v10
	v_fma_f32 v13, -v9, v12, v11
	v_fmac_f32_e32 v12, v13, v10
	v_fma_f32 v9, -v9, v12, v11
	v_div_fmas_f32 v9, v9, v10, v12
	v_div_fixup_f32 v2, v9, v2, v6
	v_cndmask_b32_e64 v2, v2, 0x7fc00000, s2
	global_store_dword v[0:1], v2, off offset:256
.LBB498_12:
	s_or_b32 exec_lo, exec_lo, s3
	v_cmp_ne_u32_e32 vcc_lo, 1, v5
	s_and_b32 exec_lo, exec_lo, vcc_lo
	s_cbranch_execz .LBB498_16
; %bb.13:
	s_and_b32 exec_lo, exec_lo, s1
	s_cbranch_execz .LBB498_16
; %bb.14:
	s_waitcnt lgkmcnt(0)
	v_add_f32_e32 v2, v7, v8
	s_mov_b32 s15, 0
	s_lshl_b64 s[2:3], s[14:15], 2
	v_div_scale_f32 v5, null, v2, v2, v4
	v_div_scale_f32 v8, vcc_lo, v4, v2, v4
	v_cmp_eq_f32_e64 s1, 0, v2
	v_rcp_f32_e32 v6, v5
	v_fma_f32 v7, -v5, v6, 1.0
	v_fmac_f32_e32 v6, v7, v6
	v_mul_f32_e32 v7, v8, v6
	v_fma_f32 v9, -v5, v7, v8
	v_fmac_f32_e32 v7, v9, v6
	v_fma_f32 v5, -v5, v7, v8
	v_div_fmas_f32 v5, v5, v6, v7
	v_add_co_u32 v0, vcc_lo, v0, s2
	v_add_co_ci_u32_e64 v1, null, s3, v1, vcc_lo
	v_div_fixup_f32 v4, v5, v2, v4
	v_cndmask_b32_e64 v4, v4, 0x7fc00000, s1
	global_store_dword v[0:1], v4, off
	s_and_b32 exec_lo, exec_lo, s0
	s_cbranch_execz .LBB498_16
; %bb.15:
	v_div_scale_f32 v4, null, v2, v2, v3
	v_rcp_f32_e32 v5, v4
	v_fma_f32 v6, -v4, v5, 1.0
	v_fmac_f32_e32 v5, v6, v5
	v_div_scale_f32 v6, vcc_lo, v3, v2, v3
	v_mul_f32_e32 v7, v6, v5
	v_fma_f32 v8, -v4, v7, v6
	v_fmac_f32_e32 v7, v8, v5
	v_fma_f32 v4, -v4, v7, v6
	v_div_fmas_f32 v4, v4, v5, v7
	v_div_fixup_f32 v2, v4, v2, v3
	v_cndmask_b32_e64 v2, v2, 0x7fc00000, s1
	global_store_dword v[0:1], v2, off offset:256
.LBB498_16:
	s_endpgm
	.section	.rodata,"a",@progbits
	.p2align	6, 0x0
	.amdhsa_kernel _ZN12_GLOBAL__N_120softmax_warp_forwardIN3c108BFloat16EffLi7ELb0ELb0ELi64EEEvPT0_PKT_iiiPKbib
		.amdhsa_group_segment_fixed_size 0
		.amdhsa_private_segment_fixed_size 0
		.amdhsa_kernarg_size 304
		.amdhsa_user_sgpr_count 6
		.amdhsa_user_sgpr_private_segment_buffer 1
		.amdhsa_user_sgpr_dispatch_ptr 0
		.amdhsa_user_sgpr_queue_ptr 0
		.amdhsa_user_sgpr_kernarg_segment_ptr 1
		.amdhsa_user_sgpr_dispatch_id 0
		.amdhsa_user_sgpr_flat_scratch_init 0
		.amdhsa_user_sgpr_private_segment_size 0
		.amdhsa_wavefront_size32 1
		.amdhsa_uses_dynamic_stack 0
		.amdhsa_system_sgpr_private_segment_wavefront_offset 0
		.amdhsa_system_sgpr_workgroup_id_x 1
		.amdhsa_system_sgpr_workgroup_id_y 0
		.amdhsa_system_sgpr_workgroup_id_z 0
		.amdhsa_system_sgpr_workgroup_info 0
		.amdhsa_system_vgpr_workitem_id 1
		.amdhsa_next_free_vgpr 25
		.amdhsa_next_free_sgpr 16
		.amdhsa_reserve_vcc 1
		.amdhsa_reserve_flat_scratch 0
		.amdhsa_float_round_mode_32 0
		.amdhsa_float_round_mode_16_64 0
		.amdhsa_float_denorm_mode_32 3
		.amdhsa_float_denorm_mode_16_64 3
		.amdhsa_dx10_clamp 1
		.amdhsa_ieee_mode 1
		.amdhsa_fp16_overflow 0
		.amdhsa_workgroup_processor_mode 1
		.amdhsa_memory_ordered 1
		.amdhsa_forward_progress 1
		.amdhsa_shared_vgpr_count 0
		.amdhsa_exception_fp_ieee_invalid_op 0
		.amdhsa_exception_fp_denorm_src 0
		.amdhsa_exception_fp_ieee_div_zero 0
		.amdhsa_exception_fp_ieee_overflow 0
		.amdhsa_exception_fp_ieee_underflow 0
		.amdhsa_exception_fp_ieee_inexact 0
		.amdhsa_exception_int_div_zero 0
	.end_amdhsa_kernel
	.section	.text._ZN12_GLOBAL__N_120softmax_warp_forwardIN3c108BFloat16EffLi7ELb0ELb0ELi64EEEvPT0_PKT_iiiPKbib,"axG",@progbits,_ZN12_GLOBAL__N_120softmax_warp_forwardIN3c108BFloat16EffLi7ELb0ELb0ELi64EEEvPT0_PKT_iiiPKbib,comdat
.Lfunc_end498:
	.size	_ZN12_GLOBAL__N_120softmax_warp_forwardIN3c108BFloat16EffLi7ELb0ELb0ELi64EEEvPT0_PKT_iiiPKbib, .Lfunc_end498-_ZN12_GLOBAL__N_120softmax_warp_forwardIN3c108BFloat16EffLi7ELb0ELb0ELi64EEEvPT0_PKT_iiiPKbib
                                        ; -- End function
	.set _ZN12_GLOBAL__N_120softmax_warp_forwardIN3c108BFloat16EffLi7ELb0ELb0ELi64EEEvPT0_PKT_iiiPKbib.num_vgpr, 25
	.set _ZN12_GLOBAL__N_120softmax_warp_forwardIN3c108BFloat16EffLi7ELb0ELb0ELi64EEEvPT0_PKT_iiiPKbib.num_agpr, 0
	.set _ZN12_GLOBAL__N_120softmax_warp_forwardIN3c108BFloat16EffLi7ELb0ELb0ELi64EEEvPT0_PKT_iiiPKbib.numbered_sgpr, 16
	.set _ZN12_GLOBAL__N_120softmax_warp_forwardIN3c108BFloat16EffLi7ELb0ELb0ELi64EEEvPT0_PKT_iiiPKbib.num_named_barrier, 0
	.set _ZN12_GLOBAL__N_120softmax_warp_forwardIN3c108BFloat16EffLi7ELb0ELb0ELi64EEEvPT0_PKT_iiiPKbib.private_seg_size, 0
	.set _ZN12_GLOBAL__N_120softmax_warp_forwardIN3c108BFloat16EffLi7ELb0ELb0ELi64EEEvPT0_PKT_iiiPKbib.uses_vcc, 1
	.set _ZN12_GLOBAL__N_120softmax_warp_forwardIN3c108BFloat16EffLi7ELb0ELb0ELi64EEEvPT0_PKT_iiiPKbib.uses_flat_scratch, 0
	.set _ZN12_GLOBAL__N_120softmax_warp_forwardIN3c108BFloat16EffLi7ELb0ELb0ELi64EEEvPT0_PKT_iiiPKbib.has_dyn_sized_stack, 0
	.set _ZN12_GLOBAL__N_120softmax_warp_forwardIN3c108BFloat16EffLi7ELb0ELb0ELi64EEEvPT0_PKT_iiiPKbib.has_recursion, 0
	.set _ZN12_GLOBAL__N_120softmax_warp_forwardIN3c108BFloat16EffLi7ELb0ELb0ELi64EEEvPT0_PKT_iiiPKbib.has_indirect_call, 0
	.section	.AMDGPU.csdata,"",@progbits
; Kernel info:
; codeLenInByte = 1956
; TotalNumSgprs: 18
; NumVgprs: 25
; ScratchSize: 0
; MemoryBound: 0
; FloatMode: 240
; IeeeMode: 1
; LDSByteSize: 0 bytes/workgroup (compile time only)
; SGPRBlocks: 0
; VGPRBlocks: 3
; NumSGPRsForWavesPerEU: 18
; NumVGPRsForWavesPerEU: 25
; Occupancy: 16
; WaveLimiterHint : 0
; COMPUTE_PGM_RSRC2:SCRATCH_EN: 0
; COMPUTE_PGM_RSRC2:USER_SGPR: 6
; COMPUTE_PGM_RSRC2:TRAP_HANDLER: 0
; COMPUTE_PGM_RSRC2:TGID_X_EN: 1
; COMPUTE_PGM_RSRC2:TGID_Y_EN: 0
; COMPUTE_PGM_RSRC2:TGID_Z_EN: 0
; COMPUTE_PGM_RSRC2:TIDIG_COMP_CNT: 1
	.section	.text._ZN12_GLOBAL__N_120softmax_warp_forwardIN3c108BFloat16EffLi7ELb0ELb0ELi32EEEvPT0_PKT_iiiPKbib,"axG",@progbits,_ZN12_GLOBAL__N_120softmax_warp_forwardIN3c108BFloat16EffLi7ELb0ELb0ELi32EEEvPT0_PKT_iiiPKbib,comdat
	.globl	_ZN12_GLOBAL__N_120softmax_warp_forwardIN3c108BFloat16EffLi7ELb0ELb0ELi32EEEvPT0_PKT_iiiPKbib ; -- Begin function _ZN12_GLOBAL__N_120softmax_warp_forwardIN3c108BFloat16EffLi7ELb0ELb0ELi32EEEvPT0_PKT_iiiPKbib
	.p2align	8
	.type	_ZN12_GLOBAL__N_120softmax_warp_forwardIN3c108BFloat16EffLi7ELb0ELb0ELi32EEEvPT0_PKT_iiiPKbib,@function
_ZN12_GLOBAL__N_120softmax_warp_forwardIN3c108BFloat16EffLi7ELb0ELb0ELi32EEEvPT0_PKT_iiiPKbib: ; @_ZN12_GLOBAL__N_120softmax_warp_forwardIN3c108BFloat16EffLi7ELb0ELb0ELi32EEEvPT0_PKT_iiiPKbib
; %bb.0:
	s_clause 0x1
	s_load_dword s0, s[4:5], 0x3c
	s_load_dwordx8 s[8:15], s[4:5], 0x0
	v_mov_b32_e32 v6, 0xff800000
	v_mov_b32_e32 v11, 0xff800000
	s_waitcnt lgkmcnt(0)
	s_lshr_b32 s0, s0, 16
	v_cmp_gt_i32_e64 s3, s14, v0
	s_and_b32 s0, s0, 0xffff
	s_mul_i32 s6, s6, s0
	v_add_lshl_u32 v3, s6, v1, 1
	v_mad_u64_u32 v[1:2], null, v3, s13, v[0:1]
	v_sub_nc_u32_e32 v5, s12, v3
	v_cmp_lt_i32_e32 vcc_lo, 0, v5
	v_ashrrev_i32_e32 v2, 31, v1
	s_and_b32 s1, vcc_lo, s3
	v_lshlrev_b64 v[3:4], 1, v[1:2]
	v_add_co_u32 v3, s0, s10, v3
	v_add_co_ci_u32_e64 v4, null, s11, v4, s0
	s_and_saveexec_b32 s0, s1
	s_cbranch_execz .LBB499_2
; %bb.1:
	global_load_ushort v7, v[3:4], off
	s_waitcnt vmcnt(0)
	v_lshlrev_b32_e32 v11, 16, v7
.LBB499_2:
	s_or_b32 exec_lo, exec_lo, s0
	v_add_nc_u32_e32 v7, 32, v0
	v_cmp_gt_i32_e64 s2, s14, v7
	s_and_b32 s1, vcc_lo, s2
	s_and_saveexec_b32 s0, s1
	s_cbranch_execz .LBB499_4
; %bb.3:
	global_load_ushort v6, v[3:4], off offset:64
	s_waitcnt vmcnt(0)
	v_lshlrev_b32_e32 v6, 16, v6
.LBB499_4:
	s_or_b32 exec_lo, exec_lo, s0
	v_add_nc_u32_e32 v7, 64, v0
	v_mov_b32_e32 v8, 0xff800000
	v_mov_b32_e32 v12, 0xff800000
	v_cmp_gt_i32_e64 s1, s14, v7
	s_and_b32 s4, vcc_lo, s1
	s_and_saveexec_b32 s0, s4
	s_cbranch_execz .LBB499_6
; %bb.5:
	global_load_ushort v7, v[3:4], off offset:128
	s_waitcnt vmcnt(0)
	v_lshlrev_b32_e32 v12, 16, v7
.LBB499_6:
	s_or_b32 exec_lo, exec_lo, s0
	v_add_nc_u32_e32 v0, 0x60, v0
	v_cmp_gt_i32_e64 s0, s14, v0
	s_and_b32 s5, vcc_lo, s0
	s_and_saveexec_b32 s4, s5
	s_cbranch_execz .LBB499_8
; %bb.7:
	global_load_ushort v0, v[3:4], off offset:192
	s_waitcnt vmcnt(0)
	v_lshlrev_b32_e32 v8, 16, v0
.LBB499_8:
	s_or_b32 exec_lo, exec_lo, s4
	v_cmp_lt_i32_e64 s4, 1, v5
	v_mov_b32_e32 v10, 0xff800000
	v_mov_b32_e32 v14, 0xff800000
	s_and_b32 s5, s4, s3
	s_and_saveexec_b32 s6, s5
	s_cbranch_execz .LBB499_10
; %bb.9:
	s_mov_b32 s15, 0
	s_lshl_b64 s[10:11], s[14:15], 1
	v_add_co_u32 v13, s5, v3, s10
	v_add_co_ci_u32_e64 v14, null, s11, v4, s5
	global_load_ushort v0, v[13:14], off
	s_waitcnt vmcnt(0)
	v_lshlrev_b32_e32 v14, 16, v0
.LBB499_10:
	s_or_b32 exec_lo, exec_lo, s6
	s_and_b32 s5, s4, s2
	s_and_saveexec_b32 s6, s5
	s_cbranch_execz .LBB499_12
; %bb.11:
	s_mov_b32 s15, 0
	s_lshl_b64 s[10:11], s[14:15], 1
	v_add_co_u32 v9, s5, v3, s10
	v_add_co_ci_u32_e64 v10, null, s11, v4, s5
	global_load_ushort v0, v[9:10], off offset:64
	s_waitcnt vmcnt(0)
	v_lshlrev_b32_e32 v10, 16, v0
.LBB499_12:
	s_or_b32 exec_lo, exec_lo, s6
	v_mov_b32_e32 v13, 0xff800000
	v_mov_b32_e32 v15, 0xff800000
	s_and_b32 s5, s4, s1
	s_and_saveexec_b32 s6, s5
	s_cbranch_execz .LBB499_14
; %bb.13:
	s_mov_b32 s15, 0
	s_lshl_b64 s[10:11], s[14:15], 1
	v_add_co_u32 v15, s5, v3, s10
	v_add_co_ci_u32_e64 v16, null, s11, v4, s5
	global_load_ushort v0, v[15:16], off offset:128
	s_waitcnt vmcnt(0)
	v_lshlrev_b32_e32 v15, 16, v0
.LBB499_14:
	s_or_b32 exec_lo, exec_lo, s6
	s_and_b32 s4, s4, s0
	s_and_saveexec_b32 s5, s4
	s_cbranch_execz .LBB499_16
; %bb.15:
	s_mov_b32 s15, 0
	s_lshl_b64 s[6:7], s[14:15], 1
	v_add_co_u32 v3, s4, v3, s6
	v_add_co_ci_u32_e64 v4, null, s7, v4, s4
	global_load_ushort v0, v[3:4], off offset:192
	s_waitcnt vmcnt(0)
	v_lshlrev_b32_e32 v13, 16, v0
.LBB499_16:
	s_or_b32 exec_lo, exec_lo, s5
	v_cmp_gt_f32_e64 s4, v11, v6
	v_mbcnt_lo_u32_b32 v9, -1, 0
	v_cndmask_b32_e64 v0, v6, v11, s4
	v_cmp_gt_f32_e64 s4, v14, v10
	v_xor_b32_e32 v3, 16, v9
	v_xor_b32_e32 v20, 1, v9
	v_cndmask_b32_e64 v4, v10, v14, s4
	v_cmp_gt_f32_e64 s4, v0, v12
	v_cndmask_b32_e64 v0, v12, v0, s4
	v_cmp_gt_i32_e64 s4, 32, v3
	v_cndmask_b32_e64 v3, v9, v3, s4
	v_cmp_gt_f32_e64 s4, v4, v15
	v_cndmask_b32_e64 v4, v15, v4, s4
	v_cmp_gt_f32_e64 s4, v0, v8
	v_cndmask_b32_e64 v7, v8, v0, s4
	v_lshlrev_b32_e32 v0, 2, v3
	v_cmp_gt_f32_e64 s4, v4, v13
	v_xor_b32_e32 v3, 8, v9
	ds_bpermute_b32 v16, v0, v7
	v_cndmask_b32_e64 v4, v13, v4, s4
	v_cmp_gt_i32_e64 s4, 32, v3
	ds_bpermute_b32 v17, v0, v4
	v_cndmask_b32_e64 v3, v9, v3, s4
	v_lshlrev_b32_e32 v3, 2, v3
	s_waitcnt lgkmcnt(1)
	v_cmp_lt_f32_e64 s4, v7, v16
	v_cndmask_b32_e64 v7, v7, v16, s4
	s_waitcnt lgkmcnt(0)
	v_cmp_lt_f32_e64 s4, v4, v17
	v_cndmask_b32_e64 v16, v4, v17, s4
	ds_bpermute_b32 v17, v3, v7
	v_xor_b32_e32 v4, 4, v9
	ds_bpermute_b32 v18, v3, v16
	v_cmp_gt_i32_e64 s4, 32, v4
	v_cndmask_b32_e64 v4, v9, v4, s4
	v_lshlrev_b32_e32 v4, 2, v4
	s_waitcnt lgkmcnt(1)
	v_cmp_lt_f32_e64 s4, v7, v17
	v_cndmask_b32_e64 v17, v7, v17, s4
	s_waitcnt lgkmcnt(0)
	v_cmp_lt_f32_e64 s4, v16, v18
	v_xor_b32_e32 v7, 2, v9
	v_cndmask_b32_e64 v16, v16, v18, s4
	ds_bpermute_b32 v18, v4, v17
	v_cmp_gt_i32_e64 s4, 32, v7
	ds_bpermute_b32 v19, v4, v16
	v_cndmask_b32_e64 v7, v9, v7, s4
	v_lshlrev_b32_e32 v7, 2, v7
	s_waitcnt lgkmcnt(1)
	v_cmp_lt_f32_e64 s4, v17, v18
	v_cndmask_b32_e64 v17, v17, v18, s4
	s_waitcnt lgkmcnt(0)
	v_cmp_lt_f32_e64 s4, v16, v19
	ds_bpermute_b32 v18, v7, v17
	v_cndmask_b32_e64 v16, v16, v19, s4
	v_cmp_gt_i32_e64 s4, 32, v20
	ds_bpermute_b32 v19, v7, v16
	v_cndmask_b32_e64 v9, v9, v20, s4
	v_lshlrev_b32_e32 v9, 2, v9
	s_waitcnt lgkmcnt(1)
	v_cmp_lt_f32_e64 s4, v17, v18
	v_cndmask_b32_e64 v17, v17, v18, s4
	s_waitcnt lgkmcnt(0)
	v_cmp_lt_f32_e64 s4, v16, v19
	ds_bpermute_b32 v18, v9, v17
	v_cndmask_b32_e64 v16, v16, v19, s4
	ds_bpermute_b32 v19, v9, v16
	s_waitcnt lgkmcnt(1)
	v_cmp_lt_f32_e64 s4, v17, v18
	v_cndmask_b32_e64 v17, v17, v18, s4
	s_waitcnt lgkmcnt(0)
	v_cmp_lt_f32_e64 s4, v16, v19
	v_sub_f32_e32 v11, v11, v17
	v_cndmask_b32_e64 v16, v16, v19, s4
	v_sub_f32_e32 v6, v6, v17
	v_sub_f32_e32 v12, v12, v17
	;; [unrolled: 1-line block ×3, first 2 shown]
	v_cmp_ngt_f32_e64 s4, 0xc2ce8ed0, v11
	v_sub_f32_e32 v8, v14, v16
	v_sub_f32_e32 v10, v10, v16
	;; [unrolled: 1-line block ×4, first 2 shown]
	v_mul_f32_e32 v13, 0x3fb8aa3b, v11
	v_mul_f32_e32 v14, 0x3fb8aa3b, v6
	v_mul_f32_e32 v15, 0x3fb8aa3b, v12
	v_mul_f32_e32 v19, 0x3fb8aa3b, v17
	v_mul_f32_e32 v22, 0x3fb8aa3b, v18
	v_fma_f32 v24, 0x3fb8aa3b, v11, -v13
	v_rndne_f32_e32 v25, v13
	v_fma_f32 v26, 0x3fb8aa3b, v6, -v14
	v_rndne_f32_e32 v27, v14
	v_fma_f32 v28, 0x3fb8aa3b, v12, -v15
	v_fmac_f32_e32 v24, 0x32a5705f, v11
	v_sub_f32_e32 v13, v13, v25
	v_rndne_f32_e32 v29, v15
	v_fmac_f32_e32 v26, 0x32a5705f, v6
	v_sub_f32_e32 v14, v14, v27
	v_mul_f32_e32 v20, 0x3fb8aa3b, v8
	v_add_f32_e32 v13, v13, v24
	v_fma_f32 v30, 0x3fb8aa3b, v17, -v19
	v_rndne_f32_e32 v31, v19
	v_fma_f32 v36, 0x3fb8aa3b, v18, -v22
	v_rndne_f32_e32 v37, v22
	v_fmac_f32_e32 v28, 0x32a5705f, v12
	v_sub_f32_e32 v15, v15, v29
	v_add_f32_e32 v14, v14, v26
	v_exp_f32_e32 v13, v13
	v_mul_f32_e32 v21, 0x3fb8aa3b, v10
	v_fma_f32 v32, 0x3fb8aa3b, v8, -v20
	v_rndne_f32_e32 v33, v20
	v_cvt_i32_f32_e32 v25, v25
	v_fmac_f32_e32 v30, 0x32a5705f, v17
	v_sub_f32_e32 v19, v19, v31
	v_fmac_f32_e32 v36, 0x32a5705f, v18
	v_sub_f32_e32 v22, v22, v37
	v_add_f32_e32 v15, v15, v28
	v_exp_f32_e32 v14, v14
	v_fma_f32 v34, 0x3fb8aa3b, v10, -v21
	v_rndne_f32_e32 v35, v21
	v_cvt_i32_f32_e32 v27, v27
	v_fmac_f32_e32 v32, 0x32a5705f, v8
	v_sub_f32_e32 v20, v20, v33
	v_add_f32_e32 v19, v19, v30
	v_add_f32_e32 v22, v22, v36
	v_exp_f32_e32 v15, v15
	v_ldexp_f32 v13, v13, v25
	v_mul_f32_e32 v23, 0x3fb8aa3b, v16
	v_cvt_i32_f32_e32 v29, v29
	v_fmac_f32_e32 v34, 0x32a5705f, v10
	v_sub_f32_e32 v21, v21, v35
	v_add_f32_e32 v20, v20, v32
	v_exp_f32_e32 v19, v19
	v_exp_f32_e32 v22, v22
	v_ldexp_f32 v14, v14, v27
	v_cndmask_b32_e64 v13, 0, v13, s4
	v_cmp_ngt_f32_e64 s4, 0xc2ce8ed0, v6
	v_fma_f32 v38, 0x3fb8aa3b, v16, -v23
	v_rndne_f32_e32 v39, v23
	v_cvt_i32_f32_e32 v31, v31
	v_add_f32_e32 v21, v21, v34
	v_exp_f32_e32 v20, v20
	v_cvt_i32_f32_e32 v24, v37
	v_ldexp_f32 v15, v15, v29
	v_cndmask_b32_e64 v14, 0, v14, s4
	v_cmp_ngt_f32_e64 s4, 0xc2ce8ed0, v12
	v_cvt_i32_f32_e32 v33, v33
	v_fmac_f32_e32 v38, 0x32a5705f, v16
	v_sub_f32_e32 v23, v23, v39
	v_exp_f32_e32 v21, v21
	v_ldexp_f32 v19, v19, v31
	v_ldexp_f32 v22, v22, v24
	v_cndmask_b32_e64 v24, 0, v15, s4
	v_cmp_ngt_f32_e64 s4, 0xc2ce8ed0, v17
	v_cvt_i32_f32_e32 v35, v35
	v_add_f32_e32 v23, v23, v38
	v_ldexp_f32 v20, v20, v33
	v_cvt_i32_f32_e32 v26, v39
	v_cndmask_b32_e64 v19, 0, v19, s4
	v_cmp_ngt_f32_e64 s4, 0xc2ce8ed0, v8
	v_exp_f32_e32 v23, v23
	v_ldexp_f32 v21, v21, v35
	v_cndmask_b32_e64 v20, 0, v20, s4
	v_cmp_ngt_f32_e64 s4, 0xc2ce8ed0, v10
	v_cndmask_b32_e64 v21, 0, v21, s4
	v_cmp_ngt_f32_e64 s4, 0xc2ce8ed0, v18
	v_ldexp_f32 v23, v23, v26
	v_cndmask_b32_e64 v22, 0, v22, s4
	v_cmp_ngt_f32_e64 s4, 0xc2ce8ed0, v16
	v_cndmask_b32_e64 v23, 0, v23, s4
	v_cmp_nlt_f32_e64 s4, 0x42b17218, v11
	v_cndmask_b32_e64 v15, 0x7f800000, v13, s4
	v_cmp_nlt_f32_e64 s4, 0x42b17218, v6
	;; [unrolled: 2-line block ×5, first 2 shown]
	v_add_f32_e32 v20, v11, v10
	v_cndmask_b32_e64 v13, 0x7f800000, v24, s4
	v_cmp_nlt_f32_e64 s4, 0x42b17218, v18
	v_add_f32_e32 v18, v15, v14
	v_cndmask_b32_e64 v8, 0x7f800000, v22, s4
	v_cmp_nlt_f32_e64 s4, 0x42b17218, v17
	;; [unrolled: 3-line block ×3, first 2 shown]
	v_add_f32_e32 v16, v18, v13
	v_cndmask_b32_e64 v6, 0x7f800000, v23, s4
	v_add_f32_e32 v16, v16, v12
	v_add_f32_e32 v17, v17, v6
	ds_bpermute_b32 v18, v0, v16
	ds_bpermute_b32 v0, v0, v17
	s_waitcnt lgkmcnt(1)
	v_add_f32_e32 v16, v16, v18
	s_waitcnt lgkmcnt(0)
	v_add_f32_e32 v0, v17, v0
	ds_bpermute_b32 v17, v3, v16
	ds_bpermute_b32 v3, v3, v0
	s_waitcnt lgkmcnt(1)
	v_add_f32_e32 v16, v16, v17
	s_waitcnt lgkmcnt(0)
	;; [unrolled: 6-line block ×4, first 2 shown]
	v_add_f32_e32 v3, v0, v16
	ds_bpermute_b32 v16, v9, v7
	ds_bpermute_b32 v4, v9, v3
	s_and_saveexec_b32 s4, vcc_lo
	s_cbranch_execz .LBB499_28
; %bb.17:
	v_lshlrev_b64 v[0:1], 2, v[1:2]
	v_add_co_u32 v0, vcc_lo, s8, v0
	v_add_co_ci_u32_e64 v1, null, s9, v1, vcc_lo
	s_and_saveexec_b32 s5, s3
	s_cbranch_execz .LBB499_22
; %bb.18:
	s_waitcnt lgkmcnt(1)
	v_add_f32_e32 v2, v7, v16
	v_div_scale_f32 v7, null, v2, v2, v15
	v_cmp_eq_f32_e64 s4, 0, v2
	v_rcp_f32_e32 v9, v7
	v_fma_f32 v16, -v7, v9, 1.0
	v_fmac_f32_e32 v9, v16, v9
	v_div_scale_f32 v16, vcc_lo, v15, v2, v15
	v_mul_f32_e32 v17, v16, v9
	v_fma_f32 v18, -v7, v17, v16
	v_fmac_f32_e32 v17, v18, v9
	v_fma_f32 v7, -v7, v17, v16
	v_div_fmas_f32 v7, v7, v9, v17
	v_div_fixup_f32 v7, v7, v2, v15
	v_cndmask_b32_e64 v7, v7, 0x7fc00000, s4
	global_store_dword v[0:1], v7, off
	s_and_b32 exec_lo, exec_lo, s2
	s_cbranch_execz .LBB499_22
; %bb.19:
	v_div_scale_f32 v7, null, v2, v2, v14
	v_rcp_f32_e32 v9, v7
	v_fma_f32 v15, -v7, v9, 1.0
	v_fmac_f32_e32 v9, v15, v9
	v_div_scale_f32 v15, vcc_lo, v14, v2, v14
	v_mul_f32_e32 v16, v15, v9
	v_fma_f32 v17, -v7, v16, v15
	v_fmac_f32_e32 v16, v17, v9
	v_fma_f32 v7, -v7, v16, v15
	v_div_fmas_f32 v7, v7, v9, v16
	v_div_fixup_f32 v7, v7, v2, v14
	v_cndmask_b32_e64 v7, v7, 0x7fc00000, s4
	global_store_dword v[0:1], v7, off offset:128
	s_and_b32 exec_lo, exec_lo, s1
	s_cbranch_execz .LBB499_22
; %bb.20:
	v_div_scale_f32 v7, null, v2, v2, v13
	v_rcp_f32_e32 v9, v7
	v_fma_f32 v14, -v7, v9, 1.0
	v_fmac_f32_e32 v9, v14, v9
	v_div_scale_f32 v14, vcc_lo, v13, v2, v13
	v_mul_f32_e32 v15, v14, v9
	v_fma_f32 v16, -v7, v15, v14
	v_fmac_f32_e32 v15, v16, v9
	v_fma_f32 v7, -v7, v15, v14
	v_div_fmas_f32 v7, v7, v9, v15
	v_div_fixup_f32 v7, v7, v2, v13
	v_cndmask_b32_e64 v7, v7, 0x7fc00000, s4
	global_store_dword v[0:1], v7, off offset:256
	;; [unrolled: 16-line block ×3, first 2 shown]
.LBB499_22:
	s_or_b32 exec_lo, exec_lo, s5
	v_cmp_ne_u32_e32 vcc_lo, 1, v5
	s_and_b32 exec_lo, exec_lo, vcc_lo
	s_cbranch_execz .LBB499_28
; %bb.23:
	s_and_b32 exec_lo, exec_lo, s3
	s_cbranch_execz .LBB499_28
; %bb.24:
	s_waitcnt lgkmcnt(0)
	v_add_f32_e32 v2, v3, v4
	s_mov_b32 s15, 0
	s_lshl_b64 s[4:5], s[14:15], 2
	v_div_scale_f32 v3, null, v2, v2, v11
	v_div_scale_f32 v7, vcc_lo, v11, v2, v11
	v_cmp_eq_f32_e64 s3, 0, v2
	v_rcp_f32_e32 v4, v3
	v_fma_f32 v5, -v3, v4, 1.0
	v_fmac_f32_e32 v4, v5, v4
	v_mul_f32_e32 v5, v7, v4
	v_fma_f32 v9, -v3, v5, v7
	v_fmac_f32_e32 v5, v9, v4
	v_fma_f32 v3, -v3, v5, v7
	v_div_fmas_f32 v3, v3, v4, v5
	v_add_co_u32 v0, vcc_lo, v0, s4
	v_add_co_ci_u32_e64 v1, null, s5, v1, vcc_lo
	v_div_fixup_f32 v3, v3, v2, v11
	v_cndmask_b32_e64 v3, v3, 0x7fc00000, s3
	global_store_dword v[0:1], v3, off
	s_and_b32 exec_lo, exec_lo, s2
	s_cbranch_execz .LBB499_28
; %bb.25:
	v_div_scale_f32 v3, null, v2, v2, v10
	v_rcp_f32_e32 v4, v3
	v_fma_f32 v5, -v3, v4, 1.0
	v_fmac_f32_e32 v4, v5, v4
	v_div_scale_f32 v5, vcc_lo, v10, v2, v10
	v_mul_f32_e32 v7, v5, v4
	v_fma_f32 v9, -v3, v7, v5
	v_fmac_f32_e32 v7, v9, v4
	v_fma_f32 v3, -v3, v7, v5
	v_div_fmas_f32 v3, v3, v4, v7
	v_div_fixup_f32 v3, v3, v2, v10
	v_cndmask_b32_e64 v3, v3, 0x7fc00000, s3
	global_store_dword v[0:1], v3, off offset:128
	s_and_b32 exec_lo, exec_lo, s1
	s_cbranch_execz .LBB499_28
; %bb.26:
	v_div_scale_f32 v3, null, v2, v2, v8
	v_rcp_f32_e32 v4, v3
	v_fma_f32 v5, -v3, v4, 1.0
	v_fmac_f32_e32 v4, v5, v4
	v_div_scale_f32 v5, vcc_lo, v8, v2, v8
	v_mul_f32_e32 v7, v5, v4
	v_fma_f32 v9, -v3, v7, v5
	v_fmac_f32_e32 v7, v9, v4
	v_fma_f32 v3, -v3, v7, v5
	v_div_fmas_f32 v3, v3, v4, v7
	v_div_fixup_f32 v3, v3, v2, v8
	v_cndmask_b32_e64 v3, v3, 0x7fc00000, s3
	global_store_dword v[0:1], v3, off offset:256
	;; [unrolled: 16-line block ×3, first 2 shown]
.LBB499_28:
	s_endpgm
	.section	.rodata,"a",@progbits
	.p2align	6, 0x0
	.amdhsa_kernel _ZN12_GLOBAL__N_120softmax_warp_forwardIN3c108BFloat16EffLi7ELb0ELb0ELi32EEEvPT0_PKT_iiiPKbib
		.amdhsa_group_segment_fixed_size 0
		.amdhsa_private_segment_fixed_size 0
		.amdhsa_kernarg_size 304
		.amdhsa_user_sgpr_count 6
		.amdhsa_user_sgpr_private_segment_buffer 1
		.amdhsa_user_sgpr_dispatch_ptr 0
		.amdhsa_user_sgpr_queue_ptr 0
		.amdhsa_user_sgpr_kernarg_segment_ptr 1
		.amdhsa_user_sgpr_dispatch_id 0
		.amdhsa_user_sgpr_flat_scratch_init 0
		.amdhsa_user_sgpr_private_segment_size 0
		.amdhsa_wavefront_size32 1
		.amdhsa_uses_dynamic_stack 0
		.amdhsa_system_sgpr_private_segment_wavefront_offset 0
		.amdhsa_system_sgpr_workgroup_id_x 1
		.amdhsa_system_sgpr_workgroup_id_y 0
		.amdhsa_system_sgpr_workgroup_id_z 0
		.amdhsa_system_sgpr_workgroup_info 0
		.amdhsa_system_vgpr_workitem_id 1
		.amdhsa_next_free_vgpr 40
		.amdhsa_next_free_sgpr 16
		.amdhsa_reserve_vcc 1
		.amdhsa_reserve_flat_scratch 0
		.amdhsa_float_round_mode_32 0
		.amdhsa_float_round_mode_16_64 0
		.amdhsa_float_denorm_mode_32 3
		.amdhsa_float_denorm_mode_16_64 3
		.amdhsa_dx10_clamp 1
		.amdhsa_ieee_mode 1
		.amdhsa_fp16_overflow 0
		.amdhsa_workgroup_processor_mode 1
		.amdhsa_memory_ordered 1
		.amdhsa_forward_progress 1
		.amdhsa_shared_vgpr_count 0
		.amdhsa_exception_fp_ieee_invalid_op 0
		.amdhsa_exception_fp_denorm_src 0
		.amdhsa_exception_fp_ieee_div_zero 0
		.amdhsa_exception_fp_ieee_overflow 0
		.amdhsa_exception_fp_ieee_underflow 0
		.amdhsa_exception_fp_ieee_inexact 0
		.amdhsa_exception_int_div_zero 0
	.end_amdhsa_kernel
	.section	.text._ZN12_GLOBAL__N_120softmax_warp_forwardIN3c108BFloat16EffLi7ELb0ELb0ELi32EEEvPT0_PKT_iiiPKbib,"axG",@progbits,_ZN12_GLOBAL__N_120softmax_warp_forwardIN3c108BFloat16EffLi7ELb0ELb0ELi32EEEvPT0_PKT_iiiPKbib,comdat
.Lfunc_end499:
	.size	_ZN12_GLOBAL__N_120softmax_warp_forwardIN3c108BFloat16EffLi7ELb0ELb0ELi32EEEvPT0_PKT_iiiPKbib, .Lfunc_end499-_ZN12_GLOBAL__N_120softmax_warp_forwardIN3c108BFloat16EffLi7ELb0ELb0ELi32EEEvPT0_PKT_iiiPKbib
                                        ; -- End function
	.set _ZN12_GLOBAL__N_120softmax_warp_forwardIN3c108BFloat16EffLi7ELb0ELb0ELi32EEEvPT0_PKT_iiiPKbib.num_vgpr, 40
	.set _ZN12_GLOBAL__N_120softmax_warp_forwardIN3c108BFloat16EffLi7ELb0ELb0ELi32EEEvPT0_PKT_iiiPKbib.num_agpr, 0
	.set _ZN12_GLOBAL__N_120softmax_warp_forwardIN3c108BFloat16EffLi7ELb0ELb0ELi32EEEvPT0_PKT_iiiPKbib.numbered_sgpr, 16
	.set _ZN12_GLOBAL__N_120softmax_warp_forwardIN3c108BFloat16EffLi7ELb0ELb0ELi32EEEvPT0_PKT_iiiPKbib.num_named_barrier, 0
	.set _ZN12_GLOBAL__N_120softmax_warp_forwardIN3c108BFloat16EffLi7ELb0ELb0ELi32EEEvPT0_PKT_iiiPKbib.private_seg_size, 0
	.set _ZN12_GLOBAL__N_120softmax_warp_forwardIN3c108BFloat16EffLi7ELb0ELb0ELi32EEEvPT0_PKT_iiiPKbib.uses_vcc, 1
	.set _ZN12_GLOBAL__N_120softmax_warp_forwardIN3c108BFloat16EffLi7ELb0ELb0ELi32EEEvPT0_PKT_iiiPKbib.uses_flat_scratch, 0
	.set _ZN12_GLOBAL__N_120softmax_warp_forwardIN3c108BFloat16EffLi7ELb0ELb0ELi32EEEvPT0_PKT_iiiPKbib.has_dyn_sized_stack, 0
	.set _ZN12_GLOBAL__N_120softmax_warp_forwardIN3c108BFloat16EffLi7ELb0ELb0ELi32EEEvPT0_PKT_iiiPKbib.has_recursion, 0
	.set _ZN12_GLOBAL__N_120softmax_warp_forwardIN3c108BFloat16EffLi7ELb0ELb0ELi32EEEvPT0_PKT_iiiPKbib.has_indirect_call, 0
	.section	.AMDGPU.csdata,"",@progbits
; Kernel info:
; codeLenInByte = 2976
; TotalNumSgprs: 18
; NumVgprs: 40
; ScratchSize: 0
; MemoryBound: 0
; FloatMode: 240
; IeeeMode: 1
; LDSByteSize: 0 bytes/workgroup (compile time only)
; SGPRBlocks: 0
; VGPRBlocks: 4
; NumSGPRsForWavesPerEU: 18
; NumVGPRsForWavesPerEU: 40
; Occupancy: 16
; WaveLimiterHint : 0
; COMPUTE_PGM_RSRC2:SCRATCH_EN: 0
; COMPUTE_PGM_RSRC2:USER_SGPR: 6
; COMPUTE_PGM_RSRC2:TRAP_HANDLER: 0
; COMPUTE_PGM_RSRC2:TGID_X_EN: 1
; COMPUTE_PGM_RSRC2:TGID_Y_EN: 0
; COMPUTE_PGM_RSRC2:TGID_Z_EN: 0
; COMPUTE_PGM_RSRC2:TIDIG_COMP_CNT: 1
	.section	.text._ZN12_GLOBAL__N_120softmax_warp_forwardIN3c108BFloat16EffLi8ELb0ELb0ELi64EEEvPT0_PKT_iiiPKbib,"axG",@progbits,_ZN12_GLOBAL__N_120softmax_warp_forwardIN3c108BFloat16EffLi8ELb0ELb0ELi64EEEvPT0_PKT_iiiPKbib,comdat
	.globl	_ZN12_GLOBAL__N_120softmax_warp_forwardIN3c108BFloat16EffLi8ELb0ELb0ELi64EEEvPT0_PKT_iiiPKbib ; -- Begin function _ZN12_GLOBAL__N_120softmax_warp_forwardIN3c108BFloat16EffLi8ELb0ELb0ELi64EEEvPT0_PKT_iiiPKbib
	.p2align	8
	.type	_ZN12_GLOBAL__N_120softmax_warp_forwardIN3c108BFloat16EffLi8ELb0ELb0ELi64EEEvPT0_PKT_iiiPKbib,@function
_ZN12_GLOBAL__N_120softmax_warp_forwardIN3c108BFloat16EffLi8ELb0ELb0ELi64EEEvPT0_PKT_iiiPKbib: ; @_ZN12_GLOBAL__N_120softmax_warp_forwardIN3c108BFloat16EffLi8ELb0ELb0ELi64EEEvPT0_PKT_iiiPKbib
; %bb.0:
	s_clause 0x1
	s_load_dword s0, s[4:5], 0x3c
	s_load_dwordx8 s[8:15], s[4:5], 0x0
	v_mov_b32_e32 v6, 0xff800000
	v_mov_b32_e32 v8, 0xff800000
	s_waitcnt lgkmcnt(0)
	s_lshr_b32 s0, s0, 16
	v_cmp_gt_i32_e32 vcc_lo, s14, v0
	v_mad_u64_u32 v[3:4], null, s6, s0, v[1:2]
	v_mad_u64_u32 v[1:2], null, v3, s13, v[0:1]
	v_sub_nc_u32_e32 v5, s12, v3
	v_cmp_lt_i32_e64 s3, 0, v5
	v_ashrrev_i32_e32 v2, 31, v1
	s_and_b32 s1, s3, vcc_lo
	v_lshlrev_b64 v[3:4], 1, v[1:2]
	v_add_co_u32 v3, s0, s10, v3
	v_add_co_ci_u32_e64 v4, null, s11, v4, s0
	s_and_saveexec_b32 s0, s1
	s_cbranch_execz .LBB500_2
; %bb.1:
	global_load_ushort v7, v[3:4], off
	s_waitcnt vmcnt(0)
	v_lshlrev_b32_e32 v8, 16, v7
.LBB500_2:
	s_or_b32 exec_lo, exec_lo, s0
	v_add_nc_u32_e32 v7, 64, v0
	v_cmp_gt_i32_e64 s2, s14, v7
	s_and_b32 s1, s3, s2
	s_and_saveexec_b32 s0, s1
	s_cbranch_execz .LBB500_4
; %bb.3:
	global_load_ushort v6, v[3:4], off offset:128
	s_waitcnt vmcnt(0)
	v_lshlrev_b32_e32 v6, 16, v6
.LBB500_4:
	s_or_b32 exec_lo, exec_lo, s0
	v_add_nc_u32_e32 v7, 0x80, v0
	v_mov_b32_e32 v9, 0xff800000
	v_cmp_gt_i32_e64 s1, s14, v7
	v_mov_b32_e32 v7, 0xff800000
	s_and_b32 s4, s3, s1
	s_and_saveexec_b32 s0, s4
	s_cbranch_execz .LBB500_6
; %bb.5:
	global_load_ushort v9, v[3:4], off offset:256
	s_waitcnt vmcnt(0)
	v_lshlrev_b32_e32 v9, 16, v9
.LBB500_6:
	s_or_b32 exec_lo, exec_lo, s0
	v_add_nc_u32_e32 v0, 0xc0, v0
	v_cmp_gt_i32_e64 s0, s14, v0
	s_and_b32 s4, s3, s0
	s_and_saveexec_b32 s3, s4
	s_cbranch_execz .LBB500_8
; %bb.7:
	global_load_ushort v0, v[3:4], off offset:384
	s_waitcnt vmcnt(0)
	v_lshlrev_b32_e32 v7, 16, v0
.LBB500_8:
	s_or_b32 exec_lo, exec_lo, s3
	v_cmp_gt_f32_e64 s3, v8, v6
	v_mbcnt_lo_u32_b32 v0, -1, 0
	s_mov_b32 s4, exec_lo
	v_cndmask_b32_e64 v3, v6, v8, s3
	v_or_b32_e32 v4, 32, v0
	v_xor_b32_e32 v11, 16, v0
	v_xor_b32_e32 v12, 8, v0
	;; [unrolled: 1-line block ×3, first 2 shown]
	v_cmp_gt_f32_e64 s3, v3, v9
	v_xor_b32_e32 v14, 2, v0
	v_xor_b32_e32 v15, 1, v0
	v_cndmask_b32_e64 v3, v9, v3, s3
	v_cmp_gt_i32_e64 s3, 64, v4
	v_cndmask_b32_e64 v4, v0, v4, s3
	v_cmp_gt_f32_e64 s3, v3, v7
	v_lshlrev_b32_e32 v10, 2, v4
	v_cndmask_b32_e64 v3, v7, v3, s3
	v_cmp_gt_i32_e64 s3, 64, v11
	ds_bpermute_b32 v4, v10, v3
	v_cndmask_b32_e64 v11, v0, v11, s3
	v_lshlrev_b32_e32 v11, 2, v11
	s_waitcnt lgkmcnt(0)
	v_cmp_lt_f32_e64 s3, v3, v4
	v_cndmask_b32_e64 v3, v3, v4, s3
	v_cmp_gt_i32_e64 s3, 64, v12
	ds_bpermute_b32 v4, v11, v3
	v_cndmask_b32_e64 v12, v0, v12, s3
	v_lshlrev_b32_e32 v12, 2, v12
	s_waitcnt lgkmcnt(0)
	v_cmp_lt_f32_e64 s3, v3, v4
	;; [unrolled: 7-line block ×5, first 2 shown]
	v_cndmask_b32_e64 v0, v3, v4, s3
	ds_bpermute_b32 v3, v15, v0
	s_waitcnt lgkmcnt(0)
	v_cmp_lt_f32_e64 s3, v0, v3
	v_cndmask_b32_e64 v0, v0, v3, s3
	v_sub_f32_e32 v3, v8, v0
	v_sub_f32_e32 v4, v6, v0
	;; [unrolled: 1-line block ×4, first 2 shown]
	v_mul_f32_e32 v0, 0x3fb8aa3b, v3
	v_mul_f32_e32 v6, 0x3fb8aa3b, v4
	;; [unrolled: 1-line block ×4, first 2 shown]
	v_cmp_ngt_f32_e64 s3, 0xc2ce8ed0, v3
	v_fma_f32 v17, 0x3fb8aa3b, v3, -v0
	v_rndne_f32_e32 v18, v0
	v_fma_f32 v19, 0x3fb8aa3b, v4, -v6
	v_rndne_f32_e32 v20, v6
	v_fma_f32 v21, 0x3fb8aa3b, v8, -v9
	v_fmac_f32_e32 v17, 0x32a5705f, v3
	v_sub_f32_e32 v0, v0, v18
	v_rndne_f32_e32 v22, v9
	v_fmac_f32_e32 v19, 0x32a5705f, v4
	v_sub_f32_e32 v6, v6, v20
	v_fmac_f32_e32 v21, 0x32a5705f, v8
	v_add_f32_e32 v0, v0, v17
	v_sub_f32_e32 v9, v9, v22
	v_cvt_i32_f32_e32 v18, v18
	v_add_f32_e32 v6, v6, v19
	v_cvt_i32_f32_e32 v19, v20
	v_exp_f32_e32 v0, v0
	v_add_f32_e32 v9, v9, v21
	v_fma_f32 v23, 0x3fb8aa3b, v7, -v16
	v_exp_f32_e32 v6, v6
	v_rndne_f32_e32 v17, v16
	v_cvt_i32_f32_e32 v20, v22
	v_exp_f32_e32 v9, v9
	v_fmac_f32_e32 v23, 0x32a5705f, v7
	v_sub_f32_e32 v16, v16, v17
	v_ldexp_f32 v0, v0, v18
	v_cvt_i32_f32_e32 v17, v17
	v_ldexp_f32 v6, v6, v19
	v_add_f32_e32 v16, v16, v23
	v_cndmask_b32_e64 v0, 0, v0, s3
	v_cmp_ngt_f32_e64 s3, 0xc2ce8ed0, v4
	v_ldexp_f32 v9, v9, v20
	v_exp_f32_e32 v16, v16
	v_cndmask_b32_e64 v6, 0, v6, s3
	v_cmp_ngt_f32_e64 s3, 0xc2ce8ed0, v8
	v_cndmask_b32_e64 v9, 0, v9, s3
	v_cmp_nlt_f32_e64 s3, 0x42b17218, v3
	v_ldexp_f32 v3, v16, v17
	v_cndmask_b32_e64 v0, 0x7f800000, v0, s3
	v_cmp_nlt_f32_e64 s3, 0x42b17218, v4
	v_cndmask_b32_e64 v6, 0x7f800000, v6, s3
	v_cmp_nlt_f32_e64 s3, 0x42b17218, v8
	v_add_f32_e32 v8, v0, v6
	v_cndmask_b32_e64 v4, 0x7f800000, v9, s3
	v_cmp_ngt_f32_e64 s3, 0xc2ce8ed0, v7
	v_add_f32_e32 v8, v8, v4
	v_cndmask_b32_e64 v3, 0, v3, s3
	v_cmp_nlt_f32_e64 s3, 0x42b17218, v7
	v_cndmask_b32_e64 v3, 0x7f800000, v3, s3
	v_add_f32_e32 v7, v8, v3
	ds_bpermute_b32 v8, v10, v7
	s_waitcnt lgkmcnt(0)
	v_add_f32_e32 v7, v7, v8
	ds_bpermute_b32 v8, v11, v7
	s_waitcnt lgkmcnt(0)
	;; [unrolled: 3-line block ×5, first 2 shown]
	v_add_f32_e32 v7, v7, v8
	ds_bpermute_b32 v8, v15, v7
	v_cmpx_lt_i32_e32 0, v5
	s_cbranch_execz .LBB500_14
; %bb.9:
	s_and_b32 exec_lo, exec_lo, vcc_lo
	s_cbranch_execz .LBB500_14
; %bb.10:
	s_waitcnt lgkmcnt(0)
	v_add_f32_e32 v5, v7, v8
	v_lshlrev_b64 v[1:2], 2, v[1:2]
	v_div_scale_f32 v7, null, v5, v5, v0
	v_div_scale_f32 v10, vcc_lo, v0, v5, v0
	v_cmp_eq_f32_e64 s3, 0, v5
	v_rcp_f32_e32 v8, v7
	v_fma_f32 v9, -v7, v8, 1.0
	v_fmac_f32_e32 v8, v9, v8
	v_mul_f32_e32 v9, v10, v8
	v_fma_f32 v11, -v7, v9, v10
	v_fmac_f32_e32 v9, v11, v8
	v_fma_f32 v7, -v7, v9, v10
	v_div_fmas_f32 v7, v7, v8, v9
	v_div_fixup_f32 v7, v7, v5, v0
	v_add_co_u32 v0, vcc_lo, s8, v1
	v_add_co_ci_u32_e64 v1, null, s9, v2, vcc_lo
	v_cndmask_b32_e64 v2, v7, 0x7fc00000, s3
	global_store_dword v[0:1], v2, off
	s_and_b32 exec_lo, exec_lo, s2
	s_cbranch_execz .LBB500_14
; %bb.11:
	v_div_scale_f32 v2, null, v5, v5, v6
	v_rcp_f32_e32 v7, v2
	v_fma_f32 v8, -v2, v7, 1.0
	v_fmac_f32_e32 v7, v8, v7
	v_div_scale_f32 v8, vcc_lo, v6, v5, v6
	v_mul_f32_e32 v9, v8, v7
	v_fma_f32 v10, -v2, v9, v8
	v_fmac_f32_e32 v9, v10, v7
	v_fma_f32 v2, -v2, v9, v8
	v_div_fmas_f32 v2, v2, v7, v9
	v_div_fixup_f32 v2, v2, v5, v6
	v_cndmask_b32_e64 v2, v2, 0x7fc00000, s3
	global_store_dword v[0:1], v2, off offset:256
	s_and_b32 exec_lo, exec_lo, s1
	s_cbranch_execz .LBB500_14
; %bb.12:
	v_div_scale_f32 v2, null, v5, v5, v4
	v_rcp_f32_e32 v6, v2
	v_fma_f32 v7, -v2, v6, 1.0
	v_fmac_f32_e32 v6, v7, v6
	v_div_scale_f32 v7, vcc_lo, v4, v5, v4
	v_mul_f32_e32 v8, v7, v6
	v_fma_f32 v9, -v2, v8, v7
	v_fmac_f32_e32 v8, v9, v6
	v_fma_f32 v2, -v2, v8, v7
	v_div_fmas_f32 v2, v2, v6, v8
	v_div_fixup_f32 v2, v2, v5, v4
	v_cndmask_b32_e64 v2, v2, 0x7fc00000, s3
	global_store_dword v[0:1], v2, off offset:512
	;; [unrolled: 16-line block ×3, first 2 shown]
.LBB500_14:
	s_endpgm
	.section	.rodata,"a",@progbits
	.p2align	6, 0x0
	.amdhsa_kernel _ZN12_GLOBAL__N_120softmax_warp_forwardIN3c108BFloat16EffLi8ELb0ELb0ELi64EEEvPT0_PKT_iiiPKbib
		.amdhsa_group_segment_fixed_size 0
		.amdhsa_private_segment_fixed_size 0
		.amdhsa_kernarg_size 304
		.amdhsa_user_sgpr_count 6
		.amdhsa_user_sgpr_private_segment_buffer 1
		.amdhsa_user_sgpr_dispatch_ptr 0
		.amdhsa_user_sgpr_queue_ptr 0
		.amdhsa_user_sgpr_kernarg_segment_ptr 1
		.amdhsa_user_sgpr_dispatch_id 0
		.amdhsa_user_sgpr_flat_scratch_init 0
		.amdhsa_user_sgpr_private_segment_size 0
		.amdhsa_wavefront_size32 1
		.amdhsa_uses_dynamic_stack 0
		.amdhsa_system_sgpr_private_segment_wavefront_offset 0
		.amdhsa_system_sgpr_workgroup_id_x 1
		.amdhsa_system_sgpr_workgroup_id_y 0
		.amdhsa_system_sgpr_workgroup_id_z 0
		.amdhsa_system_sgpr_workgroup_info 0
		.amdhsa_system_vgpr_workitem_id 1
		.amdhsa_next_free_vgpr 24
		.amdhsa_next_free_sgpr 16
		.amdhsa_reserve_vcc 1
		.amdhsa_reserve_flat_scratch 0
		.amdhsa_float_round_mode_32 0
		.amdhsa_float_round_mode_16_64 0
		.amdhsa_float_denorm_mode_32 3
		.amdhsa_float_denorm_mode_16_64 3
		.amdhsa_dx10_clamp 1
		.amdhsa_ieee_mode 1
		.amdhsa_fp16_overflow 0
		.amdhsa_workgroup_processor_mode 1
		.amdhsa_memory_ordered 1
		.amdhsa_forward_progress 1
		.amdhsa_shared_vgpr_count 0
		.amdhsa_exception_fp_ieee_invalid_op 0
		.amdhsa_exception_fp_denorm_src 0
		.amdhsa_exception_fp_ieee_div_zero 0
		.amdhsa_exception_fp_ieee_overflow 0
		.amdhsa_exception_fp_ieee_underflow 0
		.amdhsa_exception_fp_ieee_inexact 0
		.amdhsa_exception_int_div_zero 0
	.end_amdhsa_kernel
	.section	.text._ZN12_GLOBAL__N_120softmax_warp_forwardIN3c108BFloat16EffLi8ELb0ELb0ELi64EEEvPT0_PKT_iiiPKbib,"axG",@progbits,_ZN12_GLOBAL__N_120softmax_warp_forwardIN3c108BFloat16EffLi8ELb0ELb0ELi64EEEvPT0_PKT_iiiPKbib,comdat
.Lfunc_end500:
	.size	_ZN12_GLOBAL__N_120softmax_warp_forwardIN3c108BFloat16EffLi8ELb0ELb0ELi64EEEvPT0_PKT_iiiPKbib, .Lfunc_end500-_ZN12_GLOBAL__N_120softmax_warp_forwardIN3c108BFloat16EffLi8ELb0ELb0ELi64EEEvPT0_PKT_iiiPKbib
                                        ; -- End function
	.set _ZN12_GLOBAL__N_120softmax_warp_forwardIN3c108BFloat16EffLi8ELb0ELb0ELi64EEEvPT0_PKT_iiiPKbib.num_vgpr, 24
	.set _ZN12_GLOBAL__N_120softmax_warp_forwardIN3c108BFloat16EffLi8ELb0ELb0ELi64EEEvPT0_PKT_iiiPKbib.num_agpr, 0
	.set _ZN12_GLOBAL__N_120softmax_warp_forwardIN3c108BFloat16EffLi8ELb0ELb0ELi64EEEvPT0_PKT_iiiPKbib.numbered_sgpr, 16
	.set _ZN12_GLOBAL__N_120softmax_warp_forwardIN3c108BFloat16EffLi8ELb0ELb0ELi64EEEvPT0_PKT_iiiPKbib.num_named_barrier, 0
	.set _ZN12_GLOBAL__N_120softmax_warp_forwardIN3c108BFloat16EffLi8ELb0ELb0ELi64EEEvPT0_PKT_iiiPKbib.private_seg_size, 0
	.set _ZN12_GLOBAL__N_120softmax_warp_forwardIN3c108BFloat16EffLi8ELb0ELb0ELi64EEEvPT0_PKT_iiiPKbib.uses_vcc, 1
	.set _ZN12_GLOBAL__N_120softmax_warp_forwardIN3c108BFloat16EffLi8ELb0ELb0ELi64EEEvPT0_PKT_iiiPKbib.uses_flat_scratch, 0
	.set _ZN12_GLOBAL__N_120softmax_warp_forwardIN3c108BFloat16EffLi8ELb0ELb0ELi64EEEvPT0_PKT_iiiPKbib.has_dyn_sized_stack, 0
	.set _ZN12_GLOBAL__N_120softmax_warp_forwardIN3c108BFloat16EffLi8ELb0ELb0ELi64EEEvPT0_PKT_iiiPKbib.has_recursion, 0
	.set _ZN12_GLOBAL__N_120softmax_warp_forwardIN3c108BFloat16EffLi8ELb0ELb0ELi64EEEvPT0_PKT_iiiPKbib.has_indirect_call, 0
	.section	.AMDGPU.csdata,"",@progbits
; Kernel info:
; codeLenInByte = 1632
; TotalNumSgprs: 18
; NumVgprs: 24
; ScratchSize: 0
; MemoryBound: 0
; FloatMode: 240
; IeeeMode: 1
; LDSByteSize: 0 bytes/workgroup (compile time only)
; SGPRBlocks: 0
; VGPRBlocks: 2
; NumSGPRsForWavesPerEU: 18
; NumVGPRsForWavesPerEU: 24
; Occupancy: 16
; WaveLimiterHint : 0
; COMPUTE_PGM_RSRC2:SCRATCH_EN: 0
; COMPUTE_PGM_RSRC2:USER_SGPR: 6
; COMPUTE_PGM_RSRC2:TRAP_HANDLER: 0
; COMPUTE_PGM_RSRC2:TGID_X_EN: 1
; COMPUTE_PGM_RSRC2:TGID_Y_EN: 0
; COMPUTE_PGM_RSRC2:TGID_Z_EN: 0
; COMPUTE_PGM_RSRC2:TIDIG_COMP_CNT: 1
	.section	.text._ZN12_GLOBAL__N_120softmax_warp_forwardIN3c108BFloat16EffLi8ELb0ELb0ELi32EEEvPT0_PKT_iiiPKbib,"axG",@progbits,_ZN12_GLOBAL__N_120softmax_warp_forwardIN3c108BFloat16EffLi8ELb0ELb0ELi32EEEvPT0_PKT_iiiPKbib,comdat
	.globl	_ZN12_GLOBAL__N_120softmax_warp_forwardIN3c108BFloat16EffLi8ELb0ELb0ELi32EEEvPT0_PKT_iiiPKbib ; -- Begin function _ZN12_GLOBAL__N_120softmax_warp_forwardIN3c108BFloat16EffLi8ELb0ELb0ELi32EEEvPT0_PKT_iiiPKbib
	.p2align	8
	.type	_ZN12_GLOBAL__N_120softmax_warp_forwardIN3c108BFloat16EffLi8ELb0ELb0ELi32EEEvPT0_PKT_iiiPKbib,@function
_ZN12_GLOBAL__N_120softmax_warp_forwardIN3c108BFloat16EffLi8ELb0ELb0ELi32EEEvPT0_PKT_iiiPKbib: ; @_ZN12_GLOBAL__N_120softmax_warp_forwardIN3c108BFloat16EffLi8ELb0ELb0ELi32EEEvPT0_PKT_iiiPKbib
; %bb.0:
	s_clause 0x1
	s_load_dword s0, s[4:5], 0x3c
	s_load_dwordx8 s[8:15], s[4:5], 0x0
	v_mov_b32_e32 v6, 0xff800000
	v_mov_b32_e32 v10, 0xff800000
	s_waitcnt lgkmcnt(0)
	s_lshr_b32 s0, s0, 16
	v_cmp_gt_i32_e32 vcc_lo, s14, v0
	v_mad_u64_u32 v[3:4], null, s6, s0, v[1:2]
	v_mad_u64_u32 v[1:2], null, v3, s13, v[0:1]
	v_sub_nc_u32_e32 v5, s12, v3
	v_cmp_lt_i32_e64 s7, 0, v5
	v_ashrrev_i32_e32 v2, 31, v1
	s_and_b32 s1, s7, vcc_lo
	v_lshlrev_b64 v[3:4], 1, v[1:2]
	v_add_co_u32 v3, s0, s10, v3
	v_add_co_ci_u32_e64 v4, null, s11, v4, s0
	s_and_saveexec_b32 s0, s1
	s_cbranch_execz .LBB501_2
; %bb.1:
	global_load_ushort v7, v[3:4], off
	s_waitcnt vmcnt(0)
	v_lshlrev_b32_e32 v10, 16, v7
.LBB501_2:
	s_or_b32 exec_lo, exec_lo, s0
	v_add_nc_u32_e32 v7, 32, v0
	v_cmp_gt_i32_e64 s6, s14, v7
	s_and_b32 s1, s7, s6
	s_and_saveexec_b32 s0, s1
	s_cbranch_execz .LBB501_4
; %bb.3:
	global_load_ushort v6, v[3:4], off offset:64
	s_waitcnt vmcnt(0)
	v_lshlrev_b32_e32 v6, 16, v6
.LBB501_4:
	s_or_b32 exec_lo, exec_lo, s0
	v_add_nc_u32_e32 v7, 64, v0
	v_mov_b32_e32 v11, 0xff800000
	v_cmp_gt_i32_e64 s5, s14, v7
	v_mov_b32_e32 v7, 0xff800000
	s_and_b32 s1, s7, s5
	s_and_saveexec_b32 s0, s1
	s_cbranch_execz .LBB501_6
; %bb.5:
	global_load_ushort v8, v[3:4], off offset:128
	s_waitcnt vmcnt(0)
	v_lshlrev_b32_e32 v11, 16, v8
.LBB501_6:
	s_or_b32 exec_lo, exec_lo, s0
	v_add_nc_u32_e32 v8, 0x60, v0
	v_cmp_gt_i32_e64 s4, s14, v8
	s_and_b32 s1, s7, s4
	s_and_saveexec_b32 s0, s1
	s_cbranch_execz .LBB501_8
; %bb.7:
	global_load_ushort v7, v[3:4], off offset:192
	s_waitcnt vmcnt(0)
	v_lshlrev_b32_e32 v7, 16, v7
.LBB501_8:
	s_or_b32 exec_lo, exec_lo, s0
	v_add_nc_u32_e32 v8, 0x80, v0
	v_mov_b32_e32 v12, 0xff800000
	v_cmp_gt_i32_e64 s3, s14, v8
	v_mov_b32_e32 v8, 0xff800000
	s_and_b32 s1, s7, s3
	s_and_saveexec_b32 s0, s1
	s_cbranch_execz .LBB501_10
; %bb.9:
	global_load_ushort v9, v[3:4], off offset:256
	s_waitcnt vmcnt(0)
	v_lshlrev_b32_e32 v12, 16, v9
.LBB501_10:
	;; [unrolled: 24-line block ×3, first 2 shown]
	s_or_b32 exec_lo, exec_lo, s0
	v_add_nc_u32_e32 v0, 0xe0, v0
	v_cmp_gt_i32_e64 s0, s14, v0
	s_and_b32 s10, s7, s0
	s_and_saveexec_b32 s7, s10
	s_cbranch_execz .LBB501_16
; %bb.15:
	global_load_ushort v0, v[3:4], off offset:448
	s_waitcnt vmcnt(0)
	v_lshlrev_b32_e32 v9, 16, v0
.LBB501_16:
	s_or_b32 exec_lo, exec_lo, s7
	v_cmp_gt_f32_e64 s7, v10, v6
	v_mbcnt_lo_u32_b32 v4, -1, 0
	s_mov_b32 s10, exec_lo
	v_cndmask_b32_e64 v0, v6, v10, s7
	v_xor_b32_e32 v3, 16, v4
	v_xor_b32_e32 v16, 4, v4
	;; [unrolled: 1-line block ×4, first 2 shown]
	v_cmp_gt_f32_e64 s7, v0, v11
	v_cndmask_b32_e64 v0, v11, v0, s7
	v_cmp_gt_f32_e64 s7, v0, v7
	v_cndmask_b32_e64 v0, v7, v0, s7
	;; [unrolled: 2-line block ×4, first 2 shown]
	v_cmp_gt_i32_e64 s7, 32, v3
	v_cndmask_b32_e64 v3, v4, v3, s7
	v_cmp_gt_f32_e64 s7, v0, v13
	v_cndmask_b32_e64 v14, v13, v0, s7
	v_lshlrev_b32_e32 v0, 2, v3
	v_xor_b32_e32 v3, 8, v4
	v_cmp_gt_f32_e64 s7, v14, v9
	v_cndmask_b32_e64 v14, v9, v14, s7
	v_cmp_gt_i32_e64 s7, 32, v3
	ds_bpermute_b32 v15, v0, v14
	v_cndmask_b32_e64 v3, v4, v3, s7
	v_lshlrev_b32_e32 v3, 2, v3
	s_waitcnt lgkmcnt(0)
	v_cmp_lt_f32_e64 s7, v14, v15
	v_cndmask_b32_e64 v14, v14, v15, s7
	v_cmp_gt_i32_e64 s7, 32, v16
	ds_bpermute_b32 v15, v3, v14
	v_cndmask_b32_e64 v16, v4, v16, s7
	v_lshlrev_b32_e32 v16, 2, v16
	s_waitcnt lgkmcnt(0)
	v_cmp_lt_f32_e64 s7, v14, v15
	v_cndmask_b32_e64 v14, v14, v15, s7
	v_cmp_gt_i32_e64 s7, 32, v17
	ds_bpermute_b32 v15, v16, v14
	v_cndmask_b32_e64 v17, v4, v17, s7
	v_lshlrev_b32_e32 v17, 2, v17
	s_waitcnt lgkmcnt(0)
	v_cmp_lt_f32_e64 s7, v14, v15
	v_cndmask_b32_e64 v14, v14, v15, s7
	v_cmp_gt_i32_e64 s7, 32, v18
	ds_bpermute_b32 v15, v17, v14
	v_cndmask_b32_e64 v4, v4, v18, s7
	v_lshlrev_b32_e32 v18, 2, v4
	s_waitcnt lgkmcnt(0)
	v_cmp_lt_f32_e64 s7, v14, v15
	v_cndmask_b32_e64 v4, v14, v15, s7
	ds_bpermute_b32 v14, v18, v4
	s_waitcnt lgkmcnt(0)
	v_cmp_lt_f32_e64 s7, v4, v14
	v_cndmask_b32_e64 v4, v4, v14, s7
	v_sub_f32_e32 v10, v10, v4
	v_sub_f32_e32 v6, v6, v4
	;; [unrolled: 1-line block ×5, first 2 shown]
	v_mul_f32_e32 v8, 0x3fb8aa3b, v10
	v_sub_f32_e32 v15, v12, v4
	v_sub_f32_e32 v13, v13, v4
	;; [unrolled: 1-line block ×3, first 2 shown]
	v_mul_f32_e32 v9, 0x3fb8aa3b, v6
	v_fma_f32 v24, 0x3fb8aa3b, v10, -v8
	v_rndne_f32_e32 v25, v8
	v_mul_f32_e32 v11, 0x3fb8aa3b, v14
	v_mul_f32_e32 v22, 0x3fb8aa3b, v13
	v_fma_f32 v26, 0x3fb8aa3b, v6, -v9
	v_rndne_f32_e32 v27, v9
	v_fmac_f32_e32 v24, 0x32a5705f, v10
	v_sub_f32_e32 v8, v8, v25
	v_fma_f32 v28, 0x3fb8aa3b, v14, -v11
	v_rndne_f32_e32 v29, v11
	v_fmac_f32_e32 v26, 0x32a5705f, v6
	v_sub_f32_e32 v9, v9, v27
	v_add_f32_e32 v8, v8, v24
	v_mul_f32_e32 v12, 0x3fb8aa3b, v7
	v_fma_f32 v36, 0x3fb8aa3b, v13, -v22
	v_rndne_f32_e32 v37, v22
	v_fmac_f32_e32 v28, 0x32a5705f, v14
	v_sub_f32_e32 v11, v11, v29
	v_add_f32_e32 v9, v9, v26
	v_exp_f32_e32 v8, v8
	v_fma_f32 v30, 0x3fb8aa3b, v7, -v12
	v_rndne_f32_e32 v31, v12
	v_cvt_i32_f32_e32 v25, v25
	v_fmac_f32_e32 v36, 0x32a5705f, v13
	v_sub_f32_e32 v22, v22, v37
	v_add_f32_e32 v11, v11, v28
	v_exp_f32_e32 v9, v9
	v_cvt_i32_f32_e32 v27, v27
	v_fmac_f32_e32 v30, 0x32a5705f, v7
	v_sub_f32_e32 v12, v12, v31
	v_add_f32_e32 v22, v22, v36
	v_exp_f32_e32 v11, v11
	v_ldexp_f32 v8, v8, v25
	v_cmp_ngt_f32_e64 s7, 0xc2ce8ed0, v10
	v_mul_f32_e32 v20, 0x3fb8aa3b, v15
	v_cvt_i32_f32_e32 v29, v29
	v_add_f32_e32 v12, v12, v30
	v_exp_f32_e32 v22, v22
	v_ldexp_f32 v9, v9, v27
	v_cndmask_b32_e64 v8, 0, v8, s7
	v_cmp_ngt_f32_e64 s7, 0xc2ce8ed0, v6
	v_fma_f32 v32, 0x3fb8aa3b, v15, -v20
	v_rndne_f32_e32 v33, v20
	v_exp_f32_e32 v12, v12
	v_cvt_i32_f32_e32 v24, v37
	v_ldexp_f32 v11, v11, v29
	v_cndmask_b32_e64 v9, 0, v9, s7
	v_cmp_ngt_f32_e64 s7, 0xc2ce8ed0, v14
	v_mul_f32_e32 v21, 0x3fb8aa3b, v19
	v_cvt_i32_f32_e32 v31, v31
	v_fmac_f32_e32 v32, 0x32a5705f, v15
	v_sub_f32_e32 v20, v20, v33
	v_ldexp_f32 v22, v22, v24
	v_cndmask_b32_e64 v24, 0, v11, s7
	v_cmp_nlt_f32_e64 s7, 0x42b17218, v10
	v_fma_f32 v34, 0x3fb8aa3b, v19, -v21
	v_rndne_f32_e32 v35, v21
	v_add_f32_e32 v20, v20, v32
	v_ldexp_f32 v25, v12, v31
	v_cndmask_b32_e64 v12, 0x7f800000, v8, s7
	v_cmp_nlt_f32_e64 s7, 0x42b17218, v6
	v_fmac_f32_e32 v34, 0x32a5705f, v19
	v_sub_f32_e32 v21, v21, v35
	v_exp_f32_e32 v20, v20
	v_cvt_i32_f32_e32 v33, v33
	v_cndmask_b32_e64 v11, 0x7f800000, v9, s7
	v_cmp_ngt_f32_e64 s7, 0xc2ce8ed0, v7
	v_add_f32_e32 v21, v21, v34
	v_mul_f32_e32 v23, 0x3fb8aa3b, v4
	v_cvt_i32_f32_e32 v35, v35
	v_add_f32_e32 v8, v12, v11
	v_cndmask_b32_e64 v6, 0, v25, s7
	v_cmp_nlt_f32_e64 s7, 0x42b17218, v14
	v_exp_f32_e32 v21, v21
	v_ldexp_f32 v20, v20, v33
	v_fma_f32 v38, 0x3fb8aa3b, v4, -v23
	v_rndne_f32_e32 v39, v23
	v_cndmask_b32_e64 v10, 0x7f800000, v24, s7
	v_cmp_ngt_f32_e64 s7, 0xc2ce8ed0, v15
	v_fmac_f32_e32 v38, 0x32a5705f, v4
	v_sub_f32_e32 v23, v23, v39
	v_cvt_i32_f32_e32 v26, v39
	v_cndmask_b32_e64 v14, 0, v20, s7
	v_cmp_nlt_f32_e64 s7, 0x42b17218, v7
	v_ldexp_f32 v21, v21, v35
	v_add_f32_e32 v23, v23, v38
	v_cndmask_b32_e64 v9, 0x7f800000, v6, s7
	v_cmp_ngt_f32_e64 s7, 0xc2ce8ed0, v19
	v_add_f32_e32 v6, v8, v10
	v_exp_f32_e32 v23, v23
	v_cndmask_b32_e64 v7, 0, v21, s7
	v_cmp_nlt_f32_e64 s7, 0x42b17218, v15
	v_add_f32_e32 v6, v6, v9
	v_cndmask_b32_e64 v8, 0x7f800000, v14, s7
	v_cmp_ngt_f32_e64 s7, 0xc2ce8ed0, v13
	v_add_f32_e32 v15, v6, v8
	v_cndmask_b32_e64 v14, 0, v22, s7
	v_cmp_nlt_f32_e64 s7, 0x42b17218, v19
	v_ldexp_f32 v19, v23, v26
	v_cndmask_b32_e64 v7, 0x7f800000, v7, s7
	v_cmp_nlt_f32_e64 s7, 0x42b17218, v13
	v_add_f32_e32 v13, v15, v7
	v_cndmask_b32_e64 v6, 0x7f800000, v14, s7
	v_cmp_ngt_f32_e64 s7, 0xc2ce8ed0, v4
	v_add_f32_e32 v13, v13, v6
	v_cndmask_b32_e64 v14, 0, v19, s7
	v_cmp_nlt_f32_e64 s7, 0x42b17218, v4
	v_cndmask_b32_e64 v4, 0x7f800000, v14, s7
	v_add_f32_e32 v13, v13, v4
	ds_bpermute_b32 v0, v0, v13
	s_waitcnt lgkmcnt(0)
	v_add_f32_e32 v0, v13, v0
	ds_bpermute_b32 v3, v3, v0
	s_waitcnt lgkmcnt(0)
	;; [unrolled: 3-line block ×4, first 2 shown]
	v_add_f32_e32 v0, v0, v3
	ds_bpermute_b32 v3, v18, v0
	v_cmpx_lt_i32_e32 0, v5
	s_cbranch_execz .LBB501_26
; %bb.17:
	s_and_b32 exec_lo, exec_lo, vcc_lo
	s_cbranch_execz .LBB501_26
; %bb.18:
	s_waitcnt lgkmcnt(0)
	v_add_f32_e32 v3, v0, v3
	v_div_scale_f32 v0, null, v3, v3, v12
	v_div_scale_f32 v14, vcc_lo, v12, v3, v12
	v_cmp_eq_f32_e64 s7, 0, v3
	v_rcp_f32_e32 v5, v0
	v_fma_f32 v13, -v0, v5, 1.0
	v_fmac_f32_e32 v5, v13, v5
	v_mul_f32_e32 v13, v14, v5
	v_fma_f32 v15, -v0, v13, v14
	v_fmac_f32_e32 v13, v15, v5
	v_fma_f32 v0, -v0, v13, v14
	v_div_fmas_f32 v5, v0, v5, v13
	v_lshlrev_b64 v[0:1], 2, v[1:2]
	v_div_fixup_f32 v2, v5, v3, v12
	v_add_co_u32 v0, vcc_lo, s8, v0
	v_add_co_ci_u32_e64 v1, null, s9, v1, vcc_lo
	v_cndmask_b32_e64 v2, v2, 0x7fc00000, s7
	global_store_dword v[0:1], v2, off
	s_and_b32 exec_lo, exec_lo, s6
	s_cbranch_execz .LBB501_26
; %bb.19:
	v_div_scale_f32 v2, null, v3, v3, v11
	v_rcp_f32_e32 v5, v2
	v_fma_f32 v12, -v2, v5, 1.0
	v_fmac_f32_e32 v5, v12, v5
	v_div_scale_f32 v12, vcc_lo, v11, v3, v11
	v_mul_f32_e32 v13, v12, v5
	v_fma_f32 v14, -v2, v13, v12
	v_fmac_f32_e32 v13, v14, v5
	v_fma_f32 v2, -v2, v13, v12
	v_div_fmas_f32 v2, v2, v5, v13
	v_div_fixup_f32 v2, v2, v3, v11
	v_cndmask_b32_e64 v2, v2, 0x7fc00000, s7
	global_store_dword v[0:1], v2, off offset:128
	s_and_b32 exec_lo, exec_lo, s5
	s_cbranch_execz .LBB501_26
; %bb.20:
	v_div_scale_f32 v2, null, v3, v3, v10
	v_rcp_f32_e32 v5, v2
	v_fma_f32 v11, -v2, v5, 1.0
	v_fmac_f32_e32 v5, v11, v5
	v_div_scale_f32 v11, vcc_lo, v10, v3, v10
	v_mul_f32_e32 v12, v11, v5
	v_fma_f32 v13, -v2, v12, v11
	v_fmac_f32_e32 v12, v13, v5
	v_fma_f32 v2, -v2, v12, v11
	v_div_fmas_f32 v2, v2, v5, v12
	v_div_fixup_f32 v2, v2, v3, v10
	v_cndmask_b32_e64 v2, v2, 0x7fc00000, s7
	global_store_dword v[0:1], v2, off offset:256
	;; [unrolled: 16-line block ×7, first 2 shown]
.LBB501_26:
	s_endpgm
	.section	.rodata,"a",@progbits
	.p2align	6, 0x0
	.amdhsa_kernel _ZN12_GLOBAL__N_120softmax_warp_forwardIN3c108BFloat16EffLi8ELb0ELb0ELi32EEEvPT0_PKT_iiiPKbib
		.amdhsa_group_segment_fixed_size 0
		.amdhsa_private_segment_fixed_size 0
		.amdhsa_kernarg_size 304
		.amdhsa_user_sgpr_count 6
		.amdhsa_user_sgpr_private_segment_buffer 1
		.amdhsa_user_sgpr_dispatch_ptr 0
		.amdhsa_user_sgpr_queue_ptr 0
		.amdhsa_user_sgpr_kernarg_segment_ptr 1
		.amdhsa_user_sgpr_dispatch_id 0
		.amdhsa_user_sgpr_flat_scratch_init 0
		.amdhsa_user_sgpr_private_segment_size 0
		.amdhsa_wavefront_size32 1
		.amdhsa_uses_dynamic_stack 0
		.amdhsa_system_sgpr_private_segment_wavefront_offset 0
		.amdhsa_system_sgpr_workgroup_id_x 1
		.amdhsa_system_sgpr_workgroup_id_y 0
		.amdhsa_system_sgpr_workgroup_id_z 0
		.amdhsa_system_sgpr_workgroup_info 0
		.amdhsa_system_vgpr_workitem_id 1
		.amdhsa_next_free_vgpr 40
		.amdhsa_next_free_sgpr 16
		.amdhsa_reserve_vcc 1
		.amdhsa_reserve_flat_scratch 0
		.amdhsa_float_round_mode_32 0
		.amdhsa_float_round_mode_16_64 0
		.amdhsa_float_denorm_mode_32 3
		.amdhsa_float_denorm_mode_16_64 3
		.amdhsa_dx10_clamp 1
		.amdhsa_ieee_mode 1
		.amdhsa_fp16_overflow 0
		.amdhsa_workgroup_processor_mode 1
		.amdhsa_memory_ordered 1
		.amdhsa_forward_progress 1
		.amdhsa_shared_vgpr_count 0
		.amdhsa_exception_fp_ieee_invalid_op 0
		.amdhsa_exception_fp_denorm_src 0
		.amdhsa_exception_fp_ieee_div_zero 0
		.amdhsa_exception_fp_ieee_overflow 0
		.amdhsa_exception_fp_ieee_underflow 0
		.amdhsa_exception_fp_ieee_inexact 0
		.amdhsa_exception_int_div_zero 0
	.end_amdhsa_kernel
	.section	.text._ZN12_GLOBAL__N_120softmax_warp_forwardIN3c108BFloat16EffLi8ELb0ELb0ELi32EEEvPT0_PKT_iiiPKbib,"axG",@progbits,_ZN12_GLOBAL__N_120softmax_warp_forwardIN3c108BFloat16EffLi8ELb0ELb0ELi32EEEvPT0_PKT_iiiPKbib,comdat
.Lfunc_end501:
	.size	_ZN12_GLOBAL__N_120softmax_warp_forwardIN3c108BFloat16EffLi8ELb0ELb0ELi32EEEvPT0_PKT_iiiPKbib, .Lfunc_end501-_ZN12_GLOBAL__N_120softmax_warp_forwardIN3c108BFloat16EffLi8ELb0ELb0ELi32EEEvPT0_PKT_iiiPKbib
                                        ; -- End function
	.set _ZN12_GLOBAL__N_120softmax_warp_forwardIN3c108BFloat16EffLi8ELb0ELb0ELi32EEEvPT0_PKT_iiiPKbib.num_vgpr, 40
	.set _ZN12_GLOBAL__N_120softmax_warp_forwardIN3c108BFloat16EffLi8ELb0ELb0ELi32EEEvPT0_PKT_iiiPKbib.num_agpr, 0
	.set _ZN12_GLOBAL__N_120softmax_warp_forwardIN3c108BFloat16EffLi8ELb0ELb0ELi32EEEvPT0_PKT_iiiPKbib.numbered_sgpr, 16
	.set _ZN12_GLOBAL__N_120softmax_warp_forwardIN3c108BFloat16EffLi8ELb0ELb0ELi32EEEvPT0_PKT_iiiPKbib.num_named_barrier, 0
	.set _ZN12_GLOBAL__N_120softmax_warp_forwardIN3c108BFloat16EffLi8ELb0ELb0ELi32EEEvPT0_PKT_iiiPKbib.private_seg_size, 0
	.set _ZN12_GLOBAL__N_120softmax_warp_forwardIN3c108BFloat16EffLi8ELb0ELb0ELi32EEEvPT0_PKT_iiiPKbib.uses_vcc, 1
	.set _ZN12_GLOBAL__N_120softmax_warp_forwardIN3c108BFloat16EffLi8ELb0ELb0ELi32EEEvPT0_PKT_iiiPKbib.uses_flat_scratch, 0
	.set _ZN12_GLOBAL__N_120softmax_warp_forwardIN3c108BFloat16EffLi8ELb0ELb0ELi32EEEvPT0_PKT_iiiPKbib.has_dyn_sized_stack, 0
	.set _ZN12_GLOBAL__N_120softmax_warp_forwardIN3c108BFloat16EffLi8ELb0ELb0ELi32EEEvPT0_PKT_iiiPKbib.has_recursion, 0
	.set _ZN12_GLOBAL__N_120softmax_warp_forwardIN3c108BFloat16EffLi8ELb0ELb0ELi32EEEvPT0_PKT_iiiPKbib.has_indirect_call, 0
	.section	.AMDGPU.csdata,"",@progbits
; Kernel info:
; codeLenInByte = 2680
; TotalNumSgprs: 18
; NumVgprs: 40
; ScratchSize: 0
; MemoryBound: 0
; FloatMode: 240
; IeeeMode: 1
; LDSByteSize: 0 bytes/workgroup (compile time only)
; SGPRBlocks: 0
; VGPRBlocks: 4
; NumSGPRsForWavesPerEU: 18
; NumVGPRsForWavesPerEU: 40
; Occupancy: 16
; WaveLimiterHint : 0
; COMPUTE_PGM_RSRC2:SCRATCH_EN: 0
; COMPUTE_PGM_RSRC2:USER_SGPR: 6
; COMPUTE_PGM_RSRC2:TRAP_HANDLER: 0
; COMPUTE_PGM_RSRC2:TGID_X_EN: 1
; COMPUTE_PGM_RSRC2:TGID_Y_EN: 0
; COMPUTE_PGM_RSRC2:TGID_Z_EN: 0
; COMPUTE_PGM_RSRC2:TIDIG_COMP_CNT: 1
	.section	.text._ZN12_GLOBAL__N_120softmax_warp_forwardIN3c108BFloat16EffLi9ELb0ELb0ELi64EEEvPT0_PKT_iiiPKbib,"axG",@progbits,_ZN12_GLOBAL__N_120softmax_warp_forwardIN3c108BFloat16EffLi9ELb0ELb0ELi64EEEvPT0_PKT_iiiPKbib,comdat
	.globl	_ZN12_GLOBAL__N_120softmax_warp_forwardIN3c108BFloat16EffLi9ELb0ELb0ELi64EEEvPT0_PKT_iiiPKbib ; -- Begin function _ZN12_GLOBAL__N_120softmax_warp_forwardIN3c108BFloat16EffLi9ELb0ELb0ELi64EEEvPT0_PKT_iiiPKbib
	.p2align	8
	.type	_ZN12_GLOBAL__N_120softmax_warp_forwardIN3c108BFloat16EffLi9ELb0ELb0ELi64EEEvPT0_PKT_iiiPKbib,@function
_ZN12_GLOBAL__N_120softmax_warp_forwardIN3c108BFloat16EffLi9ELb0ELb0ELi64EEEvPT0_PKT_iiiPKbib: ; @_ZN12_GLOBAL__N_120softmax_warp_forwardIN3c108BFloat16EffLi9ELb0ELb0ELi64EEEvPT0_PKT_iiiPKbib
; %bb.0:
	s_clause 0x1
	s_load_dword s0, s[4:5], 0x3c
	s_load_dwordx8 s[8:15], s[4:5], 0x0
	v_mov_b32_e32 v6, 0xff800000
	v_mov_b32_e32 v10, 0xff800000
	s_waitcnt lgkmcnt(0)
	s_lshr_b32 s0, s0, 16
	v_cmp_gt_i32_e32 vcc_lo, s14, v0
	v_mad_u64_u32 v[3:4], null, s6, s0, v[1:2]
	v_mad_u64_u32 v[1:2], null, v3, s13, v[0:1]
	v_sub_nc_u32_e32 v5, s12, v3
	v_cmp_lt_i32_e64 s7, 0, v5
	v_ashrrev_i32_e32 v2, 31, v1
	s_and_b32 s1, s7, vcc_lo
	v_lshlrev_b64 v[3:4], 1, v[1:2]
	v_add_co_u32 v3, s0, s10, v3
	v_add_co_ci_u32_e64 v4, null, s11, v4, s0
	s_and_saveexec_b32 s0, s1
	s_cbranch_execz .LBB502_2
; %bb.1:
	global_load_ushort v7, v[3:4], off
	s_waitcnt vmcnt(0)
	v_lshlrev_b32_e32 v10, 16, v7
.LBB502_2:
	s_or_b32 exec_lo, exec_lo, s0
	v_add_nc_u32_e32 v7, 64, v0
	v_cmp_gt_i32_e64 s6, s14, v7
	s_and_b32 s1, s7, s6
	s_and_saveexec_b32 s0, s1
	s_cbranch_execz .LBB502_4
; %bb.3:
	global_load_ushort v6, v[3:4], off offset:128
	s_waitcnt vmcnt(0)
	v_lshlrev_b32_e32 v6, 16, v6
.LBB502_4:
	s_or_b32 exec_lo, exec_lo, s0
	v_add_nc_u32_e32 v7, 0x80, v0
	v_mov_b32_e32 v11, 0xff800000
	v_cmp_gt_i32_e64 s5, s14, v7
	v_mov_b32_e32 v7, 0xff800000
	s_and_b32 s1, s7, s5
	s_and_saveexec_b32 s0, s1
	s_cbranch_execz .LBB502_6
; %bb.5:
	global_load_ushort v8, v[3:4], off offset:256
	s_waitcnt vmcnt(0)
	v_lshlrev_b32_e32 v11, 16, v8
.LBB502_6:
	s_or_b32 exec_lo, exec_lo, s0
	v_add_nc_u32_e32 v8, 0xc0, v0
	v_cmp_gt_i32_e64 s4, s14, v8
	s_and_b32 s1, s7, s4
	s_and_saveexec_b32 s0, s1
	s_cbranch_execz .LBB502_8
; %bb.7:
	global_load_ushort v7, v[3:4], off offset:384
	s_waitcnt vmcnt(0)
	v_lshlrev_b32_e32 v7, 16, v7
.LBB502_8:
	s_or_b32 exec_lo, exec_lo, s0
	v_add_nc_u32_e32 v8, 0x100, v0
	v_mov_b32_e32 v12, 0xff800000
	v_cmp_gt_i32_e64 s3, s14, v8
	v_mov_b32_e32 v8, 0xff800000
	s_and_b32 s1, s7, s3
	s_and_saveexec_b32 s0, s1
	s_cbranch_execz .LBB502_10
; %bb.9:
	global_load_ushort v9, v[3:4], off offset:512
	s_waitcnt vmcnt(0)
	v_lshlrev_b32_e32 v12, 16, v9
.LBB502_10:
	;; [unrolled: 24-line block ×3, first 2 shown]
	s_or_b32 exec_lo, exec_lo, s0
	v_add_nc_u32_e32 v0, 0x1c0, v0
	v_cmp_gt_i32_e64 s0, s14, v0
	s_and_b32 s10, s7, s0
	s_and_saveexec_b32 s7, s10
	s_cbranch_execz .LBB502_16
; %bb.15:
	global_load_ushort v0, v[3:4], off offset:896
	s_waitcnt vmcnt(0)
	v_lshlrev_b32_e32 v9, 16, v0
.LBB502_16:
	s_or_b32 exec_lo, exec_lo, s7
	v_cmp_gt_f32_e64 s7, v10, v6
	v_mbcnt_lo_u32_b32 v14, -1, 0
	s_mov_b32 s10, exec_lo
	v_cndmask_b32_e64 v0, v6, v10, s7
	v_or_b32_e32 v3, 32, v14
	v_xor_b32_e32 v17, 4, v14
	v_xor_b32_e32 v18, 2, v14
	v_xor_b32_e32 v19, 1, v14
	v_cmp_gt_f32_e64 s7, v0, v11
	v_cndmask_b32_e64 v0, v11, v0, s7
	v_cmp_gt_f32_e64 s7, v0, v7
	v_cndmask_b32_e64 v0, v7, v0, s7
	;; [unrolled: 2-line block ×4, first 2 shown]
	v_cmp_gt_i32_e64 s7, 64, v3
	v_cndmask_b32_e64 v3, v14, v3, s7
	v_cmp_gt_f32_e64 s7, v0, v13
	v_cndmask_b32_e64 v4, v13, v0, s7
	v_lshlrev_b32_e32 v0, 2, v3
	v_xor_b32_e32 v3, 16, v14
	v_cmp_gt_f32_e64 s7, v4, v9
	v_cndmask_b32_e64 v4, v9, v4, s7
	v_cmp_gt_i32_e64 s7, 64, v3
	ds_bpermute_b32 v15, v0, v4
	v_cndmask_b32_e64 v3, v14, v3, s7
	v_lshlrev_b32_e32 v3, 2, v3
	s_waitcnt lgkmcnt(0)
	v_cmp_lt_f32_e64 s7, v4, v15
	v_cndmask_b32_e64 v15, v4, v15, s7
	v_xor_b32_e32 v4, 8, v14
	ds_bpermute_b32 v16, v3, v15
	v_cmp_gt_i32_e64 s7, 64, v4
	v_cndmask_b32_e64 v4, v14, v4, s7
	v_lshlrev_b32_e32 v4, 2, v4
	s_waitcnt lgkmcnt(0)
	v_cmp_lt_f32_e64 s7, v15, v16
	v_cndmask_b32_e64 v15, v15, v16, s7
	v_cmp_gt_i32_e64 s7, 64, v17
	ds_bpermute_b32 v16, v4, v15
	v_cndmask_b32_e64 v17, v14, v17, s7
	v_lshlrev_b32_e32 v17, 2, v17
	s_waitcnt lgkmcnt(0)
	v_cmp_lt_f32_e64 s7, v15, v16
	v_cndmask_b32_e64 v15, v15, v16, s7
	v_cmp_gt_i32_e64 s7, 64, v18
	ds_bpermute_b32 v16, v17, v15
	;; [unrolled: 7-line block ×3, first 2 shown]
	v_cndmask_b32_e64 v14, v14, v19, s7
	v_lshlrev_b32_e32 v14, 2, v14
	s_waitcnt lgkmcnt(0)
	v_cmp_lt_f32_e64 s7, v15, v16
	v_cndmask_b32_e64 v15, v15, v16, s7
	ds_bpermute_b32 v16, v14, v15
	s_waitcnt lgkmcnt(0)
	v_cmp_lt_f32_e64 s7, v15, v16
	v_cndmask_b32_e64 v15, v15, v16, s7
	v_sub_f32_e32 v10, v10, v15
	v_sub_f32_e32 v6, v6, v15
	v_sub_f32_e32 v11, v11, v15
	v_sub_f32_e32 v7, v7, v15
	v_sub_f32_e32 v16, v12, v15
	v_sub_f32_e32 v8, v8, v15
	v_sub_f32_e32 v19, v13, v15
	v_sub_f32_e32 v15, v9, v15
	v_mul_f32_e32 v9, 0x3fb8aa3b, v10
	v_mul_f32_e32 v12, 0x3fb8aa3b, v6
	;; [unrolled: 1-line block ×5, first 2 shown]
	v_fma_f32 v25, 0x3fb8aa3b, v10, -v9
	v_rndne_f32_e32 v26, v9
	v_fma_f32 v27, 0x3fb8aa3b, v6, -v12
	v_rndne_f32_e32 v28, v12
	v_fma_f32 v29, 0x3fb8aa3b, v11, -v13
	v_fmac_f32_e32 v25, 0x32a5705f, v10
	v_sub_f32_e32 v9, v9, v26
	v_rndne_f32_e32 v30, v13
	v_fmac_f32_e32 v27, 0x32a5705f, v6
	v_sub_f32_e32 v12, v12, v28
	v_fma_f32 v37, 0x3fb8aa3b, v19, -v23
	v_add_f32_e32 v9, v9, v25
	v_rndne_f32_e32 v38, v23
	v_fmac_f32_e32 v29, 0x32a5705f, v11
	v_sub_f32_e32 v13, v13, v30
	v_add_f32_e32 v12, v12, v27
	v_exp_f32_e32 v9, v9
	v_cvt_i32_f32_e32 v26, v26
	v_fmac_f32_e32 v37, 0x32a5705f, v19
	v_sub_f32_e32 v23, v23, v38
	v_add_f32_e32 v13, v13, v29
	v_exp_f32_e32 v12, v12
	v_fma_f32 v31, 0x3fb8aa3b, v7, -v20
	v_rndne_f32_e32 v32, v20
	v_cvt_i32_f32_e32 v28, v28
	v_add_f32_e32 v23, v23, v37
	v_exp_f32_e32 v13, v13
	v_ldexp_f32 v9, v9, v26
	v_cmp_ngt_f32_e64 s7, 0xc2ce8ed0, v10
	v_mul_f32_e32 v21, 0x3fb8aa3b, v16
	v_cvt_i32_f32_e32 v30, v30
	v_fmac_f32_e32 v31, 0x32a5705f, v7
	v_sub_f32_e32 v20, v20, v32
	v_exp_f32_e32 v23, v23
	v_ldexp_f32 v12, v12, v28
	v_cndmask_b32_e64 v9, 0, v9, s7
	v_cmp_ngt_f32_e64 s7, 0xc2ce8ed0, v6
	v_fma_f32 v33, 0x3fb8aa3b, v16, -v21
	v_rndne_f32_e32 v34, v21
	v_add_f32_e32 v20, v20, v31
	v_cvt_i32_f32_e32 v25, v38
	v_ldexp_f32 v13, v13, v30
	v_cndmask_b32_e64 v12, 0, v12, s7
	v_cmp_ngt_f32_e64 s7, 0xc2ce8ed0, v11
	v_mul_f32_e32 v22, 0x3fb8aa3b, v8
	v_fmac_f32_e32 v33, 0x32a5705f, v16
	v_sub_f32_e32 v21, v21, v34
	v_exp_f32_e32 v20, v20
	v_ldexp_f32 v23, v23, v25
	v_cndmask_b32_e64 v25, 0, v13, s7
	v_cmp_nlt_f32_e64 s7, 0x42b17218, v10
	v_fma_f32 v35, 0x3fb8aa3b, v8, -v22
	v_rndne_f32_e32 v36, v22
	v_cvt_i32_f32_e32 v32, v32
	v_add_f32_e32 v21, v21, v33
	v_cndmask_b32_e64 v13, 0x7f800000, v9, s7
	v_cmp_nlt_f32_e64 s7, 0x42b17218, v6
	v_fmac_f32_e32 v35, 0x32a5705f, v8
	v_sub_f32_e32 v22, v22, v36
	v_exp_f32_e32 v21, v21
	v_ldexp_f32 v20, v20, v32
	v_cndmask_b32_e64 v12, 0x7f800000, v12, s7
	v_cmp_ngt_f32_e64 s7, 0xc2ce8ed0, v7
	v_cvt_i32_f32_e32 v34, v34
	v_add_f32_e32 v22, v22, v35
	v_mul_f32_e32 v24, 0x3fb8aa3b, v15
	v_cvt_i32_f32_e32 v36, v36
	v_cndmask_b32_e64 v6, 0, v20, s7
	v_cmp_nlt_f32_e64 s7, 0x42b17218, v11
	v_exp_f32_e32 v22, v22
	v_ldexp_f32 v21, v21, v34
	v_fma_f32 v39, 0x3fb8aa3b, v15, -v24
	v_rndne_f32_e32 v40, v24
	v_cndmask_b32_e64 v11, 0x7f800000, v25, s7
	v_cmp_ngt_f32_e64 s7, 0xc2ce8ed0, v16
	v_add_f32_e32 v9, v13, v12
	v_fmac_f32_e32 v39, 0x32a5705f, v15
	v_sub_f32_e32 v24, v24, v40
	v_cvt_i32_f32_e32 v27, v40
	v_cndmask_b32_e64 v20, 0, v21, s7
	v_cmp_nlt_f32_e64 s7, 0x42b17218, v7
	v_ldexp_f32 v22, v22, v36
	v_add_f32_e32 v24, v24, v39
	v_cndmask_b32_e64 v10, 0x7f800000, v6, s7
	v_cmp_ngt_f32_e64 s7, 0xc2ce8ed0, v8
	v_add_f32_e32 v6, v9, v11
	v_exp_f32_e32 v24, v24
	v_cndmask_b32_e64 v7, 0, v22, s7
	v_cmp_nlt_f32_e64 s7, 0x42b17218, v16
	v_add_f32_e32 v6, v6, v10
	v_cndmask_b32_e64 v9, 0x7f800000, v20, s7
	v_cmp_ngt_f32_e64 s7, 0xc2ce8ed0, v19
	v_ldexp_f32 v20, v24, v27
	v_add_f32_e32 v6, v6, v9
	v_cndmask_b32_e64 v16, 0, v23, s7
	v_cmp_nlt_f32_e64 s7, 0x42b17218, v8
	v_cndmask_b32_e64 v8, 0x7f800000, v7, s7
	v_cmp_nlt_f32_e64 s7, 0x42b17218, v19
	v_add_f32_e32 v6, v6, v8
	v_cndmask_b32_e64 v7, 0x7f800000, v16, s7
	v_cmp_ngt_f32_e64 s7, 0xc2ce8ed0, v15
	v_add_f32_e32 v19, v6, v7
	v_cndmask_b32_e64 v16, 0, v20, s7
	v_cmp_nlt_f32_e64 s7, 0x42b17218, v15
	v_cndmask_b32_e64 v6, 0x7f800000, v16, s7
	v_add_f32_e32 v15, v19, v6
	ds_bpermute_b32 v0, v0, v15
	s_waitcnt lgkmcnt(0)
	v_add_f32_e32 v0, v15, v0
	ds_bpermute_b32 v3, v3, v0
	s_waitcnt lgkmcnt(0)
	v_add_f32_e32 v0, v0, v3
	ds_bpermute_b32 v3, v4, v0
	s_waitcnt lgkmcnt(0)
	v_add_f32_e32 v0, v0, v3
	ds_bpermute_b32 v3, v17, v0
	s_waitcnt lgkmcnt(0)
	v_add_f32_e32 v0, v0, v3
	ds_bpermute_b32 v3, v18, v0
	s_waitcnt lgkmcnt(0)
	v_add_f32_e32 v0, v0, v3
	ds_bpermute_b32 v3, v14, v0
	v_cmpx_lt_i32_e32 0, v5
	s_cbranch_execz .LBB502_26
; %bb.17:
	s_and_b32 exec_lo, exec_lo, vcc_lo
	s_cbranch_execz .LBB502_26
; %bb.18:
	s_waitcnt lgkmcnt(0)
	v_add_f32_e32 v3, v0, v3
	v_div_scale_f32 v0, null, v3, v3, v13
	v_div_scale_f32 v14, vcc_lo, v13, v3, v13
	v_cmp_eq_f32_e64 s7, 0, v3
	v_rcp_f32_e32 v4, v0
	v_fma_f32 v5, -v0, v4, 1.0
	v_fmac_f32_e32 v4, v5, v4
	v_mul_f32_e32 v5, v14, v4
	v_fma_f32 v15, -v0, v5, v14
	v_fmac_f32_e32 v5, v15, v4
	v_fma_f32 v0, -v0, v5, v14
	v_div_fmas_f32 v4, v0, v4, v5
	v_lshlrev_b64 v[0:1], 2, v[1:2]
	v_div_fixup_f32 v2, v4, v3, v13
	v_add_co_u32 v0, vcc_lo, s8, v0
	v_add_co_ci_u32_e64 v1, null, s9, v1, vcc_lo
	v_cndmask_b32_e64 v2, v2, 0x7fc00000, s7
	global_store_dword v[0:1], v2, off
	s_and_b32 exec_lo, exec_lo, s6
	s_cbranch_execz .LBB502_26
; %bb.19:
	v_div_scale_f32 v2, null, v3, v3, v12
	v_rcp_f32_e32 v4, v2
	v_fma_f32 v5, -v2, v4, 1.0
	v_fmac_f32_e32 v4, v5, v4
	v_div_scale_f32 v5, vcc_lo, v12, v3, v12
	v_mul_f32_e32 v13, v5, v4
	v_fma_f32 v14, -v2, v13, v5
	v_fmac_f32_e32 v13, v14, v4
	v_fma_f32 v2, -v2, v13, v5
	v_div_fmas_f32 v2, v2, v4, v13
	v_div_fixup_f32 v2, v2, v3, v12
	v_cndmask_b32_e64 v2, v2, 0x7fc00000, s7
	global_store_dword v[0:1], v2, off offset:256
	s_and_b32 exec_lo, exec_lo, s5
	s_cbranch_execz .LBB502_26
; %bb.20:
	v_div_scale_f32 v2, null, v3, v3, v11
	v_rcp_f32_e32 v4, v2
	v_fma_f32 v5, -v2, v4, 1.0
	v_fmac_f32_e32 v4, v5, v4
	v_div_scale_f32 v5, vcc_lo, v11, v3, v11
	v_mul_f32_e32 v12, v5, v4
	v_fma_f32 v13, -v2, v12, v5
	v_fmac_f32_e32 v12, v13, v4
	v_fma_f32 v2, -v2, v12, v5
	v_div_fmas_f32 v2, v2, v4, v12
	v_div_fixup_f32 v2, v2, v3, v11
	v_cndmask_b32_e64 v2, v2, 0x7fc00000, s7
	global_store_dword v[0:1], v2, off offset:512
	;; [unrolled: 16-line block ×7, first 2 shown]
.LBB502_26:
	s_endpgm
	.section	.rodata,"a",@progbits
	.p2align	6, 0x0
	.amdhsa_kernel _ZN12_GLOBAL__N_120softmax_warp_forwardIN3c108BFloat16EffLi9ELb0ELb0ELi64EEEvPT0_PKT_iiiPKbib
		.amdhsa_group_segment_fixed_size 0
		.amdhsa_private_segment_fixed_size 0
		.amdhsa_kernarg_size 304
		.amdhsa_user_sgpr_count 6
		.amdhsa_user_sgpr_private_segment_buffer 1
		.amdhsa_user_sgpr_dispatch_ptr 0
		.amdhsa_user_sgpr_queue_ptr 0
		.amdhsa_user_sgpr_kernarg_segment_ptr 1
		.amdhsa_user_sgpr_dispatch_id 0
		.amdhsa_user_sgpr_flat_scratch_init 0
		.amdhsa_user_sgpr_private_segment_size 0
		.amdhsa_wavefront_size32 1
		.amdhsa_uses_dynamic_stack 0
		.amdhsa_system_sgpr_private_segment_wavefront_offset 0
		.amdhsa_system_sgpr_workgroup_id_x 1
		.amdhsa_system_sgpr_workgroup_id_y 0
		.amdhsa_system_sgpr_workgroup_id_z 0
		.amdhsa_system_sgpr_workgroup_info 0
		.amdhsa_system_vgpr_workitem_id 1
		.amdhsa_next_free_vgpr 41
		.amdhsa_next_free_sgpr 16
		.amdhsa_reserve_vcc 1
		.amdhsa_reserve_flat_scratch 0
		.amdhsa_float_round_mode_32 0
		.amdhsa_float_round_mode_16_64 0
		.amdhsa_float_denorm_mode_32 3
		.amdhsa_float_denorm_mode_16_64 3
		.amdhsa_dx10_clamp 1
		.amdhsa_ieee_mode 1
		.amdhsa_fp16_overflow 0
		.amdhsa_workgroup_processor_mode 1
		.amdhsa_memory_ordered 1
		.amdhsa_forward_progress 1
		.amdhsa_shared_vgpr_count 0
		.amdhsa_exception_fp_ieee_invalid_op 0
		.amdhsa_exception_fp_denorm_src 0
		.amdhsa_exception_fp_ieee_div_zero 0
		.amdhsa_exception_fp_ieee_overflow 0
		.amdhsa_exception_fp_ieee_underflow 0
		.amdhsa_exception_fp_ieee_inexact 0
		.amdhsa_exception_int_div_zero 0
	.end_amdhsa_kernel
	.section	.text._ZN12_GLOBAL__N_120softmax_warp_forwardIN3c108BFloat16EffLi9ELb0ELb0ELi64EEEvPT0_PKT_iiiPKbib,"axG",@progbits,_ZN12_GLOBAL__N_120softmax_warp_forwardIN3c108BFloat16EffLi9ELb0ELb0ELi64EEEvPT0_PKT_iiiPKbib,comdat
.Lfunc_end502:
	.size	_ZN12_GLOBAL__N_120softmax_warp_forwardIN3c108BFloat16EffLi9ELb0ELb0ELi64EEEvPT0_PKT_iiiPKbib, .Lfunc_end502-_ZN12_GLOBAL__N_120softmax_warp_forwardIN3c108BFloat16EffLi9ELb0ELb0ELi64EEEvPT0_PKT_iiiPKbib
                                        ; -- End function
	.set _ZN12_GLOBAL__N_120softmax_warp_forwardIN3c108BFloat16EffLi9ELb0ELb0ELi64EEEvPT0_PKT_iiiPKbib.num_vgpr, 41
	.set _ZN12_GLOBAL__N_120softmax_warp_forwardIN3c108BFloat16EffLi9ELb0ELb0ELi64EEEvPT0_PKT_iiiPKbib.num_agpr, 0
	.set _ZN12_GLOBAL__N_120softmax_warp_forwardIN3c108BFloat16EffLi9ELb0ELb0ELi64EEEvPT0_PKT_iiiPKbib.numbered_sgpr, 16
	.set _ZN12_GLOBAL__N_120softmax_warp_forwardIN3c108BFloat16EffLi9ELb0ELb0ELi64EEEvPT0_PKT_iiiPKbib.num_named_barrier, 0
	.set _ZN12_GLOBAL__N_120softmax_warp_forwardIN3c108BFloat16EffLi9ELb0ELb0ELi64EEEvPT0_PKT_iiiPKbib.private_seg_size, 0
	.set _ZN12_GLOBAL__N_120softmax_warp_forwardIN3c108BFloat16EffLi9ELb0ELb0ELi64EEEvPT0_PKT_iiiPKbib.uses_vcc, 1
	.set _ZN12_GLOBAL__N_120softmax_warp_forwardIN3c108BFloat16EffLi9ELb0ELb0ELi64EEEvPT0_PKT_iiiPKbib.uses_flat_scratch, 0
	.set _ZN12_GLOBAL__N_120softmax_warp_forwardIN3c108BFloat16EffLi9ELb0ELb0ELi64EEEvPT0_PKT_iiiPKbib.has_dyn_sized_stack, 0
	.set _ZN12_GLOBAL__N_120softmax_warp_forwardIN3c108BFloat16EffLi9ELb0ELb0ELi64EEEvPT0_PKT_iiiPKbib.has_recursion, 0
	.set _ZN12_GLOBAL__N_120softmax_warp_forwardIN3c108BFloat16EffLi9ELb0ELb0ELi64EEEvPT0_PKT_iiiPKbib.has_indirect_call, 0
	.section	.AMDGPU.csdata,"",@progbits
; Kernel info:
; codeLenInByte = 2752
; TotalNumSgprs: 18
; NumVgprs: 41
; ScratchSize: 0
; MemoryBound: 0
; FloatMode: 240
; IeeeMode: 1
; LDSByteSize: 0 bytes/workgroup (compile time only)
; SGPRBlocks: 0
; VGPRBlocks: 5
; NumSGPRsForWavesPerEU: 18
; NumVGPRsForWavesPerEU: 41
; Occupancy: 16
; WaveLimiterHint : 0
; COMPUTE_PGM_RSRC2:SCRATCH_EN: 0
; COMPUTE_PGM_RSRC2:USER_SGPR: 6
; COMPUTE_PGM_RSRC2:TRAP_HANDLER: 0
; COMPUTE_PGM_RSRC2:TGID_X_EN: 1
; COMPUTE_PGM_RSRC2:TGID_Y_EN: 0
; COMPUTE_PGM_RSRC2:TGID_Z_EN: 0
; COMPUTE_PGM_RSRC2:TIDIG_COMP_CNT: 1
	.section	.text._ZN12_GLOBAL__N_120softmax_warp_forwardIN3c108BFloat16EffLi9ELb0ELb0ELi32EEEvPT0_PKT_iiiPKbib,"axG",@progbits,_ZN12_GLOBAL__N_120softmax_warp_forwardIN3c108BFloat16EffLi9ELb0ELb0ELi32EEEvPT0_PKT_iiiPKbib,comdat
	.globl	_ZN12_GLOBAL__N_120softmax_warp_forwardIN3c108BFloat16EffLi9ELb0ELb0ELi32EEEvPT0_PKT_iiiPKbib ; -- Begin function _ZN12_GLOBAL__N_120softmax_warp_forwardIN3c108BFloat16EffLi9ELb0ELb0ELi32EEEvPT0_PKT_iiiPKbib
	.p2align	8
	.type	_ZN12_GLOBAL__N_120softmax_warp_forwardIN3c108BFloat16EffLi9ELb0ELb0ELi32EEEvPT0_PKT_iiiPKbib,@function
_ZN12_GLOBAL__N_120softmax_warp_forwardIN3c108BFloat16EffLi9ELb0ELb0ELi32EEEvPT0_PKT_iiiPKbib: ; @_ZN12_GLOBAL__N_120softmax_warp_forwardIN3c108BFloat16EffLi9ELb0ELb0ELi32EEEvPT0_PKT_iiiPKbib
; %bb.0:
	s_clause 0x1
	s_load_dword s0, s[4:5], 0x3c
	s_load_dwordx8 s[16:23], s[4:5], 0x0
	v_mov_b32_e32 v9, 0xff800000
	v_mov_b32_e32 v8, 0xff800000
	s_waitcnt lgkmcnt(0)
	s_lshr_b32 s0, s0, 16
	v_cmp_gt_i32_e32 vcc_lo, s22, v0
	v_mad_u64_u32 v[3:4], null, s6, s0, v[1:2]
	v_mad_u64_u32 v[1:2], null, v3, s21, v[0:1]
	v_sub_nc_u32_e32 v5, s20, v3
	v_cmp_lt_i32_e64 s15, 0, v5
	v_ashrrev_i32_e32 v2, 31, v1
	s_and_b32 s1, s15, vcc_lo
	v_lshlrev_b64 v[3:4], 1, v[1:2]
	v_add_co_u32 v3, s0, s18, v3
	v_add_co_ci_u32_e64 v4, null, s19, v4, s0
	s_and_saveexec_b32 s0, s1
	s_cbranch_execz .LBB503_2
; %bb.1:
	global_load_ushort v6, v[3:4], off
	s_waitcnt vmcnt(0)
	v_lshlrev_b32_e32 v8, 16, v6
.LBB503_2:
	s_or_b32 exec_lo, exec_lo, s0
	v_add_nc_u32_e32 v6, 32, v0
	v_cmp_gt_i32_e64 s14, s22, v6
	s_and_b32 s1, s15, s14
	s_and_saveexec_b32 s0, s1
	s_cbranch_execz .LBB503_4
; %bb.3:
	global_load_ushort v6, v[3:4], off offset:64
	s_waitcnt vmcnt(0)
	v_lshlrev_b32_e32 v9, 16, v6
.LBB503_4:
	s_or_b32 exec_lo, exec_lo, s0
	v_add_nc_u32_e32 v6, 64, v0
	v_mov_b32_e32 v11, 0xff800000
	v_mov_b32_e32 v10, 0xff800000
	v_cmp_gt_i32_e64 s13, s22, v6
	s_and_b32 s1, s15, s13
	s_and_saveexec_b32 s0, s1
	s_cbranch_execz .LBB503_6
; %bb.5:
	global_load_ushort v6, v[3:4], off offset:128
	s_waitcnt vmcnt(0)
	v_lshlrev_b32_e32 v10, 16, v6
.LBB503_6:
	s_or_b32 exec_lo, exec_lo, s0
	v_add_nc_u32_e32 v6, 0x60, v0
	v_cmp_gt_i32_e64 s12, s22, v6
	s_and_b32 s1, s15, s12
	s_and_saveexec_b32 s0, s1
	s_cbranch_execz .LBB503_8
; %bb.7:
	global_load_ushort v6, v[3:4], off offset:192
	s_waitcnt vmcnt(0)
	v_lshlrev_b32_e32 v11, 16, v6
.LBB503_8:
	s_or_b32 exec_lo, exec_lo, s0
	v_add_nc_u32_e32 v6, 0x80, v0
	v_mov_b32_e32 v12, 0xff800000
	v_mov_b32_e32 v18, 0xff800000
	v_cmp_gt_i32_e64 s11, s22, v6
	s_and_b32 s1, s15, s11
	s_and_saveexec_b32 s0, s1
	s_cbranch_execz .LBB503_10
; %bb.9:
	global_load_ushort v6, v[3:4], off offset:256
	s_waitcnt vmcnt(0)
	v_lshlrev_b32_e32 v18, 16, v6
.LBB503_10:
	;; [unrolled: 24-line block ×7, first 2 shown]
	s_or_b32 exec_lo, exec_lo, s0
	v_add_nc_u32_e32 v0, 0x1e0, v0
	v_cmp_gt_i32_e64 s0, s22, v0
	s_and_b32 s18, s15, s0
	s_and_saveexec_b32 s15, s18
	s_cbranch_execz .LBB503_32
; %bb.31:
	global_load_ushort v0, v[3:4], off offset:960
	s_waitcnt vmcnt(0)
	v_lshlrev_b32_e32 v17, 16, v0
.LBB503_32:
	s_or_b32 exec_lo, exec_lo, s15
	v_cmp_gt_f32_e64 s15, v8, v9
	v_mbcnt_lo_u32_b32 v7, -1, 0
	s_mov_b32 s18, exec_lo
	v_cndmask_b32_e64 v0, v9, v8, s15
	v_xor_b32_e32 v3, 16, v7
	v_xor_b32_e32 v26, 1, v7
	v_cmp_gt_f32_e64 s15, v0, v10
	v_cndmask_b32_e64 v0, v10, v0, s15
	v_cmp_gt_f32_e64 s15, v0, v11
	v_cndmask_b32_e64 v0, v11, v0, s15
	;; [unrolled: 2-line block ×12, first 2 shown]
	v_cmp_gt_i32_e64 s15, 32, v3
	v_cndmask_b32_e64 v3, v7, v3, s15
	v_cmp_gt_f32_e64 s15, v0, v23
	v_cndmask_b32_e64 v4, v23, v0, s15
	v_lshlrev_b32_e32 v0, 2, v3
	v_xor_b32_e32 v3, 8, v7
	v_cmp_gt_f32_e64 s15, v4, v17
	v_cndmask_b32_e64 v4, v17, v4, s15
	v_cmp_gt_i32_e64 s15, 32, v3
	ds_bpermute_b32 v6, v0, v4
	v_cndmask_b32_e64 v3, v7, v3, s15
	v_lshlrev_b32_e32 v3, 2, v3
	s_waitcnt lgkmcnt(0)
	v_cmp_lt_f32_e64 s15, v4, v6
	v_cndmask_b32_e64 v6, v4, v6, s15
	v_xor_b32_e32 v4, 4, v7
	ds_bpermute_b32 v24, v3, v6
	v_cmp_gt_i32_e64 s15, 32, v4
	v_cndmask_b32_e64 v4, v7, v4, s15
	v_lshlrev_b32_e32 v4, 2, v4
	s_waitcnt lgkmcnt(0)
	v_cmp_lt_f32_e64 s15, v6, v24
	v_cndmask_b32_e64 v24, v6, v24, s15
	v_xor_b32_e32 v6, 2, v7
	ds_bpermute_b32 v25, v4, v24
	v_cmp_gt_i32_e64 s15, 32, v6
	v_cndmask_b32_e64 v6, v7, v6, s15
	v_lshlrev_b32_e32 v6, 2, v6
	s_waitcnt lgkmcnt(0)
	v_cmp_lt_f32_e64 s15, v24, v25
	v_cndmask_b32_e64 v24, v24, v25, s15
	v_cmp_gt_i32_e64 s15, 32, v26
	ds_bpermute_b32 v25, v6, v24
	v_cndmask_b32_e64 v7, v7, v26, s15
	v_lshlrev_b32_e32 v7, 2, v7
	s_waitcnt lgkmcnt(0)
	v_cmp_lt_f32_e64 s15, v24, v25
	v_cndmask_b32_e64 v24, v24, v25, s15
	ds_bpermute_b32 v25, v7, v24
	s_waitcnt lgkmcnt(0)
	v_cmp_lt_f32_e64 s15, v24, v25
	v_cndmask_b32_e64 v24, v24, v25, s15
	v_sub_f32_e32 v8, v8, v24
	v_sub_f32_e32 v9, v9, v24
	;; [unrolled: 1-line block ×5, first 2 shown]
	v_mul_f32_e32 v16, 0x3fb8aa3b, v8
	v_mul_f32_e32 v17, 0x3fb8aa3b, v9
	v_sub_f32_e32 v30, v23, v24
	v_mul_f32_e32 v23, 0x3fb8aa3b, v10
	v_sub_f32_e32 v13, v13, v24
	v_fma_f32 v40, 0x3fb8aa3b, v8, -v16
	v_rndne_f32_e32 v41, v16
	v_fma_f32 v42, 0x3fb8aa3b, v9, -v17
	v_rndne_f32_e32 v43, v17
	v_fma_f32 v44, 0x3fb8aa3b, v10, -v23
	v_fmac_f32_e32 v40, 0x32a5705f, v8
	v_sub_f32_e32 v16, v16, v41
	v_rndne_f32_e32 v45, v23
	v_fmac_f32_e32 v42, 0x32a5705f, v9
	v_sub_f32_e32 v17, v17, v43
	v_sub_f32_e32 v11, v11, v24
	v_add_f32_e32 v16, v16, v40
	v_sub_f32_e32 v19, v19, v24
	v_mul_f32_e32 v28, 0x3fb8aa3b, v13
	v_fmac_f32_e32 v44, 0x32a5705f, v10
	v_sub_f32_e32 v23, v23, v45
	v_add_f32_e32 v17, v17, v42
	v_exp_f32_e32 v16, v16
	v_sub_f32_e32 v18, v18, v24
	v_sub_f32_e32 v12, v12, v24
	;; [unrolled: 1-line block ×7, first 2 shown]
	v_mul_f32_e32 v24, 0x3fb8aa3b, v11
	v_mul_f32_e32 v27, 0x3fb8aa3b, v19
	v_fma_f32 v54, 0x3fb8aa3b, v13, -v28
	v_rndne_f32_e32 v55, v28
	v_add_f32_e32 v23, v23, v44
	v_cvt_i32_f32_e32 v41, v41
	v_exp_f32_e32 v17, v17
	v_fma_f32 v46, 0x3fb8aa3b, v11, -v24
	v_rndne_f32_e32 v47, v24
	v_fma_f32 v52, 0x3fb8aa3b, v19, -v27
	v_rndne_f32_e32 v53, v27
	v_fmac_f32_e32 v54, 0x32a5705f, v13
	v_sub_f32_e32 v28, v28, v55
	v_cvt_i32_f32_e32 v43, v43
	v_exp_f32_e32 v23, v23
	v_ldexp_f32 v16, v16, v41
	v_cmp_ngt_f32_e64 s15, 0xc2ce8ed0, v8
	v_mul_f32_e32 v25, 0x3fb8aa3b, v18
	v_mul_f32_e32 v26, 0x3fb8aa3b, v12
	v_fmac_f32_e32 v46, 0x32a5705f, v11
	v_sub_f32_e32 v24, v24, v47
	v_fmac_f32_e32 v52, 0x32a5705f, v19
	v_sub_f32_e32 v27, v27, v53
	v_add_f32_e32 v28, v28, v54
	v_cvt_i32_f32_e32 v45, v45
	v_ldexp_f32 v17, v17, v43
	v_cndmask_b32_e64 v16, 0, v16, s15
	v_cmp_ngt_f32_e64 s15, 0xc2ce8ed0, v9
	v_fma_f32 v48, 0x3fb8aa3b, v18, -v25
	v_rndne_f32_e32 v49, v25
	v_fma_f32 v50, 0x3fb8aa3b, v12, -v26
	v_rndne_f32_e32 v51, v26
	v_add_f32_e32 v24, v24, v46
	v_add_f32_e32 v27, v27, v52
	v_exp_f32_e32 v28, v28
	v_ldexp_f32 v23, v23, v45
	v_cndmask_b32_e64 v17, 0, v17, s15
	v_cmp_ngt_f32_e64 s15, 0xc2ce8ed0, v10
	v_fmac_f32_e32 v48, 0x32a5705f, v18
	v_sub_f32_e32 v25, v25, v49
	v_fmac_f32_e32 v50, 0x32a5705f, v12
	v_sub_f32_e32 v26, v26, v51
	v_cvt_i32_f32_e32 v55, v55
	v_exp_f32_e32 v24, v24
	v_exp_f32_e32 v27, v27
	v_cndmask_b32_e64 v23, 0, v23, s15
	v_cmp_nlt_f32_e64 s15, 0x42b17218, v8
	v_mul_f32_e32 v35, 0x3fb8aa3b, v15
	v_add_f32_e32 v25, v25, v48
	v_add_f32_e32 v26, v26, v50
	v_cvt_i32_f32_e32 v47, v47
	v_cvt_i32_f32_e32 v53, v53
	v_ldexp_f32 v43, v28, v55
	v_cndmask_b32_e64 v28, 0x7f800000, v16, s15
	v_cmp_nlt_f32_e64 s15, 0x42b17218, v9
	v_fma_f32 v40, 0x3fb8aa3b, v15, -v35
	v_rndne_f32_e32 v42, v35
	v_exp_f32_e32 v25, v25
	v_exp_f32_e32 v26, v26
	v_ldexp_f32 v24, v24, v47
	v_ldexp_f32 v41, v27, v53
	v_cndmask_b32_e64 v27, 0x7f800000, v17, s15
	v_cmp_ngt_f32_e64 s15, 0xc2ce8ed0, v11
	v_cvt_i32_f32_e32 v49, v49
	v_cvt_i32_f32_e32 v51, v51
	v_fmac_f32_e32 v40, 0x32a5705f, v15
	v_sub_f32_e32 v35, v35, v42
	v_cndmask_b32_e64 v8, 0, v24, s15
	v_cmp_nlt_f32_e64 s15, 0x42b17218, v10
	v_ldexp_f32 v25, v25, v49
	v_mul_f32_e32 v32, 0x3fb8aa3b, v20
	v_add_f32_e32 v35, v35, v40
	v_ldexp_f32 v40, v26, v51
	v_cndmask_b32_e64 v26, 0x7f800000, v23, s15
	v_cmp_ngt_f32_e64 s15, 0xc2ce8ed0, v18
	v_add_f32_e32 v9, v28, v27
	v_fma_f32 v56, 0x3fb8aa3b, v20, -v32
	v_rndne_f32_e32 v57, v32
	v_mul_f32_e32 v33, 0x3fb8aa3b, v14
	v_cndmask_b32_e64 v10, 0, v25, s15
	v_cmp_nlt_f32_e64 s15, 0x42b17218, v11
	v_fmac_f32_e32 v56, 0x32a5705f, v20
	v_sub_f32_e32 v32, v32, v57
	v_fma_f32 v58, 0x3fb8aa3b, v14, -v33
	v_rndne_f32_e32 v59, v33
	v_cndmask_b32_e64 v25, 0x7f800000, v8, s15
	v_cmp_ngt_f32_e64 s15, 0xc2ce8ed0, v12
	v_add_f32_e32 v8, v9, v26
	v_add_f32_e32 v32, v32, v56
	v_mul_f32_e32 v34, 0x3fb8aa3b, v21
	v_fmac_f32_e32 v58, 0x32a5705f, v14
	v_cndmask_b32_e64 v9, 0, v40, s15
	v_cmp_nlt_f32_e64 s15, 0x42b17218, v18
	v_sub_f32_e32 v33, v33, v59
	v_exp_f32_e32 v32, v32
	v_fma_f32 v60, 0x3fb8aa3b, v21, -v34
	v_rndne_f32_e32 v61, v34
	v_cndmask_b32_e64 v24, 0x7f800000, v10, s15
	v_cmp_ngt_f32_e64 s15, 0xc2ce8ed0, v19
	v_add_f32_e32 v33, v33, v58
	v_cvt_i32_f32_e32 v57, v57
	v_fmac_f32_e32 v60, 0x32a5705f, v21
	v_sub_f32_e32 v34, v34, v61
	v_cndmask_b32_e64 v10, 0, v41, s15
	v_cmp_nlt_f32_e64 s15, 0x42b17218, v12
	v_exp_f32_e32 v33, v33
	v_ldexp_f32 v32, v32, v57
	v_cvt_i32_f32_e32 v59, v59
	v_add_f32_e32 v34, v34, v60
	v_cndmask_b32_e64 v23, 0x7f800000, v9, s15
	v_cmp_ngt_f32_e64 s15, 0xc2ce8ed0, v13
	v_mul_f32_e32 v36, 0x3fb8aa3b, v22
	v_cvt_i32_f32_e32 v61, v61
	v_exp_f32_e32 v34, v34
	v_mul_f32_e32 v37, 0x3fb8aa3b, v29
	v_cndmask_b32_e64 v9, 0, v43, s15
	v_cmp_nlt_f32_e64 s15, 0x42b17218, v19
	v_ldexp_f32 v33, v33, v59
	v_fma_f32 v44, 0x3fb8aa3b, v22, -v36
	v_rndne_f32_e32 v46, v36
	v_exp_f32_e32 v35, v35
	v_cndmask_b32_e64 v18, 0x7f800000, v10, s15
	v_cmp_ngt_f32_e64 s15, 0xc2ce8ed0, v20
	v_fmac_f32_e32 v44, 0x32a5705f, v22
	v_sub_f32_e32 v36, v36, v46
	v_ldexp_f32 v34, v34, v61
	v_fma_f32 v48, 0x3fb8aa3b, v29, -v37
	v_cndmask_b32_e64 v10, 0, v32, s15
	v_cmp_nlt_f32_e64 s15, 0x42b17218, v13
	v_rndne_f32_e32 v50, v37
	v_cvt_i32_f32_e32 v42, v42
	v_add_f32_e32 v36, v36, v44
	v_mul_f32_e32 v38, 0x3fb8aa3b, v30
	v_cndmask_b32_e64 v17, 0x7f800000, v9, s15
	v_cmp_ngt_f32_e64 s15, 0xc2ce8ed0, v14
	v_fmac_f32_e32 v48, 0x32a5705f, v29
	v_sub_f32_e32 v37, v37, v50
	v_exp_f32_e32 v36, v36
	v_ldexp_f32 v35, v35, v42
	v_cndmask_b32_e64 v9, 0, v33, s15
	v_cmp_nlt_f32_e64 s15, 0x42b17218, v20
	v_add_f32_e32 v8, v8, v25
	v_fma_f32 v52, 0x3fb8aa3b, v30, -v38
	v_rndne_f32_e32 v54, v38
	v_cvt_i32_f32_e32 v46, v46
	v_cndmask_b32_e64 v16, 0x7f800000, v10, s15
	v_cmp_ngt_f32_e64 s15, 0xc2ce8ed0, v21
	v_add_f32_e32 v37, v37, v48
	v_add_f32_e32 v8, v8, v24
	v_fmac_f32_e32 v52, 0x32a5705f, v30
	v_sub_f32_e32 v38, v38, v54
	v_cndmask_b32_e64 v10, 0, v34, s15
	v_cmp_nlt_f32_e64 s15, 0x42b17218, v14
	v_exp_f32_e32 v37, v37
	v_ldexp_f32 v36, v36, v46
	v_add_f32_e32 v8, v8, v23
	v_mul_f32_e32 v39, 0x3fb8aa3b, v31
	v_cndmask_b32_e64 v14, 0x7f800000, v9, s15
	v_cmp_ngt_f32_e64 s15, 0xc2ce8ed0, v15
	v_cvt_i32_f32_e32 v50, v50
	v_add_f32_e32 v38, v38, v52
	v_add_f32_e32 v8, v8, v18
	v_fma_f32 v56, 0x3fb8aa3b, v31, -v39
	v_cndmask_b32_e64 v9, 0, v35, s15
	v_cmp_nlt_f32_e64 s15, 0x42b17218, v21
	v_rndne_f32_e32 v58, v39
	v_exp_f32_e32 v38, v38
	v_ldexp_f32 v37, v37, v50
	v_add_f32_e32 v8, v8, v17
	v_cndmask_b32_e64 v13, 0x7f800000, v10, s15
	v_cmp_ngt_f32_e64 s15, 0xc2ce8ed0, v22
	v_cvt_i32_f32_e32 v54, v54
	v_fmac_f32_e32 v56, 0x32a5705f, v31
	v_sub_f32_e32 v39, v39, v58
	v_add_f32_e32 v8, v8, v16
	v_cndmask_b32_e64 v10, 0, v36, s15
	v_cmp_nlt_f32_e64 s15, 0x42b17218, v15
	v_ldexp_f32 v38, v38, v54
	v_add_f32_e32 v39, v39, v56
	v_add_f32_e32 v8, v8, v14
	v_cvt_i32_f32_e32 v58, v58
	v_cndmask_b32_e64 v12, 0x7f800000, v9, s15
	v_cmp_ngt_f32_e64 s15, 0xc2ce8ed0, v29
	v_exp_f32_e32 v39, v39
	v_add_f32_e32 v8, v8, v13
	v_cndmask_b32_e64 v9, 0, v37, s15
	v_cmp_nlt_f32_e64 s15, 0x42b17218, v22
	v_add_f32_e32 v8, v8, v12
	v_cndmask_b32_e64 v11, 0x7f800000, v10, s15
	v_cmp_ngt_f32_e64 s15, 0xc2ce8ed0, v30
	v_ldexp_f32 v19, v39, v58
	v_add_f32_e32 v8, v8, v11
	v_cndmask_b32_e64 v15, 0, v38, s15
	v_cmp_nlt_f32_e64 s15, 0x42b17218, v29
	v_cndmask_b32_e64 v10, 0x7f800000, v9, s15
	v_cmp_nlt_f32_e64 s15, 0x42b17218, v30
	v_add_f32_e32 v8, v8, v10
	v_cndmask_b32_e64 v9, 0x7f800000, v15, s15
	v_cmp_ngt_f32_e64 s15, 0xc2ce8ed0, v31
	v_cndmask_b32_e64 v15, 0, v19, s15
	v_cmp_nlt_f32_e64 s15, 0x42b17218, v31
	v_add_f32_e32 v19, v8, v9
	v_cndmask_b32_e64 v8, 0x7f800000, v15, s15
	v_add_f32_e32 v15, v19, v8
	ds_bpermute_b32 v0, v0, v15
	s_waitcnt lgkmcnt(0)
	v_add_f32_e32 v0, v15, v0
	ds_bpermute_b32 v3, v3, v0
	s_waitcnt lgkmcnt(0)
	v_add_f32_e32 v0, v0, v3
	ds_bpermute_b32 v3, v4, v0
	s_waitcnt lgkmcnt(0)
	v_add_f32_e32 v0, v0, v3
	ds_bpermute_b32 v3, v6, v0
	s_waitcnt lgkmcnt(0)
	v_add_f32_e32 v0, v0, v3
	ds_bpermute_b32 v3, v7, v0
	v_cmpx_lt_i32_e32 0, v5
	s_cbranch_execz .LBB503_50
; %bb.33:
	s_and_b32 exec_lo, exec_lo, vcc_lo
	s_cbranch_execz .LBB503_50
; %bb.34:
	s_waitcnt lgkmcnt(0)
	v_add_f32_e32 v3, v0, v3
	v_div_scale_f32 v0, null, v3, v3, v28
	v_div_scale_f32 v6, vcc_lo, v28, v3, v28
	v_cmp_eq_f32_e64 s15, 0, v3
	v_rcp_f32_e32 v4, v0
	v_fma_f32 v5, -v0, v4, 1.0
	v_fmac_f32_e32 v4, v5, v4
	v_mul_f32_e32 v5, v6, v4
	v_fma_f32 v7, -v0, v5, v6
	v_fmac_f32_e32 v5, v7, v4
	v_fma_f32 v0, -v0, v5, v6
	v_div_fmas_f32 v4, v0, v4, v5
	v_lshlrev_b64 v[0:1], 2, v[1:2]
	v_div_fixup_f32 v2, v4, v3, v28
	v_add_co_u32 v0, vcc_lo, s16, v0
	v_add_co_ci_u32_e64 v1, null, s17, v1, vcc_lo
	v_cndmask_b32_e64 v2, v2, 0x7fc00000, s15
	global_store_dword v[0:1], v2, off
	s_and_b32 exec_lo, exec_lo, s14
	s_cbranch_execz .LBB503_50
; %bb.35:
	v_div_scale_f32 v2, null, v3, v3, v27
	v_rcp_f32_e32 v4, v2
	v_fma_f32 v5, -v2, v4, 1.0
	v_fmac_f32_e32 v4, v5, v4
	v_div_scale_f32 v5, vcc_lo, v27, v3, v27
	v_mul_f32_e32 v6, v5, v4
	v_fma_f32 v7, -v2, v6, v5
	v_fmac_f32_e32 v6, v7, v4
	v_fma_f32 v2, -v2, v6, v5
	v_div_fmas_f32 v2, v2, v4, v6
	v_div_fixup_f32 v2, v2, v3, v27
	v_cndmask_b32_e64 v2, v2, 0x7fc00000, s15
	global_store_dword v[0:1], v2, off offset:128
	s_and_b32 exec_lo, exec_lo, s13
	s_cbranch_execz .LBB503_50
; %bb.36:
	v_div_scale_f32 v2, null, v3, v3, v26
	v_rcp_f32_e32 v4, v2
	v_fma_f32 v5, -v2, v4, 1.0
	v_fmac_f32_e32 v4, v5, v4
	v_div_scale_f32 v5, vcc_lo, v26, v3, v26
	v_mul_f32_e32 v6, v5, v4
	v_fma_f32 v7, -v2, v6, v5
	v_fmac_f32_e32 v6, v7, v4
	v_fma_f32 v2, -v2, v6, v5
	v_div_fmas_f32 v2, v2, v4, v6
	v_div_fixup_f32 v2, v2, v3, v26
	v_cndmask_b32_e64 v2, v2, 0x7fc00000, s15
	global_store_dword v[0:1], v2, off offset:256
	;; [unrolled: 16-line block ×15, first 2 shown]
.LBB503_50:
	s_endpgm
	.section	.rodata,"a",@progbits
	.p2align	6, 0x0
	.amdhsa_kernel _ZN12_GLOBAL__N_120softmax_warp_forwardIN3c108BFloat16EffLi9ELb0ELb0ELi32EEEvPT0_PKT_iiiPKbib
		.amdhsa_group_segment_fixed_size 0
		.amdhsa_private_segment_fixed_size 0
		.amdhsa_kernarg_size 304
		.amdhsa_user_sgpr_count 6
		.amdhsa_user_sgpr_private_segment_buffer 1
		.amdhsa_user_sgpr_dispatch_ptr 0
		.amdhsa_user_sgpr_queue_ptr 0
		.amdhsa_user_sgpr_kernarg_segment_ptr 1
		.amdhsa_user_sgpr_dispatch_id 0
		.amdhsa_user_sgpr_flat_scratch_init 0
		.amdhsa_user_sgpr_private_segment_size 0
		.amdhsa_wavefront_size32 1
		.amdhsa_uses_dynamic_stack 0
		.amdhsa_system_sgpr_private_segment_wavefront_offset 0
		.amdhsa_system_sgpr_workgroup_id_x 1
		.amdhsa_system_sgpr_workgroup_id_y 0
		.amdhsa_system_sgpr_workgroup_id_z 0
		.amdhsa_system_sgpr_workgroup_info 0
		.amdhsa_system_vgpr_workitem_id 1
		.amdhsa_next_free_vgpr 62
		.amdhsa_next_free_sgpr 24
		.amdhsa_reserve_vcc 1
		.amdhsa_reserve_flat_scratch 0
		.amdhsa_float_round_mode_32 0
		.amdhsa_float_round_mode_16_64 0
		.amdhsa_float_denorm_mode_32 3
		.amdhsa_float_denorm_mode_16_64 3
		.amdhsa_dx10_clamp 1
		.amdhsa_ieee_mode 1
		.amdhsa_fp16_overflow 0
		.amdhsa_workgroup_processor_mode 1
		.amdhsa_memory_ordered 1
		.amdhsa_forward_progress 1
		.amdhsa_shared_vgpr_count 0
		.amdhsa_exception_fp_ieee_invalid_op 0
		.amdhsa_exception_fp_denorm_src 0
		.amdhsa_exception_fp_ieee_div_zero 0
		.amdhsa_exception_fp_ieee_overflow 0
		.amdhsa_exception_fp_ieee_underflow 0
		.amdhsa_exception_fp_ieee_inexact 0
		.amdhsa_exception_int_div_zero 0
	.end_amdhsa_kernel
	.section	.text._ZN12_GLOBAL__N_120softmax_warp_forwardIN3c108BFloat16EffLi9ELb0ELb0ELi32EEEvPT0_PKT_iiiPKbib,"axG",@progbits,_ZN12_GLOBAL__N_120softmax_warp_forwardIN3c108BFloat16EffLi9ELb0ELb0ELi32EEEvPT0_PKT_iiiPKbib,comdat
.Lfunc_end503:
	.size	_ZN12_GLOBAL__N_120softmax_warp_forwardIN3c108BFloat16EffLi9ELb0ELb0ELi32EEEvPT0_PKT_iiiPKbib, .Lfunc_end503-_ZN12_GLOBAL__N_120softmax_warp_forwardIN3c108BFloat16EffLi9ELb0ELb0ELi32EEEvPT0_PKT_iiiPKbib
                                        ; -- End function
	.set _ZN12_GLOBAL__N_120softmax_warp_forwardIN3c108BFloat16EffLi9ELb0ELb0ELi32EEEvPT0_PKT_iiiPKbib.num_vgpr, 62
	.set _ZN12_GLOBAL__N_120softmax_warp_forwardIN3c108BFloat16EffLi9ELb0ELb0ELi32EEEvPT0_PKT_iiiPKbib.num_agpr, 0
	.set _ZN12_GLOBAL__N_120softmax_warp_forwardIN3c108BFloat16EffLi9ELb0ELb0ELi32EEEvPT0_PKT_iiiPKbib.numbered_sgpr, 24
	.set _ZN12_GLOBAL__N_120softmax_warp_forwardIN3c108BFloat16EffLi9ELb0ELb0ELi32EEEvPT0_PKT_iiiPKbib.num_named_barrier, 0
	.set _ZN12_GLOBAL__N_120softmax_warp_forwardIN3c108BFloat16EffLi9ELb0ELb0ELi32EEEvPT0_PKT_iiiPKbib.private_seg_size, 0
	.set _ZN12_GLOBAL__N_120softmax_warp_forwardIN3c108BFloat16EffLi9ELb0ELb0ELi32EEEvPT0_PKT_iiiPKbib.uses_vcc, 1
	.set _ZN12_GLOBAL__N_120softmax_warp_forwardIN3c108BFloat16EffLi9ELb0ELb0ELi32EEEvPT0_PKT_iiiPKbib.uses_flat_scratch, 0
	.set _ZN12_GLOBAL__N_120softmax_warp_forwardIN3c108BFloat16EffLi9ELb0ELb0ELi32EEEvPT0_PKT_iiiPKbib.has_dyn_sized_stack, 0
	.set _ZN12_GLOBAL__N_120softmax_warp_forwardIN3c108BFloat16EffLi9ELb0ELb0ELi32EEEvPT0_PKT_iiiPKbib.has_recursion, 0
	.set _ZN12_GLOBAL__N_120softmax_warp_forwardIN3c108BFloat16EffLi9ELb0ELb0ELi32EEEvPT0_PKT_iiiPKbib.has_indirect_call, 0
	.section	.AMDGPU.csdata,"",@progbits
; Kernel info:
; codeLenInByte = 4920
; TotalNumSgprs: 26
; NumVgprs: 62
; ScratchSize: 0
; MemoryBound: 0
; FloatMode: 240
; IeeeMode: 1
; LDSByteSize: 0 bytes/workgroup (compile time only)
; SGPRBlocks: 0
; VGPRBlocks: 7
; NumSGPRsForWavesPerEU: 26
; NumVGPRsForWavesPerEU: 62
; Occupancy: 16
; WaveLimiterHint : 0
; COMPUTE_PGM_RSRC2:SCRATCH_EN: 0
; COMPUTE_PGM_RSRC2:USER_SGPR: 6
; COMPUTE_PGM_RSRC2:TRAP_HANDLER: 0
; COMPUTE_PGM_RSRC2:TGID_X_EN: 1
; COMPUTE_PGM_RSRC2:TGID_Y_EN: 0
; COMPUTE_PGM_RSRC2:TGID_Z_EN: 0
; COMPUTE_PGM_RSRC2:TIDIG_COMP_CNT: 1
	.section	.text._ZN12_GLOBAL__N_120softmax_warp_forwardIN3c108BFloat16EffLi10ELb0ELb0ELi64EEEvPT0_PKT_iiiPKbib,"axG",@progbits,_ZN12_GLOBAL__N_120softmax_warp_forwardIN3c108BFloat16EffLi10ELb0ELb0ELi64EEEvPT0_PKT_iiiPKbib,comdat
	.globl	_ZN12_GLOBAL__N_120softmax_warp_forwardIN3c108BFloat16EffLi10ELb0ELb0ELi64EEEvPT0_PKT_iiiPKbib ; -- Begin function _ZN12_GLOBAL__N_120softmax_warp_forwardIN3c108BFloat16EffLi10ELb0ELb0ELi64EEEvPT0_PKT_iiiPKbib
	.p2align	8
	.type	_ZN12_GLOBAL__N_120softmax_warp_forwardIN3c108BFloat16EffLi10ELb0ELb0ELi64EEEvPT0_PKT_iiiPKbib,@function
_ZN12_GLOBAL__N_120softmax_warp_forwardIN3c108BFloat16EffLi10ELb0ELb0ELi64EEEvPT0_PKT_iiiPKbib: ; @_ZN12_GLOBAL__N_120softmax_warp_forwardIN3c108BFloat16EffLi10ELb0ELb0ELi64EEEvPT0_PKT_iiiPKbib
; %bb.0:
	s_clause 0x1
	s_load_dword s0, s[4:5], 0x3c
	s_load_dwordx8 s[16:23], s[4:5], 0x0
	v_mov_b32_e32 v10, 0xff800000
	v_mov_b32_e32 v9, 0xff800000
	s_waitcnt lgkmcnt(0)
	s_lshr_b32 s0, s0, 16
	v_cmp_gt_i32_e32 vcc_lo, s22, v0
	v_mad_u64_u32 v[3:4], null, s6, s0, v[1:2]
	v_mad_u64_u32 v[1:2], null, v3, s21, v[0:1]
	v_sub_nc_u32_e32 v5, s20, v3
	v_cmp_lt_i32_e64 s15, 0, v5
	v_ashrrev_i32_e32 v2, 31, v1
	s_and_b32 s1, s15, vcc_lo
	v_lshlrev_b64 v[3:4], 1, v[1:2]
	v_add_co_u32 v3, s0, s18, v3
	v_add_co_ci_u32_e64 v4, null, s19, v4, s0
	s_and_saveexec_b32 s0, s1
	s_cbranch_execz .LBB504_2
; %bb.1:
	global_load_ushort v6, v[3:4], off
	s_waitcnt vmcnt(0)
	v_lshlrev_b32_e32 v9, 16, v6
.LBB504_2:
	s_or_b32 exec_lo, exec_lo, s0
	v_add_nc_u32_e32 v6, 64, v0
	v_cmp_gt_i32_e64 s14, s22, v6
	s_and_b32 s1, s15, s14
	s_and_saveexec_b32 s0, s1
	s_cbranch_execz .LBB504_4
; %bb.3:
	global_load_ushort v6, v[3:4], off offset:128
	s_waitcnt vmcnt(0)
	v_lshlrev_b32_e32 v10, 16, v6
.LBB504_4:
	s_or_b32 exec_lo, exec_lo, s0
	v_add_nc_u32_e32 v6, 0x80, v0
	v_mov_b32_e32 v11, 0xff800000
	v_mov_b32_e32 v13, 0xff800000
	v_cmp_gt_i32_e64 s13, s22, v6
	s_and_b32 s1, s15, s13
	s_and_saveexec_b32 s0, s1
	s_cbranch_execz .LBB504_6
; %bb.5:
	global_load_ushort v6, v[3:4], off offset:256
	s_waitcnt vmcnt(0)
	v_lshlrev_b32_e32 v13, 16, v6
.LBB504_6:
	s_or_b32 exec_lo, exec_lo, s0
	v_add_nc_u32_e32 v6, 0xc0, v0
	v_cmp_gt_i32_e64 s12, s22, v6
	s_and_b32 s1, s15, s12
	s_and_saveexec_b32 s0, s1
	s_cbranch_execz .LBB504_8
; %bb.7:
	global_load_ushort v6, v[3:4], off offset:384
	s_waitcnt vmcnt(0)
	v_lshlrev_b32_e32 v11, 16, v6
.LBB504_8:
	s_or_b32 exec_lo, exec_lo, s0
	v_add_nc_u32_e32 v6, 0x100, v0
	v_mov_b32_e32 v12, 0xff800000
	v_mov_b32_e32 v19, 0xff800000
	v_cmp_gt_i32_e64 s11, s22, v6
	s_and_b32 s1, s15, s11
	s_and_saveexec_b32 s0, s1
	s_cbranch_execz .LBB504_10
; %bb.9:
	global_load_ushort v6, v[3:4], off offset:512
	s_waitcnt vmcnt(0)
	v_lshlrev_b32_e32 v19, 16, v6
.LBB504_10:
	;; [unrolled: 24-line block ×7, first 2 shown]
	s_or_b32 exec_lo, exec_lo, s0
	v_add_nc_u32_e32 v0, 0x3c0, v0
	v_cmp_gt_i32_e64 s0, s22, v0
	s_and_b32 s18, s15, s0
	s_and_saveexec_b32 s15, s18
	s_cbranch_execz .LBB504_32
; %bb.31:
	global_load_ushort v0, v[3:4], off offset:1920
	s_waitcnt vmcnt(0)
	v_lshlrev_b32_e32 v18, 16, v0
.LBB504_32:
	s_or_b32 exec_lo, exec_lo, s15
	v_cmp_gt_f32_e64 s15, v9, v10
	v_mbcnt_lo_u32_b32 v8, -1, 0
	s_mov_b32 s18, exec_lo
	v_cndmask_b32_e64 v0, v10, v9, s15
	v_or_b32_e32 v3, 32, v8
	v_xor_b32_e32 v27, 1, v8
	v_cmp_gt_f32_e64 s15, v0, v13
	v_cndmask_b32_e64 v0, v13, v0, s15
	v_cmp_gt_f32_e64 s15, v0, v11
	v_cndmask_b32_e64 v0, v11, v0, s15
	;; [unrolled: 2-line block ×12, first 2 shown]
	v_cmp_gt_i32_e64 s15, 64, v3
	v_cndmask_b32_e64 v3, v8, v3, s15
	v_cmp_gt_f32_e64 s15, v0, v24
	v_cndmask_b32_e64 v4, v24, v0, s15
	v_lshlrev_b32_e32 v0, 2, v3
	v_xor_b32_e32 v3, 16, v8
	v_cmp_gt_f32_e64 s15, v4, v18
	v_cndmask_b32_e64 v4, v18, v4, s15
	v_cmp_gt_i32_e64 s15, 64, v3
	ds_bpermute_b32 v6, v0, v4
	v_cndmask_b32_e64 v3, v8, v3, s15
	v_lshlrev_b32_e32 v3, 2, v3
	s_waitcnt lgkmcnt(0)
	v_cmp_lt_f32_e64 s15, v4, v6
	v_cndmask_b32_e64 v6, v4, v6, s15
	v_xor_b32_e32 v4, 8, v8
	ds_bpermute_b32 v7, v3, v6
	v_cmp_gt_i32_e64 s15, 64, v4
	v_cndmask_b32_e64 v4, v8, v4, s15
	v_lshlrev_b32_e32 v4, 2, v4
	s_waitcnt lgkmcnt(0)
	v_cmp_lt_f32_e64 s15, v6, v7
	v_cndmask_b32_e64 v7, v6, v7, s15
	v_xor_b32_e32 v6, 4, v8
	ds_bpermute_b32 v25, v4, v7
	v_cmp_gt_i32_e64 s15, 64, v6
	;; [unrolled: 8-line block ×3, first 2 shown]
	v_cndmask_b32_e64 v7, v8, v7, s15
	v_lshlrev_b32_e32 v7, 2, v7
	s_waitcnt lgkmcnt(0)
	v_cmp_lt_f32_e64 s15, v25, v26
	v_cndmask_b32_e64 v25, v25, v26, s15
	v_cmp_gt_i32_e64 s15, 64, v27
	ds_bpermute_b32 v26, v7, v25
	v_cndmask_b32_e64 v8, v8, v27, s15
	v_lshlrev_b32_e32 v8, 2, v8
	s_waitcnt lgkmcnt(0)
	v_cmp_lt_f32_e64 s15, v25, v26
	v_cndmask_b32_e64 v25, v25, v26, s15
	ds_bpermute_b32 v26, v8, v25
	s_waitcnt lgkmcnt(0)
	v_cmp_lt_f32_e64 s15, v25, v26
	v_cndmask_b32_e64 v25, v25, v26, s15
	v_sub_f32_e32 v9, v9, v25
	v_sub_f32_e32 v10, v10, v25
	;; [unrolled: 1-line block ×5, first 2 shown]
	v_mul_f32_e32 v17, 0x3fb8aa3b, v9
	v_mul_f32_e32 v18, 0x3fb8aa3b, v10
	v_sub_f32_e32 v31, v24, v25
	v_mul_f32_e32 v24, 0x3fb8aa3b, v13
	v_sub_f32_e32 v14, v14, v25
	v_fma_f32 v41, 0x3fb8aa3b, v9, -v17
	v_rndne_f32_e32 v42, v17
	v_fma_f32 v43, 0x3fb8aa3b, v10, -v18
	v_rndne_f32_e32 v44, v18
	v_fma_f32 v45, 0x3fb8aa3b, v13, -v24
	v_fmac_f32_e32 v41, 0x32a5705f, v9
	v_sub_f32_e32 v17, v17, v42
	v_rndne_f32_e32 v46, v24
	v_fmac_f32_e32 v43, 0x32a5705f, v10
	v_sub_f32_e32 v18, v18, v44
	v_sub_f32_e32 v11, v11, v25
	v_add_f32_e32 v17, v17, v41
	v_sub_f32_e32 v20, v20, v25
	v_mul_f32_e32 v29, 0x3fb8aa3b, v14
	v_add_f32_e32 v18, v18, v43
	v_fmac_f32_e32 v45, 0x32a5705f, v13
	v_sub_f32_e32 v24, v24, v46
	v_exp_f32_e32 v17, v17
	v_sub_f32_e32 v19, v19, v25
	v_sub_f32_e32 v12, v12, v25
	v_sub_f32_e32 v21, v21, v25
	v_sub_f32_e32 v15, v15, v25
	v_sub_f32_e32 v22, v22, v25
	v_sub_f32_e32 v16, v16, v25
	v_sub_f32_e32 v23, v23, v25
	v_mul_f32_e32 v25, 0x3fb8aa3b, v11
	v_mul_f32_e32 v28, 0x3fb8aa3b, v20
	v_fma_f32 v55, 0x3fb8aa3b, v14, -v29
	v_rndne_f32_e32 v56, v29
	v_add_f32_e32 v24, v24, v45
	v_cvt_i32_f32_e32 v42, v42
	v_exp_f32_e32 v18, v18
	v_fma_f32 v47, 0x3fb8aa3b, v11, -v25
	v_rndne_f32_e32 v48, v25
	v_fma_f32 v53, 0x3fb8aa3b, v20, -v28
	v_rndne_f32_e32 v54, v28
	v_fmac_f32_e32 v55, 0x32a5705f, v14
	v_sub_f32_e32 v29, v29, v56
	v_cvt_i32_f32_e32 v44, v44
	v_exp_f32_e32 v24, v24
	v_ldexp_f32 v17, v17, v42
	v_cmp_ngt_f32_e64 s15, 0xc2ce8ed0, v9
	v_mul_f32_e32 v26, 0x3fb8aa3b, v19
	v_mul_f32_e32 v27, 0x3fb8aa3b, v12
	v_fmac_f32_e32 v47, 0x32a5705f, v11
	v_sub_f32_e32 v25, v25, v48
	v_fmac_f32_e32 v53, 0x32a5705f, v20
	v_sub_f32_e32 v28, v28, v54
	v_add_f32_e32 v29, v29, v55
	v_cvt_i32_f32_e32 v46, v46
	v_ldexp_f32 v18, v18, v44
	v_cndmask_b32_e64 v17, 0, v17, s15
	v_cmp_ngt_f32_e64 s15, 0xc2ce8ed0, v10
	v_mul_f32_e32 v36, 0x3fb8aa3b, v16
	v_fma_f32 v49, 0x3fb8aa3b, v19, -v26
	v_rndne_f32_e32 v50, v26
	v_fma_f32 v51, 0x3fb8aa3b, v12, -v27
	v_rndne_f32_e32 v52, v27
	v_add_f32_e32 v25, v25, v47
	v_add_f32_e32 v28, v28, v53
	v_exp_f32_e32 v29, v29
	v_ldexp_f32 v24, v24, v46
	v_cndmask_b32_e64 v18, 0, v18, s15
	v_cmp_ngt_f32_e64 s15, 0xc2ce8ed0, v13
	v_fma_f32 v43, 0x3fb8aa3b, v16, -v36
	v_fmac_f32_e32 v49, 0x32a5705f, v19
	v_sub_f32_e32 v26, v26, v50
	v_rndne_f32_e32 v45, v36
	v_fmac_f32_e32 v51, 0x32a5705f, v12
	v_sub_f32_e32 v27, v27, v52
	v_cvt_i32_f32_e32 v56, v56
	v_exp_f32_e32 v25, v25
	v_exp_f32_e32 v28, v28
	v_cndmask_b32_e64 v24, 0, v24, s15
	v_cmp_nlt_f32_e64 s15, 0x42b17218, v9
	v_add_f32_e32 v26, v26, v49
	v_add_f32_e32 v27, v27, v51
	v_cvt_i32_f32_e32 v48, v48
	v_cvt_i32_f32_e32 v54, v54
	v_fmac_f32_e32 v43, 0x32a5705f, v16
	v_sub_f32_e32 v36, v36, v45
	v_ldexp_f32 v44, v29, v56
	v_cndmask_b32_e64 v29, 0x7f800000, v17, s15
	v_cmp_nlt_f32_e64 s15, 0x42b17218, v10
	v_exp_f32_e32 v26, v26
	v_add_f32_e32 v36, v36, v43
	v_exp_f32_e32 v27, v27
	v_ldexp_f32 v25, v25, v48
	v_ldexp_f32 v43, v28, v54
	v_cndmask_b32_e64 v28, 0x7f800000, v18, s15
	v_cmp_ngt_f32_e64 s15, 0xc2ce8ed0, v11
	v_cvt_i32_f32_e32 v50, v50
	v_cvt_i32_f32_e32 v52, v52
	v_mul_f32_e32 v33, 0x3fb8aa3b, v21
	v_add_f32_e32 v10, v29, v28
	v_cndmask_b32_e64 v9, 0, v25, s15
	v_cmp_nlt_f32_e64 s15, 0x42b17218, v13
	v_ldexp_f32 v26, v26, v50
	v_ldexp_f32 v42, v27, v52
	v_fma_f32 v57, 0x3fb8aa3b, v21, -v33
	v_rndne_f32_e32 v58, v33
	v_cndmask_b32_e64 v27, 0x7f800000, v24, s15
	v_cmp_ngt_f32_e64 s15, 0xc2ce8ed0, v19
	v_mul_f32_e32 v34, 0x3fb8aa3b, v15
	v_fmac_f32_e32 v57, 0x32a5705f, v21
	v_sub_f32_e32 v33, v33, v58
	v_mul_f32_e32 v35, 0x3fb8aa3b, v22
	v_cndmask_b32_e64 v13, 0, v26, s15
	v_cmp_nlt_f32_e64 s15, 0x42b17218, v11
	v_fma_f32 v59, 0x3fb8aa3b, v15, -v34
	v_rndne_f32_e32 v60, v34
	v_add_f32_e32 v33, v33, v57
	v_fma_f32 v61, 0x3fb8aa3b, v22, -v35
	v_cndmask_b32_e64 v26, 0x7f800000, v9, s15
	v_cmp_ngt_f32_e64 s15, 0xc2ce8ed0, v12
	v_add_f32_e32 v9, v10, v27
	v_fmac_f32_e32 v59, 0x32a5705f, v15
	v_sub_f32_e32 v34, v34, v60
	v_exp_f32_e32 v33, v33
	v_cndmask_b32_e64 v10, 0, v42, s15
	v_cmp_nlt_f32_e64 s15, 0x42b17218, v19
	v_rndne_f32_e32 v41, v35
	v_add_f32_e32 v34, v34, v59
	v_cvt_i32_f32_e32 v58, v58
	v_fmac_f32_e32 v61, 0x32a5705f, v22
	v_cndmask_b32_e64 v25, 0x7f800000, v13, s15
	v_cmp_ngt_f32_e64 s15, 0xc2ce8ed0, v20
	v_sub_f32_e32 v35, v35, v41
	v_exp_f32_e32 v34, v34
	v_ldexp_f32 v33, v33, v58
	v_cvt_i32_f32_e32 v60, v60
	v_cndmask_b32_e64 v11, 0, v43, s15
	v_cmp_nlt_f32_e64 s15, 0x42b17218, v12
	v_add_f32_e32 v35, v35, v61
	v_mul_f32_e32 v37, 0x3fb8aa3b, v23
	v_cvt_i32_f32_e32 v41, v41
	v_mul_f32_e32 v38, 0x3fb8aa3b, v30
	v_cndmask_b32_e64 v24, 0x7f800000, v10, s15
	v_cmp_ngt_f32_e64 s15, 0xc2ce8ed0, v14
	v_exp_f32_e32 v35, v35
	v_ldexp_f32 v34, v34, v60
	v_fma_f32 v47, 0x3fb8aa3b, v23, -v37
	v_rndne_f32_e32 v49, v37
	v_cndmask_b32_e64 v10, 0, v44, s15
	v_cmp_nlt_f32_e64 s15, 0x42b17218, v20
	v_exp_f32_e32 v36, v36
	v_fmac_f32_e32 v47, 0x32a5705f, v23
	v_sub_f32_e32 v37, v37, v49
	v_fma_f32 v51, 0x3fb8aa3b, v30, -v38
	v_cndmask_b32_e64 v19, 0x7f800000, v11, s15
	v_cmp_ngt_f32_e64 s15, 0xc2ce8ed0, v21
	v_ldexp_f32 v35, v35, v41
	v_rndne_f32_e32 v53, v38
	v_cvt_i32_f32_e32 v45, v45
	v_add_f32_e32 v37, v37, v47
	v_cndmask_b32_e64 v11, 0, v33, s15
	v_cmp_nlt_f32_e64 s15, 0x42b17218, v14
	v_mul_f32_e32 v39, 0x3fb8aa3b, v31
	v_fmac_f32_e32 v51, 0x32a5705f, v30
	v_sub_f32_e32 v38, v38, v53
	v_exp_f32_e32 v37, v37
	v_cndmask_b32_e64 v18, 0x7f800000, v10, s15
	v_cmp_ngt_f32_e64 s15, 0xc2ce8ed0, v15
	v_ldexp_f32 v36, v36, v45
	v_add_f32_e32 v9, v9, v26
	v_fma_f32 v55, 0x3fb8aa3b, v31, -v39
	v_rndne_f32_e32 v57, v39
	v_cndmask_b32_e64 v10, 0, v34, s15
	v_cmp_nlt_f32_e64 s15, 0x42b17218, v21
	v_cvt_i32_f32_e32 v49, v49
	v_add_f32_e32 v38, v38, v51
	v_add_f32_e32 v9, v9, v25
	v_fmac_f32_e32 v55, 0x32a5705f, v31
	v_cndmask_b32_e64 v17, 0x7f800000, v11, s15
	v_cmp_ngt_f32_e64 s15, 0xc2ce8ed0, v22
	v_sub_f32_e32 v39, v39, v57
	v_exp_f32_e32 v38, v38
	v_ldexp_f32 v37, v37, v49
	v_add_f32_e32 v9, v9, v24
	v_cndmask_b32_e64 v11, 0, v35, s15
	v_cmp_nlt_f32_e64 s15, 0x42b17218, v15
	v_mul_f32_e32 v40, 0x3fb8aa3b, v32
	v_cvt_i32_f32_e32 v53, v53
	v_add_f32_e32 v39, v39, v55
	v_add_f32_e32 v9, v9, v19
	v_cndmask_b32_e64 v15, 0x7f800000, v10, s15
	v_cmp_ngt_f32_e64 s15, 0xc2ce8ed0, v16
	v_fma_f32 v59, 0x3fb8aa3b, v32, -v40
	v_rndne_f32_e32 v61, v40
	v_exp_f32_e32 v39, v39
	v_ldexp_f32 v38, v38, v53
	v_cndmask_b32_e64 v10, 0, v36, s15
	v_cmp_nlt_f32_e64 s15, 0x42b17218, v22
	v_add_f32_e32 v9, v9, v18
	v_cvt_i32_f32_e32 v57, v57
	v_fmac_f32_e32 v59, 0x32a5705f, v32
	v_sub_f32_e32 v40, v40, v61
	v_cndmask_b32_e64 v14, 0x7f800000, v11, s15
	v_cmp_ngt_f32_e64 s15, 0xc2ce8ed0, v23
	v_add_f32_e32 v9, v9, v17
	v_ldexp_f32 v39, v39, v57
	v_add_f32_e32 v40, v40, v59
	v_cvt_i32_f32_e32 v61, v61
	v_cndmask_b32_e64 v11, 0, v37, s15
	v_cmp_nlt_f32_e64 s15, 0x42b17218, v16
	v_add_f32_e32 v9, v9, v15
	v_exp_f32_e32 v40, v40
	v_cndmask_b32_e64 v13, 0x7f800000, v10, s15
	v_cmp_ngt_f32_e64 s15, 0xc2ce8ed0, v30
	v_add_f32_e32 v9, v9, v14
	v_cndmask_b32_e64 v10, 0, v38, s15
	v_cmp_nlt_f32_e64 s15, 0x42b17218, v23
	v_add_f32_e32 v9, v9, v13
	v_ldexp_f32 v20, v40, v61
	v_cndmask_b32_e64 v12, 0x7f800000, v11, s15
	v_cmp_ngt_f32_e64 s15, 0xc2ce8ed0, v31
	v_add_f32_e32 v9, v9, v12
	v_cndmask_b32_e64 v16, 0, v39, s15
	v_cmp_nlt_f32_e64 s15, 0x42b17218, v30
	v_cndmask_b32_e64 v11, 0x7f800000, v10, s15
	v_cmp_nlt_f32_e64 s15, 0x42b17218, v31
	v_add_f32_e32 v9, v9, v11
	v_cndmask_b32_e64 v10, 0x7f800000, v16, s15
	v_cmp_ngt_f32_e64 s15, 0xc2ce8ed0, v32
	v_cndmask_b32_e64 v16, 0, v20, s15
	v_cmp_nlt_f32_e64 s15, 0x42b17218, v32
	v_add_f32_e32 v20, v9, v10
	v_cndmask_b32_e64 v9, 0x7f800000, v16, s15
	v_add_f32_e32 v16, v20, v9
	ds_bpermute_b32 v0, v0, v16
	s_waitcnt lgkmcnt(0)
	v_add_f32_e32 v0, v16, v0
	ds_bpermute_b32 v3, v3, v0
	s_waitcnt lgkmcnt(0)
	;; [unrolled: 3-line block ×5, first 2 shown]
	v_add_f32_e32 v0, v0, v3
	ds_bpermute_b32 v3, v8, v0
	v_cmpx_lt_i32_e32 0, v5
	s_cbranch_execz .LBB504_50
; %bb.33:
	s_and_b32 exec_lo, exec_lo, vcc_lo
	s_cbranch_execz .LBB504_50
; %bb.34:
	s_waitcnt lgkmcnt(0)
	v_add_f32_e32 v3, v0, v3
	v_div_scale_f32 v0, null, v3, v3, v29
	v_div_scale_f32 v6, vcc_lo, v29, v3, v29
	v_cmp_eq_f32_e64 s15, 0, v3
	v_rcp_f32_e32 v4, v0
	v_fma_f32 v5, -v0, v4, 1.0
	v_fmac_f32_e32 v4, v5, v4
	v_mul_f32_e32 v5, v6, v4
	v_fma_f32 v7, -v0, v5, v6
	v_fmac_f32_e32 v5, v7, v4
	v_fma_f32 v0, -v0, v5, v6
	v_div_fmas_f32 v4, v0, v4, v5
	v_lshlrev_b64 v[0:1], 2, v[1:2]
	v_div_fixup_f32 v2, v4, v3, v29
	v_add_co_u32 v0, vcc_lo, s16, v0
	v_add_co_ci_u32_e64 v1, null, s17, v1, vcc_lo
	v_cndmask_b32_e64 v2, v2, 0x7fc00000, s15
	global_store_dword v[0:1], v2, off
	s_and_b32 exec_lo, exec_lo, s14
	s_cbranch_execz .LBB504_50
; %bb.35:
	v_div_scale_f32 v2, null, v3, v3, v28
	v_rcp_f32_e32 v4, v2
	v_fma_f32 v5, -v2, v4, 1.0
	v_fmac_f32_e32 v4, v5, v4
	v_div_scale_f32 v5, vcc_lo, v28, v3, v28
	v_mul_f32_e32 v6, v5, v4
	v_fma_f32 v7, -v2, v6, v5
	v_fmac_f32_e32 v6, v7, v4
	v_fma_f32 v2, -v2, v6, v5
	v_div_fmas_f32 v2, v2, v4, v6
	v_div_fixup_f32 v2, v2, v3, v28
	v_cndmask_b32_e64 v2, v2, 0x7fc00000, s15
	global_store_dword v[0:1], v2, off offset:256
	s_and_b32 exec_lo, exec_lo, s13
	s_cbranch_execz .LBB504_50
; %bb.36:
	v_div_scale_f32 v2, null, v3, v3, v27
	v_rcp_f32_e32 v4, v2
	v_fma_f32 v5, -v2, v4, 1.0
	v_fmac_f32_e32 v4, v5, v4
	v_div_scale_f32 v5, vcc_lo, v27, v3, v27
	v_mul_f32_e32 v6, v5, v4
	v_fma_f32 v7, -v2, v6, v5
	v_fmac_f32_e32 v6, v7, v4
	v_fma_f32 v2, -v2, v6, v5
	v_div_fmas_f32 v2, v2, v4, v6
	v_div_fixup_f32 v2, v2, v3, v27
	v_cndmask_b32_e64 v2, v2, 0x7fc00000, s15
	global_store_dword v[0:1], v2, off offset:512
	;; [unrolled: 16-line block ×7, first 2 shown]
	s_and_b32 exec_lo, exec_lo, s7
	s_cbranch_execz .LBB504_50
; %bb.42:
	v_div_scale_f32 v2, null, v3, v3, v17
	v_div_scale_f32 v6, vcc_lo, v17, v3, v17
	v_rcp_f32_e32 v4, v2
	v_fma_f32 v5, -v2, v4, 1.0
	v_fmac_f32_e32 v4, v5, v4
	v_mul_f32_e32 v5, v6, v4
	v_fma_f32 v7, -v2, v5, v6
	v_fmac_f32_e32 v5, v7, v4
	v_fma_f32 v2, -v2, v5, v6
	v_div_fmas_f32 v2, v2, v4, v5
	v_add_co_u32 v0, vcc_lo, 0x800, v0
	v_add_co_ci_u32_e64 v1, null, 0, v1, vcc_lo
	v_div_fixup_f32 v2, v2, v3, v17
	v_cndmask_b32_e64 v2, v2, 0x7fc00000, s15
	global_store_dword v[0:1], v2, off
	s_and_b32 exec_lo, exec_lo, s6
	s_cbranch_execz .LBB504_50
; %bb.43:
	v_div_scale_f32 v2, null, v3, v3, v15
	v_rcp_f32_e32 v4, v2
	v_fma_f32 v5, -v2, v4, 1.0
	v_fmac_f32_e32 v4, v5, v4
	v_div_scale_f32 v5, vcc_lo, v15, v3, v15
	v_mul_f32_e32 v6, v5, v4
	v_fma_f32 v7, -v2, v6, v5
	v_fmac_f32_e32 v6, v7, v4
	v_fma_f32 v2, -v2, v6, v5
	v_div_fmas_f32 v2, v2, v4, v6
	v_div_fixup_f32 v2, v2, v3, v15
	v_cndmask_b32_e64 v2, v2, 0x7fc00000, s15
	global_store_dword v[0:1], v2, off offset:256
	s_and_b32 exec_lo, exec_lo, s5
	s_cbranch_execz .LBB504_50
; %bb.44:
	v_div_scale_f32 v2, null, v3, v3, v14
	v_rcp_f32_e32 v4, v2
	v_fma_f32 v5, -v2, v4, 1.0
	v_fmac_f32_e32 v4, v5, v4
	v_div_scale_f32 v5, vcc_lo, v14, v3, v14
	v_mul_f32_e32 v6, v5, v4
	v_fma_f32 v7, -v2, v6, v5
	v_fmac_f32_e32 v6, v7, v4
	v_fma_f32 v2, -v2, v6, v5
	v_div_fmas_f32 v2, v2, v4, v6
	v_div_fixup_f32 v2, v2, v3, v14
	v_cndmask_b32_e64 v2, v2, 0x7fc00000, s15
	global_store_dword v[0:1], v2, off offset:512
	;; [unrolled: 16-line block ×7, first 2 shown]
.LBB504_50:
	s_endpgm
	.section	.rodata,"a",@progbits
	.p2align	6, 0x0
	.amdhsa_kernel _ZN12_GLOBAL__N_120softmax_warp_forwardIN3c108BFloat16EffLi10ELb0ELb0ELi64EEEvPT0_PKT_iiiPKbib
		.amdhsa_group_segment_fixed_size 0
		.amdhsa_private_segment_fixed_size 0
		.amdhsa_kernarg_size 304
		.amdhsa_user_sgpr_count 6
		.amdhsa_user_sgpr_private_segment_buffer 1
		.amdhsa_user_sgpr_dispatch_ptr 0
		.amdhsa_user_sgpr_queue_ptr 0
		.amdhsa_user_sgpr_kernarg_segment_ptr 1
		.amdhsa_user_sgpr_dispatch_id 0
		.amdhsa_user_sgpr_flat_scratch_init 0
		.amdhsa_user_sgpr_private_segment_size 0
		.amdhsa_wavefront_size32 1
		.amdhsa_uses_dynamic_stack 0
		.amdhsa_system_sgpr_private_segment_wavefront_offset 0
		.amdhsa_system_sgpr_workgroup_id_x 1
		.amdhsa_system_sgpr_workgroup_id_y 0
		.amdhsa_system_sgpr_workgroup_id_z 0
		.amdhsa_system_sgpr_workgroup_info 0
		.amdhsa_system_vgpr_workitem_id 1
		.amdhsa_next_free_vgpr 62
		.amdhsa_next_free_sgpr 24
		.amdhsa_reserve_vcc 1
		.amdhsa_reserve_flat_scratch 0
		.amdhsa_float_round_mode_32 0
		.amdhsa_float_round_mode_16_64 0
		.amdhsa_float_denorm_mode_32 3
		.amdhsa_float_denorm_mode_16_64 3
		.amdhsa_dx10_clamp 1
		.amdhsa_ieee_mode 1
		.amdhsa_fp16_overflow 0
		.amdhsa_workgroup_processor_mode 1
		.amdhsa_memory_ordered 1
		.amdhsa_forward_progress 1
		.amdhsa_shared_vgpr_count 0
		.amdhsa_exception_fp_ieee_invalid_op 0
		.amdhsa_exception_fp_denorm_src 0
		.amdhsa_exception_fp_ieee_div_zero 0
		.amdhsa_exception_fp_ieee_overflow 0
		.amdhsa_exception_fp_ieee_underflow 0
		.amdhsa_exception_fp_ieee_inexact 0
		.amdhsa_exception_int_div_zero 0
	.end_amdhsa_kernel
	.section	.text._ZN12_GLOBAL__N_120softmax_warp_forwardIN3c108BFloat16EffLi10ELb0ELb0ELi64EEEvPT0_PKT_iiiPKbib,"axG",@progbits,_ZN12_GLOBAL__N_120softmax_warp_forwardIN3c108BFloat16EffLi10ELb0ELb0ELi64EEEvPT0_PKT_iiiPKbib,comdat
.Lfunc_end504:
	.size	_ZN12_GLOBAL__N_120softmax_warp_forwardIN3c108BFloat16EffLi10ELb0ELb0ELi64EEEvPT0_PKT_iiiPKbib, .Lfunc_end504-_ZN12_GLOBAL__N_120softmax_warp_forwardIN3c108BFloat16EffLi10ELb0ELb0ELi64EEEvPT0_PKT_iiiPKbib
                                        ; -- End function
	.set _ZN12_GLOBAL__N_120softmax_warp_forwardIN3c108BFloat16EffLi10ELb0ELb0ELi64EEEvPT0_PKT_iiiPKbib.num_vgpr, 62
	.set _ZN12_GLOBAL__N_120softmax_warp_forwardIN3c108BFloat16EffLi10ELb0ELb0ELi64EEEvPT0_PKT_iiiPKbib.num_agpr, 0
	.set _ZN12_GLOBAL__N_120softmax_warp_forwardIN3c108BFloat16EffLi10ELb0ELb0ELi64EEEvPT0_PKT_iiiPKbib.numbered_sgpr, 24
	.set _ZN12_GLOBAL__N_120softmax_warp_forwardIN3c108BFloat16EffLi10ELb0ELb0ELi64EEEvPT0_PKT_iiiPKbib.num_named_barrier, 0
	.set _ZN12_GLOBAL__N_120softmax_warp_forwardIN3c108BFloat16EffLi10ELb0ELb0ELi64EEEvPT0_PKT_iiiPKbib.private_seg_size, 0
	.set _ZN12_GLOBAL__N_120softmax_warp_forwardIN3c108BFloat16EffLi10ELb0ELb0ELi64EEEvPT0_PKT_iiiPKbib.uses_vcc, 1
	.set _ZN12_GLOBAL__N_120softmax_warp_forwardIN3c108BFloat16EffLi10ELb0ELb0ELi64EEEvPT0_PKT_iiiPKbib.uses_flat_scratch, 0
	.set _ZN12_GLOBAL__N_120softmax_warp_forwardIN3c108BFloat16EffLi10ELb0ELb0ELi64EEEvPT0_PKT_iiiPKbib.has_dyn_sized_stack, 0
	.set _ZN12_GLOBAL__N_120softmax_warp_forwardIN3c108BFloat16EffLi10ELb0ELb0ELi64EEEvPT0_PKT_iiiPKbib.has_recursion, 0
	.set _ZN12_GLOBAL__N_120softmax_warp_forwardIN3c108BFloat16EffLi10ELb0ELb0ELi64EEEvPT0_PKT_iiiPKbib.has_indirect_call, 0
	.section	.AMDGPU.csdata,"",@progbits
; Kernel info:
; codeLenInByte = 5012
; TotalNumSgprs: 26
; NumVgprs: 62
; ScratchSize: 0
; MemoryBound: 0
; FloatMode: 240
; IeeeMode: 1
; LDSByteSize: 0 bytes/workgroup (compile time only)
; SGPRBlocks: 0
; VGPRBlocks: 7
; NumSGPRsForWavesPerEU: 26
; NumVGPRsForWavesPerEU: 62
; Occupancy: 16
; WaveLimiterHint : 0
; COMPUTE_PGM_RSRC2:SCRATCH_EN: 0
; COMPUTE_PGM_RSRC2:USER_SGPR: 6
; COMPUTE_PGM_RSRC2:TRAP_HANDLER: 0
; COMPUTE_PGM_RSRC2:TGID_X_EN: 1
; COMPUTE_PGM_RSRC2:TGID_Y_EN: 0
; COMPUTE_PGM_RSRC2:TGID_Z_EN: 0
; COMPUTE_PGM_RSRC2:TIDIG_COMP_CNT: 1
	.section	.text._ZN12_GLOBAL__N_120softmax_warp_forwardIN3c108BFloat16EffLi10ELb0ELb0ELi32EEEvPT0_PKT_iiiPKbib,"axG",@progbits,_ZN12_GLOBAL__N_120softmax_warp_forwardIN3c108BFloat16EffLi10ELb0ELb0ELi32EEEvPT0_PKT_iiiPKbib,comdat
	.globl	_ZN12_GLOBAL__N_120softmax_warp_forwardIN3c108BFloat16EffLi10ELb0ELb0ELi32EEEvPT0_PKT_iiiPKbib ; -- Begin function _ZN12_GLOBAL__N_120softmax_warp_forwardIN3c108BFloat16EffLi10ELb0ELb0ELi32EEEvPT0_PKT_iiiPKbib
	.p2align	8
	.type	_ZN12_GLOBAL__N_120softmax_warp_forwardIN3c108BFloat16EffLi10ELb0ELb0ELi32EEEvPT0_PKT_iiiPKbib,@function
_ZN12_GLOBAL__N_120softmax_warp_forwardIN3c108BFloat16EffLi10ELb0ELb0ELi32EEEvPT0_PKT_iiiPKbib: ; @_ZN12_GLOBAL__N_120softmax_warp_forwardIN3c108BFloat16EffLi10ELb0ELb0ELi32EEEvPT0_PKT_iiiPKbib
; %bb.0:
	s_clause 0x1
	s_load_dword s0, s[4:5], 0x3c
	s_load_dwordx8 s[36:43], s[4:5], 0x0
	v_mov_b32_e32 v11, 0xff800000
	v_mov_b32_e32 v10, 0xff800000
	s_waitcnt lgkmcnt(0)
	s_lshr_b32 s0, s0, 16
	v_cmp_gt_i32_e32 vcc_lo, s42, v0
	v_mad_u64_u32 v[3:4], null, s6, s0, v[1:2]
	v_mad_u64_u32 v[1:2], null, v3, s41, v[0:1]
	v_sub_nc_u32_e32 v5, s40, v3
	v_cmp_lt_i32_e64 s31, 0, v5
	v_ashrrev_i32_e32 v2, 31, v1
	s_and_b32 s1, s31, vcc_lo
	v_lshlrev_b64 v[3:4], 1, v[1:2]
	v_add_co_u32 v3, s0, s38, v3
	v_add_co_ci_u32_e64 v4, null, s39, v4, s0
	s_and_saveexec_b32 s0, s1
	s_cbranch_execz .LBB505_2
; %bb.1:
	global_load_ushort v6, v[3:4], off
	s_waitcnt vmcnt(0)
	v_lshlrev_b32_e32 v10, 16, v6
.LBB505_2:
	s_or_b32 exec_lo, exec_lo, s0
	v_add_nc_u32_e32 v6, 32, v0
	v_cmp_gt_i32_e64 s30, s42, v6
	s_and_b32 s1, s31, s30
	s_and_saveexec_b32 s0, s1
	s_cbranch_execz .LBB505_4
; %bb.3:
	global_load_ushort v6, v[3:4], off offset:64
	s_waitcnt vmcnt(0)
	v_lshlrev_b32_e32 v11, 16, v6
.LBB505_4:
	s_or_b32 exec_lo, exec_lo, s0
	v_add_nc_u32_e32 v6, 64, v0
	v_mov_b32_e32 v16, 0xff800000
	v_mov_b32_e32 v14, 0xff800000
	v_cmp_gt_i32_e64 s29, s42, v6
	s_and_b32 s1, s31, s29
	s_and_saveexec_b32 s0, s1
	s_cbranch_execz .LBB505_6
; %bb.5:
	global_load_ushort v6, v[3:4], off offset:128
	s_waitcnt vmcnt(0)
	v_lshlrev_b32_e32 v14, 16, v6
.LBB505_6:
	s_or_b32 exec_lo, exec_lo, s0
	v_add_nc_u32_e32 v6, 0x60, v0
	v_cmp_gt_i32_e64 s28, s42, v6
	s_and_b32 s1, s31, s28
	s_and_saveexec_b32 s0, s1
	s_cbranch_execz .LBB505_8
; %bb.7:
	global_load_ushort v6, v[3:4], off offset:192
	s_waitcnt vmcnt(0)
	v_lshlrev_b32_e32 v16, 16, v6
.LBB505_8:
	s_or_b32 exec_lo, exec_lo, s0
	v_add_nc_u32_e32 v6, 0x80, v0
	v_mov_b32_e32 v18, 0xff800000
	v_mov_b32_e32 v17, 0xff800000
	v_cmp_gt_i32_e64 s27, s42, v6
	s_and_b32 s1, s31, s27
	s_and_saveexec_b32 s0, s1
	s_cbranch_execz .LBB505_10
; %bb.9:
	global_load_ushort v6, v[3:4], off offset:256
	s_waitcnt vmcnt(0)
	v_lshlrev_b32_e32 v17, 16, v6
.LBB505_10:
	;; [unrolled: 24-line block ×14, first 2 shown]
	s_or_b32 exec_lo, exec_lo, s0
	v_add_nc_u32_e32 v6, 0x3a0, v0
	v_cmp_gt_i32_e64 s2, s42, v6
	s_and_b32 s1, s31, s2
	s_and_saveexec_b32 s0, s1
	s_cbranch_execz .LBB505_60
; %bb.59:
	global_load_ushort v6, v[3:4], off offset:1856
	s_waitcnt vmcnt(0)
	v_lshlrev_b32_e32 v7, 16, v6
.LBB505_60:
	s_or_b32 exec_lo, exec_lo, s0
	v_add_nc_u32_e32 v6, 0x3c0, v0
	v_mov_b32_e32 v8, 0xff800000
	v_cmp_gt_i32_e64 s1, s42, v6
	v_mov_b32_e32 v6, 0xff800000
	s_and_b32 s33, s31, s1
	s_and_saveexec_b32 s0, s33
	s_cbranch_execz .LBB505_62
; %bb.61:
	global_load_ushort v8, v[3:4], off offset:1920
	s_waitcnt vmcnt(0)
	v_lshlrev_b32_e32 v8, 16, v8
.LBB505_62:
	s_or_b32 exec_lo, exec_lo, s0
	v_add_nc_u32_e32 v0, 0x3e0, v0
	v_cmp_gt_i32_e64 s0, s42, v0
	s_and_b32 s33, s31, s0
	s_and_saveexec_b32 s31, s33
	s_cbranch_execz .LBB505_64
; %bb.63:
	global_load_ushort v0, v[3:4], off offset:1984
	s_waitcnt vmcnt(0)
	v_lshlrev_b32_e32 v6, 16, v0
.LBB505_64:
	s_or_b32 exec_lo, exec_lo, s31
	v_cmp_gt_f32_e64 s31, v10, v11
	v_mbcnt_lo_u32_b32 v15, -1, 0
	s_mov_b32 s33, exec_lo
	v_cndmask_b32_e64 v0, v11, v10, s31
	v_cmp_gt_f32_e64 s31, v0, v14
	v_cndmask_b32_e64 v0, v14, v0, s31
	v_cmp_gt_f32_e64 s31, v0, v16
	;; [unrolled: 2-line block ×30, first 2 shown]
	v_cndmask_b32_e64 v3, v6, v0, s31
	v_xor_b32_e32 v0, 16, v15
	v_cmp_gt_i32_e64 s31, 32, v0
	v_cndmask_b32_e64 v0, v15, v0, s31
	v_lshlrev_b32_e32 v0, 2, v0
	ds_bpermute_b32 v4, v0, v3
	s_waitcnt lgkmcnt(0)
	v_cmp_lt_f32_e64 s31, v3, v4
	v_cndmask_b32_e64 v4, v3, v4, s31
	v_xor_b32_e32 v3, 8, v15
	v_cmp_gt_i32_e64 s31, 32, v3
	v_cndmask_b32_e64 v3, v15, v3, s31
	v_lshlrev_b32_e32 v3, 2, v3
	ds_bpermute_b32 v13, v3, v4
	s_waitcnt lgkmcnt(0)
	v_cmp_lt_f32_e64 s31, v4, v13
	;; [unrolled: 8-line block ×5, first 2 shown]
	v_cndmask_b32_e64 v25, v25, v41, s31
	v_sub_f32_e32 v10, v10, v25
	v_sub_f32_e32 v11, v11, v25
	;; [unrolled: 1-line block ×5, first 2 shown]
	v_mul_f32_e32 v41, 0x3fb8aa3b, v10
	v_cmp_ngt_f32_e64 s31, 0xc2ce8ed0, v10
	v_sub_f32_e32 v18, v18, v25
	v_sub_f32_e32 v21, v21, v25
	;; [unrolled: 1-line block ×3, first 2 shown]
	v_fma_f32 v42, 0x3fb8aa3b, v10, -v41
	v_rndne_f32_e32 v43, v41
	v_sub_f32_e32 v23, v23, v25
	v_sub_f32_e32 v27, v27, v25
	;; [unrolled: 1-line block ×3, first 2 shown]
	v_fmac_f32_e32 v42, 0x32a5705f, v10
	v_sub_f32_e32 v41, v41, v43
	v_sub_f32_e32 v29, v29, v25
	;; [unrolled: 1-line block ×5, first 2 shown]
	v_add_f32_e32 v41, v41, v42
	v_cvt_i32_f32_e32 v42, v43
	v_sub_f32_e32 v34, v34, v25
	v_sub_f32_e32 v35, v35, v25
	;; [unrolled: 1-line block ×3, first 2 shown]
	v_exp_f32_e32 v41, v41
	v_sub_f32_e32 v36, v36, v25
	v_sub_f32_e32 v37, v37, v25
	;; [unrolled: 1-line block ×9, first 2 shown]
	v_ldexp_f32 v41, v41, v42
	v_sub_f32_e32 v12, v12, v25
	v_sub_f32_e32 v9, v9, v25
	;; [unrolled: 1-line block ×4, first 2 shown]
	v_cndmask_b32_e64 v41, 0, v41, s31
	v_cmp_nlt_f32_e64 s31, 0x42b17218, v10
	v_sub_f32_e32 v6, v6, v25
	v_cndmask_b32_e64 v10, 0x7f800000, v41, s31
	v_mul_f32_e32 v41, 0x3fb8aa3b, v11
	v_cmp_ngt_f32_e64 s31, 0xc2ce8ed0, v11
	v_mul_f32_e32 v25, 0x3fb8aa3b, v6
	v_fma_f32 v42, 0x3fb8aa3b, v11, -v41
	v_rndne_f32_e32 v43, v41
	v_fmac_f32_e32 v42, 0x32a5705f, v11
	v_sub_f32_e32 v41, v41, v43
	v_add_f32_e32 v41, v41, v42
	v_cvt_i32_f32_e32 v42, v43
	v_exp_f32_e32 v41, v41
	v_ldexp_f32 v41, v41, v42
	v_mul_f32_e32 v42, 0x3fb8aa3b, v14
	v_cndmask_b32_e64 v41, 0, v41, s31
	v_fma_f32 v43, 0x3fb8aa3b, v14, -v42
	v_rndne_f32_e32 v44, v42
	v_cmp_nlt_f32_e64 s31, 0x42b17218, v11
	v_fmac_f32_e32 v43, 0x32a5705f, v14
	v_sub_f32_e32 v42, v42, v44
	v_cndmask_b32_e64 v11, 0x7f800000, v41, s31
	v_cmp_ngt_f32_e64 s31, 0xc2ce8ed0, v14
	v_add_f32_e32 v42, v42, v43
	v_cvt_i32_f32_e32 v43, v44
	v_add_f32_e32 v41, v10, v11
	v_exp_f32_e32 v42, v42
	v_ldexp_f32 v42, v42, v43
	v_cndmask_b32_e64 v42, 0, v42, s31
	v_cmp_nlt_f32_e64 s31, 0x42b17218, v14
	v_cndmask_b32_e64 v14, 0x7f800000, v42, s31
	v_mul_f32_e32 v42, 0x3fb8aa3b, v16
	v_cmp_ngt_f32_e64 s31, 0xc2ce8ed0, v16
	v_add_f32_e32 v41, v41, v14
	v_fma_f32 v43, 0x3fb8aa3b, v16, -v42
	v_rndne_f32_e32 v44, v42
	v_fmac_f32_e32 v43, 0x32a5705f, v16
	v_sub_f32_e32 v42, v42, v44
	v_add_f32_e32 v42, v42, v43
	v_cvt_i32_f32_e32 v43, v44
	v_exp_f32_e32 v42, v42
	v_ldexp_f32 v42, v42, v43
	v_cndmask_b32_e64 v42, 0, v42, s31
	v_cmp_nlt_f32_e64 s31, 0x42b17218, v16
	v_cndmask_b32_e64 v16, 0x7f800000, v42, s31
	v_mul_f32_e32 v42, 0x3fb8aa3b, v17
	v_cmp_ngt_f32_e64 s31, 0xc2ce8ed0, v17
	v_add_f32_e32 v41, v41, v16
	v_fma_f32 v43, 0x3fb8aa3b, v17, -v42
	v_rndne_f32_e32 v44, v42
	v_fmac_f32_e32 v43, 0x32a5705f, v17
	v_sub_f32_e32 v42, v42, v44
	v_add_f32_e32 v42, v42, v43
	v_cvt_i32_f32_e32 v43, v44
	;; [unrolled: 14-line block ×28, first 2 shown]
	v_exp_f32_e32 v42, v42
	v_ldexp_f32 v42, v42, v43
	v_rndne_f32_e32 v43, v25
	v_cndmask_b32_e64 v42, 0, v42, s31
	v_cmp_nlt_f32_e64 s31, 0x42b17218, v8
	v_cndmask_b32_e64 v8, 0x7f800000, v42, s31
	v_fma_f32 v42, 0x3fb8aa3b, v6, -v25
	v_sub_f32_e32 v25, v25, v43
	v_cmp_ngt_f32_e64 s31, 0xc2ce8ed0, v6
	v_add_f32_e32 v41, v41, v8
	v_fmac_f32_e32 v42, 0x32a5705f, v6
	v_add_f32_e32 v25, v25, v42
	v_cvt_i32_f32_e32 v42, v43
	v_exp_f32_e32 v25, v25
	v_ldexp_f32 v25, v25, v42
	v_cndmask_b32_e64 v25, 0, v25, s31
	v_cmp_nlt_f32_e64 s31, 0x42b17218, v6
	v_cndmask_b32_e64 v6, 0x7f800000, v25, s31
	v_add_f32_e32 v25, v41, v6
	ds_bpermute_b32 v0, v0, v25
	s_waitcnt lgkmcnt(0)
	v_add_f32_e32 v0, v25, v0
	ds_bpermute_b32 v3, v3, v0
	s_waitcnt lgkmcnt(0)
	;; [unrolled: 3-line block ×4, first 2 shown]
	v_add_f32_e32 v0, v0, v3
	ds_bpermute_b32 v3, v15, v0
	v_cmpx_lt_i32_e32 0, v5
	s_cbranch_execz .LBB505_98
; %bb.65:
	s_and_b32 exec_lo, exec_lo, vcc_lo
	s_cbranch_execz .LBB505_98
; %bb.66:
	s_waitcnt lgkmcnt(0)
	v_add_f32_e32 v3, v0, v3
	v_div_scale_f32 v0, null, v3, v3, v10
	v_div_scale_f32 v13, vcc_lo, v10, v3, v10
	v_cmp_eq_f32_e64 s31, 0, v3
	v_rcp_f32_e32 v4, v0
	v_fma_f32 v5, -v0, v4, 1.0
	v_fmac_f32_e32 v4, v5, v4
	v_mul_f32_e32 v5, v13, v4
	v_fma_f32 v15, -v0, v5, v13
	v_fmac_f32_e32 v5, v15, v4
	v_fma_f32 v0, -v0, v5, v13
	v_div_fmas_f32 v4, v0, v4, v5
	v_lshlrev_b64 v[0:1], 2, v[1:2]
	v_div_fixup_f32 v2, v4, v3, v10
	v_add_co_u32 v0, vcc_lo, s36, v0
	v_add_co_ci_u32_e64 v1, null, s37, v1, vcc_lo
	v_cndmask_b32_e64 v2, v2, 0x7fc00000, s31
	global_store_dword v[0:1], v2, off
	s_and_b32 exec_lo, exec_lo, s30
	s_cbranch_execz .LBB505_98
; %bb.67:
	v_div_scale_f32 v2, null, v3, v3, v11
	v_rcp_f32_e32 v4, v2
	v_fma_f32 v5, -v2, v4, 1.0
	v_fmac_f32_e32 v4, v5, v4
	v_div_scale_f32 v5, vcc_lo, v11, v3, v11
	v_mul_f32_e32 v10, v5, v4
	v_fma_f32 v13, -v2, v10, v5
	v_fmac_f32_e32 v10, v13, v4
	v_fma_f32 v2, -v2, v10, v5
	v_div_fmas_f32 v2, v2, v4, v10
	v_div_fixup_f32 v2, v2, v3, v11
	v_cndmask_b32_e64 v2, v2, 0x7fc00000, s31
	global_store_dword v[0:1], v2, off offset:128
	s_and_b32 exec_lo, exec_lo, s29
	s_cbranch_execz .LBB505_98
; %bb.68:
	v_div_scale_f32 v2, null, v3, v3, v14
	v_rcp_f32_e32 v4, v2
	v_fma_f32 v5, -v2, v4, 1.0
	v_fmac_f32_e32 v4, v5, v4
	v_div_scale_f32 v5, vcc_lo, v14, v3, v14
	v_mul_f32_e32 v10, v5, v4
	v_fma_f32 v11, -v2, v10, v5
	v_fmac_f32_e32 v10, v11, v4
	v_fma_f32 v2, -v2, v10, v5
	v_div_fmas_f32 v2, v2, v4, v10
	v_div_fixup_f32 v2, v2, v3, v14
	v_cndmask_b32_e64 v2, v2, 0x7fc00000, s31
	global_store_dword v[0:1], v2, off offset:256
	;; [unrolled: 16-line block ×15, first 2 shown]
	s_and_b32 exec_lo, exec_lo, s15
	s_cbranch_execz .LBB505_98
; %bb.82:
	v_div_scale_f32 v2, null, v3, v3, v35
	v_div_scale_f32 v10, vcc_lo, v35, v3, v35
	v_rcp_f32_e32 v4, v2
	v_fma_f32 v5, -v2, v4, 1.0
	v_fmac_f32_e32 v4, v5, v4
	v_mul_f32_e32 v5, v10, v4
	v_fma_f32 v11, -v2, v5, v10
	v_fmac_f32_e32 v5, v11, v4
	v_fma_f32 v2, -v2, v5, v10
	v_div_fmas_f32 v2, v2, v4, v5
	v_add_co_u32 v0, vcc_lo, 0x800, v0
	v_add_co_ci_u32_e64 v1, null, 0, v1, vcc_lo
	v_div_fixup_f32 v2, v2, v3, v35
	v_cndmask_b32_e64 v2, v2, 0x7fc00000, s31
	global_store_dword v[0:1], v2, off
	s_and_b32 exec_lo, exec_lo, s14
	s_cbranch_execz .LBB505_98
; %bb.83:
	v_div_scale_f32 v2, null, v3, v3, v33
	v_rcp_f32_e32 v4, v2
	v_fma_f32 v5, -v2, v4, 1.0
	v_fmac_f32_e32 v4, v5, v4
	v_div_scale_f32 v5, vcc_lo, v33, v3, v33
	v_mul_f32_e32 v10, v5, v4
	v_fma_f32 v11, -v2, v10, v5
	v_fmac_f32_e32 v10, v11, v4
	v_fma_f32 v2, -v2, v10, v5
	v_div_fmas_f32 v2, v2, v4, v10
	v_div_fixup_f32 v2, v2, v3, v33
	v_cndmask_b32_e64 v2, v2, 0x7fc00000, s31
	global_store_dword v[0:1], v2, off offset:128
	s_and_b32 exec_lo, exec_lo, s13
	s_cbranch_execz .LBB505_98
; %bb.84:
	v_div_scale_f32 v2, null, v3, v3, v36
	v_rcp_f32_e32 v4, v2
	v_fma_f32 v5, -v2, v4, 1.0
	v_fmac_f32_e32 v4, v5, v4
	v_div_scale_f32 v5, vcc_lo, v36, v3, v36
	v_mul_f32_e32 v10, v5, v4
	v_fma_f32 v11, -v2, v10, v5
	v_fmac_f32_e32 v10, v11, v4
	v_fma_f32 v2, -v2, v10, v5
	v_div_fmas_f32 v2, v2, v4, v10
	v_div_fixup_f32 v2, v2, v3, v36
	v_cndmask_b32_e64 v2, v2, 0x7fc00000, s31
	global_store_dword v[0:1], v2, off offset:256
	s_and_b32 exec_lo, exec_lo, s12
	s_cbranch_execz .LBB505_98
; %bb.85:
	v_div_scale_f32 v2, null, v3, v3, v37
	v_rcp_f32_e32 v4, v2
	v_fma_f32 v5, -v2, v4, 1.0
	v_fmac_f32_e32 v4, v5, v4
	v_div_scale_f32 v5, vcc_lo, v37, v3, v37
	v_mul_f32_e32 v10, v5, v4
	v_fma_f32 v11, -v2, v10, v5
	v_fmac_f32_e32 v10, v11, v4
	v_fma_f32 v2, -v2, v10, v5
	v_div_fmas_f32 v2, v2, v4, v10
	v_div_fixup_f32 v2, v2, v3, v37
	v_cndmask_b32_e64 v2, v2, 0x7fc00000, s31
	global_store_dword v[0:1], v2, off offset:384
	s_and_b32 exec_lo, exec_lo, s11
	s_cbranch_execz .LBB505_98
; %bb.86:
	v_div_scale_f32 v2, null, v3, v3, v38
	v_rcp_f32_e32 v4, v2
	v_fma_f32 v5, -v2, v4, 1.0
	v_fmac_f32_e32 v4, v5, v4
	v_div_scale_f32 v5, vcc_lo, v38, v3, v38
	v_mul_f32_e32 v10, v5, v4
	v_fma_f32 v11, -v2, v10, v5
	v_fmac_f32_e32 v10, v11, v4
	v_fma_f32 v2, -v2, v10, v5
	v_div_fmas_f32 v2, v2, v4, v10
	v_div_fixup_f32 v2, v2, v3, v38
	v_cndmask_b32_e64 v2, v2, 0x7fc00000, s31
	global_store_dword v[0:1], v2, off offset:512
	s_and_b32 exec_lo, exec_lo, s10
	s_cbranch_execz .LBB505_98
; %bb.87:
	v_div_scale_f32 v2, null, v3, v3, v39
	v_rcp_f32_e32 v4, v2
	v_fma_f32 v5, -v2, v4, 1.0
	v_fmac_f32_e32 v4, v5, v4
	v_div_scale_f32 v5, vcc_lo, v39, v3, v39
	v_mul_f32_e32 v10, v5, v4
	v_fma_f32 v11, -v2, v10, v5
	v_fmac_f32_e32 v10, v11, v4
	v_fma_f32 v2, -v2, v10, v5
	v_div_fmas_f32 v2, v2, v4, v10
	v_div_fixup_f32 v2, v2, v3, v39
	v_cndmask_b32_e64 v2, v2, 0x7fc00000, s31
	global_store_dword v[0:1], v2, off offset:640
	s_and_b32 exec_lo, exec_lo, s9
	s_cbranch_execz .LBB505_98
; %bb.88:
	v_div_scale_f32 v2, null, v3, v3, v40
	v_rcp_f32_e32 v4, v2
	v_fma_f32 v5, -v2, v4, 1.0
	v_fmac_f32_e32 v4, v5, v4
	v_div_scale_f32 v5, vcc_lo, v40, v3, v40
	v_mul_f32_e32 v10, v5, v4
	v_fma_f32 v11, -v2, v10, v5
	v_fmac_f32_e32 v10, v11, v4
	v_fma_f32 v2, -v2, v10, v5
	v_div_fmas_f32 v2, v2, v4, v10
	v_div_fixup_f32 v2, v2, v3, v40
	v_cndmask_b32_e64 v2, v2, 0x7fc00000, s31
	global_store_dword v[0:1], v2, off offset:768
	s_and_b32 exec_lo, exec_lo, s8
	s_cbranch_execz .LBB505_98
; %bb.89:
	v_div_scale_f32 v2, null, v3, v3, v26
	v_rcp_f32_e32 v4, v2
	v_fma_f32 v5, -v2, v4, 1.0
	v_fmac_f32_e32 v4, v5, v4
	v_div_scale_f32 v5, vcc_lo, v26, v3, v26
	v_mul_f32_e32 v10, v5, v4
	v_fma_f32 v11, -v2, v10, v5
	v_fmac_f32_e32 v10, v11, v4
	v_fma_f32 v2, -v2, v10, v5
	v_div_fmas_f32 v2, v2, v4, v10
	v_div_fixup_f32 v2, v2, v3, v26
	v_cndmask_b32_e64 v2, v2, 0x7fc00000, s31
	global_store_dword v[0:1], v2, off offset:896
	s_and_b32 exec_lo, exec_lo, s7
	s_cbranch_execz .LBB505_98
; %bb.90:
	v_div_scale_f32 v2, null, v3, v3, v24
	v_rcp_f32_e32 v4, v2
	v_fma_f32 v5, -v2, v4, 1.0
	v_fmac_f32_e32 v4, v5, v4
	v_div_scale_f32 v5, vcc_lo, v24, v3, v24
	v_mul_f32_e32 v10, v5, v4
	v_fma_f32 v11, -v2, v10, v5
	v_fmac_f32_e32 v10, v11, v4
	v_fma_f32 v2, -v2, v10, v5
	v_div_fmas_f32 v2, v2, v4, v10
	v_div_fixup_f32 v2, v2, v3, v24
	v_cndmask_b32_e64 v2, v2, 0x7fc00000, s31
	global_store_dword v[0:1], v2, off offset:1024
	s_and_b32 exec_lo, exec_lo, s6
	s_cbranch_execz .LBB505_98
; %bb.91:
	v_div_scale_f32 v2, null, v3, v3, v20
	v_rcp_f32_e32 v4, v2
	v_fma_f32 v5, -v2, v4, 1.0
	v_fmac_f32_e32 v4, v5, v4
	v_div_scale_f32 v5, vcc_lo, v20, v3, v20
	v_mul_f32_e32 v10, v5, v4
	v_fma_f32 v11, -v2, v10, v5
	v_fmac_f32_e32 v10, v11, v4
	v_fma_f32 v2, -v2, v10, v5
	v_div_fmas_f32 v2, v2, v4, v10
	v_div_fixup_f32 v2, v2, v3, v20
	v_cndmask_b32_e64 v2, v2, 0x7fc00000, s31
	global_store_dword v[0:1], v2, off offset:1152
	s_and_b32 exec_lo, exec_lo, s5
	s_cbranch_execz .LBB505_98
; %bb.92:
	v_div_scale_f32 v2, null, v3, v3, v19
	v_rcp_f32_e32 v4, v2
	v_fma_f32 v5, -v2, v4, 1.0
	v_fmac_f32_e32 v4, v5, v4
	v_div_scale_f32 v5, vcc_lo, v19, v3, v19
	v_mul_f32_e32 v10, v5, v4
	v_fma_f32 v11, -v2, v10, v5
	v_fmac_f32_e32 v10, v11, v4
	v_fma_f32 v2, -v2, v10, v5
	v_div_fmas_f32 v2, v2, v4, v10
	v_div_fixup_f32 v2, v2, v3, v19
	v_cndmask_b32_e64 v2, v2, 0x7fc00000, s31
	global_store_dword v[0:1], v2, off offset:1280
	s_and_b32 exec_lo, exec_lo, s4
	s_cbranch_execz .LBB505_98
; %bb.93:
	v_div_scale_f32 v2, null, v3, v3, v12
	v_rcp_f32_e32 v4, v2
	v_fma_f32 v5, -v2, v4, 1.0
	v_fmac_f32_e32 v4, v5, v4
	v_div_scale_f32 v5, vcc_lo, v12, v3, v12
	v_mul_f32_e32 v10, v5, v4
	v_fma_f32 v11, -v2, v10, v5
	v_fmac_f32_e32 v10, v11, v4
	v_fma_f32 v2, -v2, v10, v5
	v_div_fmas_f32 v2, v2, v4, v10
	v_div_fixup_f32 v2, v2, v3, v12
	v_cndmask_b32_e64 v2, v2, 0x7fc00000, s31
	global_store_dword v[0:1], v2, off offset:1408
	s_and_b32 exec_lo, exec_lo, s3
	s_cbranch_execz .LBB505_98
; %bb.94:
	v_div_scale_f32 v2, null, v3, v3, v9
	v_rcp_f32_e32 v4, v2
	v_fma_f32 v5, -v2, v4, 1.0
	v_fmac_f32_e32 v4, v5, v4
	v_div_scale_f32 v5, vcc_lo, v9, v3, v9
	v_mul_f32_e32 v10, v5, v4
	v_fma_f32 v11, -v2, v10, v5
	v_fmac_f32_e32 v10, v11, v4
	v_fma_f32 v2, -v2, v10, v5
	v_div_fmas_f32 v2, v2, v4, v10
	v_div_fixup_f32 v2, v2, v3, v9
	v_cndmask_b32_e64 v2, v2, 0x7fc00000, s31
	global_store_dword v[0:1], v2, off offset:1536
	s_and_b32 exec_lo, exec_lo, s2
	s_cbranch_execz .LBB505_98
; %bb.95:
	v_div_scale_f32 v2, null, v3, v3, v7
	v_rcp_f32_e32 v4, v2
	v_fma_f32 v5, -v2, v4, 1.0
	v_fmac_f32_e32 v4, v5, v4
	v_div_scale_f32 v5, vcc_lo, v7, v3, v7
	v_mul_f32_e32 v9, v5, v4
	v_fma_f32 v10, -v2, v9, v5
	v_fmac_f32_e32 v9, v10, v4
	v_fma_f32 v2, -v2, v9, v5
	v_div_fmas_f32 v2, v2, v4, v9
	v_div_fixup_f32 v2, v2, v3, v7
	v_cndmask_b32_e64 v2, v2, 0x7fc00000, s31
	global_store_dword v[0:1], v2, off offset:1664
	s_and_b32 exec_lo, exec_lo, s1
	s_cbranch_execz .LBB505_98
; %bb.96:
	v_div_scale_f32 v2, null, v3, v3, v8
	v_rcp_f32_e32 v4, v2
	v_fma_f32 v5, -v2, v4, 1.0
	v_fmac_f32_e32 v4, v5, v4
	v_div_scale_f32 v5, vcc_lo, v8, v3, v8
	v_mul_f32_e32 v7, v5, v4
	v_fma_f32 v9, -v2, v7, v5
	v_fmac_f32_e32 v7, v9, v4
	v_fma_f32 v2, -v2, v7, v5
	v_div_fmas_f32 v2, v2, v4, v7
	v_div_fixup_f32 v2, v2, v3, v8
	v_cndmask_b32_e64 v2, v2, 0x7fc00000, s31
	global_store_dword v[0:1], v2, off offset:1792
	s_and_b32 exec_lo, exec_lo, s0
	s_cbranch_execz .LBB505_98
; %bb.97:
	v_div_scale_f32 v2, null, v3, v3, v6
	v_rcp_f32_e32 v4, v2
	v_fma_f32 v5, -v2, v4, 1.0
	v_fmac_f32_e32 v4, v5, v4
	v_div_scale_f32 v5, vcc_lo, v6, v3, v6
	v_mul_f32_e32 v7, v5, v4
	v_fma_f32 v8, -v2, v7, v5
	v_fmac_f32_e32 v7, v8, v4
	v_fma_f32 v2, -v2, v7, v5
	v_div_fmas_f32 v2, v2, v4, v7
	v_div_fixup_f32 v2, v2, v3, v6
	v_cndmask_b32_e64 v2, v2, 0x7fc00000, s31
	global_store_dword v[0:1], v2, off offset:1920
.LBB505_98:
	s_endpgm
	.section	.rodata,"a",@progbits
	.p2align	6, 0x0
	.amdhsa_kernel _ZN12_GLOBAL__N_120softmax_warp_forwardIN3c108BFloat16EffLi10ELb0ELb0ELi32EEEvPT0_PKT_iiiPKbib
		.amdhsa_group_segment_fixed_size 0
		.amdhsa_private_segment_fixed_size 0
		.amdhsa_kernarg_size 304
		.amdhsa_user_sgpr_count 6
		.amdhsa_user_sgpr_private_segment_buffer 1
		.amdhsa_user_sgpr_dispatch_ptr 0
		.amdhsa_user_sgpr_queue_ptr 0
		.amdhsa_user_sgpr_kernarg_segment_ptr 1
		.amdhsa_user_sgpr_dispatch_id 0
		.amdhsa_user_sgpr_flat_scratch_init 0
		.amdhsa_user_sgpr_private_segment_size 0
		.amdhsa_wavefront_size32 1
		.amdhsa_uses_dynamic_stack 0
		.amdhsa_system_sgpr_private_segment_wavefront_offset 0
		.amdhsa_system_sgpr_workgroup_id_x 1
		.amdhsa_system_sgpr_workgroup_id_y 0
		.amdhsa_system_sgpr_workgroup_id_z 0
		.amdhsa_system_sgpr_workgroup_info 0
		.amdhsa_system_vgpr_workitem_id 1
		.amdhsa_next_free_vgpr 45
		.amdhsa_next_free_sgpr 44
		.amdhsa_reserve_vcc 1
		.amdhsa_reserve_flat_scratch 0
		.amdhsa_float_round_mode_32 0
		.amdhsa_float_round_mode_16_64 0
		.amdhsa_float_denorm_mode_32 3
		.amdhsa_float_denorm_mode_16_64 3
		.amdhsa_dx10_clamp 1
		.amdhsa_ieee_mode 1
		.amdhsa_fp16_overflow 0
		.amdhsa_workgroup_processor_mode 1
		.amdhsa_memory_ordered 1
		.amdhsa_forward_progress 1
		.amdhsa_shared_vgpr_count 0
		.amdhsa_exception_fp_ieee_invalid_op 0
		.amdhsa_exception_fp_denorm_src 0
		.amdhsa_exception_fp_ieee_div_zero 0
		.amdhsa_exception_fp_ieee_overflow 0
		.amdhsa_exception_fp_ieee_underflow 0
		.amdhsa_exception_fp_ieee_inexact 0
		.amdhsa_exception_int_div_zero 0
	.end_amdhsa_kernel
	.section	.text._ZN12_GLOBAL__N_120softmax_warp_forwardIN3c108BFloat16EffLi10ELb0ELb0ELi32EEEvPT0_PKT_iiiPKbib,"axG",@progbits,_ZN12_GLOBAL__N_120softmax_warp_forwardIN3c108BFloat16EffLi10ELb0ELb0ELi32EEEvPT0_PKT_iiiPKbib,comdat
.Lfunc_end505:
	.size	_ZN12_GLOBAL__N_120softmax_warp_forwardIN3c108BFloat16EffLi10ELb0ELb0ELi32EEEvPT0_PKT_iiiPKbib, .Lfunc_end505-_ZN12_GLOBAL__N_120softmax_warp_forwardIN3c108BFloat16EffLi10ELb0ELb0ELi32EEEvPT0_PKT_iiiPKbib
                                        ; -- End function
	.set _ZN12_GLOBAL__N_120softmax_warp_forwardIN3c108BFloat16EffLi10ELb0ELb0ELi32EEEvPT0_PKT_iiiPKbib.num_vgpr, 45
	.set _ZN12_GLOBAL__N_120softmax_warp_forwardIN3c108BFloat16EffLi10ELb0ELb0ELi32EEEvPT0_PKT_iiiPKbib.num_agpr, 0
	.set _ZN12_GLOBAL__N_120softmax_warp_forwardIN3c108BFloat16EffLi10ELb0ELb0ELi32EEEvPT0_PKT_iiiPKbib.numbered_sgpr, 44
	.set _ZN12_GLOBAL__N_120softmax_warp_forwardIN3c108BFloat16EffLi10ELb0ELb0ELi32EEEvPT0_PKT_iiiPKbib.num_named_barrier, 0
	.set _ZN12_GLOBAL__N_120softmax_warp_forwardIN3c108BFloat16EffLi10ELb0ELb0ELi32EEEvPT0_PKT_iiiPKbib.private_seg_size, 0
	.set _ZN12_GLOBAL__N_120softmax_warp_forwardIN3c108BFloat16EffLi10ELb0ELb0ELi32EEEvPT0_PKT_iiiPKbib.uses_vcc, 1
	.set _ZN12_GLOBAL__N_120softmax_warp_forwardIN3c108BFloat16EffLi10ELb0ELb0ELi32EEEvPT0_PKT_iiiPKbib.uses_flat_scratch, 0
	.set _ZN12_GLOBAL__N_120softmax_warp_forwardIN3c108BFloat16EffLi10ELb0ELb0ELi32EEEvPT0_PKT_iiiPKbib.has_dyn_sized_stack, 0
	.set _ZN12_GLOBAL__N_120softmax_warp_forwardIN3c108BFloat16EffLi10ELb0ELb0ELi32EEEvPT0_PKT_iiiPKbib.has_recursion, 0
	.set _ZN12_GLOBAL__N_120softmax_warp_forwardIN3c108BFloat16EffLi10ELb0ELb0ELi32EEEvPT0_PKT_iiiPKbib.has_indirect_call, 0
	.section	.AMDGPU.csdata,"",@progbits
; Kernel info:
; codeLenInByte = 9420
; TotalNumSgprs: 46
; NumVgprs: 45
; ScratchSize: 0
; MemoryBound: 0
; FloatMode: 240
; IeeeMode: 1
; LDSByteSize: 0 bytes/workgroup (compile time only)
; SGPRBlocks: 0
; VGPRBlocks: 5
; NumSGPRsForWavesPerEU: 46
; NumVGPRsForWavesPerEU: 45
; Occupancy: 16
; WaveLimiterHint : 0
; COMPUTE_PGM_RSRC2:SCRATCH_EN: 0
; COMPUTE_PGM_RSRC2:USER_SGPR: 6
; COMPUTE_PGM_RSRC2:TRAP_HANDLER: 0
; COMPUTE_PGM_RSRC2:TGID_X_EN: 1
; COMPUTE_PGM_RSRC2:TGID_Y_EN: 0
; COMPUTE_PGM_RSRC2:TGID_Z_EN: 0
; COMPUTE_PGM_RSRC2:TIDIG_COMP_CNT: 1
	.section	.text._ZN12_GLOBAL__N_120softmax_warp_forwardIN3c108BFloat16EffLi11ELb0ELb0ELi64EEEvPT0_PKT_iiiPKbib,"axG",@progbits,_ZN12_GLOBAL__N_120softmax_warp_forwardIN3c108BFloat16EffLi11ELb0ELb0ELi64EEEvPT0_PKT_iiiPKbib,comdat
	.globl	_ZN12_GLOBAL__N_120softmax_warp_forwardIN3c108BFloat16EffLi11ELb0ELb0ELi64EEEvPT0_PKT_iiiPKbib ; -- Begin function _ZN12_GLOBAL__N_120softmax_warp_forwardIN3c108BFloat16EffLi11ELb0ELb0ELi64EEEvPT0_PKT_iiiPKbib
	.p2align	8
	.type	_ZN12_GLOBAL__N_120softmax_warp_forwardIN3c108BFloat16EffLi11ELb0ELb0ELi64EEEvPT0_PKT_iiiPKbib,@function
_ZN12_GLOBAL__N_120softmax_warp_forwardIN3c108BFloat16EffLi11ELb0ELb0ELi64EEEvPT0_PKT_iiiPKbib: ; @_ZN12_GLOBAL__N_120softmax_warp_forwardIN3c108BFloat16EffLi11ELb0ELb0ELi64EEEvPT0_PKT_iiiPKbib
; %bb.0:
	s_clause 0x1
	s_load_dword s0, s[4:5], 0x3c
	s_load_dwordx8 s[36:43], s[4:5], 0x0
	v_mov_b32_e32 v13, 0xff800000
	v_mov_b32_e32 v12, 0xff800000
	s_waitcnt lgkmcnt(0)
	s_lshr_b32 s0, s0, 16
	v_cmp_gt_i32_e32 vcc_lo, s42, v0
	v_mad_u64_u32 v[3:4], null, s6, s0, v[1:2]
	v_mad_u64_u32 v[1:2], null, v3, s41, v[0:1]
	v_sub_nc_u32_e32 v5, s40, v3
	v_cmp_lt_i32_e64 s31, 0, v5
	v_ashrrev_i32_e32 v2, 31, v1
	s_and_b32 s1, s31, vcc_lo
	v_lshlrev_b64 v[3:4], 1, v[1:2]
	v_add_co_u32 v3, s0, s38, v3
	v_add_co_ci_u32_e64 v4, null, s39, v4, s0
	s_and_saveexec_b32 s0, s1
	s_cbranch_execz .LBB506_2
; %bb.1:
	global_load_ushort v6, v[3:4], off
	s_waitcnt vmcnt(0)
	v_lshlrev_b32_e32 v12, 16, v6
.LBB506_2:
	s_or_b32 exec_lo, exec_lo, s0
	v_add_nc_u32_e32 v6, 64, v0
	v_cmp_gt_i32_e64 s30, s42, v6
	s_and_b32 s1, s31, s30
	s_and_saveexec_b32 s0, s1
	s_cbranch_execz .LBB506_4
; %bb.3:
	global_load_ushort v6, v[3:4], off offset:128
	s_waitcnt vmcnt(0)
	v_lshlrev_b32_e32 v13, 16, v6
.LBB506_4:
	s_or_b32 exec_lo, exec_lo, s0
	v_add_nc_u32_e32 v6, 0x80, v0
	v_mov_b32_e32 v19, 0xff800000
	v_mov_b32_e32 v16, 0xff800000
	v_cmp_gt_i32_e64 s29, s42, v6
	s_and_b32 s1, s31, s29
	s_and_saveexec_b32 s0, s1
	s_cbranch_execz .LBB506_6
; %bb.5:
	global_load_ushort v6, v[3:4], off offset:256
	s_waitcnt vmcnt(0)
	v_lshlrev_b32_e32 v16, 16, v6
.LBB506_6:
	s_or_b32 exec_lo, exec_lo, s0
	v_add_nc_u32_e32 v6, 0xc0, v0
	v_cmp_gt_i32_e64 s28, s42, v6
	s_and_b32 s1, s31, s28
	s_and_saveexec_b32 s0, s1
	s_cbranch_execz .LBB506_8
; %bb.7:
	global_load_ushort v6, v[3:4], off offset:384
	s_waitcnt vmcnt(0)
	v_lshlrev_b32_e32 v19, 16, v6
.LBB506_8:
	s_or_b32 exec_lo, exec_lo, s0
	v_add_nc_u32_e32 v6, 0x100, v0
	v_mov_b32_e32 v21, 0xff800000
	v_mov_b32_e32 v20, 0xff800000
	v_cmp_gt_i32_e64 s27, s42, v6
	s_and_b32 s1, s31, s27
	s_and_saveexec_b32 s0, s1
	s_cbranch_execz .LBB506_10
; %bb.9:
	global_load_ushort v6, v[3:4], off offset:512
	s_waitcnt vmcnt(0)
	v_lshlrev_b32_e32 v20, 16, v6
.LBB506_10:
	;; [unrolled: 24-line block ×7, first 2 shown]
	s_or_b32 exec_lo, exec_lo, s0
	v_add_nc_u32_e32 v6, 0x3c0, v0
	v_cmp_gt_i32_e64 s16, s42, v6
	s_and_b32 s1, s31, s16
	s_and_saveexec_b32 s0, s1
	s_cbranch_execz .LBB506_32
; %bb.31:
	global_load_ushort v6, v[3:4], off offset:1920
	s_waitcnt vmcnt(0)
	v_lshlrev_b32_e32 v33, 16, v6
.LBB506_32:
	s_or_b32 exec_lo, exec_lo, s0
	v_or_b32_e32 v6, 0x400, v0
	v_mov_b32_e32 v31, 0xff800000
	v_mov_b32_e32 v34, 0xff800000
	v_cmp_gt_i32_e64 s15, s42, v6
	s_and_b32 s0, s31, s15
	s_and_saveexec_b32 s1, s0
	s_cbranch_execz .LBB506_34
; %bb.33:
	v_add_co_u32 v6, s0, 0x800, v3
	v_add_co_ci_u32_e64 v7, null, 0, v4, s0
	global_load_ushort v6, v[6:7], off
	s_waitcnt vmcnt(0)
	v_lshlrev_b32_e32 v34, 16, v6
.LBB506_34:
	s_or_b32 exec_lo, exec_lo, s1
	v_add_nc_u32_e32 v6, 0x440, v0
	v_cmp_gt_i32_e64 s14, s42, v6
	s_and_b32 s0, s31, s14
	s_and_saveexec_b32 s1, s0
	s_cbranch_execz .LBB506_36
; %bb.35:
	v_add_co_u32 v6, s0, 0x800, v3
	v_add_co_ci_u32_e64 v7, null, 0, v4, s0
	global_load_ushort v6, v[6:7], off offset:128
	s_waitcnt vmcnt(0)
	v_lshlrev_b32_e32 v31, 16, v6
.LBB506_36:
	s_or_b32 exec_lo, exec_lo, s1
	v_add_nc_u32_e32 v6, 0x480, v0
	v_mov_b32_e32 v36, 0xff800000
	v_mov_b32_e32 v35, 0xff800000
	v_cmp_gt_i32_e64 s13, s42, v6
	s_and_b32 s0, s31, s13
	s_and_saveexec_b32 s1, s0
	s_cbranch_execz .LBB506_38
; %bb.37:
	v_add_co_u32 v6, s0, 0x800, v3
	v_add_co_ci_u32_e64 v7, null, 0, v4, s0
	global_load_ushort v6, v[6:7], off offset:256
	s_waitcnt vmcnt(0)
	v_lshlrev_b32_e32 v35, 16, v6
.LBB506_38:
	s_or_b32 exec_lo, exec_lo, s1
	v_add_nc_u32_e32 v6, 0x4c0, v0
	v_cmp_gt_i32_e64 s12, s42, v6
	s_and_b32 s0, s31, s12
	s_and_saveexec_b32 s1, s0
	s_cbranch_execz .LBB506_40
; %bb.39:
	v_add_co_u32 v6, s0, 0x800, v3
	v_add_co_ci_u32_e64 v7, null, 0, v4, s0
	global_load_ushort v6, v[6:7], off offset:384
	s_waitcnt vmcnt(0)
	v_lshlrev_b32_e32 v36, 16, v6
.LBB506_40:
	s_or_b32 exec_lo, exec_lo, s1
	v_add_nc_u32_e32 v6, 0x500, v0
	v_mov_b32_e32 v38, 0xff800000
	v_mov_b32_e32 v37, 0xff800000
	v_cmp_gt_i32_e64 s11, s42, v6
	s_and_b32 s0, s31, s11
	s_and_saveexec_b32 s1, s0
	s_cbranch_execz .LBB506_42
; %bb.41:
	v_add_co_u32 v6, s0, 0x800, v3
	v_add_co_ci_u32_e64 v7, null, 0, v4, s0
	global_load_ushort v6, v[6:7], off offset:512
	s_waitcnt vmcnt(0)
	v_lshlrev_b32_e32 v37, 16, v6
.LBB506_42:
	;; [unrolled: 28-line block ×6, first 2 shown]
	s_or_b32 exec_lo, exec_lo, s1
	v_add_nc_u32_e32 v6, 0x740, v0
	v_cmp_gt_i32_e64 s2, s42, v6
	s_and_b32 s0, s31, s2
	s_and_saveexec_b32 s1, s0
	s_cbranch_execz .LBB506_60
; %bb.59:
	v_add_co_u32 v6, s0, 0x800, v3
	v_add_co_ci_u32_e64 v7, null, 0, v4, s0
	global_load_ushort v6, v[6:7], off offset:1664
	s_waitcnt vmcnt(0)
	v_lshlrev_b32_e32 v7, 16, v6
.LBB506_60:
	s_or_b32 exec_lo, exec_lo, s1
	v_add_nc_u32_e32 v6, 0x780, v0
	v_mov_b32_e32 v8, 0xff800000
	v_cmp_gt_i32_e64 s1, s42, v6
	v_mov_b32_e32 v6, 0xff800000
	s_and_b32 s0, s31, s1
	s_and_saveexec_b32 s33, s0
	s_cbranch_execz .LBB506_62
; %bb.61:
	v_add_co_u32 v42, s0, 0x800, v3
	v_add_co_ci_u32_e64 v43, null, 0, v4, s0
	global_load_ushort v8, v[42:43], off offset:1792
	s_waitcnt vmcnt(0)
	v_lshlrev_b32_e32 v8, 16, v8
.LBB506_62:
	s_or_b32 exec_lo, exec_lo, s33
	v_add_nc_u32_e32 v0, 0x7c0, v0
	v_cmp_gt_i32_e64 s0, s42, v0
	s_and_b32 s31, s31, s0
	s_and_saveexec_b32 s33, s31
	s_cbranch_execz .LBB506_64
; %bb.63:
	v_add_co_u32 v3, s31, 0x800, v3
	v_add_co_ci_u32_e64 v4, null, 0, v4, s31
	global_load_ushort v0, v[3:4], off offset:1920
	s_waitcnt vmcnt(0)
	v_lshlrev_b32_e32 v6, 16, v0
.LBB506_64:
	s_or_b32 exec_lo, exec_lo, s33
	v_cmp_gt_f32_e64 s31, v12, v13
	v_mbcnt_lo_u32_b32 v18, -1, 0
	s_mov_b32 s33, exec_lo
	v_cndmask_b32_e64 v0, v13, v12, s31
	v_cmp_gt_f32_e64 s31, v0, v16
	v_cndmask_b32_e64 v0, v16, v0, s31
	v_cmp_gt_f32_e64 s31, v0, v19
	;; [unrolled: 2-line block ×30, first 2 shown]
	v_cndmask_b32_e64 v3, v6, v0, s31
	v_or_b32_e32 v0, 32, v18
	v_cmp_gt_i32_e64 s31, 64, v0
	v_cndmask_b32_e64 v0, v18, v0, s31
	v_lshlrev_b32_e32 v0, 2, v0
	ds_bpermute_b32 v4, v0, v3
	s_waitcnt lgkmcnt(0)
	v_cmp_lt_f32_e64 s31, v3, v4
	v_cndmask_b32_e64 v4, v3, v4, s31
	v_xor_b32_e32 v3, 16, v18
	v_cmp_gt_i32_e64 s31, 64, v3
	v_cndmask_b32_e64 v3, v18, v3, s31
	v_lshlrev_b32_e32 v3, 2, v3
	ds_bpermute_b32 v11, v3, v4
	s_waitcnt lgkmcnt(0)
	v_cmp_lt_f32_e64 s31, v4, v11
	v_cndmask_b32_e64 v11, v4, v11, s31
	v_xor_b32_e32 v4, 8, v18
	;; [unrolled: 8-line block ×5, first 2 shown]
	v_cmp_gt_i32_e64 s31, 64, v42
	v_cndmask_b32_e64 v18, v18, v42, s31
	v_lshlrev_b32_e32 v18, 2, v18
	ds_bpermute_b32 v42, v18, v24
	s_waitcnt lgkmcnt(0)
	v_cmp_lt_f32_e64 s31, v24, v42
	v_cndmask_b32_e64 v24, v24, v42, s31
	v_sub_f32_e32 v12, v12, v24
	v_sub_f32_e32 v13, v13, v24
	v_sub_f32_e32 v16, v16, v24
	v_sub_f32_e32 v19, v19, v24
	v_sub_f32_e32 v20, v20, v24
	v_mul_f32_e32 v42, 0x3fb8aa3b, v12
	v_cmp_ngt_f32_e64 s31, 0xc2ce8ed0, v12
	v_sub_f32_e32 v21, v21, v24
	v_sub_f32_e32 v22, v22, v24
	;; [unrolled: 1-line block ×3, first 2 shown]
	v_fma_f32 v43, 0x3fb8aa3b, v12, -v42
	v_rndne_f32_e32 v44, v42
	v_sub_f32_e32 v25, v25, v24
	v_sub_f32_e32 v26, v26, v24
	;; [unrolled: 1-line block ×3, first 2 shown]
	v_fmac_f32_e32 v43, 0x32a5705f, v12
	v_sub_f32_e32 v42, v42, v44
	v_sub_f32_e32 v28, v28, v24
	;; [unrolled: 1-line block ×5, first 2 shown]
	v_add_f32_e32 v42, v42, v43
	v_cvt_i32_f32_e32 v43, v44
	v_sub_f32_e32 v33, v33, v24
	v_sub_f32_e32 v34, v34, v24
	;; [unrolled: 1-line block ×3, first 2 shown]
	v_exp_f32_e32 v42, v42
	v_sub_f32_e32 v35, v35, v24
	v_sub_f32_e32 v36, v36, v24
	;; [unrolled: 1-line block ×9, first 2 shown]
	v_ldexp_f32 v42, v42, v43
	v_sub_f32_e32 v10, v10, v24
	v_sub_f32_e32 v9, v9, v24
	;; [unrolled: 1-line block ×4, first 2 shown]
	v_cndmask_b32_e64 v42, 0, v42, s31
	v_cmp_nlt_f32_e64 s31, 0x42b17218, v12
	v_sub_f32_e32 v6, v6, v24
	v_cndmask_b32_e64 v12, 0x7f800000, v42, s31
	v_mul_f32_e32 v42, 0x3fb8aa3b, v13
	v_cmp_ngt_f32_e64 s31, 0xc2ce8ed0, v13
	v_mul_f32_e32 v24, 0x3fb8aa3b, v6
	v_fma_f32 v43, 0x3fb8aa3b, v13, -v42
	v_rndne_f32_e32 v44, v42
	v_fmac_f32_e32 v43, 0x32a5705f, v13
	v_sub_f32_e32 v42, v42, v44
	v_add_f32_e32 v42, v42, v43
	v_cvt_i32_f32_e32 v43, v44
	v_exp_f32_e32 v42, v42
	v_ldexp_f32 v42, v42, v43
	v_mul_f32_e32 v43, 0x3fb8aa3b, v16
	v_cndmask_b32_e64 v42, 0, v42, s31
	v_fma_f32 v44, 0x3fb8aa3b, v16, -v43
	v_rndne_f32_e32 v45, v43
	v_cmp_nlt_f32_e64 s31, 0x42b17218, v13
	v_fmac_f32_e32 v44, 0x32a5705f, v16
	v_sub_f32_e32 v43, v43, v45
	v_cndmask_b32_e64 v13, 0x7f800000, v42, s31
	v_cmp_ngt_f32_e64 s31, 0xc2ce8ed0, v16
	v_add_f32_e32 v43, v43, v44
	v_cvt_i32_f32_e32 v44, v45
	v_add_f32_e32 v42, v12, v13
	v_exp_f32_e32 v43, v43
	v_ldexp_f32 v43, v43, v44
	v_cndmask_b32_e64 v43, 0, v43, s31
	v_cmp_nlt_f32_e64 s31, 0x42b17218, v16
	v_cndmask_b32_e64 v16, 0x7f800000, v43, s31
	v_mul_f32_e32 v43, 0x3fb8aa3b, v19
	v_cmp_ngt_f32_e64 s31, 0xc2ce8ed0, v19
	v_add_f32_e32 v42, v42, v16
	v_fma_f32 v44, 0x3fb8aa3b, v19, -v43
	v_rndne_f32_e32 v45, v43
	v_fmac_f32_e32 v44, 0x32a5705f, v19
	v_sub_f32_e32 v43, v43, v45
	v_add_f32_e32 v43, v43, v44
	v_cvt_i32_f32_e32 v44, v45
	v_exp_f32_e32 v43, v43
	v_ldexp_f32 v43, v43, v44
	v_cndmask_b32_e64 v43, 0, v43, s31
	v_cmp_nlt_f32_e64 s31, 0x42b17218, v19
	v_cndmask_b32_e64 v19, 0x7f800000, v43, s31
	v_mul_f32_e32 v43, 0x3fb8aa3b, v20
	v_cmp_ngt_f32_e64 s31, 0xc2ce8ed0, v20
	v_add_f32_e32 v42, v42, v19
	v_fma_f32 v44, 0x3fb8aa3b, v20, -v43
	v_rndne_f32_e32 v45, v43
	v_fmac_f32_e32 v44, 0x32a5705f, v20
	v_sub_f32_e32 v43, v43, v45
	v_add_f32_e32 v43, v43, v44
	v_cvt_i32_f32_e32 v44, v45
	v_exp_f32_e32 v43, v43
	v_ldexp_f32 v43, v43, v44
	v_cndmask_b32_e64 v43, 0, v43, s31
	v_cmp_nlt_f32_e64 s31, 0x42b17218, v20
	v_cndmask_b32_e64 v20, 0x7f800000, v43, s31
	v_mul_f32_e32 v43, 0x3fb8aa3b, v21
	v_cmp_ngt_f32_e64 s31, 0xc2ce8ed0, v21
	v_add_f32_e32 v42, v42, v20
	v_fma_f32 v44, 0x3fb8aa3b, v21, -v43
	v_rndne_f32_e32 v45, v43
	v_fmac_f32_e32 v44, 0x32a5705f, v21
	v_sub_f32_e32 v43, v43, v45
	v_add_f32_e32 v43, v43, v44
	v_cvt_i32_f32_e32 v44, v45
	v_exp_f32_e32 v43, v43
	v_ldexp_f32 v43, v43, v44
	v_cndmask_b32_e64 v43, 0, v43, s31
	v_cmp_nlt_f32_e64 s31, 0x42b17218, v21
	v_cndmask_b32_e64 v21, 0x7f800000, v43, s31
	v_mul_f32_e32 v43, 0x3fb8aa3b, v22
	v_cmp_ngt_f32_e64 s31, 0xc2ce8ed0, v22
	v_add_f32_e32 v42, v42, v21
	v_fma_f32 v44, 0x3fb8aa3b, v22, -v43
	v_rndne_f32_e32 v45, v43
	v_fmac_f32_e32 v44, 0x32a5705f, v22
	v_sub_f32_e32 v43, v43, v45
	v_add_f32_e32 v43, v43, v44
	v_cvt_i32_f32_e32 v44, v45
	v_exp_f32_e32 v43, v43
	v_ldexp_f32 v43, v43, v44
	v_cndmask_b32_e64 v43, 0, v43, s31
	v_cmp_nlt_f32_e64 s31, 0x42b17218, v22
	v_cndmask_b32_e64 v22, 0x7f800000, v43, s31
	v_mul_f32_e32 v43, 0x3fb8aa3b, v23
	v_cmp_ngt_f32_e64 s31, 0xc2ce8ed0, v23
	v_add_f32_e32 v42, v42, v22
	v_fma_f32 v44, 0x3fb8aa3b, v23, -v43
	v_rndne_f32_e32 v45, v43
	v_fmac_f32_e32 v44, 0x32a5705f, v23
	v_sub_f32_e32 v43, v43, v45
	v_add_f32_e32 v43, v43, v44
	v_cvt_i32_f32_e32 v44, v45
	v_exp_f32_e32 v43, v43
	v_ldexp_f32 v43, v43, v44
	v_cndmask_b32_e64 v43, 0, v43, s31
	v_cmp_nlt_f32_e64 s31, 0x42b17218, v23
	v_cndmask_b32_e64 v23, 0x7f800000, v43, s31
	v_mul_f32_e32 v43, 0x3fb8aa3b, v25
	v_cmp_ngt_f32_e64 s31, 0xc2ce8ed0, v25
	v_add_f32_e32 v42, v42, v23
	v_fma_f32 v44, 0x3fb8aa3b, v25, -v43
	v_rndne_f32_e32 v45, v43
	v_fmac_f32_e32 v44, 0x32a5705f, v25
	v_sub_f32_e32 v43, v43, v45
	v_add_f32_e32 v43, v43, v44
	v_cvt_i32_f32_e32 v44, v45
	v_exp_f32_e32 v43, v43
	v_ldexp_f32 v43, v43, v44
	v_cndmask_b32_e64 v43, 0, v43, s31
	v_cmp_nlt_f32_e64 s31, 0x42b17218, v25
	v_cndmask_b32_e64 v25, 0x7f800000, v43, s31
	v_mul_f32_e32 v43, 0x3fb8aa3b, v26
	v_cmp_ngt_f32_e64 s31, 0xc2ce8ed0, v26
	v_add_f32_e32 v42, v42, v25
	v_fma_f32 v44, 0x3fb8aa3b, v26, -v43
	v_rndne_f32_e32 v45, v43
	v_fmac_f32_e32 v44, 0x32a5705f, v26
	v_sub_f32_e32 v43, v43, v45
	v_add_f32_e32 v43, v43, v44
	v_cvt_i32_f32_e32 v44, v45
	v_exp_f32_e32 v43, v43
	v_ldexp_f32 v43, v43, v44
	v_cndmask_b32_e64 v43, 0, v43, s31
	v_cmp_nlt_f32_e64 s31, 0x42b17218, v26
	v_cndmask_b32_e64 v26, 0x7f800000, v43, s31
	v_mul_f32_e32 v43, 0x3fb8aa3b, v27
	v_cmp_ngt_f32_e64 s31, 0xc2ce8ed0, v27
	v_add_f32_e32 v42, v42, v26
	v_fma_f32 v44, 0x3fb8aa3b, v27, -v43
	v_rndne_f32_e32 v45, v43
	v_fmac_f32_e32 v44, 0x32a5705f, v27
	v_sub_f32_e32 v43, v43, v45
	v_add_f32_e32 v43, v43, v44
	v_cvt_i32_f32_e32 v44, v45
	v_exp_f32_e32 v43, v43
	v_ldexp_f32 v43, v43, v44
	v_cndmask_b32_e64 v43, 0, v43, s31
	v_cmp_nlt_f32_e64 s31, 0x42b17218, v27
	v_cndmask_b32_e64 v27, 0x7f800000, v43, s31
	v_mul_f32_e32 v43, 0x3fb8aa3b, v28
	v_cmp_ngt_f32_e64 s31, 0xc2ce8ed0, v28
	v_add_f32_e32 v42, v42, v27
	v_fma_f32 v44, 0x3fb8aa3b, v28, -v43
	v_rndne_f32_e32 v45, v43
	v_fmac_f32_e32 v44, 0x32a5705f, v28
	v_sub_f32_e32 v43, v43, v45
	v_add_f32_e32 v43, v43, v44
	v_cvt_i32_f32_e32 v44, v45
	v_exp_f32_e32 v43, v43
	v_ldexp_f32 v43, v43, v44
	v_cndmask_b32_e64 v43, 0, v43, s31
	v_cmp_nlt_f32_e64 s31, 0x42b17218, v28
	v_cndmask_b32_e64 v28, 0x7f800000, v43, s31
	v_mul_f32_e32 v43, 0x3fb8aa3b, v29
	v_cmp_ngt_f32_e64 s31, 0xc2ce8ed0, v29
	v_add_f32_e32 v42, v42, v28
	v_fma_f32 v44, 0x3fb8aa3b, v29, -v43
	v_rndne_f32_e32 v45, v43
	v_fmac_f32_e32 v44, 0x32a5705f, v29
	v_sub_f32_e32 v43, v43, v45
	v_add_f32_e32 v43, v43, v44
	v_cvt_i32_f32_e32 v44, v45
	v_exp_f32_e32 v43, v43
	v_ldexp_f32 v43, v43, v44
	v_cndmask_b32_e64 v43, 0, v43, s31
	v_cmp_nlt_f32_e64 s31, 0x42b17218, v29
	v_cndmask_b32_e64 v29, 0x7f800000, v43, s31
	v_mul_f32_e32 v43, 0x3fb8aa3b, v30
	v_cmp_ngt_f32_e64 s31, 0xc2ce8ed0, v30
	v_add_f32_e32 v42, v42, v29
	v_fma_f32 v44, 0x3fb8aa3b, v30, -v43
	v_rndne_f32_e32 v45, v43
	v_fmac_f32_e32 v44, 0x32a5705f, v30
	v_sub_f32_e32 v43, v43, v45
	v_add_f32_e32 v43, v43, v44
	v_cvt_i32_f32_e32 v44, v45
	v_exp_f32_e32 v43, v43
	v_ldexp_f32 v43, v43, v44
	v_cndmask_b32_e64 v43, 0, v43, s31
	v_cmp_nlt_f32_e64 s31, 0x42b17218, v30
	v_cndmask_b32_e64 v30, 0x7f800000, v43, s31
	v_mul_f32_e32 v43, 0x3fb8aa3b, v32
	v_cmp_ngt_f32_e64 s31, 0xc2ce8ed0, v32
	v_add_f32_e32 v42, v42, v30
	v_fma_f32 v44, 0x3fb8aa3b, v32, -v43
	v_rndne_f32_e32 v45, v43
	v_fmac_f32_e32 v44, 0x32a5705f, v32
	v_sub_f32_e32 v43, v43, v45
	v_add_f32_e32 v43, v43, v44
	v_cvt_i32_f32_e32 v44, v45
	v_exp_f32_e32 v43, v43
	v_ldexp_f32 v43, v43, v44
	v_cndmask_b32_e64 v43, 0, v43, s31
	v_cmp_nlt_f32_e64 s31, 0x42b17218, v32
	v_cndmask_b32_e64 v32, 0x7f800000, v43, s31
	v_mul_f32_e32 v43, 0x3fb8aa3b, v33
	v_cmp_ngt_f32_e64 s31, 0xc2ce8ed0, v33
	v_add_f32_e32 v42, v42, v32
	v_fma_f32 v44, 0x3fb8aa3b, v33, -v43
	v_rndne_f32_e32 v45, v43
	v_fmac_f32_e32 v44, 0x32a5705f, v33
	v_sub_f32_e32 v43, v43, v45
	v_add_f32_e32 v43, v43, v44
	v_cvt_i32_f32_e32 v44, v45
	v_exp_f32_e32 v43, v43
	v_ldexp_f32 v43, v43, v44
	v_cndmask_b32_e64 v43, 0, v43, s31
	v_cmp_nlt_f32_e64 s31, 0x42b17218, v33
	v_cndmask_b32_e64 v33, 0x7f800000, v43, s31
	v_mul_f32_e32 v43, 0x3fb8aa3b, v34
	v_cmp_ngt_f32_e64 s31, 0xc2ce8ed0, v34
	v_add_f32_e32 v42, v42, v33
	v_fma_f32 v44, 0x3fb8aa3b, v34, -v43
	v_rndne_f32_e32 v45, v43
	v_fmac_f32_e32 v44, 0x32a5705f, v34
	v_sub_f32_e32 v43, v43, v45
	v_add_f32_e32 v43, v43, v44
	v_cvt_i32_f32_e32 v44, v45
	v_exp_f32_e32 v43, v43
	v_ldexp_f32 v43, v43, v44
	v_cndmask_b32_e64 v43, 0, v43, s31
	v_cmp_nlt_f32_e64 s31, 0x42b17218, v34
	v_cndmask_b32_e64 v34, 0x7f800000, v43, s31
	v_mul_f32_e32 v43, 0x3fb8aa3b, v31
	v_cmp_ngt_f32_e64 s31, 0xc2ce8ed0, v31
	v_add_f32_e32 v42, v42, v34
	v_fma_f32 v44, 0x3fb8aa3b, v31, -v43
	v_rndne_f32_e32 v45, v43
	v_fmac_f32_e32 v44, 0x32a5705f, v31
	v_sub_f32_e32 v43, v43, v45
	v_add_f32_e32 v43, v43, v44
	v_cvt_i32_f32_e32 v44, v45
	v_exp_f32_e32 v43, v43
	v_ldexp_f32 v43, v43, v44
	v_cndmask_b32_e64 v43, 0, v43, s31
	v_cmp_nlt_f32_e64 s31, 0x42b17218, v31
	v_cndmask_b32_e64 v31, 0x7f800000, v43, s31
	v_mul_f32_e32 v43, 0x3fb8aa3b, v35
	v_cmp_ngt_f32_e64 s31, 0xc2ce8ed0, v35
	v_add_f32_e32 v42, v42, v31
	v_fma_f32 v44, 0x3fb8aa3b, v35, -v43
	v_rndne_f32_e32 v45, v43
	v_fmac_f32_e32 v44, 0x32a5705f, v35
	v_sub_f32_e32 v43, v43, v45
	v_add_f32_e32 v43, v43, v44
	v_cvt_i32_f32_e32 v44, v45
	v_exp_f32_e32 v43, v43
	v_ldexp_f32 v43, v43, v44
	v_cndmask_b32_e64 v43, 0, v43, s31
	v_cmp_nlt_f32_e64 s31, 0x42b17218, v35
	v_cndmask_b32_e64 v35, 0x7f800000, v43, s31
	v_mul_f32_e32 v43, 0x3fb8aa3b, v36
	v_cmp_ngt_f32_e64 s31, 0xc2ce8ed0, v36
	v_add_f32_e32 v42, v42, v35
	v_fma_f32 v44, 0x3fb8aa3b, v36, -v43
	v_rndne_f32_e32 v45, v43
	v_fmac_f32_e32 v44, 0x32a5705f, v36
	v_sub_f32_e32 v43, v43, v45
	v_add_f32_e32 v43, v43, v44
	v_cvt_i32_f32_e32 v44, v45
	v_exp_f32_e32 v43, v43
	v_ldexp_f32 v43, v43, v44
	v_cndmask_b32_e64 v43, 0, v43, s31
	v_cmp_nlt_f32_e64 s31, 0x42b17218, v36
	v_cndmask_b32_e64 v36, 0x7f800000, v43, s31
	v_mul_f32_e32 v43, 0x3fb8aa3b, v37
	v_cmp_ngt_f32_e64 s31, 0xc2ce8ed0, v37
	v_add_f32_e32 v42, v42, v36
	v_fma_f32 v44, 0x3fb8aa3b, v37, -v43
	v_rndne_f32_e32 v45, v43
	v_fmac_f32_e32 v44, 0x32a5705f, v37
	v_sub_f32_e32 v43, v43, v45
	v_add_f32_e32 v43, v43, v44
	v_cvt_i32_f32_e32 v44, v45
	v_exp_f32_e32 v43, v43
	v_ldexp_f32 v43, v43, v44
	v_cndmask_b32_e64 v43, 0, v43, s31
	v_cmp_nlt_f32_e64 s31, 0x42b17218, v37
	v_cndmask_b32_e64 v37, 0x7f800000, v43, s31
	v_mul_f32_e32 v43, 0x3fb8aa3b, v38
	v_cmp_ngt_f32_e64 s31, 0xc2ce8ed0, v38
	v_add_f32_e32 v42, v42, v37
	v_fma_f32 v44, 0x3fb8aa3b, v38, -v43
	v_rndne_f32_e32 v45, v43
	v_fmac_f32_e32 v44, 0x32a5705f, v38
	v_sub_f32_e32 v43, v43, v45
	v_add_f32_e32 v43, v43, v44
	v_cvt_i32_f32_e32 v44, v45
	v_exp_f32_e32 v43, v43
	v_ldexp_f32 v43, v43, v44
	v_cndmask_b32_e64 v43, 0, v43, s31
	v_cmp_nlt_f32_e64 s31, 0x42b17218, v38
	v_cndmask_b32_e64 v38, 0x7f800000, v43, s31
	v_mul_f32_e32 v43, 0x3fb8aa3b, v39
	v_cmp_ngt_f32_e64 s31, 0xc2ce8ed0, v39
	v_add_f32_e32 v42, v42, v38
	v_fma_f32 v44, 0x3fb8aa3b, v39, -v43
	v_rndne_f32_e32 v45, v43
	v_fmac_f32_e32 v44, 0x32a5705f, v39
	v_sub_f32_e32 v43, v43, v45
	v_add_f32_e32 v43, v43, v44
	v_cvt_i32_f32_e32 v44, v45
	v_exp_f32_e32 v43, v43
	v_ldexp_f32 v43, v43, v44
	v_cndmask_b32_e64 v43, 0, v43, s31
	v_cmp_nlt_f32_e64 s31, 0x42b17218, v39
	v_cndmask_b32_e64 v39, 0x7f800000, v43, s31
	v_mul_f32_e32 v43, 0x3fb8aa3b, v40
	v_cmp_ngt_f32_e64 s31, 0xc2ce8ed0, v40
	v_add_f32_e32 v42, v42, v39
	v_fma_f32 v44, 0x3fb8aa3b, v40, -v43
	v_rndne_f32_e32 v45, v43
	v_fmac_f32_e32 v44, 0x32a5705f, v40
	v_sub_f32_e32 v43, v43, v45
	v_add_f32_e32 v43, v43, v44
	v_cvt_i32_f32_e32 v44, v45
	v_exp_f32_e32 v43, v43
	v_ldexp_f32 v43, v43, v44
	v_cndmask_b32_e64 v43, 0, v43, s31
	v_cmp_nlt_f32_e64 s31, 0x42b17218, v40
	v_cndmask_b32_e64 v40, 0x7f800000, v43, s31
	v_mul_f32_e32 v43, 0x3fb8aa3b, v41
	v_cmp_ngt_f32_e64 s31, 0xc2ce8ed0, v41
	v_add_f32_e32 v42, v42, v40
	v_fma_f32 v44, 0x3fb8aa3b, v41, -v43
	v_rndne_f32_e32 v45, v43
	v_fmac_f32_e32 v44, 0x32a5705f, v41
	v_sub_f32_e32 v43, v43, v45
	v_add_f32_e32 v43, v43, v44
	v_cvt_i32_f32_e32 v44, v45
	v_exp_f32_e32 v43, v43
	v_ldexp_f32 v43, v43, v44
	v_cndmask_b32_e64 v43, 0, v43, s31
	v_cmp_nlt_f32_e64 s31, 0x42b17218, v41
	v_cndmask_b32_e64 v41, 0x7f800000, v43, s31
	v_mul_f32_e32 v43, 0x3fb8aa3b, v14
	v_cmp_ngt_f32_e64 s31, 0xc2ce8ed0, v14
	v_add_f32_e32 v42, v42, v41
	v_fma_f32 v44, 0x3fb8aa3b, v14, -v43
	v_rndne_f32_e32 v45, v43
	v_fmac_f32_e32 v44, 0x32a5705f, v14
	v_sub_f32_e32 v43, v43, v45
	v_add_f32_e32 v43, v43, v44
	v_cvt_i32_f32_e32 v44, v45
	v_exp_f32_e32 v43, v43
	v_ldexp_f32 v43, v43, v44
	v_cndmask_b32_e64 v43, 0, v43, s31
	v_cmp_nlt_f32_e64 s31, 0x42b17218, v14
	v_cndmask_b32_e64 v14, 0x7f800000, v43, s31
	v_mul_f32_e32 v43, 0x3fb8aa3b, v17
	v_cmp_ngt_f32_e64 s31, 0xc2ce8ed0, v17
	v_add_f32_e32 v42, v42, v14
	v_fma_f32 v44, 0x3fb8aa3b, v17, -v43
	v_rndne_f32_e32 v45, v43
	v_fmac_f32_e32 v44, 0x32a5705f, v17
	v_sub_f32_e32 v43, v43, v45
	v_add_f32_e32 v43, v43, v44
	v_cvt_i32_f32_e32 v44, v45
	v_exp_f32_e32 v43, v43
	v_ldexp_f32 v43, v43, v44
	v_cndmask_b32_e64 v43, 0, v43, s31
	v_cmp_nlt_f32_e64 s31, 0x42b17218, v17
	v_cndmask_b32_e64 v17, 0x7f800000, v43, s31
	v_mul_f32_e32 v43, 0x3fb8aa3b, v10
	v_cmp_ngt_f32_e64 s31, 0xc2ce8ed0, v10
	v_add_f32_e32 v42, v42, v17
	v_fma_f32 v44, 0x3fb8aa3b, v10, -v43
	v_rndne_f32_e32 v45, v43
	v_fmac_f32_e32 v44, 0x32a5705f, v10
	v_sub_f32_e32 v43, v43, v45
	v_add_f32_e32 v43, v43, v44
	v_cvt_i32_f32_e32 v44, v45
	v_exp_f32_e32 v43, v43
	v_ldexp_f32 v43, v43, v44
	v_cndmask_b32_e64 v43, 0, v43, s31
	v_cmp_nlt_f32_e64 s31, 0x42b17218, v10
	v_cndmask_b32_e64 v10, 0x7f800000, v43, s31
	v_mul_f32_e32 v43, 0x3fb8aa3b, v9
	v_cmp_ngt_f32_e64 s31, 0xc2ce8ed0, v9
	v_add_f32_e32 v42, v42, v10
	v_fma_f32 v44, 0x3fb8aa3b, v9, -v43
	v_rndne_f32_e32 v45, v43
	v_fmac_f32_e32 v44, 0x32a5705f, v9
	v_sub_f32_e32 v43, v43, v45
	v_add_f32_e32 v43, v43, v44
	v_cvt_i32_f32_e32 v44, v45
	v_exp_f32_e32 v43, v43
	v_ldexp_f32 v43, v43, v44
	v_cndmask_b32_e64 v43, 0, v43, s31
	v_cmp_nlt_f32_e64 s31, 0x42b17218, v9
	v_cndmask_b32_e64 v9, 0x7f800000, v43, s31
	v_mul_f32_e32 v43, 0x3fb8aa3b, v7
	v_cmp_ngt_f32_e64 s31, 0xc2ce8ed0, v7
	v_add_f32_e32 v42, v42, v9
	v_fma_f32 v44, 0x3fb8aa3b, v7, -v43
	v_rndne_f32_e32 v45, v43
	v_fmac_f32_e32 v44, 0x32a5705f, v7
	v_sub_f32_e32 v43, v43, v45
	v_add_f32_e32 v43, v43, v44
	v_cvt_i32_f32_e32 v44, v45
	v_exp_f32_e32 v43, v43
	v_ldexp_f32 v43, v43, v44
	v_cndmask_b32_e64 v43, 0, v43, s31
	v_cmp_nlt_f32_e64 s31, 0x42b17218, v7
	v_cndmask_b32_e64 v7, 0x7f800000, v43, s31
	v_mul_f32_e32 v43, 0x3fb8aa3b, v8
	v_cmp_ngt_f32_e64 s31, 0xc2ce8ed0, v8
	v_add_f32_e32 v42, v42, v7
	v_fma_f32 v44, 0x3fb8aa3b, v8, -v43
	v_rndne_f32_e32 v45, v43
	v_fmac_f32_e32 v44, 0x32a5705f, v8
	v_sub_f32_e32 v43, v43, v45
	v_add_f32_e32 v43, v43, v44
	v_cvt_i32_f32_e32 v44, v45
	v_exp_f32_e32 v43, v43
	v_ldexp_f32 v43, v43, v44
	v_rndne_f32_e32 v44, v24
	v_cndmask_b32_e64 v43, 0, v43, s31
	v_cmp_nlt_f32_e64 s31, 0x42b17218, v8
	v_cndmask_b32_e64 v8, 0x7f800000, v43, s31
	v_fma_f32 v43, 0x3fb8aa3b, v6, -v24
	v_sub_f32_e32 v24, v24, v44
	v_cmp_ngt_f32_e64 s31, 0xc2ce8ed0, v6
	v_add_f32_e32 v42, v42, v8
	v_fmac_f32_e32 v43, 0x32a5705f, v6
	v_add_f32_e32 v24, v24, v43
	v_cvt_i32_f32_e32 v43, v44
	v_exp_f32_e32 v24, v24
	v_ldexp_f32 v24, v24, v43
	v_cndmask_b32_e64 v24, 0, v24, s31
	v_cmp_nlt_f32_e64 s31, 0x42b17218, v6
	v_cndmask_b32_e64 v6, 0x7f800000, v24, s31
	v_add_f32_e32 v24, v42, v6
	ds_bpermute_b32 v0, v0, v24
	s_waitcnt lgkmcnt(0)
	v_add_f32_e32 v0, v24, v0
	ds_bpermute_b32 v3, v3, v0
	s_waitcnt lgkmcnt(0)
	;; [unrolled: 3-line block ×5, first 2 shown]
	v_add_f32_e32 v0, v0, v3
	ds_bpermute_b32 v3, v18, v0
	v_cmpx_lt_i32_e32 0, v5
	s_cbranch_execz .LBB506_98
; %bb.65:
	s_and_b32 exec_lo, exec_lo, vcc_lo
	s_cbranch_execz .LBB506_98
; %bb.66:
	s_waitcnt lgkmcnt(0)
	v_add_f32_e32 v4, v0, v3
	v_div_scale_f32 v0, null, v4, v4, v12
	v_div_scale_f32 v11, vcc_lo, v12, v4, v12
	v_cmp_eq_f32_e64 s31, 0, v4
	v_rcp_f32_e32 v3, v0
	v_fma_f32 v5, -v0, v3, 1.0
	v_fmac_f32_e32 v3, v5, v3
	v_mul_f32_e32 v5, v11, v3
	v_fma_f32 v15, -v0, v5, v11
	v_fmac_f32_e32 v5, v15, v3
	v_fma_f32 v0, -v0, v5, v11
	v_div_fmas_f32 v3, v0, v3, v5
	v_lshlrev_b64 v[0:1], 2, v[1:2]
	v_div_fixup_f32 v2, v3, v4, v12
	v_add_co_u32 v0, vcc_lo, s36, v0
	v_add_co_ci_u32_e64 v1, null, s37, v1, vcc_lo
	v_cndmask_b32_e64 v2, v2, 0x7fc00000, s31
	global_store_dword v[0:1], v2, off
	s_and_b32 exec_lo, exec_lo, s30
	s_cbranch_execz .LBB506_98
; %bb.67:
	v_div_scale_f32 v2, null, v4, v4, v13
	v_rcp_f32_e32 v3, v2
	v_fma_f32 v5, -v2, v3, 1.0
	v_fmac_f32_e32 v3, v5, v3
	v_div_scale_f32 v5, vcc_lo, v13, v4, v13
	v_mul_f32_e32 v11, v5, v3
	v_fma_f32 v12, -v2, v11, v5
	v_fmac_f32_e32 v11, v12, v3
	v_fma_f32 v2, -v2, v11, v5
	v_div_fmas_f32 v2, v2, v3, v11
	v_div_fixup_f32 v2, v2, v4, v13
	v_cndmask_b32_e64 v2, v2, 0x7fc00000, s31
	global_store_dword v[0:1], v2, off offset:256
	s_and_b32 exec_lo, exec_lo, s29
	s_cbranch_execz .LBB506_98
; %bb.68:
	v_div_scale_f32 v2, null, v4, v4, v16
	v_rcp_f32_e32 v3, v2
	v_fma_f32 v5, -v2, v3, 1.0
	v_fmac_f32_e32 v3, v5, v3
	v_div_scale_f32 v5, vcc_lo, v16, v4, v16
	v_mul_f32_e32 v11, v5, v3
	v_fma_f32 v12, -v2, v11, v5
	v_fmac_f32_e32 v11, v12, v3
	v_fma_f32 v2, -v2, v11, v5
	v_div_fmas_f32 v2, v2, v3, v11
	v_div_fixup_f32 v2, v2, v4, v16
	v_cndmask_b32_e64 v2, v2, 0x7fc00000, s31
	global_store_dword v[0:1], v2, off offset:512
	s_and_b32 exec_lo, exec_lo, s28
	s_cbranch_execz .LBB506_98
; %bb.69:
	v_div_scale_f32 v2, null, v4, v4, v19
	v_rcp_f32_e32 v3, v2
	v_fma_f32 v5, -v2, v3, 1.0
	v_fmac_f32_e32 v3, v5, v3
	v_div_scale_f32 v5, vcc_lo, v19, v4, v19
	v_mul_f32_e32 v11, v5, v3
	v_fma_f32 v12, -v2, v11, v5
	v_fmac_f32_e32 v11, v12, v3
	v_fma_f32 v2, -v2, v11, v5
	v_div_fmas_f32 v2, v2, v3, v11
	v_div_fixup_f32 v2, v2, v4, v19
	v_cndmask_b32_e64 v2, v2, 0x7fc00000, s31
	global_store_dword v[0:1], v2, off offset:768
	s_and_b32 exec_lo, exec_lo, s27
	s_cbranch_execz .LBB506_98
; %bb.70:
	v_div_scale_f32 v2, null, v4, v4, v20
	v_rcp_f32_e32 v3, v2
	v_fma_f32 v5, -v2, v3, 1.0
	v_fmac_f32_e32 v3, v5, v3
	v_div_scale_f32 v5, vcc_lo, v20, v4, v20
	v_mul_f32_e32 v11, v5, v3
	v_fma_f32 v12, -v2, v11, v5
	v_fmac_f32_e32 v11, v12, v3
	v_fma_f32 v2, -v2, v11, v5
	v_div_fmas_f32 v2, v2, v3, v11
	v_div_fixup_f32 v2, v2, v4, v20
	v_cndmask_b32_e64 v2, v2, 0x7fc00000, s31
	global_store_dword v[0:1], v2, off offset:1024
	s_and_b32 exec_lo, exec_lo, s26
	s_cbranch_execz .LBB506_98
; %bb.71:
	v_div_scale_f32 v2, null, v4, v4, v21
	v_rcp_f32_e32 v3, v2
	v_fma_f32 v5, -v2, v3, 1.0
	v_fmac_f32_e32 v3, v5, v3
	v_div_scale_f32 v5, vcc_lo, v21, v4, v21
	v_mul_f32_e32 v11, v5, v3
	v_fma_f32 v12, -v2, v11, v5
	v_fmac_f32_e32 v11, v12, v3
	v_fma_f32 v2, -v2, v11, v5
	v_div_fmas_f32 v2, v2, v3, v11
	v_div_fixup_f32 v2, v2, v4, v21
	v_cndmask_b32_e64 v2, v2, 0x7fc00000, s31
	global_store_dword v[0:1], v2, off offset:1280
	s_and_b32 exec_lo, exec_lo, s25
	s_cbranch_execz .LBB506_98
; %bb.72:
	v_div_scale_f32 v2, null, v4, v4, v22
	v_rcp_f32_e32 v3, v2
	v_fma_f32 v5, -v2, v3, 1.0
	v_fmac_f32_e32 v3, v5, v3
	v_div_scale_f32 v5, vcc_lo, v22, v4, v22
	v_mul_f32_e32 v11, v5, v3
	v_fma_f32 v12, -v2, v11, v5
	v_fmac_f32_e32 v11, v12, v3
	v_fma_f32 v2, -v2, v11, v5
	v_div_fmas_f32 v2, v2, v3, v11
	v_div_fixup_f32 v2, v2, v4, v22
	v_cndmask_b32_e64 v2, v2, 0x7fc00000, s31
	global_store_dword v[0:1], v2, off offset:1536
	s_and_b32 exec_lo, exec_lo, s24
	s_cbranch_execz .LBB506_98
; %bb.73:
	v_div_scale_f32 v2, null, v4, v4, v23
	v_rcp_f32_e32 v3, v2
	v_fma_f32 v5, -v2, v3, 1.0
	v_fmac_f32_e32 v3, v5, v3
	v_div_scale_f32 v5, vcc_lo, v23, v4, v23
	v_mul_f32_e32 v11, v5, v3
	v_fma_f32 v12, -v2, v11, v5
	v_fmac_f32_e32 v11, v12, v3
	v_fma_f32 v2, -v2, v11, v5
	v_div_fmas_f32 v2, v2, v3, v11
	v_div_fixup_f32 v2, v2, v4, v23
	v_cndmask_b32_e64 v2, v2, 0x7fc00000, s31
	global_store_dword v[0:1], v2, off offset:1792
	s_and_b32 exec_lo, exec_lo, s23
	s_cbranch_execz .LBB506_98
; %bb.74:
	v_div_scale_f32 v2, null, v4, v4, v25
	v_div_scale_f32 v11, vcc_lo, v25, v4, v25
	v_rcp_f32_e32 v3, v2
	v_fma_f32 v5, -v2, v3, 1.0
	v_fmac_f32_e32 v3, v5, v3
	v_mul_f32_e32 v5, v11, v3
	v_fma_f32 v12, -v2, v5, v11
	v_fmac_f32_e32 v5, v12, v3
	v_fma_f32 v2, -v2, v5, v11
	v_div_fmas_f32 v2, v2, v3, v5
	v_div_fixup_f32 v2, v2, v4, v25
	v_cndmask_b32_e64 v5, v2, 0x7fc00000, s31
	v_add_co_u32 v2, vcc_lo, 0x800, v0
	v_add_co_ci_u32_e64 v3, null, 0, v1, vcc_lo
	global_store_dword v[2:3], v5, off
	s_and_b32 exec_lo, exec_lo, s22
	s_cbranch_execz .LBB506_98
; %bb.75:
	v_div_scale_f32 v5, null, v4, v4, v26
	v_rcp_f32_e32 v11, v5
	v_fma_f32 v12, -v5, v11, 1.0
	v_fmac_f32_e32 v11, v12, v11
	v_div_scale_f32 v12, vcc_lo, v26, v4, v26
	v_mul_f32_e32 v13, v12, v11
	v_fma_f32 v15, -v5, v13, v12
	v_fmac_f32_e32 v13, v15, v11
	v_fma_f32 v5, -v5, v13, v12
	v_div_fmas_f32 v5, v5, v11, v13
	v_div_fixup_f32 v5, v5, v4, v26
	v_cndmask_b32_e64 v5, v5, 0x7fc00000, s31
	global_store_dword v[2:3], v5, off offset:256
	s_and_b32 exec_lo, exec_lo, s21
	s_cbranch_execz .LBB506_98
; %bb.76:
	v_div_scale_f32 v5, null, v4, v4, v27
	v_rcp_f32_e32 v11, v5
	v_fma_f32 v12, -v5, v11, 1.0
	v_fmac_f32_e32 v11, v12, v11
	v_div_scale_f32 v12, vcc_lo, v27, v4, v27
	v_mul_f32_e32 v13, v12, v11
	v_fma_f32 v15, -v5, v13, v12
	v_fmac_f32_e32 v13, v15, v11
	v_fma_f32 v5, -v5, v13, v12
	v_div_fmas_f32 v5, v5, v11, v13
	v_div_fixup_f32 v5, v5, v4, v27
	v_cndmask_b32_e64 v5, v5, 0x7fc00000, s31
	global_store_dword v[2:3], v5, off offset:512
	;; [unrolled: 16-line block ×7, first 2 shown]
	s_and_b32 exec_lo, exec_lo, s15
	s_cbranch_execz .LBB506_98
; %bb.82:
	v_div_scale_f32 v2, null, v4, v4, v34
	v_div_scale_f32 v11, vcc_lo, v34, v4, v34
	v_rcp_f32_e32 v3, v2
	v_fma_f32 v5, -v2, v3, 1.0
	v_fmac_f32_e32 v3, v5, v3
	v_mul_f32_e32 v5, v11, v3
	v_fma_f32 v12, -v2, v5, v11
	v_fmac_f32_e32 v5, v12, v3
	v_fma_f32 v2, -v2, v5, v11
	v_div_fmas_f32 v2, v2, v3, v5
	v_div_fixup_f32 v2, v2, v4, v34
	v_cndmask_b32_e64 v5, v2, 0x7fc00000, s31
	v_add_co_u32 v2, vcc_lo, 0x1000, v0
	v_add_co_ci_u32_e64 v3, null, 0, v1, vcc_lo
	global_store_dword v[2:3], v5, off
	s_and_b32 exec_lo, exec_lo, s14
	s_cbranch_execz .LBB506_98
; %bb.83:
	v_div_scale_f32 v5, null, v4, v4, v31
	v_rcp_f32_e32 v11, v5
	v_fma_f32 v12, -v5, v11, 1.0
	v_fmac_f32_e32 v11, v12, v11
	v_div_scale_f32 v12, vcc_lo, v31, v4, v31
	v_mul_f32_e32 v13, v12, v11
	v_fma_f32 v15, -v5, v13, v12
	v_fmac_f32_e32 v13, v15, v11
	v_fma_f32 v5, -v5, v13, v12
	v_div_fmas_f32 v5, v5, v11, v13
	v_div_fixup_f32 v5, v5, v4, v31
	v_cndmask_b32_e64 v5, v5, 0x7fc00000, s31
	global_store_dword v[2:3], v5, off offset:256
	s_and_b32 exec_lo, exec_lo, s13
	s_cbranch_execz .LBB506_98
; %bb.84:
	v_div_scale_f32 v5, null, v4, v4, v35
	v_rcp_f32_e32 v11, v5
	v_fma_f32 v12, -v5, v11, 1.0
	v_fmac_f32_e32 v11, v12, v11
	v_div_scale_f32 v12, vcc_lo, v35, v4, v35
	v_mul_f32_e32 v13, v12, v11
	v_fma_f32 v15, -v5, v13, v12
	v_fmac_f32_e32 v13, v15, v11
	v_fma_f32 v5, -v5, v13, v12
	v_div_fmas_f32 v5, v5, v11, v13
	v_div_fixup_f32 v5, v5, v4, v35
	v_cndmask_b32_e64 v5, v5, 0x7fc00000, s31
	global_store_dword v[2:3], v5, off offset:512
	s_and_b32 exec_lo, exec_lo, s12
	s_cbranch_execz .LBB506_98
; %bb.85:
	v_div_scale_f32 v5, null, v4, v4, v36
	v_rcp_f32_e32 v11, v5
	v_fma_f32 v12, -v5, v11, 1.0
	v_fmac_f32_e32 v11, v12, v11
	v_div_scale_f32 v12, vcc_lo, v36, v4, v36
	v_mul_f32_e32 v13, v12, v11
	v_fma_f32 v15, -v5, v13, v12
	v_fmac_f32_e32 v13, v15, v11
	v_fma_f32 v5, -v5, v13, v12
	v_div_fmas_f32 v5, v5, v11, v13
	v_div_fixup_f32 v5, v5, v4, v36
	v_cndmask_b32_e64 v5, v5, 0x7fc00000, s31
	global_store_dword v[2:3], v5, off offset:768
	s_and_b32 exec_lo, exec_lo, s11
	s_cbranch_execz .LBB506_98
; %bb.86:
	v_div_scale_f32 v5, null, v4, v4, v37
	v_rcp_f32_e32 v11, v5
	v_fma_f32 v12, -v5, v11, 1.0
	v_fmac_f32_e32 v11, v12, v11
	v_div_scale_f32 v12, vcc_lo, v37, v4, v37
	v_mul_f32_e32 v13, v12, v11
	v_fma_f32 v15, -v5, v13, v12
	v_fmac_f32_e32 v13, v15, v11
	v_fma_f32 v5, -v5, v13, v12
	v_div_fmas_f32 v5, v5, v11, v13
	v_div_fixup_f32 v5, v5, v4, v37
	v_cndmask_b32_e64 v5, v5, 0x7fc00000, s31
	global_store_dword v[2:3], v5, off offset:1024
	s_and_b32 exec_lo, exec_lo, s10
	s_cbranch_execz .LBB506_98
; %bb.87:
	v_div_scale_f32 v5, null, v4, v4, v38
	v_rcp_f32_e32 v11, v5
	v_fma_f32 v12, -v5, v11, 1.0
	v_fmac_f32_e32 v11, v12, v11
	v_div_scale_f32 v12, vcc_lo, v38, v4, v38
	v_mul_f32_e32 v13, v12, v11
	v_fma_f32 v15, -v5, v13, v12
	v_fmac_f32_e32 v13, v15, v11
	v_fma_f32 v5, -v5, v13, v12
	v_div_fmas_f32 v5, v5, v11, v13
	v_div_fixup_f32 v5, v5, v4, v38
	v_cndmask_b32_e64 v5, v5, 0x7fc00000, s31
	global_store_dword v[2:3], v5, off offset:1280
	s_and_b32 exec_lo, exec_lo, s9
	s_cbranch_execz .LBB506_98
; %bb.88:
	v_div_scale_f32 v5, null, v4, v4, v39
	v_rcp_f32_e32 v11, v5
	v_fma_f32 v12, -v5, v11, 1.0
	v_fmac_f32_e32 v11, v12, v11
	v_div_scale_f32 v12, vcc_lo, v39, v4, v39
	v_mul_f32_e32 v13, v12, v11
	v_fma_f32 v15, -v5, v13, v12
	v_fmac_f32_e32 v13, v15, v11
	v_fma_f32 v5, -v5, v13, v12
	v_div_fmas_f32 v5, v5, v11, v13
	v_div_fixup_f32 v5, v5, v4, v39
	v_cndmask_b32_e64 v5, v5, 0x7fc00000, s31
	global_store_dword v[2:3], v5, off offset:1536
	s_and_b32 exec_lo, exec_lo, s8
	s_cbranch_execz .LBB506_98
; %bb.89:
	v_div_scale_f32 v5, null, v4, v4, v40
	v_rcp_f32_e32 v11, v5
	v_fma_f32 v12, -v5, v11, 1.0
	v_fmac_f32_e32 v11, v12, v11
	v_div_scale_f32 v12, vcc_lo, v40, v4, v40
	v_mul_f32_e32 v13, v12, v11
	v_fma_f32 v15, -v5, v13, v12
	v_fmac_f32_e32 v13, v15, v11
	v_fma_f32 v5, -v5, v13, v12
	v_div_fmas_f32 v5, v5, v11, v13
	v_div_fixup_f32 v5, v5, v4, v40
	v_cndmask_b32_e64 v5, v5, 0x7fc00000, s31
	global_store_dword v[2:3], v5, off offset:1792
	s_and_b32 exec_lo, exec_lo, s7
	s_cbranch_execz .LBB506_98
; %bb.90:
	v_div_scale_f32 v2, null, v4, v4, v41
	v_div_scale_f32 v11, vcc_lo, v41, v4, v41
	v_rcp_f32_e32 v3, v2
	v_fma_f32 v5, -v2, v3, 1.0
	v_fmac_f32_e32 v3, v5, v3
	v_mul_f32_e32 v5, v11, v3
	v_fma_f32 v12, -v2, v5, v11
	v_fmac_f32_e32 v5, v12, v3
	v_fma_f32 v2, -v2, v5, v11
	v_div_fmas_f32 v2, v2, v3, v5
	v_add_co_u32 v0, vcc_lo, 0x1800, v0
	v_add_co_ci_u32_e64 v1, null, 0, v1, vcc_lo
	v_div_fixup_f32 v2, v2, v4, v41
	v_cndmask_b32_e64 v2, v2, 0x7fc00000, s31
	global_store_dword v[0:1], v2, off
	s_and_b32 exec_lo, exec_lo, s6
	s_cbranch_execz .LBB506_98
; %bb.91:
	v_div_scale_f32 v2, null, v4, v4, v14
	v_rcp_f32_e32 v3, v2
	v_fma_f32 v5, -v2, v3, 1.0
	v_fmac_f32_e32 v3, v5, v3
	v_div_scale_f32 v5, vcc_lo, v14, v4, v14
	v_mul_f32_e32 v11, v5, v3
	v_fma_f32 v12, -v2, v11, v5
	v_fmac_f32_e32 v11, v12, v3
	v_fma_f32 v2, -v2, v11, v5
	v_div_fmas_f32 v2, v2, v3, v11
	v_div_fixup_f32 v2, v2, v4, v14
	v_cndmask_b32_e64 v2, v2, 0x7fc00000, s31
	global_store_dword v[0:1], v2, off offset:256
	s_and_b32 exec_lo, exec_lo, s5
	s_cbranch_execz .LBB506_98
; %bb.92:
	v_div_scale_f32 v2, null, v4, v4, v17
	v_rcp_f32_e32 v3, v2
	v_fma_f32 v5, -v2, v3, 1.0
	v_fmac_f32_e32 v3, v5, v3
	v_div_scale_f32 v5, vcc_lo, v17, v4, v17
	v_mul_f32_e32 v11, v5, v3
	v_fma_f32 v12, -v2, v11, v5
	v_fmac_f32_e32 v11, v12, v3
	v_fma_f32 v2, -v2, v11, v5
	v_div_fmas_f32 v2, v2, v3, v11
	v_div_fixup_f32 v2, v2, v4, v17
	v_cndmask_b32_e64 v2, v2, 0x7fc00000, s31
	global_store_dword v[0:1], v2, off offset:512
	;; [unrolled: 16-line block ×7, first 2 shown]
.LBB506_98:
	s_endpgm
	.section	.rodata,"a",@progbits
	.p2align	6, 0x0
	.amdhsa_kernel _ZN12_GLOBAL__N_120softmax_warp_forwardIN3c108BFloat16EffLi11ELb0ELb0ELi64EEEvPT0_PKT_iiiPKbib
		.amdhsa_group_segment_fixed_size 0
		.amdhsa_private_segment_fixed_size 0
		.amdhsa_kernarg_size 304
		.amdhsa_user_sgpr_count 6
		.amdhsa_user_sgpr_private_segment_buffer 1
		.amdhsa_user_sgpr_dispatch_ptr 0
		.amdhsa_user_sgpr_queue_ptr 0
		.amdhsa_user_sgpr_kernarg_segment_ptr 1
		.amdhsa_user_sgpr_dispatch_id 0
		.amdhsa_user_sgpr_flat_scratch_init 0
		.amdhsa_user_sgpr_private_segment_size 0
		.amdhsa_wavefront_size32 1
		.amdhsa_uses_dynamic_stack 0
		.amdhsa_system_sgpr_private_segment_wavefront_offset 0
		.amdhsa_system_sgpr_workgroup_id_x 1
		.amdhsa_system_sgpr_workgroup_id_y 0
		.amdhsa_system_sgpr_workgroup_id_z 0
		.amdhsa_system_sgpr_workgroup_info 0
		.amdhsa_system_vgpr_workitem_id 1
		.amdhsa_next_free_vgpr 46
		.amdhsa_next_free_sgpr 44
		.amdhsa_reserve_vcc 1
		.amdhsa_reserve_flat_scratch 0
		.amdhsa_float_round_mode_32 0
		.amdhsa_float_round_mode_16_64 0
		.amdhsa_float_denorm_mode_32 3
		.amdhsa_float_denorm_mode_16_64 3
		.amdhsa_dx10_clamp 1
		.amdhsa_ieee_mode 1
		.amdhsa_fp16_overflow 0
		.amdhsa_workgroup_processor_mode 1
		.amdhsa_memory_ordered 1
		.amdhsa_forward_progress 1
		.amdhsa_shared_vgpr_count 0
		.amdhsa_exception_fp_ieee_invalid_op 0
		.amdhsa_exception_fp_denorm_src 0
		.amdhsa_exception_fp_ieee_div_zero 0
		.amdhsa_exception_fp_ieee_overflow 0
		.amdhsa_exception_fp_ieee_underflow 0
		.amdhsa_exception_fp_ieee_inexact 0
		.amdhsa_exception_int_div_zero 0
	.end_amdhsa_kernel
	.section	.text._ZN12_GLOBAL__N_120softmax_warp_forwardIN3c108BFloat16EffLi11ELb0ELb0ELi64EEEvPT0_PKT_iiiPKbib,"axG",@progbits,_ZN12_GLOBAL__N_120softmax_warp_forwardIN3c108BFloat16EffLi11ELb0ELb0ELi64EEEvPT0_PKT_iiiPKbib,comdat
.Lfunc_end506:
	.size	_ZN12_GLOBAL__N_120softmax_warp_forwardIN3c108BFloat16EffLi11ELb0ELb0ELi64EEEvPT0_PKT_iiiPKbib, .Lfunc_end506-_ZN12_GLOBAL__N_120softmax_warp_forwardIN3c108BFloat16EffLi11ELb0ELb0ELi64EEEvPT0_PKT_iiiPKbib
                                        ; -- End function
	.set _ZN12_GLOBAL__N_120softmax_warp_forwardIN3c108BFloat16EffLi11ELb0ELb0ELi64EEEvPT0_PKT_iiiPKbib.num_vgpr, 46
	.set _ZN12_GLOBAL__N_120softmax_warp_forwardIN3c108BFloat16EffLi11ELb0ELb0ELi64EEEvPT0_PKT_iiiPKbib.num_agpr, 0
	.set _ZN12_GLOBAL__N_120softmax_warp_forwardIN3c108BFloat16EffLi11ELb0ELb0ELi64EEEvPT0_PKT_iiiPKbib.numbered_sgpr, 44
	.set _ZN12_GLOBAL__N_120softmax_warp_forwardIN3c108BFloat16EffLi11ELb0ELb0ELi64EEEvPT0_PKT_iiiPKbib.num_named_barrier, 0
	.set _ZN12_GLOBAL__N_120softmax_warp_forwardIN3c108BFloat16EffLi11ELb0ELb0ELi64EEEvPT0_PKT_iiiPKbib.private_seg_size, 0
	.set _ZN12_GLOBAL__N_120softmax_warp_forwardIN3c108BFloat16EffLi11ELb0ELb0ELi64EEEvPT0_PKT_iiiPKbib.uses_vcc, 1
	.set _ZN12_GLOBAL__N_120softmax_warp_forwardIN3c108BFloat16EffLi11ELb0ELb0ELi64EEEvPT0_PKT_iiiPKbib.uses_flat_scratch, 0
	.set _ZN12_GLOBAL__N_120softmax_warp_forwardIN3c108BFloat16EffLi11ELb0ELb0ELi64EEEvPT0_PKT_iiiPKbib.has_dyn_sized_stack, 0
	.set _ZN12_GLOBAL__N_120softmax_warp_forwardIN3c108BFloat16EffLi11ELb0ELb0ELi64EEEvPT0_PKT_iiiPKbib.has_recursion, 0
	.set _ZN12_GLOBAL__N_120softmax_warp_forwardIN3c108BFloat16EffLi11ELb0ELb0ELi64EEEvPT0_PKT_iiiPKbib.has_indirect_call, 0
	.section	.AMDGPU.csdata,"",@progbits
; Kernel info:
; codeLenInByte = 9852
; TotalNumSgprs: 46
; NumVgprs: 46
; ScratchSize: 0
; MemoryBound: 0
; FloatMode: 240
; IeeeMode: 1
; LDSByteSize: 0 bytes/workgroup (compile time only)
; SGPRBlocks: 0
; VGPRBlocks: 5
; NumSGPRsForWavesPerEU: 46
; NumVGPRsForWavesPerEU: 46
; Occupancy: 16
; WaveLimiterHint : 0
; COMPUTE_PGM_RSRC2:SCRATCH_EN: 0
; COMPUTE_PGM_RSRC2:USER_SGPR: 6
; COMPUTE_PGM_RSRC2:TRAP_HANDLER: 0
; COMPUTE_PGM_RSRC2:TGID_X_EN: 1
; COMPUTE_PGM_RSRC2:TGID_Y_EN: 0
; COMPUTE_PGM_RSRC2:TGID_Z_EN: 0
; COMPUTE_PGM_RSRC2:TIDIG_COMP_CNT: 1
	.section	.text._ZN12_GLOBAL__N_120softmax_warp_forwardIN3c108BFloat16EffLi11ELb0ELb0ELi32EEEvPT0_PKT_iiiPKbib,"axG",@progbits,_ZN12_GLOBAL__N_120softmax_warp_forwardIN3c108BFloat16EffLi11ELb0ELb0ELi32EEEvPT0_PKT_iiiPKbib,comdat
	.globl	_ZN12_GLOBAL__N_120softmax_warp_forwardIN3c108BFloat16EffLi11ELb0ELb0ELi32EEEvPT0_PKT_iiiPKbib ; -- Begin function _ZN12_GLOBAL__N_120softmax_warp_forwardIN3c108BFloat16EffLi11ELb0ELb0ELi32EEEvPT0_PKT_iiiPKbib
	.p2align	8
	.type	_ZN12_GLOBAL__N_120softmax_warp_forwardIN3c108BFloat16EffLi11ELb0ELb0ELi32EEEvPT0_PKT_iiiPKbib,@function
_ZN12_GLOBAL__N_120softmax_warp_forwardIN3c108BFloat16EffLi11ELb0ELb0ELi32EEEvPT0_PKT_iiiPKbib: ; @_ZN12_GLOBAL__N_120softmax_warp_forwardIN3c108BFloat16EffLi11ELb0ELb0ELi32EEEvPT0_PKT_iiiPKbib
; %bb.0:
	s_clause 0x1
	s_load_dword s0, s[4:5], 0x3c
	s_load_dwordx8 s[68:75], s[4:5], 0x0
	v_mov_b32_e32 v17, 0xff800000
	v_mov_b32_e32 v14, 0xff800000
	s_waitcnt lgkmcnt(0)
	s_lshr_b32 s0, s0, 16
	v_cmp_gt_i32_e32 vcc_lo, s74, v0
	v_mad_u64_u32 v[3:4], null, s6, s0, v[1:2]
	v_mad_u64_u32 v[1:2], null, v3, s73, v[0:1]
	v_sub_nc_u32_e32 v5, s72, v3
	v_cmp_lt_i32_e64 s64, 0, v5
	v_ashrrev_i32_e32 v2, 31, v1
	s_and_b32 s1, s64, vcc_lo
	v_lshlrev_b64 v[3:4], 1, v[1:2]
	v_add_co_u32 v3, s0, s70, v3
	v_add_co_ci_u32_e64 v4, null, s71, v4, s0
	s_and_saveexec_b32 s0, s1
	s_cbranch_execz .LBB507_2
; %bb.1:
	global_load_ushort v6, v[3:4], off
	s_waitcnt vmcnt(0)
	v_lshlrev_b32_e32 v14, 16, v6
.LBB507_2:
	s_or_b32 exec_lo, exec_lo, s0
	v_add_nc_u32_e32 v6, 32, v0
	v_cmp_gt_i32_e64 s63, s74, v6
	s_and_b32 s1, s64, s63
	s_and_saveexec_b32 s0, s1
	s_cbranch_execz .LBB507_4
; %bb.3:
	global_load_ushort v6, v[3:4], off offset:64
	s_waitcnt vmcnt(0)
	v_lshlrev_b32_e32 v17, 16, v6
.LBB507_4:
	s_or_b32 exec_lo, exec_lo, s0
	v_add_nc_u32_e32 v6, 64, v0
	v_mov_b32_e32 v19, 0xff800000
	v_mov_b32_e32 v18, 0xff800000
	v_cmp_gt_i32_e64 s62, s74, v6
	s_and_b32 s1, s64, s62
	s_and_saveexec_b32 s0, s1
	s_cbranch_execz .LBB507_6
; %bb.5:
	global_load_ushort v6, v[3:4], off offset:128
	s_waitcnt vmcnt(0)
	v_lshlrev_b32_e32 v18, 16, v6
.LBB507_6:
	s_or_b32 exec_lo, exec_lo, s0
	v_add_nc_u32_e32 v6, 0x60, v0
	v_cmp_gt_i32_e64 s61, s74, v6
	s_and_b32 s1, s64, s61
	s_and_saveexec_b32 s0, s1
	s_cbranch_execz .LBB507_8
; %bb.7:
	global_load_ushort v6, v[3:4], off offset:192
	s_waitcnt vmcnt(0)
	v_lshlrev_b32_e32 v19, 16, v6
.LBB507_8:
	s_or_b32 exec_lo, exec_lo, s0
	v_add_nc_u32_e32 v6, 0x80, v0
	v_mov_b32_e32 v21, 0xff800000
	v_mov_b32_e32 v20, 0xff800000
	v_cmp_gt_i32_e64 s60, s74, v6
	s_and_b32 s1, s64, s60
	s_and_saveexec_b32 s0, s1
	s_cbranch_execz .LBB507_10
; %bb.9:
	global_load_ushort v6, v[3:4], off offset:256
	s_waitcnt vmcnt(0)
	v_lshlrev_b32_e32 v20, 16, v6
.LBB507_10:
	;; [unrolled: 24-line block ×15, first 2 shown]
	s_or_b32 exec_lo, exec_lo, s0
	v_add_nc_u32_e32 v6, 0x3e0, v0
	v_cmp_gt_i32_e64 s33, s74, v6
	s_and_b32 s1, s64, s33
	s_and_saveexec_b32 s0, s1
	s_cbranch_execz .LBB507_64
; %bb.63:
	global_load_ushort v6, v[3:4], off offset:1984
	s_waitcnt vmcnt(0)
	v_lshlrev_b32_e32 v72, 16, v6
.LBB507_64:
	s_or_b32 exec_lo, exec_lo, s0
	v_or_b32_e32 v6, 0x400, v0
	v_mov_b32_e32 v68, 0xff800000
	v_mov_b32_e32 v70, 0xff800000
	v_cmp_gt_i32_e64 s31, s74, v6
	s_and_b32 s0, s64, s31
	s_and_saveexec_b32 s1, s0
	s_cbranch_execz .LBB507_66
; %bb.65:
	v_add_co_u32 v6, s0, 0x800, v3
	v_add_co_ci_u32_e64 v7, null, 0, v4, s0
	global_load_ushort v6, v[6:7], off
	s_waitcnt vmcnt(0)
	v_lshlrev_b32_e32 v70, 16, v6
.LBB507_66:
	s_or_b32 exec_lo, exec_lo, s1
	v_add_nc_u32_e32 v6, 0x420, v0
	v_cmp_gt_i32_e64 s30, s74, v6
	s_and_b32 s0, s64, s30
	s_and_saveexec_b32 s1, s0
	s_cbranch_execz .LBB507_68
; %bb.67:
	v_add_co_u32 v6, s0, 0x800, v3
	v_add_co_ci_u32_e64 v7, null, 0, v4, s0
	global_load_ushort v6, v[6:7], off offset:64
	s_waitcnt vmcnt(0)
	v_lshlrev_b32_e32 v68, 16, v6
.LBB507_68:
	s_or_b32 exec_lo, exec_lo, s1
	v_add_nc_u32_e32 v6, 0x440, v0
	v_mov_b32_e32 v63, 0xff800000
	v_mov_b32_e32 v66, 0xff800000
	v_cmp_gt_i32_e64 s29, s74, v6
	s_and_b32 s0, s64, s29
	s_and_saveexec_b32 s1, s0
	s_cbranch_execz .LBB507_70
; %bb.69:
	v_add_co_u32 v6, s0, 0x800, v3
	v_add_co_ci_u32_e64 v7, null, 0, v4, s0
	global_load_ushort v6, v[6:7], off offset:128
	s_waitcnt vmcnt(0)
	v_lshlrev_b32_e32 v66, 16, v6
.LBB507_70:
	s_or_b32 exec_lo, exec_lo, s1
	v_add_nc_u32_e32 v6, 0x460, v0
	v_cmp_gt_i32_e64 s28, s74, v6
	s_and_b32 s0, s64, s28
	s_and_saveexec_b32 s1, s0
	s_cbranch_execz .LBB507_72
; %bb.71:
	v_add_co_u32 v6, s0, 0x800, v3
	v_add_co_ci_u32_e64 v7, null, 0, v4, s0
	global_load_ushort v6, v[6:7], off offset:192
	s_waitcnt vmcnt(0)
	v_lshlrev_b32_e32 v63, 16, v6
.LBB507_72:
	s_or_b32 exec_lo, exec_lo, s1
	v_add_nc_u32_e32 v6, 0x480, v0
	v_mov_b32_e32 v60, 0xff800000
	v_mov_b32_e32 v61, 0xff800000
	v_cmp_gt_i32_e64 s27, s74, v6
	s_and_b32 s0, s64, s27
	s_and_saveexec_b32 s1, s0
	s_cbranch_execz .LBB507_74
; %bb.73:
	v_add_co_u32 v6, s0, 0x800, v3
	v_add_co_ci_u32_e64 v7, null, 0, v4, s0
	global_load_ushort v6, v[6:7], off offset:256
	s_waitcnt vmcnt(0)
	v_lshlrev_b32_e32 v61, 16, v6
.LBB507_74:
	;; [unrolled: 28-line block ×15, first 2 shown]
	s_or_b32 exec_lo, exec_lo, s65
	v_add_nc_u32_e32 v0, 0x7e0, v0
	v_cmp_gt_i32_e64 s0, s74, v0
	s_and_b32 s64, s64, s0
	s_and_saveexec_b32 s65, s64
	s_cbranch_execz .LBB507_128
; %bb.127:
	v_add_co_u32 v3, s64, 0x800, v3
	v_add_co_ci_u32_e64 v4, null, 0, v4, s64
	global_load_ushort v0, v[3:4], off offset:1984
	s_waitcnt vmcnt(0)
	v_lshlrev_b32_e32 v7, 16, v0
.LBB507_128:
	s_or_b32 exec_lo, exec_lo, s65
	v_cmp_gt_f32_e64 s64, v14, v17
	v_mbcnt_lo_u32_b32 v16, -1, 0
	s_mov_b32 s65, exec_lo
	v_cndmask_b32_e64 v0, v17, v14, s64
	v_cmp_gt_f32_e64 s64, v0, v18
	v_cndmask_b32_e64 v0, v18, v0, s64
	v_cmp_gt_f32_e64 s64, v0, v19
	;; [unrolled: 2-line block ×62, first 2 shown]
	v_cndmask_b32_e64 v3, v7, v0, s64
	v_xor_b32_e32 v0, 16, v16
	v_cmp_gt_i32_e64 s64, 32, v0
	v_cndmask_b32_e64 v0, v16, v0, s64
	v_lshlrev_b32_e32 v0, 2, v0
	ds_bpermute_b32 v4, v0, v3
	s_waitcnt lgkmcnt(0)
	v_cmp_lt_f32_e64 s64, v3, v4
	v_cndmask_b32_e64 v4, v3, v4, s64
	v_xor_b32_e32 v3, 8, v16
	v_cmp_gt_i32_e64 s64, 32, v3
	v_cndmask_b32_e64 v3, v16, v3, s64
	v_lshlrev_b32_e32 v3, 2, v3
	ds_bpermute_b32 v6, v3, v4
	s_waitcnt lgkmcnt(0)
	v_cmp_lt_f32_e64 s64, v4, v6
	;; [unrolled: 8-line block ×5, first 2 shown]
	v_cndmask_b32_e64 v52, v52, v73, s64
	v_sub_f32_e32 v14, v14, v52
	v_sub_f32_e32 v17, v17, v52
	v_sub_f32_e32 v18, v18, v52
	v_sub_f32_e32 v19, v19, v52
	v_sub_f32_e32 v20, v20, v52
	v_mul_f32_e32 v73, 0x3fb8aa3b, v14
	v_cmp_ngt_f32_e64 s64, 0xc2ce8ed0, v14
	v_sub_f32_e32 v21, v21, v52
	v_sub_f32_e32 v22, v22, v52
	;; [unrolled: 1-line block ×3, first 2 shown]
	v_fma_f32 v74, 0x3fb8aa3b, v14, -v73
	v_rndne_f32_e32 v75, v73
	v_sub_f32_e32 v25, v25, v52
	v_sub_f32_e32 v28, v28, v52
	;; [unrolled: 1-line block ×3, first 2 shown]
	v_fmac_f32_e32 v74, 0x32a5705f, v14
	v_sub_f32_e32 v73, v73, v75
	v_sub_f32_e32 v32, v32, v52
	;; [unrolled: 1-line block ×5, first 2 shown]
	v_add_f32_e32 v73, v73, v74
	v_cvt_i32_f32_e32 v74, v75
	v_sub_f32_e32 v38, v38, v52
	v_sub_f32_e32 v41, v41, v52
	;; [unrolled: 1-line block ×3, first 2 shown]
	v_exp_f32_e32 v73, v73
	v_sub_f32_e32 v45, v45, v52
	v_sub_f32_e32 v46, v46, v52
	;; [unrolled: 1-line block ×9, first 2 shown]
	v_ldexp_f32 v73, v73, v74
	v_sub_f32_e32 v65, v65, v52
	v_sub_f32_e32 v67, v67, v52
	;; [unrolled: 1-line block ×4, first 2 shown]
	v_cndmask_b32_e64 v73, 0, v73, s64
	v_cmp_nlt_f32_e64 s64, 0x42b17218, v14
	v_sub_f32_e32 v72, v72, v52
	v_sub_f32_e32 v70, v70, v52
	;; [unrolled: 1-line block ×4, first 2 shown]
	v_cndmask_b32_e64 v14, 0x7f800000, v73, s64
	v_mul_f32_e32 v73, 0x3fb8aa3b, v17
	v_cmp_ngt_f32_e64 s64, 0xc2ce8ed0, v17
	v_sub_f32_e32 v63, v63, v52
	v_sub_f32_e32 v61, v61, v52
	;; [unrolled: 1-line block ×3, first 2 shown]
	v_fma_f32 v74, 0x3fb8aa3b, v17, -v73
	v_rndne_f32_e32 v75, v73
	v_sub_f32_e32 v59, v59, v52
	v_sub_f32_e32 v58, v58, v52
	;; [unrolled: 1-line block ×3, first 2 shown]
	v_fmac_f32_e32 v74, 0x32a5705f, v17
	v_sub_f32_e32 v73, v73, v75
	v_sub_f32_e32 v56, v56, v52
	v_sub_f32_e32 v55, v55, v52
	v_sub_f32_e32 v54, v54, v52
	v_sub_f32_e32 v48, v48, v52
	v_add_f32_e32 v73, v73, v74
	v_cvt_i32_f32_e32 v74, v75
	v_sub_f32_e32 v44, v44, v52
	v_sub_f32_e32 v43, v43, v52
	;; [unrolled: 1-line block ×3, first 2 shown]
	v_exp_f32_e32 v73, v73
	v_sub_f32_e32 v39, v39, v52
	v_sub_f32_e32 v36, v36, v52
	;; [unrolled: 1-line block ×9, first 2 shown]
	v_ldexp_f32 v73, v73, v74
	v_mul_f32_e32 v74, 0x3fb8aa3b, v18
	v_sub_f32_e32 v13, v13, v52
	v_sub_f32_e32 v12, v12, v52
	v_sub_f32_e32 v11, v11, v52
	v_cndmask_b32_e64 v73, 0, v73, s64
	v_fma_f32 v75, 0x3fb8aa3b, v18, -v74
	v_rndne_f32_e32 v76, v74
	v_cmp_nlt_f32_e64 s64, 0x42b17218, v17
	v_sub_f32_e32 v10, v10, v52
	v_sub_f32_e32 v9, v9, v52
	v_fmac_f32_e32 v75, 0x32a5705f, v18
	v_sub_f32_e32 v74, v74, v76
	v_cndmask_b32_e64 v17, 0x7f800000, v73, s64
	v_cmp_ngt_f32_e64 s64, 0xc2ce8ed0, v18
	v_sub_f32_e32 v8, v8, v52
	v_sub_f32_e32 v7, v7, v52
	v_add_f32_e32 v74, v74, v75
	v_cvt_i32_f32_e32 v75, v76
	v_add_f32_e32 v73, v14, v17
	v_mul_f32_e32 v52, 0x3fb8aa3b, v7
	v_exp_f32_e32 v74, v74
	v_ldexp_f32 v74, v74, v75
	v_cndmask_b32_e64 v74, 0, v74, s64
	v_cmp_nlt_f32_e64 s64, 0x42b17218, v18
	v_cndmask_b32_e64 v18, 0x7f800000, v74, s64
	v_mul_f32_e32 v74, 0x3fb8aa3b, v19
	v_cmp_ngt_f32_e64 s64, 0xc2ce8ed0, v19
	v_add_f32_e32 v73, v73, v18
	v_fma_f32 v75, 0x3fb8aa3b, v19, -v74
	v_rndne_f32_e32 v76, v74
	v_fmac_f32_e32 v75, 0x32a5705f, v19
	v_sub_f32_e32 v74, v74, v76
	v_add_f32_e32 v74, v74, v75
	v_cvt_i32_f32_e32 v75, v76
	v_exp_f32_e32 v74, v74
	v_ldexp_f32 v74, v74, v75
	v_cndmask_b32_e64 v74, 0, v74, s64
	v_cmp_nlt_f32_e64 s64, 0x42b17218, v19
	v_cndmask_b32_e64 v19, 0x7f800000, v74, s64
	v_mul_f32_e32 v74, 0x3fb8aa3b, v20
	v_cmp_ngt_f32_e64 s64, 0xc2ce8ed0, v20
	v_add_f32_e32 v73, v73, v19
	v_fma_f32 v75, 0x3fb8aa3b, v20, -v74
	v_rndne_f32_e32 v76, v74
	v_fmac_f32_e32 v75, 0x32a5705f, v20
	v_sub_f32_e32 v74, v74, v76
	v_add_f32_e32 v74, v74, v75
	v_cvt_i32_f32_e32 v75, v76
	;; [unrolled: 14-line block ×60, first 2 shown]
	v_exp_f32_e32 v74, v74
	v_ldexp_f32 v74, v74, v75
	v_rndne_f32_e32 v75, v52
	v_cndmask_b32_e64 v74, 0, v74, s64
	v_cmp_nlt_f32_e64 s64, 0x42b17218, v8
	v_cndmask_b32_e64 v8, 0x7f800000, v74, s64
	v_fma_f32 v74, 0x3fb8aa3b, v7, -v52
	v_sub_f32_e32 v52, v52, v75
	v_cmp_ngt_f32_e64 s64, 0xc2ce8ed0, v7
	v_add_f32_e32 v73, v73, v8
	v_fmac_f32_e32 v74, 0x32a5705f, v7
	v_add_f32_e32 v52, v52, v74
	v_cvt_i32_f32_e32 v74, v75
	v_exp_f32_e32 v52, v52
	v_ldexp_f32 v52, v52, v74
	v_cndmask_b32_e64 v52, 0, v52, s64
	v_cmp_nlt_f32_e64 s64, 0x42b17218, v7
	v_cndmask_b32_e64 v7, 0x7f800000, v52, s64
	v_add_f32_e32 v52, v73, v7
	ds_bpermute_b32 v0, v0, v52
	s_waitcnt lgkmcnt(0)
	v_add_f32_e32 v0, v52, v0
	ds_bpermute_b32 v3, v3, v0
	s_waitcnt lgkmcnt(0)
	;; [unrolled: 3-line block ×4, first 2 shown]
	v_add_f32_e32 v0, v0, v3
	ds_bpermute_b32 v3, v16, v0
	v_cmpx_lt_i32_e32 0, v5
	s_cbranch_execz .LBB507_194
; %bb.129:
	s_and_b32 exec_lo, exec_lo, vcc_lo
	s_cbranch_execz .LBB507_194
; %bb.130:
	s_waitcnt lgkmcnt(0)
	v_add_f32_e32 v4, v0, v3
	v_div_scale_f32 v0, null, v4, v4, v14
	v_div_scale_f32 v6, vcc_lo, v14, v4, v14
	v_cmp_eq_f32_e64 s64, 0, v4
	v_rcp_f32_e32 v3, v0
	v_fma_f32 v5, -v0, v3, 1.0
	v_fmac_f32_e32 v3, v5, v3
	v_mul_f32_e32 v5, v6, v3
	v_fma_f32 v16, -v0, v5, v6
	v_fmac_f32_e32 v5, v16, v3
	v_fma_f32 v0, -v0, v5, v6
	v_div_fmas_f32 v3, v0, v3, v5
	v_lshlrev_b64 v[0:1], 2, v[1:2]
	v_div_fixup_f32 v2, v3, v4, v14
	v_add_co_u32 v0, vcc_lo, s68, v0
	v_add_co_ci_u32_e64 v1, null, s69, v1, vcc_lo
	v_cndmask_b32_e64 v2, v2, 0x7fc00000, s64
	global_store_dword v[0:1], v2, off
	s_and_b32 exec_lo, exec_lo, s63
	s_cbranch_execz .LBB507_194
; %bb.131:
	v_div_scale_f32 v2, null, v4, v4, v17
	v_rcp_f32_e32 v3, v2
	v_fma_f32 v5, -v2, v3, 1.0
	v_fmac_f32_e32 v3, v5, v3
	v_div_scale_f32 v5, vcc_lo, v17, v4, v17
	v_mul_f32_e32 v6, v5, v3
	v_fma_f32 v14, -v2, v6, v5
	v_fmac_f32_e32 v6, v14, v3
	v_fma_f32 v2, -v2, v6, v5
	v_div_fmas_f32 v2, v2, v3, v6
	v_div_fixup_f32 v2, v2, v4, v17
	v_cndmask_b32_e64 v2, v2, 0x7fc00000, s64
	global_store_dword v[0:1], v2, off offset:128
	s_and_b32 exec_lo, exec_lo, s62
	s_cbranch_execz .LBB507_194
; %bb.132:
	v_div_scale_f32 v2, null, v4, v4, v18
	v_rcp_f32_e32 v3, v2
	v_fma_f32 v5, -v2, v3, 1.0
	v_fmac_f32_e32 v3, v5, v3
	v_div_scale_f32 v5, vcc_lo, v18, v4, v18
	v_mul_f32_e32 v6, v5, v3
	v_fma_f32 v14, -v2, v6, v5
	v_fmac_f32_e32 v6, v14, v3
	v_fma_f32 v2, -v2, v6, v5
	v_div_fmas_f32 v2, v2, v3, v6
	v_div_fixup_f32 v2, v2, v4, v18
	v_cndmask_b32_e64 v2, v2, 0x7fc00000, s64
	global_store_dword v[0:1], v2, off offset:256
	;; [unrolled: 16-line block ×15, first 2 shown]
	s_and_b32 exec_lo, exec_lo, s48
	s_cbranch_execz .LBB507_194
; %bb.146:
	v_div_scale_f32 v2, null, v4, v4, v41
	v_div_scale_f32 v6, vcc_lo, v41, v4, v41
	v_rcp_f32_e32 v3, v2
	v_fma_f32 v5, -v2, v3, 1.0
	v_fmac_f32_e32 v3, v5, v3
	v_mul_f32_e32 v5, v6, v3
	v_fma_f32 v14, -v2, v5, v6
	v_fmac_f32_e32 v5, v14, v3
	v_fma_f32 v2, -v2, v5, v6
	v_div_fmas_f32 v2, v2, v3, v5
	v_div_fixup_f32 v2, v2, v4, v41
	v_cndmask_b32_e64 v5, v2, 0x7fc00000, s64
	v_add_co_u32 v2, vcc_lo, 0x800, v0
	v_add_co_ci_u32_e64 v3, null, 0, v1, vcc_lo
	global_store_dword v[2:3], v5, off
	s_and_b32 exec_lo, exec_lo, s47
	s_cbranch_execz .LBB507_194
; %bb.147:
	v_div_scale_f32 v5, null, v4, v4, v42
	v_rcp_f32_e32 v6, v5
	v_fma_f32 v14, -v5, v6, 1.0
	v_fmac_f32_e32 v6, v14, v6
	v_div_scale_f32 v14, vcc_lo, v42, v4, v42
	v_mul_f32_e32 v16, v14, v6
	v_fma_f32 v17, -v5, v16, v14
	v_fmac_f32_e32 v16, v17, v6
	v_fma_f32 v5, -v5, v16, v14
	v_div_fmas_f32 v5, v5, v6, v16
	v_div_fixup_f32 v5, v5, v4, v42
	v_cndmask_b32_e64 v5, v5, 0x7fc00000, s64
	global_store_dword v[2:3], v5, off offset:128
	s_and_b32 exec_lo, exec_lo, s46
	s_cbranch_execz .LBB507_194
; %bb.148:
	v_div_scale_f32 v5, null, v4, v4, v45
	v_rcp_f32_e32 v6, v5
	v_fma_f32 v14, -v5, v6, 1.0
	v_fmac_f32_e32 v6, v14, v6
	v_div_scale_f32 v14, vcc_lo, v45, v4, v45
	v_mul_f32_e32 v16, v14, v6
	v_fma_f32 v17, -v5, v16, v14
	v_fmac_f32_e32 v16, v17, v6
	v_fma_f32 v5, -v5, v16, v14
	v_div_fmas_f32 v5, v5, v6, v16
	v_div_fixup_f32 v5, v5, v4, v45
	v_cndmask_b32_e64 v5, v5, 0x7fc00000, s64
	global_store_dword v[2:3], v5, off offset:256
	;; [unrolled: 16-line block ×15, first 2 shown]
	s_and_b32 exec_lo, exec_lo, s31
	s_cbranch_execz .LBB507_194
; %bb.162:
	v_div_scale_f32 v2, null, v4, v4, v70
	v_div_scale_f32 v6, vcc_lo, v70, v4, v70
	v_rcp_f32_e32 v3, v2
	v_fma_f32 v5, -v2, v3, 1.0
	v_fmac_f32_e32 v3, v5, v3
	v_mul_f32_e32 v5, v6, v3
	v_fma_f32 v14, -v2, v5, v6
	v_fmac_f32_e32 v5, v14, v3
	v_fma_f32 v2, -v2, v5, v6
	v_div_fmas_f32 v2, v2, v3, v5
	v_div_fixup_f32 v2, v2, v4, v70
	v_cndmask_b32_e64 v5, v2, 0x7fc00000, s64
	v_add_co_u32 v2, vcc_lo, 0x1000, v0
	v_add_co_ci_u32_e64 v3, null, 0, v1, vcc_lo
	global_store_dword v[2:3], v5, off
	s_and_b32 exec_lo, exec_lo, s30
	s_cbranch_execz .LBB507_194
; %bb.163:
	v_div_scale_f32 v5, null, v4, v4, v68
	v_rcp_f32_e32 v6, v5
	v_fma_f32 v14, -v5, v6, 1.0
	v_fmac_f32_e32 v6, v14, v6
	v_div_scale_f32 v14, vcc_lo, v68, v4, v68
	v_mul_f32_e32 v16, v14, v6
	v_fma_f32 v17, -v5, v16, v14
	v_fmac_f32_e32 v16, v17, v6
	v_fma_f32 v5, -v5, v16, v14
	v_div_fmas_f32 v5, v5, v6, v16
	v_div_fixup_f32 v5, v5, v4, v68
	v_cndmask_b32_e64 v5, v5, 0x7fc00000, s64
	global_store_dword v[2:3], v5, off offset:128
	s_and_b32 exec_lo, exec_lo, s29
	s_cbranch_execz .LBB507_194
; %bb.164:
	v_div_scale_f32 v5, null, v4, v4, v66
	v_rcp_f32_e32 v6, v5
	v_fma_f32 v14, -v5, v6, 1.0
	v_fmac_f32_e32 v6, v14, v6
	v_div_scale_f32 v14, vcc_lo, v66, v4, v66
	v_mul_f32_e32 v16, v14, v6
	v_fma_f32 v17, -v5, v16, v14
	v_fmac_f32_e32 v16, v17, v6
	v_fma_f32 v5, -v5, v16, v14
	v_div_fmas_f32 v5, v5, v6, v16
	v_div_fixup_f32 v5, v5, v4, v66
	v_cndmask_b32_e64 v5, v5, 0x7fc00000, s64
	global_store_dword v[2:3], v5, off offset:256
	;; [unrolled: 16-line block ×15, first 2 shown]
	s_and_b32 exec_lo, exec_lo, s15
	s_cbranch_execz .LBB507_194
; %bb.178:
	v_div_scale_f32 v2, null, v4, v4, v39
	v_div_scale_f32 v6, vcc_lo, v39, v4, v39
	v_rcp_f32_e32 v3, v2
	v_fma_f32 v5, -v2, v3, 1.0
	v_fmac_f32_e32 v3, v5, v3
	v_mul_f32_e32 v5, v6, v3
	v_fma_f32 v14, -v2, v5, v6
	v_fmac_f32_e32 v5, v14, v3
	v_fma_f32 v2, -v2, v5, v6
	v_div_fmas_f32 v2, v2, v3, v5
	v_add_co_u32 v0, vcc_lo, 0x1800, v0
	v_add_co_ci_u32_e64 v1, null, 0, v1, vcc_lo
	v_div_fixup_f32 v2, v2, v4, v39
	v_cndmask_b32_e64 v2, v2, 0x7fc00000, s64
	global_store_dword v[0:1], v2, off
	s_and_b32 exec_lo, exec_lo, s14
	s_cbranch_execz .LBB507_194
; %bb.179:
	v_div_scale_f32 v2, null, v4, v4, v36
	v_rcp_f32_e32 v3, v2
	v_fma_f32 v5, -v2, v3, 1.0
	v_fmac_f32_e32 v3, v5, v3
	v_div_scale_f32 v5, vcc_lo, v36, v4, v36
	v_mul_f32_e32 v6, v5, v3
	v_fma_f32 v14, -v2, v6, v5
	v_fmac_f32_e32 v6, v14, v3
	v_fma_f32 v2, -v2, v6, v5
	v_div_fmas_f32 v2, v2, v3, v6
	v_div_fixup_f32 v2, v2, v4, v36
	v_cndmask_b32_e64 v2, v2, 0x7fc00000, s64
	global_store_dword v[0:1], v2, off offset:128
	s_and_b32 exec_lo, exec_lo, s13
	s_cbranch_execz .LBB507_194
; %bb.180:
	v_div_scale_f32 v2, null, v4, v4, v35
	v_rcp_f32_e32 v3, v2
	v_fma_f32 v5, -v2, v3, 1.0
	v_fmac_f32_e32 v3, v5, v3
	v_div_scale_f32 v5, vcc_lo, v35, v4, v35
	v_mul_f32_e32 v6, v5, v3
	v_fma_f32 v14, -v2, v6, v5
	v_fmac_f32_e32 v6, v14, v3
	v_fma_f32 v2, -v2, v6, v5
	v_div_fmas_f32 v2, v2, v3, v6
	v_div_fixup_f32 v2, v2, v4, v35
	v_cndmask_b32_e64 v2, v2, 0x7fc00000, s64
	global_store_dword v[0:1], v2, off offset:256
	;; [unrolled: 16-line block ×15, first 2 shown]
.LBB507_194:
	s_endpgm
	.section	.rodata,"a",@progbits
	.p2align	6, 0x0
	.amdhsa_kernel _ZN12_GLOBAL__N_120softmax_warp_forwardIN3c108BFloat16EffLi11ELb0ELb0ELi32EEEvPT0_PKT_iiiPKbib
		.amdhsa_group_segment_fixed_size 0
		.amdhsa_private_segment_fixed_size 0
		.amdhsa_kernarg_size 304
		.amdhsa_user_sgpr_count 6
		.amdhsa_user_sgpr_private_segment_buffer 1
		.amdhsa_user_sgpr_dispatch_ptr 0
		.amdhsa_user_sgpr_queue_ptr 0
		.amdhsa_user_sgpr_kernarg_segment_ptr 1
		.amdhsa_user_sgpr_dispatch_id 0
		.amdhsa_user_sgpr_flat_scratch_init 0
		.amdhsa_user_sgpr_private_segment_size 0
		.amdhsa_wavefront_size32 1
		.amdhsa_uses_dynamic_stack 0
		.amdhsa_system_sgpr_private_segment_wavefront_offset 0
		.amdhsa_system_sgpr_workgroup_id_x 1
		.amdhsa_system_sgpr_workgroup_id_y 0
		.amdhsa_system_sgpr_workgroup_id_z 0
		.amdhsa_system_sgpr_workgroup_info 0
		.amdhsa_system_vgpr_workitem_id 1
		.amdhsa_next_free_vgpr 77
		.amdhsa_next_free_sgpr 76
		.amdhsa_reserve_vcc 1
		.amdhsa_reserve_flat_scratch 0
		.amdhsa_float_round_mode_32 0
		.amdhsa_float_round_mode_16_64 0
		.amdhsa_float_denorm_mode_32 3
		.amdhsa_float_denorm_mode_16_64 3
		.amdhsa_dx10_clamp 1
		.amdhsa_ieee_mode 1
		.amdhsa_fp16_overflow 0
		.amdhsa_workgroup_processor_mode 1
		.amdhsa_memory_ordered 1
		.amdhsa_forward_progress 1
		.amdhsa_shared_vgpr_count 0
		.amdhsa_exception_fp_ieee_invalid_op 0
		.amdhsa_exception_fp_denorm_src 0
		.amdhsa_exception_fp_ieee_div_zero 0
		.amdhsa_exception_fp_ieee_overflow 0
		.amdhsa_exception_fp_ieee_underflow 0
		.amdhsa_exception_fp_ieee_inexact 0
		.amdhsa_exception_int_div_zero 0
	.end_amdhsa_kernel
	.section	.text._ZN12_GLOBAL__N_120softmax_warp_forwardIN3c108BFloat16EffLi11ELb0ELb0ELi32EEEvPT0_PKT_iiiPKbib,"axG",@progbits,_ZN12_GLOBAL__N_120softmax_warp_forwardIN3c108BFloat16EffLi11ELb0ELb0ELi32EEEvPT0_PKT_iiiPKbib,comdat
.Lfunc_end507:
	.size	_ZN12_GLOBAL__N_120softmax_warp_forwardIN3c108BFloat16EffLi11ELb0ELb0ELi32EEEvPT0_PKT_iiiPKbib, .Lfunc_end507-_ZN12_GLOBAL__N_120softmax_warp_forwardIN3c108BFloat16EffLi11ELb0ELb0ELi32EEEvPT0_PKT_iiiPKbib
                                        ; -- End function
	.set _ZN12_GLOBAL__N_120softmax_warp_forwardIN3c108BFloat16EffLi11ELb0ELb0ELi32EEEvPT0_PKT_iiiPKbib.num_vgpr, 77
	.set _ZN12_GLOBAL__N_120softmax_warp_forwardIN3c108BFloat16EffLi11ELb0ELb0ELi32EEEvPT0_PKT_iiiPKbib.num_agpr, 0
	.set _ZN12_GLOBAL__N_120softmax_warp_forwardIN3c108BFloat16EffLi11ELb0ELb0ELi32EEEvPT0_PKT_iiiPKbib.numbered_sgpr, 76
	.set _ZN12_GLOBAL__N_120softmax_warp_forwardIN3c108BFloat16EffLi11ELb0ELb0ELi32EEEvPT0_PKT_iiiPKbib.num_named_barrier, 0
	.set _ZN12_GLOBAL__N_120softmax_warp_forwardIN3c108BFloat16EffLi11ELb0ELb0ELi32EEEvPT0_PKT_iiiPKbib.private_seg_size, 0
	.set _ZN12_GLOBAL__N_120softmax_warp_forwardIN3c108BFloat16EffLi11ELb0ELb0ELi32EEEvPT0_PKT_iiiPKbib.uses_vcc, 1
	.set _ZN12_GLOBAL__N_120softmax_warp_forwardIN3c108BFloat16EffLi11ELb0ELb0ELi32EEEvPT0_PKT_iiiPKbib.uses_flat_scratch, 0
	.set _ZN12_GLOBAL__N_120softmax_warp_forwardIN3c108BFloat16EffLi11ELb0ELb0ELi32EEEvPT0_PKT_iiiPKbib.has_dyn_sized_stack, 0
	.set _ZN12_GLOBAL__N_120softmax_warp_forwardIN3c108BFloat16EffLi11ELb0ELb0ELi32EEEvPT0_PKT_iiiPKbib.has_recursion, 0
	.set _ZN12_GLOBAL__N_120softmax_warp_forwardIN3c108BFloat16EffLi11ELb0ELb0ELi32EEEvPT0_PKT_iiiPKbib.has_indirect_call, 0
	.section	.AMDGPU.csdata,"",@progbits
; Kernel info:
; codeLenInByte = 19060
; TotalNumSgprs: 78
; NumVgprs: 77
; ScratchSize: 0
; MemoryBound: 0
; FloatMode: 240
; IeeeMode: 1
; LDSByteSize: 0 bytes/workgroup (compile time only)
; SGPRBlocks: 0
; VGPRBlocks: 9
; NumSGPRsForWavesPerEU: 78
; NumVGPRsForWavesPerEU: 77
; Occupancy: 12
; WaveLimiterHint : 0
; COMPUTE_PGM_RSRC2:SCRATCH_EN: 0
; COMPUTE_PGM_RSRC2:USER_SGPR: 6
; COMPUTE_PGM_RSRC2:TRAP_HANDLER: 0
; COMPUTE_PGM_RSRC2:TGID_X_EN: 1
; COMPUTE_PGM_RSRC2:TGID_Y_EN: 0
; COMPUTE_PGM_RSRC2:TGID_Z_EN: 0
; COMPUTE_PGM_RSRC2:TIDIG_COMP_CNT: 1
	.section	.text._ZN2at6native12_GLOBAL__N_123cunn_SoftMaxForwardGmemILi8EN3c108BFloat16EffNS1_29SoftMaxForwardWithMulEpilogueElEEvPT2_PKT0_T4_,"axG",@progbits,_ZN2at6native12_GLOBAL__N_123cunn_SoftMaxForwardGmemILi8EN3c108BFloat16EffNS1_29SoftMaxForwardWithMulEpilogueElEEvPT2_PKT0_T4_,comdat
	.globl	_ZN2at6native12_GLOBAL__N_123cunn_SoftMaxForwardGmemILi8EN3c108BFloat16EffNS1_29SoftMaxForwardWithMulEpilogueElEEvPT2_PKT0_T4_ ; -- Begin function _ZN2at6native12_GLOBAL__N_123cunn_SoftMaxForwardGmemILi8EN3c108BFloat16EffNS1_29SoftMaxForwardWithMulEpilogueElEEvPT2_PKT0_T4_
	.p2align	8
	.type	_ZN2at6native12_GLOBAL__N_123cunn_SoftMaxForwardGmemILi8EN3c108BFloat16EffNS1_29SoftMaxForwardWithMulEpilogueElEEvPT2_PKT0_T4_,@function
_ZN2at6native12_GLOBAL__N_123cunn_SoftMaxForwardGmemILi8EN3c108BFloat16EffNS1_29SoftMaxForwardWithMulEpilogueElEEvPT2_PKT0_T4_: ; @_ZN2at6native12_GLOBAL__N_123cunn_SoftMaxForwardGmemILi8EN3c108BFloat16EffNS1_29SoftMaxForwardWithMulEpilogueElEEvPT2_PKT0_T4_
; %bb.0:
	s_clause 0x1
	s_load_dwordx2 s[12:13], s[4:5], 0x10
	s_load_dwordx4 s[8:11], s[4:5], 0x0
	v_mov_b32_e32 v1, 0
	v_lshlrev_b32_e32 v2, 3, v0
	v_mov_b32_e32 v7, 0xff7fffff
	v_lshlrev_b32_e32 v6, 4, v0
	s_mov_b32 s2, 0
	v_mov_b32_e32 v3, v1
	s_waitcnt lgkmcnt(0)
	v_cmp_gt_i64_e64 s0, s[12:13], v[2:3]
	s_mul_i32 s14, s13, s6
	s_mul_hi_u32 s15, s12, s6
	s_mul_i32 s6, s12, s6
	s_and_saveexec_b32 s3, s0
	s_cbranch_execz .LBB508_4
; %bb.1:
	s_load_dword s1, s[4:5], 0x24
	s_add_i32 s7, s15, s14
	v_mov_b32_e32 v5, v1
	s_lshl_b64 s[16:17], s[6:7], 1
	v_mov_b32_e32 v7, 0xff7fffff
	v_mov_b32_e32 v4, v0
	s_waitcnt lgkmcnt(0)
	s_and_b32 s7, s1, 0xffff
	s_add_u32 s1, s10, s16
	s_addc_u32 s16, s11, s17
	v_add_co_u32 v2, s1, s1, v6
	v_add_co_ci_u32_e64 v3, null, s16, 0, s1
	s_lshl_b32 s16, s7, 4
	v_add_co_u32 v2, vcc_lo, v2, 14
	v_add_co_ci_u32_e64 v3, null, 0, v3, vcc_lo
	s_inst_prefetch 0x1
	.p2align	6
.LBB508_2:                              ; =>This Inner Loop Header: Depth=1
	global_load_dwordx4 v[8:11], v[2:3], off offset:-14
	v_add_co_u32 v4, vcc_lo, v4, s7
	v_add_co_ci_u32_e64 v5, null, 0, v5, vcc_lo
	v_add_co_u32 v2, s1, v2, s16
	v_add_co_ci_u32_e64 v3, null, 0, v3, s1
	s_waitcnt vmcnt(0)
	v_lshlrev_b32_e32 v12, 16, v8
	v_and_b32_e32 v8, 0xffff0000, v8
	v_lshlrev_b32_e32 v13, 16, v9
	v_and_b32_e32 v9, 0xffff0000, v9
	v_lshlrev_b32_e32 v14, 16, v10
	v_and_b32_e32 v10, 0xffff0000, v10
	v_max3_f32 v12, v7, v12, v8
	v_lshlrev_b64 v[7:8], 3, v[4:5]
	v_max3_f32 v9, v12, v13, v9
	v_cmp_le_i64_e32 vcc_lo, s[12:13], v[7:8]
	v_lshlrev_b32_e32 v7, 16, v11
	v_and_b32_e32 v8, 0xffff0000, v11
	v_max3_f32 v9, v9, v14, v10
	s_or_b32 s2, vcc_lo, s2
	v_max3_f32 v7, v9, v7, v8
	s_andn2_b32 exec_lo, exec_lo, s2
	s_cbranch_execnz .LBB508_2
; %bb.3:
	s_inst_prefetch 0x2
	s_or_b32 exec_lo, exec_lo, s2
.LBB508_4:
	s_or_b32 exec_lo, exec_lo, s3
	v_mbcnt_lo_u32_b32 v2, -1, 0
	v_lshrrev_b32_e32 v13, 3, v0
	s_barrier
	buffer_gl0_inv
	v_lshl_or_b32 v8, v2, 2, 64
	v_cmp_gt_u32_e32 vcc_lo, 24, v2
	ds_bpermute_b32 v3, v8, v7
	v_cndmask_b32_e64 v4, 0, 8, vcc_lo
	v_add_lshl_u32 v9, v4, v2, 2
	s_waitcnt lgkmcnt(0)
	v_cmp_lt_f32_e32 vcc_lo, v7, v3
	v_cndmask_b32_e32 v3, v7, v3, vcc_lo
	v_cmp_gt_u32_e32 vcc_lo, 28, v2
	ds_bpermute_b32 v4, v9, v3
	v_cndmask_b32_e64 v5, 0, 4, vcc_lo
	v_add_lshl_u32 v10, v5, v2, 2
	s_waitcnt lgkmcnt(0)
	v_cmp_lt_f32_e32 vcc_lo, v3, v4
	v_cndmask_b32_e32 v3, v3, v4, vcc_lo
	;; [unrolled: 7-line block ×3, first 2 shown]
	v_cmp_ne_u32_e32 vcc_lo, 31, v2
	ds_bpermute_b32 v4, v11, v3
	v_add_co_ci_u32_e64 v5, null, 0, v2, vcc_lo
	v_lshlrev_b32_e32 v12, 2, v5
	s_waitcnt lgkmcnt(0)
	v_cmp_lt_f32_e32 vcc_lo, v3, v4
	v_cndmask_b32_e32 v2, v3, v4, vcc_lo
	v_and_b32_e32 v3, 31, v0
	ds_bpermute_b32 v4, v12, v2
	v_cmp_eq_u32_e32 vcc_lo, 0, v3
	s_and_saveexec_b32 s2, vcc_lo
	s_cbranch_execz .LBB508_6
; %bb.5:
	s_waitcnt lgkmcnt(0)
	v_cmp_lt_f32_e64 s1, v2, v4
	v_add_nc_u32_e32 v5, 0, v13
	v_cndmask_b32_e64 v2, v2, v4, s1
	ds_write_b32 v5, v2
.LBB508_6:
	s_or_b32 exec_lo, exec_lo, s2
	s_waitcnt lgkmcnt(0)
	s_barrier
	buffer_gl0_inv
	s_load_dword s16, s[4:5], 0x24
	v_mov_b32_e32 v2, 0xff7fffff
	v_lshl_add_u32 v14, v3, 2, 0
	s_waitcnt lgkmcnt(0)
	s_bfe_u32 s1, s16, 0xb0005
	v_cmp_gt_u32_e64 s1, s1, v0
	s_and_saveexec_b32 s2, s1
	s_cbranch_execnz .LBB508_24
; %bb.7:
	s_or_b32 exec_lo, exec_lo, s2
	v_cmp_gt_u32_e64 s2, 32, v0
	s_and_saveexec_b32 s4, s2
	s_cbranch_execnz .LBB508_25
.LBB508_8:
	s_or_b32 exec_lo, exec_lo, s4
	v_cmp_eq_u32_e64 s3, 0, v0
	s_and_saveexec_b32 s4, s3
	s_cbranch_execz .LBB508_10
.LBB508_9:
	v_mov_b32_e32 v3, 0
	s_waitcnt lgkmcnt(0)
	ds_write_b32 v3, v2
.LBB508_10:
	s_or_b32 exec_lo, exec_lo, s4
	v_mov_b32_e32 v15, 0
	s_waitcnt lgkmcnt(0)
	s_barrier
	buffer_gl0_inv
	s_mov_b32 s18, 0
	ds_read_b32 v7, v15
	s_and_saveexec_b32 s17, s0
	s_cbranch_execz .LBB508_14
; %bb.11:
	s_add_i32 s7, s15, s14
	v_mov_b32_e32 v5, v1
	s_lshl_b64 s[4:5], s[6:7], 1
	s_and_b32 s7, s16, 0xffff
	s_add_u32 s4, s10, s4
	s_addc_u32 s5, s11, s5
	v_add_co_u32 v2, s4, s4, v6
	v_add_co_ci_u32_e64 v3, null, s5, 0, s4
	v_mov_b32_e32 v15, 0
	v_add_co_u32 v2, s4, v2, 14
	v_add_co_ci_u32_e64 v3, null, 0, v3, s4
	v_mov_b32_e32 v4, v0
	s_lshl_b32 s19, s7, 4
.LBB508_12:                             ; =>This Inner Loop Header: Depth=1
	global_load_dwordx4 v[16:19], v[2:3], off offset:-14
	v_add_co_u32 v4, s4, v4, s7
	v_add_co_ci_u32_e64 v5, null, 0, v5, s4
	v_add_co_u32 v2, s5, v2, s19
	v_add_co_ci_u32_e64 v3, null, 0, v3, s5
	s_waitcnt vmcnt(0)
	v_lshlrev_b32_e32 v20, 16, v16
	v_and_b32_e32 v16, 0xffff0000, v16
	v_lshlrev_b32_e32 v21, 16, v17
	v_and_b32_e32 v17, 0xffff0000, v17
	v_lshlrev_b32_e32 v22, 16, v18
	s_waitcnt lgkmcnt(0)
	v_sub_f32_e32 v20, v20, v7
	v_sub_f32_e32 v16, v16, v7
	v_sub_f32_e32 v21, v21, v7
	v_sub_f32_e32 v17, v17, v7
	v_and_b32_e32 v18, 0xffff0000, v18
	v_mul_f32_e32 v20, 0x3fb8aa3b, v20
	v_mul_f32_e32 v16, 0x3fb8aa3b, v16
	;; [unrolled: 1-line block ×3, first 2 shown]
	v_sub_f32_e32 v22, v22, v7
	v_mul_f32_e32 v17, 0x3fb8aa3b, v17
	v_exp_f32_e32 v20, v20
	v_exp_f32_e32 v16, v16
	;; [unrolled: 1-line block ×3, first 2 shown]
	v_lshlrev_b32_e32 v23, 16, v19
	v_sub_f32_e32 v18, v18, v7
	v_exp_f32_e32 v17, v17
	v_and_b32_e32 v19, 0xffff0000, v19
	v_mul_f32_e32 v18, 0x3fb8aa3b, v18
	v_add_f32_e32 v15, v15, v20
	v_mul_f32_e32 v20, 0x3fb8aa3b, v22
	v_sub_f32_e32 v19, v19, v7
	v_exp_f32_e32 v18, v18
	v_add_f32_e32 v15, v15, v16
	v_sub_f32_e32 v16, v23, v7
	v_exp_f32_e32 v20, v20
	v_add_f32_e32 v15, v15, v21
	v_mul_f32_e32 v16, 0x3fb8aa3b, v16
	v_add_f32_e32 v15, v15, v17
	v_mul_f32_e32 v17, 0x3fb8aa3b, v19
	v_exp_f32_e32 v19, v16
	v_add_f32_e32 v20, v15, v20
	v_lshlrev_b64 v[15:16], 3, v[4:5]
	v_exp_f32_e32 v17, v17
	v_add_f32_e32 v18, v20, v18
	v_cmp_le_i64_e64 s4, s[12:13], v[15:16]
	v_add_f32_e32 v15, v18, v19
	s_or_b32 s18, s4, s18
	v_add_f32_e32 v15, v15, v17
	s_andn2_b32 exec_lo, exec_lo, s18
	s_cbranch_execnz .LBB508_12
; %bb.13:
	s_or_b32 exec_lo, exec_lo, s18
.LBB508_14:
	s_or_b32 exec_lo, exec_lo, s17
	ds_bpermute_b32 v2, v8, v15
	s_waitcnt lgkmcnt(0)
	s_barrier
	buffer_gl0_inv
	v_add_f32_e32 v2, v15, v2
	ds_bpermute_b32 v3, v9, v2
	s_waitcnt lgkmcnt(0)
	v_add_f32_e32 v2, v2, v3
	ds_bpermute_b32 v3, v10, v2
	s_waitcnt lgkmcnt(0)
	;; [unrolled: 3-line block ×3, first 2 shown]
	v_add_f32_e32 v2, v2, v3
	ds_bpermute_b32 v3, v12, v2
	s_and_saveexec_b32 s4, vcc_lo
	s_cbranch_execz .LBB508_16
; %bb.15:
	v_add_nc_u32_e32 v4, 0, v13
	s_waitcnt lgkmcnt(0)
	v_add_f32_e32 v2, v2, v3
	ds_write_b32 v4, v2
.LBB508_16:
	s_or_b32 exec_lo, exec_lo, s4
	v_mov_b32_e32 v2, 0
	s_waitcnt lgkmcnt(0)
	s_barrier
	buffer_gl0_inv
	s_and_saveexec_b32 s4, s1
	s_cbranch_execnz .LBB508_26
; %bb.17:
	s_or_b32 exec_lo, exec_lo, s4
	s_and_saveexec_b32 s1, s2
	s_cbranch_execnz .LBB508_27
.LBB508_18:
	s_or_b32 exec_lo, exec_lo, s1
	s_and_saveexec_b32 s1, s3
	s_cbranch_execz .LBB508_20
.LBB508_19:
	s_waitcnt lgkmcnt(0)
	v_div_scale_f32 v3, null, v2, v2, 1.0
	v_div_scale_f32 v8, vcc_lo, 1.0, v2, 1.0
	v_rcp_f32_e32 v4, v3
	v_fma_f32 v5, -v3, v4, 1.0
	v_fmac_f32_e32 v4, v5, v4
	v_mul_f32_e32 v5, v8, v4
	v_fma_f32 v9, -v3, v5, v8
	v_fmac_f32_e32 v5, v9, v4
	v_fma_f32 v3, -v3, v5, v8
	v_div_fmas_f32 v3, v3, v4, v5
	v_div_fixup_f32 v2, v3, v2, 1.0
	v_mov_b32_e32 v3, 0
	ds_write_b32 v3, v2
.LBB508_20:
	s_or_b32 exec_lo, exec_lo, s1
	s_waitcnt lgkmcnt(0)
	s_barrier
	buffer_gl0_inv
	s_and_saveexec_b32 s1, s0
	s_cbranch_execz .LBB508_23
; %bb.21:
	v_mov_b32_e32 v2, 0
	s_add_i32 s7, s15, s14
	s_and_b32 s1, s16, 0xffff
	s_lshl_b64 s[2:3], s[6:7], 1
	v_lshlrev_b32_e32 v4, 5, v0
	ds_read_b32 v8, v2
	s_add_u32 s0, s10, s2
	s_addc_u32 s2, s11, s3
	v_add_co_u32 v2, s0, s0, v6
	s_lshl_b64 s[4:5], s[6:7], 2
	v_add_co_ci_u32_e64 v3, null, s2, 0, s0
	s_lshl_b32 s2, s1, 4
	s_add_u32 s0, s8, s4
	s_addc_u32 s3, s9, s5
	v_add_co_u32 v4, s0, s0, v4
	v_add_co_ci_u32_e64 v5, null, s3, 0, s0
	v_add_co_u32 v2, vcc_lo, v2, 14
	v_add_co_ci_u32_e64 v3, null, 0, v3, vcc_lo
	v_add_co_u32 v4, vcc_lo, v4, 16
	v_add_co_ci_u32_e64 v5, null, 0, v5, vcc_lo
	s_mov_b32 s3, 0
	s_lshl_b32 s4, s1, 5
.LBB508_22:                             ; =>This Inner Loop Header: Depth=1
	global_load_dwordx4 v[9:12], v[2:3], off offset:-14
	v_add_co_u32 v0, vcc_lo, v0, s1
	v_add_co_ci_u32_e64 v1, null, 0, v1, vcc_lo
	v_add_co_u32 v2, vcc_lo, v2, s2
	v_add_co_ci_u32_e64 v3, null, 0, v3, vcc_lo
	v_lshlrev_b64 v[13:14], 3, v[0:1]
	v_cmp_le_i64_e32 vcc_lo, s[12:13], v[13:14]
	s_or_b32 s3, vcc_lo, s3
	s_waitcnt vmcnt(0)
	v_lshlrev_b32_e32 v6, 16, v9
	v_and_b32_e32 v9, 0xffff0000, v9
	v_lshlrev_b32_e32 v13, 16, v10
	v_and_b32_e32 v10, 0xffff0000, v10
	;; [unrolled: 2-line block ×4, first 2 shown]
	v_sub_f32_e32 v6, v6, v7
	v_sub_f32_e32 v9, v9, v7
	;; [unrolled: 1-line block ×8, first 2 shown]
	v_mul_f32_e32 v6, 0x3fb8aa3b, v6
	v_mul_f32_e32 v9, 0x3fb8aa3b, v9
	;; [unrolled: 1-line block ×8, first 2 shown]
	v_exp_f32_e32 v6, v6
	v_exp_f32_e32 v16, v9
	;; [unrolled: 1-line block ×8, first 2 shown]
	s_waitcnt lgkmcnt(0)
	v_mul_f32_e32 v9, v8, v6
	v_mul_f32_e32 v10, v8, v16
	;; [unrolled: 1-line block ×8, first 2 shown]
	global_store_dwordx4 v[4:5], v[9:12], off offset:-16
	global_store_dwordx4 v[4:5], v[13:16], off
	v_add_co_u32 v4, s0, v4, s4
	v_add_co_ci_u32_e64 v5, null, 0, v5, s0
	s_andn2_b32 exec_lo, exec_lo, s3
	s_cbranch_execnz .LBB508_22
.LBB508_23:
	s_endpgm
.LBB508_24:
	ds_read_b32 v2, v14
	s_or_b32 exec_lo, exec_lo, s2
	v_cmp_gt_u32_e64 s2, 32, v0
	s_and_saveexec_b32 s4, s2
	s_cbranch_execz .LBB508_8
.LBB508_25:
	s_waitcnt lgkmcnt(0)
	ds_bpermute_b32 v3, v8, v2
	s_waitcnt lgkmcnt(0)
	v_cmp_lt_f32_e64 s3, v2, v3
	v_cndmask_b32_e64 v2, v2, v3, s3
	ds_bpermute_b32 v3, v9, v2
	s_waitcnt lgkmcnt(0)
	v_cmp_lt_f32_e64 s3, v2, v3
	v_cndmask_b32_e64 v2, v2, v3, s3
	;; [unrolled: 4-line block ×5, first 2 shown]
	s_or_b32 exec_lo, exec_lo, s4
	v_cmp_eq_u32_e64 s3, 0, v0
	s_and_saveexec_b32 s4, s3
	s_cbranch_execnz .LBB508_9
	s_branch .LBB508_10
.LBB508_26:
	ds_read_b32 v2, v14
	s_or_b32 exec_lo, exec_lo, s4
	s_and_saveexec_b32 s1, s2
	s_cbranch_execz .LBB508_18
.LBB508_27:
	s_waitcnt lgkmcnt(0)
	ds_bpermute_b32 v3, v8, v2
	s_waitcnt lgkmcnt(0)
	v_add_f32_e32 v2, v2, v3
	ds_bpermute_b32 v3, v9, v2
	s_waitcnt lgkmcnt(0)
	v_add_f32_e32 v2, v2, v3
	;; [unrolled: 3-line block ×5, first 2 shown]
	s_or_b32 exec_lo, exec_lo, s1
	s_and_saveexec_b32 s1, s3
	s_cbranch_execnz .LBB508_19
	s_branch .LBB508_20
	.section	.rodata,"a",@progbits
	.p2align	6, 0x0
	.amdhsa_kernel _ZN2at6native12_GLOBAL__N_123cunn_SoftMaxForwardGmemILi8EN3c108BFloat16EffNS1_29SoftMaxForwardWithMulEpilogueElEEvPT2_PKT0_T4_
		.amdhsa_group_segment_fixed_size 0
		.amdhsa_private_segment_fixed_size 0
		.amdhsa_kernarg_size 280
		.amdhsa_user_sgpr_count 6
		.amdhsa_user_sgpr_private_segment_buffer 1
		.amdhsa_user_sgpr_dispatch_ptr 0
		.amdhsa_user_sgpr_queue_ptr 0
		.amdhsa_user_sgpr_kernarg_segment_ptr 1
		.amdhsa_user_sgpr_dispatch_id 0
		.amdhsa_user_sgpr_flat_scratch_init 0
		.amdhsa_user_sgpr_private_segment_size 0
		.amdhsa_wavefront_size32 1
		.amdhsa_uses_dynamic_stack 0
		.amdhsa_system_sgpr_private_segment_wavefront_offset 0
		.amdhsa_system_sgpr_workgroup_id_x 1
		.amdhsa_system_sgpr_workgroup_id_y 0
		.amdhsa_system_sgpr_workgroup_id_z 0
		.amdhsa_system_sgpr_workgroup_info 0
		.amdhsa_system_vgpr_workitem_id 0
		.amdhsa_next_free_vgpr 24
		.amdhsa_next_free_sgpr 20
		.amdhsa_reserve_vcc 1
		.amdhsa_reserve_flat_scratch 0
		.amdhsa_float_round_mode_32 0
		.amdhsa_float_round_mode_16_64 0
		.amdhsa_float_denorm_mode_32 3
		.amdhsa_float_denorm_mode_16_64 3
		.amdhsa_dx10_clamp 1
		.amdhsa_ieee_mode 1
		.amdhsa_fp16_overflow 0
		.amdhsa_workgroup_processor_mode 1
		.amdhsa_memory_ordered 1
		.amdhsa_forward_progress 1
		.amdhsa_shared_vgpr_count 0
		.amdhsa_exception_fp_ieee_invalid_op 0
		.amdhsa_exception_fp_denorm_src 0
		.amdhsa_exception_fp_ieee_div_zero 0
		.amdhsa_exception_fp_ieee_overflow 0
		.amdhsa_exception_fp_ieee_underflow 0
		.amdhsa_exception_fp_ieee_inexact 0
		.amdhsa_exception_int_div_zero 0
	.end_amdhsa_kernel
	.section	.text._ZN2at6native12_GLOBAL__N_123cunn_SoftMaxForwardGmemILi8EN3c108BFloat16EffNS1_29SoftMaxForwardWithMulEpilogueElEEvPT2_PKT0_T4_,"axG",@progbits,_ZN2at6native12_GLOBAL__N_123cunn_SoftMaxForwardGmemILi8EN3c108BFloat16EffNS1_29SoftMaxForwardWithMulEpilogueElEEvPT2_PKT0_T4_,comdat
.Lfunc_end508:
	.size	_ZN2at6native12_GLOBAL__N_123cunn_SoftMaxForwardGmemILi8EN3c108BFloat16EffNS1_29SoftMaxForwardWithMulEpilogueElEEvPT2_PKT0_T4_, .Lfunc_end508-_ZN2at6native12_GLOBAL__N_123cunn_SoftMaxForwardGmemILi8EN3c108BFloat16EffNS1_29SoftMaxForwardWithMulEpilogueElEEvPT2_PKT0_T4_
                                        ; -- End function
	.set _ZN2at6native12_GLOBAL__N_123cunn_SoftMaxForwardGmemILi8EN3c108BFloat16EffNS1_29SoftMaxForwardWithMulEpilogueElEEvPT2_PKT0_T4_.num_vgpr, 24
	.set _ZN2at6native12_GLOBAL__N_123cunn_SoftMaxForwardGmemILi8EN3c108BFloat16EffNS1_29SoftMaxForwardWithMulEpilogueElEEvPT2_PKT0_T4_.num_agpr, 0
	.set _ZN2at6native12_GLOBAL__N_123cunn_SoftMaxForwardGmemILi8EN3c108BFloat16EffNS1_29SoftMaxForwardWithMulEpilogueElEEvPT2_PKT0_T4_.numbered_sgpr, 20
	.set _ZN2at6native12_GLOBAL__N_123cunn_SoftMaxForwardGmemILi8EN3c108BFloat16EffNS1_29SoftMaxForwardWithMulEpilogueElEEvPT2_PKT0_T4_.num_named_barrier, 0
	.set _ZN2at6native12_GLOBAL__N_123cunn_SoftMaxForwardGmemILi8EN3c108BFloat16EffNS1_29SoftMaxForwardWithMulEpilogueElEEvPT2_PKT0_T4_.private_seg_size, 0
	.set _ZN2at6native12_GLOBAL__N_123cunn_SoftMaxForwardGmemILi8EN3c108BFloat16EffNS1_29SoftMaxForwardWithMulEpilogueElEEvPT2_PKT0_T4_.uses_vcc, 1
	.set _ZN2at6native12_GLOBAL__N_123cunn_SoftMaxForwardGmemILi8EN3c108BFloat16EffNS1_29SoftMaxForwardWithMulEpilogueElEEvPT2_PKT0_T4_.uses_flat_scratch, 0
	.set _ZN2at6native12_GLOBAL__N_123cunn_SoftMaxForwardGmemILi8EN3c108BFloat16EffNS1_29SoftMaxForwardWithMulEpilogueElEEvPT2_PKT0_T4_.has_dyn_sized_stack, 0
	.set _ZN2at6native12_GLOBAL__N_123cunn_SoftMaxForwardGmemILi8EN3c108BFloat16EffNS1_29SoftMaxForwardWithMulEpilogueElEEvPT2_PKT0_T4_.has_recursion, 0
	.set _ZN2at6native12_GLOBAL__N_123cunn_SoftMaxForwardGmemILi8EN3c108BFloat16EffNS1_29SoftMaxForwardWithMulEpilogueElEEvPT2_PKT0_T4_.has_indirect_call, 0
	.section	.AMDGPU.csdata,"",@progbits
; Kernel info:
; codeLenInByte = 2176
; TotalNumSgprs: 22
; NumVgprs: 24
; ScratchSize: 0
; MemoryBound: 0
; FloatMode: 240
; IeeeMode: 1
; LDSByteSize: 0 bytes/workgroup (compile time only)
; SGPRBlocks: 0
; VGPRBlocks: 2
; NumSGPRsForWavesPerEU: 22
; NumVGPRsForWavesPerEU: 24
; Occupancy: 16
; WaveLimiterHint : 0
; COMPUTE_PGM_RSRC2:SCRATCH_EN: 0
; COMPUTE_PGM_RSRC2:USER_SGPR: 6
; COMPUTE_PGM_RSRC2:TRAP_HANDLER: 0
; COMPUTE_PGM_RSRC2:TGID_X_EN: 1
; COMPUTE_PGM_RSRC2:TGID_Y_EN: 0
; COMPUTE_PGM_RSRC2:TGID_Z_EN: 0
; COMPUTE_PGM_RSRC2:TIDIG_COMP_CNT: 0
	.section	.text._ZN2at6native12_GLOBAL__N_123cunn_SoftMaxForwardFastILi8EN3c108BFloat16EffNS1_29SoftMaxForwardWithMulEpilogueEEEvPT2_PKT0_i,"axG",@progbits,_ZN2at6native12_GLOBAL__N_123cunn_SoftMaxForwardFastILi8EN3c108BFloat16EffNS1_29SoftMaxForwardWithMulEpilogueEEEvPT2_PKT0_i,comdat
	.globl	_ZN2at6native12_GLOBAL__N_123cunn_SoftMaxForwardFastILi8EN3c108BFloat16EffNS1_29SoftMaxForwardWithMulEpilogueEEEvPT2_PKT0_i ; -- Begin function _ZN2at6native12_GLOBAL__N_123cunn_SoftMaxForwardFastILi8EN3c108BFloat16EffNS1_29SoftMaxForwardWithMulEpilogueEEEvPT2_PKT0_i
	.p2align	8
	.type	_ZN2at6native12_GLOBAL__N_123cunn_SoftMaxForwardFastILi8EN3c108BFloat16EffNS1_29SoftMaxForwardWithMulEpilogueEEEvPT2_PKT0_i,@function
_ZN2at6native12_GLOBAL__N_123cunn_SoftMaxForwardFastILi8EN3c108BFloat16EffNS1_29SoftMaxForwardWithMulEpilogueEEEvPT2_PKT0_i: ; @_ZN2at6native12_GLOBAL__N_123cunn_SoftMaxForwardFastILi8EN3c108BFloat16EffNS1_29SoftMaxForwardWithMulEpilogueEEEvPT2_PKT0_i
; %bb.0:
	s_clause 0x1
	s_load_dword s7, s[4:5], 0x10
	s_load_dwordx4 s[8:11], s[4:5], 0x0
	s_mov_b32 s15, 0
	s_waitcnt lgkmcnt(0)
	s_ashr_i32 s0, s7, 31
	s_mul_hi_u32 s1, s7, s6
	s_mul_i32 s0, s0, s6
	s_mul_i32 s12, s7, s6
	s_add_i32 s13, s1, s0
	s_lshl_b64 s[0:1], s[12:13], 1
	s_add_u32 s10, s10, s0
	s_addc_u32 s11, s11, s1
	s_bfe_u32 s14, s10, 0x30001
	s_cmp_lg_u32 s14, 0
	v_cmp_le_u32_e64 s0, s14, v0
	s_cselect_b32 s18, -1, 0
	s_add_u32 s2, s4, 24
	s_addc_u32 s3, s5, 0
	s_and_b32 vcc_lo, exec_lo, s18
	s_cbranch_vccz .LBB509_25
; %bb.1:
	s_lshl_b64 s[2:3], s[14:15], 1
	v_mov_b32_e32 v5, 0xff7fffff
	s_sub_u32 s16, s10, s2
	s_subb_u32 s17, s11, s3
	s_add_i32 s1, s14, s7
	v_cmp_gt_i32_e32 vcc_lo, s1, v0
	s_and_b32 s2, s0, vcc_lo
	s_and_saveexec_b32 s0, s2
	s_cbranch_execz .LBB509_3
; %bb.2:
	v_lshlrev_b32_e32 v1, 1, v0
	global_load_ushort v1, v1, s[16:17]
	s_waitcnt vmcnt(0)
	v_lshlrev_b32_e32 v1, 16, v1
	v_max_f32_e32 v1, v1, v1
	v_max_f32_e32 v5, 0xff7fffff, v1
.LBB509_3:
	s_or_b32 exec_lo, exec_lo, s0
	s_load_dword s0, s[4:5], 0x24
	s_add_u32 s2, s4, 24
	s_addc_u32 s3, s5, 0
	s_waitcnt lgkmcnt(0)
	s_and_b32 s0, s0, 0xffff
	v_sub_nc_u32_e64 v1, s1, s0 clamp
	s_lshl_b32 s0, s0, 1
	s_add_u32 s0, s16, s0
	s_addc_u32 s1, s17, 0
	v_readfirstlane_b32 s15, v1
	s_branch .LBB509_5
.LBB509_4:
	v_mov_b32_e32 v5, 0xff7fffff
	s_mov_b32 s15, s7
	s_mov_b64 s[0:1], s[10:11]
.LBB509_5:
	s_load_dword s16, s[2:3], 0x0
	v_mov_b32_e32 v1, 0
	v_lshlrev_b32_e32 v11, 3, v0
	s_waitcnt lgkmcnt(0)
	s_cmp_lt_u32 s6, s16
	s_cselect_b32 s16, 12, 18
	s_add_u32 s2, s2, s16
	s_addc_u32 s3, s3, 0
	global_load_ushort v3, v1, s[2:3]
	s_waitcnt vmcnt(0)
	v_readfirstlane_b32 s2, v3
	s_lshl_b32 s2, s2, 3
	v_cvt_f32_u32_e32 v1, s2
	s_sub_i32 s16, 0, s2
	v_rcp_iflag_f32_e32 v1, v1
	v_mul_f32_e32 v1, 0x4f7ffffe, v1
	v_cvt_u32_f32_e32 v1, v1
	v_readfirstlane_b32 s3, v1
	s_mul_i32 s16, s16, s3
	s_mul_hi_u32 s16, s3, s16
	s_add_i32 s3, s3, s16
	s_mul_hi_u32 s3, s15, s3
	s_mul_i32 s3, s3, s2
	s_sub_i32 s3, s15, s3
	s_sub_i32 s16, s3, s2
	s_cmp_ge_u32 s3, s2
	s_cselect_b32 s3, s16, s3
	s_sub_i32 s16, s3, s2
	s_cmp_ge_u32 s3, s2
	s_cselect_b32 s2, s16, s3
	s_mov_b32 s16, 0
	s_sub_i32 s2, s15, s2
	s_mov_b32 s3, exec_lo
	v_cmpx_gt_i32_e64 s2, v11
	s_cbranch_execz .LBB509_9
; %bb.6:
	v_mov_b32_e32 v1, v0
	s_inst_prefetch 0x1
	.p2align	6
.LBB509_7:                              ; =>This Inner Loop Header: Depth=1
	v_ashrrev_i32_e32 v2, 31, v1
	v_lshlrev_b64 v[6:7], 4, v[1:2]
	v_add_nc_u32_e32 v1, v1, v3
	v_add_co_u32 v6, vcc_lo, s0, v6
	v_add_co_ci_u32_e64 v7, null, s1, v7, vcc_lo
	global_load_dwordx4 v[6:9], v[6:7], off
	s_waitcnt vmcnt(0)
	v_lshlrev_b32_e32 v2, 16, v6
	v_and_b32_e32 v4, 0xffff0000, v6
	v_lshlrev_b32_e32 v6, 16, v7
	v_and_b32_e32 v7, 0xffff0000, v7
	v_max3_f32 v2, v5, v2, v4
	v_lshlrev_b32_e32 v4, 16, v8
	v_and_b32_e32 v5, 0xffff0000, v8
	v_and_b32_e32 v8, 0xffff0000, v9
	v_max3_f32 v2, v2, v6, v7
	v_lshlrev_b32_e32 v6, 3, v1
	v_lshlrev_b32_e32 v7, 16, v9
	v_max3_f32 v2, v2, v4, v5
	v_cmp_le_i32_e32 vcc_lo, s2, v6
	v_max3_f32 v5, v2, v7, v8
	s_or_b32 s16, vcc_lo, s16
	s_andn2_b32 exec_lo, exec_lo, s16
	s_cbranch_execnz .LBB509_7
; %bb.8:
	s_inst_prefetch 0x2
	s_or_b32 exec_lo, exec_lo, s16
.LBB509_9:
	s_or_b32 exec_lo, exec_lo, s3
	v_add_nc_u32_e32 v1, s2, v0
	s_mov_b32 s2, exec_lo
	v_cmpx_gt_i32_e64 s15, v1
	s_cbranch_execz .LBB509_13
; %bb.10:
	s_mov_b32 s3, 0
	.p2align	6
.LBB509_11:                             ; =>This Inner Loop Header: Depth=1
	v_ashrrev_i32_e32 v2, 31, v1
	v_max_f32_e32 v4, v5, v5
	v_lshlrev_b64 v[6:7], 1, v[1:2]
	v_add_nc_u32_e32 v1, v1, v3
	v_add_co_u32 v6, vcc_lo, s0, v6
	v_add_co_ci_u32_e64 v7, null, s1, v7, vcc_lo
	v_cmp_le_i32_e32 vcc_lo, s15, v1
	global_load_ushort v2, v[6:7], off
	s_or_b32 s3, vcc_lo, s3
	s_waitcnt vmcnt(0)
	v_lshlrev_b32_e32 v2, 16, v2
	v_max_f32_e32 v2, v2, v2
	v_max_f32_e32 v5, v4, v2
	s_andn2_b32 exec_lo, exec_lo, s3
	s_cbranch_execnz .LBB509_11
; %bb.12:
	s_or_b32 exec_lo, exec_lo, s3
.LBB509_13:
	s_or_b32 exec_lo, exec_lo, s2
	v_mbcnt_lo_u32_b32 v1, -1, 0
	v_lshrrev_b32_e32 v9, 3, v0
	s_barrier
	buffer_gl0_inv
	v_lshl_or_b32 v3, v1, 2, 64
	v_cmp_gt_u32_e32 vcc_lo, 24, v1
	ds_bpermute_b32 v2, v3, v5
	v_cndmask_b32_e64 v4, 0, 8, vcc_lo
	v_add_lshl_u32 v4, v4, v1, 2
	s_waitcnt lgkmcnt(0)
	v_cmp_lt_f32_e32 vcc_lo, v5, v2
	v_cndmask_b32_e32 v2, v5, v2, vcc_lo
	v_cmp_gt_u32_e32 vcc_lo, 28, v1
	ds_bpermute_b32 v6, v4, v2
	v_cndmask_b32_e64 v5, 0, 4, vcc_lo
	v_add_lshl_u32 v5, v5, v1, 2
	s_waitcnt lgkmcnt(0)
	v_cmp_lt_f32_e32 vcc_lo, v2, v6
	v_cndmask_b32_e32 v2, v2, v6, vcc_lo
	;; [unrolled: 7-line block ×3, first 2 shown]
	v_cmp_ne_u32_e32 vcc_lo, 31, v1
	ds_bpermute_b32 v7, v6, v2
	v_add_co_ci_u32_e64 v8, null, 0, v1, vcc_lo
	s_waitcnt lgkmcnt(0)
	v_cmp_lt_f32_e32 vcc_lo, v2, v7
	v_cndmask_b32_e32 v1, v2, v7, vcc_lo
	v_lshlrev_b32_e32 v7, 2, v8
	v_and_b32_e32 v2, 31, v0
	ds_bpermute_b32 v8, v7, v1
	v_cmp_eq_u32_e64 s0, 0, v2
	s_and_saveexec_b32 s1, s0
	s_cbranch_execz .LBB509_15
; %bb.14:
	s_waitcnt lgkmcnt(0)
	v_cmp_lt_f32_e32 vcc_lo, v1, v8
	v_add_nc_u32_e32 v10, 0, v9
	v_cndmask_b32_e32 v1, v1, v8, vcc_lo
	ds_write_b32 v10, v1
.LBB509_15:
	s_or_b32 exec_lo, exec_lo, s1
	s_waitcnt lgkmcnt(0)
	s_barrier
	buffer_gl0_inv
	s_load_dword s20, s[4:5], 0x24
	s_add_u32 s16, s4, 24
	s_addc_u32 s17, s5, 0
	v_mov_b32_e32 v1, 0xff7fffff
	v_lshl_add_u32 v10, v2, 2, 0
	s_waitcnt lgkmcnt(0)
	s_bfe_u32 s1, s20, 0xb0005
	v_cmp_gt_u32_e64 s1, s1, v0
	s_and_saveexec_b32 s2, s1
	s_cbranch_execnz .LBB509_23
; %bb.16:
	s_or_b32 exec_lo, exec_lo, s2
	v_cmp_gt_u32_e64 s2, 32, v0
	s_and_saveexec_b32 s3, s2
	s_cbranch_execnz .LBB509_24
.LBB509_17:
	s_or_b32 exec_lo, exec_lo, s3
	v_cmp_eq_u32_e64 s3, 0, v0
	s_and_saveexec_b32 s4, s3
	s_cbranch_execz .LBB509_19
.LBB509_18:
	v_mov_b32_e32 v2, 0
	s_waitcnt lgkmcnt(0)
	ds_write_b32 v2, v1
.LBB509_19:
	s_or_b32 exec_lo, exec_lo, s4
	v_mov_b32_e32 v12, 0
	s_waitcnt lgkmcnt(0)
	s_barrier
	buffer_gl0_inv
	s_andn2_b32 vcc_lo, exec_lo, s18
	ds_read_b32 v8, v12
	s_mov_b32 s15, 0
	s_cbranch_vccnz .LBB509_26
; %bb.20:
	s_lshl_b64 s[4:5], s[14:15], 1
	v_cmp_le_u32_e32 vcc_lo, s14, v0
	s_sub_u32 s18, s10, s4
	s_subb_u32 s19, s11, s5
	s_add_i32 s5, s14, s7
	v_mov_b32_e32 v12, 0
	v_cmp_gt_i32_e64 s4, s5, v0
	s_and_b32 s14, vcc_lo, s4
	s_and_saveexec_b32 s4, s14
	s_cbranch_execz .LBB509_22
; %bb.21:
	v_lshlrev_b32_e32 v1, 1, v0
	global_load_ushort v1, v1, s[18:19]
	s_waitcnt vmcnt(0)
	v_lshlrev_b32_e32 v1, 16, v1
	s_waitcnt lgkmcnt(0)
	v_sub_f32_e32 v1, v1, v8
	v_mul_f32_e32 v1, 0x3fb8aa3b, v1
	v_exp_f32_e32 v1, v1
	v_add_f32_e32 v12, 0, v1
.LBB509_22:
	s_or_b32 exec_lo, exec_lo, s4
	s_and_b32 s4, 0xffff, s20
	v_sub_nc_u32_e64 v1, s5, s4 clamp
	s_lshl_b32 s4, s4, 1
	s_add_u32 s4, s18, s4
	s_addc_u32 s5, s19, 0
	v_readfirstlane_b32 s14, v1
	s_branch .LBB509_27
.LBB509_23:
	ds_read_b32 v1, v10
	s_or_b32 exec_lo, exec_lo, s2
	v_cmp_gt_u32_e64 s2, 32, v0
	s_and_saveexec_b32 s3, s2
	s_cbranch_execz .LBB509_17
.LBB509_24:
	s_waitcnt lgkmcnt(0)
	ds_bpermute_b32 v2, v3, v1
	s_waitcnt lgkmcnt(0)
	v_cmp_lt_f32_e32 vcc_lo, v1, v2
	v_cndmask_b32_e32 v1, v1, v2, vcc_lo
	ds_bpermute_b32 v2, v4, v1
	s_waitcnt lgkmcnt(0)
	v_cmp_lt_f32_e32 vcc_lo, v1, v2
	v_cndmask_b32_e32 v1, v1, v2, vcc_lo
	;; [unrolled: 4-line block ×5, first 2 shown]
	s_or_b32 exec_lo, exec_lo, s3
	v_cmp_eq_u32_e64 s3, 0, v0
	s_and_saveexec_b32 s4, s3
	s_cbranch_execnz .LBB509_18
	s_branch .LBB509_19
.LBB509_25:
                                        ; implicit-def: $sgpr0_sgpr1
                                        ; implicit-def: $sgpr15
                                        ; implicit-def: $vgpr5
	s_cbranch_execnz .LBB509_4
	s_branch .LBB509_5
.LBB509_26:
	s_mov_b64 s[4:5], s[10:11]
	s_mov_b32 s14, s7
.LBB509_27:
	s_load_dword s15, s[16:17], 0x0
	v_mov_b32_e32 v1, 0
	s_waitcnt lgkmcnt(0)
	s_cmp_lt_u32 s6, s15
	s_cselect_b32 s6, 12, 18
	s_add_u32 s16, s16, s6
	s_addc_u32 s17, s17, 0
	global_load_ushort v13, v1, s[16:17]
	s_waitcnt vmcnt(0)
	v_readfirstlane_b32 s6, v13
	s_lshl_b32 s6, s6, 3
	v_cvt_f32_u32_e32 v1, s6
	s_sub_i32 s16, 0, s6
	v_rcp_iflag_f32_e32 v1, v1
	v_mul_f32_e32 v1, 0x4f7ffffe, v1
	v_cvt_u32_f32_e32 v1, v1
	v_readfirstlane_b32 s15, v1
	s_mul_i32 s16, s16, s15
	s_mul_hi_u32 s16, s15, s16
	s_add_i32 s15, s15, s16
	s_mul_hi_u32 s15, s14, s15
	s_mul_i32 s15, s15, s6
	s_sub_i32 s15, s14, s15
	s_sub_i32 s16, s15, s6
	s_cmp_ge_u32 s15, s6
	s_cselect_b32 s15, s16, s15
	s_sub_i32 s16, s15, s6
	s_cmp_ge_u32 s15, s6
	s_cselect_b32 s6, s16, s15
	s_mov_b32 s16, 0
	s_sub_i32 s6, s14, s6
	s_mov_b32 s15, exec_lo
	v_cmpx_gt_i32_e64 s6, v11
	s_cbranch_execz .LBB509_31
; %bb.28:
	v_mov_b32_e32 v1, v0
.LBB509_29:                             ; =>This Inner Loop Header: Depth=1
	v_ashrrev_i32_e32 v2, 31, v1
	v_lshlrev_b64 v[14:15], 4, v[1:2]
	v_add_nc_u32_e32 v1, v1, v13
	v_add_co_u32 v14, vcc_lo, s4, v14
	v_add_co_ci_u32_e64 v15, null, s5, v15, vcc_lo
	global_load_dwordx4 v[14:17], v[14:15], off
	s_waitcnt vmcnt(0)
	v_lshlrev_b32_e32 v2, 16, v14
	v_and_b32_e32 v11, 0xffff0000, v14
	v_lshlrev_b32_e32 v14, 16, v15
	v_and_b32_e32 v15, 0xffff0000, v15
	v_lshlrev_b32_e32 v18, 16, v16
	v_sub_f32_e32 v2, v2, v8
	v_sub_f32_e32 v11, v11, v8
	;; [unrolled: 1-line block ×4, first 2 shown]
	v_and_b32_e32 v16, 0xffff0000, v16
	v_mul_f32_e32 v2, 0x3fb8aa3b, v2
	v_mul_f32_e32 v11, 0x3fb8aa3b, v11
	;; [unrolled: 1-line block ×3, first 2 shown]
	v_sub_f32_e32 v18, v18, v8
	v_mul_f32_e32 v15, 0x3fb8aa3b, v15
	v_exp_f32_e32 v2, v2
	v_exp_f32_e32 v11, v11
	;; [unrolled: 1-line block ×3, first 2 shown]
	v_sub_f32_e32 v16, v16, v8
	v_mul_f32_e32 v18, 0x3fb8aa3b, v18
	v_exp_f32_e32 v15, v15
	v_mul_f32_e32 v16, 0x3fb8aa3b, v16
	v_add_f32_e32 v2, v12, v2
	v_lshlrev_b32_e32 v12, 16, v17
	v_add_f32_e32 v2, v2, v11
	v_and_b32_e32 v11, 0xffff0000, v17
	v_sub_f32_e32 v12, v12, v8
	v_exp_f32_e32 v17, v18
	v_add_f32_e32 v2, v2, v14
	v_sub_f32_e32 v11, v11, v8
	v_mul_f32_e32 v12, 0x3fb8aa3b, v12
	v_exp_f32_e32 v14, v16
	v_add_f32_e32 v2, v2, v15
	v_mul_f32_e32 v11, 0x3fb8aa3b, v11
	v_exp_f32_e32 v12, v12
	v_add_f32_e32 v2, v2, v17
	v_exp_f32_e32 v11, v11
	v_add_f32_e32 v2, v2, v14
	v_lshlrev_b32_e32 v14, 3, v1
	v_add_f32_e32 v2, v2, v12
	v_cmp_le_i32_e32 vcc_lo, s6, v14
	v_add_f32_e32 v12, v2, v11
	s_or_b32 s16, vcc_lo, s16
	s_andn2_b32 exec_lo, exec_lo, s16
	s_cbranch_execnz .LBB509_29
; %bb.30:
	s_or_b32 exec_lo, exec_lo, s16
.LBB509_31:
	s_or_b32 exec_lo, exec_lo, s15
	v_add_nc_u32_e32 v1, s6, v0
	s_mov_b32 s6, exec_lo
	v_cmpx_gt_i32_e64 s14, v1
	s_cbranch_execz .LBB509_35
; %bb.32:
	s_mov_b32 s15, 0
	.p2align	6
.LBB509_33:                             ; =>This Inner Loop Header: Depth=1
	v_ashrrev_i32_e32 v2, 31, v1
	v_lshlrev_b64 v[14:15], 1, v[1:2]
	v_add_nc_u32_e32 v1, v1, v13
	v_add_co_u32 v14, vcc_lo, s4, v14
	v_add_co_ci_u32_e64 v15, null, s5, v15, vcc_lo
	v_cmp_le_i32_e32 vcc_lo, s14, v1
	global_load_ushort v2, v[14:15], off
	s_or_b32 s15, vcc_lo, s15
	s_waitcnt vmcnt(0)
	v_lshlrev_b32_e32 v2, 16, v2
	v_sub_f32_e32 v2, v2, v8
	v_mul_f32_e32 v2, 0x3fb8aa3b, v2
	v_exp_f32_e32 v2, v2
	v_add_f32_e32 v12, v12, v2
	s_andn2_b32 exec_lo, exec_lo, s15
	s_cbranch_execnz .LBB509_33
; %bb.34:
	s_or_b32 exec_lo, exec_lo, s15
.LBB509_35:
	s_or_b32 exec_lo, exec_lo, s6
	ds_bpermute_b32 v1, v3, v12
	s_waitcnt lgkmcnt(0)
	s_barrier
	buffer_gl0_inv
	v_add_f32_e32 v1, v12, v1
	ds_bpermute_b32 v2, v4, v1
	s_waitcnt lgkmcnt(0)
	v_add_f32_e32 v1, v1, v2
	ds_bpermute_b32 v2, v5, v1
	s_waitcnt lgkmcnt(0)
	;; [unrolled: 3-line block ×3, first 2 shown]
	v_add_f32_e32 v1, v1, v2
	ds_bpermute_b32 v2, v7, v1
	s_and_saveexec_b32 s4, s0
	s_cbranch_execz .LBB509_37
; %bb.36:
	v_add_nc_u32_e32 v9, 0, v9
	s_waitcnt lgkmcnt(0)
	v_add_f32_e32 v1, v1, v2
	ds_write_b32 v9, v1
.LBB509_37:
	s_or_b32 exec_lo, exec_lo, s4
	v_mov_b32_e32 v1, 0
	s_waitcnt lgkmcnt(0)
	s_barrier
	buffer_gl0_inv
	s_and_saveexec_b32 s0, s1
	s_cbranch_execnz .LBB509_45
; %bb.38:
	s_or_b32 exec_lo, exec_lo, s0
	s_and_saveexec_b32 s0, s2
	s_cbranch_execnz .LBB509_46
.LBB509_39:
	s_or_b32 exec_lo, exec_lo, s0
	s_and_saveexec_b32 s0, s3
	s_cbranch_execz .LBB509_41
.LBB509_40:
	s_waitcnt lgkmcnt(0)
	v_div_scale_f32 v2, null, v1, v1, 1.0
	v_div_scale_f32 v5, vcc_lo, 1.0, v1, 1.0
	v_rcp_f32_e32 v3, v2
	v_fma_f32 v4, -v2, v3, 1.0
	v_fmac_f32_e32 v3, v4, v3
	v_mul_f32_e32 v4, v5, v3
	v_fma_f32 v6, -v2, v4, v5
	v_fmac_f32_e32 v4, v6, v3
	v_fma_f32 v2, -v2, v4, v5
	v_div_fmas_f32 v2, v2, v3, v4
	v_div_fixup_f32 v1, v2, v1, 1.0
	v_mov_b32_e32 v2, 0
	ds_write_b32 v2, v1
.LBB509_41:
	s_or_b32 exec_lo, exec_lo, s0
	s_waitcnt lgkmcnt(0)
	s_barrier
	buffer_gl0_inv
	s_mov_b32 s0, exec_lo
	v_cmpx_gt_i32_e64 s7, v0
	s_cbranch_execz .LBB509_44
; %bb.42:
	v_mov_b32_e32 v1, 0
	s_lshl_b64 s[4:5], s[12:13], 2
	s_and_b32 s2, 0xffff, s20
	s_add_u32 s3, s8, s4
	s_mov_b32 s1, 0
	ds_read_b32 v2, v1
	s_addc_u32 s4, s9, s5
	.p2align	6
.LBB509_43:                             ; =>This Inner Loop Header: Depth=1
	v_ashrrev_i32_e32 v1, 31, v0
	v_lshlrev_b64 v[3:4], 1, v[0:1]
	v_add_co_u32 v3, vcc_lo, s10, v3
	v_add_co_ci_u32_e64 v4, null, s11, v4, vcc_lo
	global_load_ushort v3, v[3:4], off
	s_waitcnt vmcnt(0)
	v_lshlrev_b32_e32 v3, 16, v3
	v_sub_f32_e32 v3, v3, v8
	v_mul_f32_e32 v3, 0x3fb8aa3b, v3
	v_exp_f32_e32 v5, v3
	v_lshlrev_b64 v[3:4], 2, v[0:1]
	v_add_nc_u32_e32 v0, s2, v0
	v_cmp_le_i32_e32 vcc_lo, s7, v0
	v_add_co_u32 v3, s0, s3, v3
	s_waitcnt lgkmcnt(0)
	v_mul_f32_e32 v1, v2, v5
	v_add_co_ci_u32_e64 v4, null, s4, v4, s0
	s_or_b32 s1, vcc_lo, s1
	global_store_dword v[3:4], v1, off
	s_andn2_b32 exec_lo, exec_lo, s1
	s_cbranch_execnz .LBB509_43
.LBB509_44:
	s_endpgm
.LBB509_45:
	ds_read_b32 v1, v10
	s_or_b32 exec_lo, exec_lo, s0
	s_and_saveexec_b32 s0, s2
	s_cbranch_execz .LBB509_39
.LBB509_46:
	s_waitcnt lgkmcnt(0)
	ds_bpermute_b32 v2, v3, v1
	s_waitcnt lgkmcnt(0)
	v_add_f32_e32 v1, v1, v2
	ds_bpermute_b32 v2, v4, v1
	s_waitcnt lgkmcnt(0)
	v_add_f32_e32 v1, v1, v2
	;; [unrolled: 3-line block ×5, first 2 shown]
	s_or_b32 exec_lo, exec_lo, s0
	s_and_saveexec_b32 s0, s3
	s_cbranch_execnz .LBB509_40
	s_branch .LBB509_41
	.section	.rodata,"a",@progbits
	.p2align	6, 0x0
	.amdhsa_kernel _ZN2at6native12_GLOBAL__N_123cunn_SoftMaxForwardFastILi8EN3c108BFloat16EffNS1_29SoftMaxForwardWithMulEpilogueEEEvPT2_PKT0_i
		.amdhsa_group_segment_fixed_size 0
		.amdhsa_private_segment_fixed_size 0
		.amdhsa_kernarg_size 280
		.amdhsa_user_sgpr_count 6
		.amdhsa_user_sgpr_private_segment_buffer 1
		.amdhsa_user_sgpr_dispatch_ptr 0
		.amdhsa_user_sgpr_queue_ptr 0
		.amdhsa_user_sgpr_kernarg_segment_ptr 1
		.amdhsa_user_sgpr_dispatch_id 0
		.amdhsa_user_sgpr_flat_scratch_init 0
		.amdhsa_user_sgpr_private_segment_size 0
		.amdhsa_wavefront_size32 1
		.amdhsa_uses_dynamic_stack 0
		.amdhsa_system_sgpr_private_segment_wavefront_offset 0
		.amdhsa_system_sgpr_workgroup_id_x 1
		.amdhsa_system_sgpr_workgroup_id_y 0
		.amdhsa_system_sgpr_workgroup_id_z 0
		.amdhsa_system_sgpr_workgroup_info 0
		.amdhsa_system_vgpr_workitem_id 0
		.amdhsa_next_free_vgpr 19
		.amdhsa_next_free_sgpr 21
		.amdhsa_reserve_vcc 1
		.amdhsa_reserve_flat_scratch 0
		.amdhsa_float_round_mode_32 0
		.amdhsa_float_round_mode_16_64 0
		.amdhsa_float_denorm_mode_32 3
		.amdhsa_float_denorm_mode_16_64 3
		.amdhsa_dx10_clamp 1
		.amdhsa_ieee_mode 1
		.amdhsa_fp16_overflow 0
		.amdhsa_workgroup_processor_mode 1
		.amdhsa_memory_ordered 1
		.amdhsa_forward_progress 1
		.amdhsa_shared_vgpr_count 0
		.amdhsa_exception_fp_ieee_invalid_op 0
		.amdhsa_exception_fp_denorm_src 0
		.amdhsa_exception_fp_ieee_div_zero 0
		.amdhsa_exception_fp_ieee_overflow 0
		.amdhsa_exception_fp_ieee_underflow 0
		.amdhsa_exception_fp_ieee_inexact 0
		.amdhsa_exception_int_div_zero 0
	.end_amdhsa_kernel
	.section	.text._ZN2at6native12_GLOBAL__N_123cunn_SoftMaxForwardFastILi8EN3c108BFloat16EffNS1_29SoftMaxForwardWithMulEpilogueEEEvPT2_PKT0_i,"axG",@progbits,_ZN2at6native12_GLOBAL__N_123cunn_SoftMaxForwardFastILi8EN3c108BFloat16EffNS1_29SoftMaxForwardWithMulEpilogueEEEvPT2_PKT0_i,comdat
.Lfunc_end509:
	.size	_ZN2at6native12_GLOBAL__N_123cunn_SoftMaxForwardFastILi8EN3c108BFloat16EffNS1_29SoftMaxForwardWithMulEpilogueEEEvPT2_PKT0_i, .Lfunc_end509-_ZN2at6native12_GLOBAL__N_123cunn_SoftMaxForwardFastILi8EN3c108BFloat16EffNS1_29SoftMaxForwardWithMulEpilogueEEEvPT2_PKT0_i
                                        ; -- End function
	.set _ZN2at6native12_GLOBAL__N_123cunn_SoftMaxForwardFastILi8EN3c108BFloat16EffNS1_29SoftMaxForwardWithMulEpilogueEEEvPT2_PKT0_i.num_vgpr, 19
	.set _ZN2at6native12_GLOBAL__N_123cunn_SoftMaxForwardFastILi8EN3c108BFloat16EffNS1_29SoftMaxForwardWithMulEpilogueEEEvPT2_PKT0_i.num_agpr, 0
	.set _ZN2at6native12_GLOBAL__N_123cunn_SoftMaxForwardFastILi8EN3c108BFloat16EffNS1_29SoftMaxForwardWithMulEpilogueEEEvPT2_PKT0_i.numbered_sgpr, 21
	.set _ZN2at6native12_GLOBAL__N_123cunn_SoftMaxForwardFastILi8EN3c108BFloat16EffNS1_29SoftMaxForwardWithMulEpilogueEEEvPT2_PKT0_i.num_named_barrier, 0
	.set _ZN2at6native12_GLOBAL__N_123cunn_SoftMaxForwardFastILi8EN3c108BFloat16EffNS1_29SoftMaxForwardWithMulEpilogueEEEvPT2_PKT0_i.private_seg_size, 0
	.set _ZN2at6native12_GLOBAL__N_123cunn_SoftMaxForwardFastILi8EN3c108BFloat16EffNS1_29SoftMaxForwardWithMulEpilogueEEEvPT2_PKT0_i.uses_vcc, 1
	.set _ZN2at6native12_GLOBAL__N_123cunn_SoftMaxForwardFastILi8EN3c108BFloat16EffNS1_29SoftMaxForwardWithMulEpilogueEEEvPT2_PKT0_i.uses_flat_scratch, 0
	.set _ZN2at6native12_GLOBAL__N_123cunn_SoftMaxForwardFastILi8EN3c108BFloat16EffNS1_29SoftMaxForwardWithMulEpilogueEEEvPT2_PKT0_i.has_dyn_sized_stack, 0
	.set _ZN2at6native12_GLOBAL__N_123cunn_SoftMaxForwardFastILi8EN3c108BFloat16EffNS1_29SoftMaxForwardWithMulEpilogueEEEvPT2_PKT0_i.has_recursion, 0
	.set _ZN2at6native12_GLOBAL__N_123cunn_SoftMaxForwardFastILi8EN3c108BFloat16EffNS1_29SoftMaxForwardWithMulEpilogueEEEvPT2_PKT0_i.has_indirect_call, 0
	.section	.AMDGPU.csdata,"",@progbits
; Kernel info:
; codeLenInByte = 2612
; TotalNumSgprs: 23
; NumVgprs: 19
; ScratchSize: 0
; MemoryBound: 0
; FloatMode: 240
; IeeeMode: 1
; LDSByteSize: 0 bytes/workgroup (compile time only)
; SGPRBlocks: 0
; VGPRBlocks: 2
; NumSGPRsForWavesPerEU: 23
; NumVGPRsForWavesPerEU: 19
; Occupancy: 16
; WaveLimiterHint : 0
; COMPUTE_PGM_RSRC2:SCRATCH_EN: 0
; COMPUTE_PGM_RSRC2:USER_SGPR: 6
; COMPUTE_PGM_RSRC2:TRAP_HANDLER: 0
; COMPUTE_PGM_RSRC2:TGID_X_EN: 1
; COMPUTE_PGM_RSRC2:TGID_Y_EN: 0
; COMPUTE_PGM_RSRC2:TGID_Z_EN: 0
; COMPUTE_PGM_RSRC2:TIDIG_COMP_CNT: 0
	.section	.text._ZN2at6native12_GLOBAL__N_126cunn_SpatialSoftMaxForwardIdddiNS1_22SoftMaxForwardEpilogueEEEvPT1_PKT_T2_S9_S9_,"axG",@progbits,_ZN2at6native12_GLOBAL__N_126cunn_SpatialSoftMaxForwardIdddiNS1_22SoftMaxForwardEpilogueEEEvPT1_PKT_T2_S9_S9_,comdat
	.globl	_ZN2at6native12_GLOBAL__N_126cunn_SpatialSoftMaxForwardIdddiNS1_22SoftMaxForwardEpilogueEEEvPT1_PKT_T2_S9_S9_ ; -- Begin function _ZN2at6native12_GLOBAL__N_126cunn_SpatialSoftMaxForwardIdddiNS1_22SoftMaxForwardEpilogueEEEvPT1_PKT_T2_S9_S9_
	.p2align	8
	.type	_ZN2at6native12_GLOBAL__N_126cunn_SpatialSoftMaxForwardIdddiNS1_22SoftMaxForwardEpilogueEEEvPT1_PKT_T2_S9_S9_,@function
_ZN2at6native12_GLOBAL__N_126cunn_SpatialSoftMaxForwardIdddiNS1_22SoftMaxForwardEpilogueEEEvPT1_PKT_T2_S9_S9_: ; @_ZN2at6native12_GLOBAL__N_126cunn_SpatialSoftMaxForwardIdddiNS1_22SoftMaxForwardEpilogueEEEvPT1_PKT_T2_S9_S9_
; %bb.0:
	s_load_dwordx4 s[8:11], s[4:5], 0x10
	s_waitcnt lgkmcnt(0)
	s_cmp_ge_i32 s6, s8
	s_cbranch_scc1 .LBB510_36
; %bb.1:
	s_clause 0x2
	s_load_dword s1, s[4:5], 0x2c
	s_load_dwordx4 s[12:15], s[4:5], 0x0
	s_load_dwordx2 s[18:19], s[4:5], 0x20
	v_mad_u64_u32 v[2:3], null, s6, s9, v[0:1]
	s_add_u32 s16, s4, 32
	s_addc_u32 s17, s5, 0
	v_cmp_gt_i32_e64 s0, s9, v0
	v_mov_b32_e32 v3, 0xffefffff
	s_mov_b32 s20, 0x652b82fe
	s_mov_b32 s22, 0xfefa39ef
	v_mul_lo_u32 v2, s10, v2
	s_mov_b32 s24, 0x3b39803f
	s_mov_b32 s26, 0xfca7ab0c
	s_mov_b32 s28, 0x6a5dcb37
	s_mov_b32 s30, 0x623fde64
	s_mov_b32 s4, 0x7c89e6b0
	s_mov_b32 s34, 0x14761f6e
	s_mov_b32 s36, 0x1852b7b0
	s_mov_b32 s38, 0x11122322
	s_mov_b32 s40, 0x555502a1
	s_waitcnt lgkmcnt(0)
	s_lshr_b32 s1, s1, 16
	s_mov_b32 s42, 0x55555511
	s_mul_i32 s2, s7, s1
	s_mul_i32 s3, s19, s1
	v_add_nc_u32_e32 v10, s2, v1
	v_add3_u32 v11, v1, v2, s2
	v_mov_b32_e32 v2, -1
	s_mul_i32 s7, s18, s10
	s_mov_b32 s44, 11
	v_cmp_gt_i32_e64 s1, s10, v10
	s_mov_b32 s21, 0x3ff71547
	s_mov_b32 s23, 0xbfe62e42
	;; [unrolled: 1-line block ×7, first 2 shown]
	s_mul_i32 s7, s7, s9
	s_mov_b32 s35, 0x3f2a01a0
	s_mov_b32 s37, 0x3f56c16c
	;; [unrolled: 1-line block ×6, first 2 shown]
	s_branch .LBB510_3
.LBB510_2:                              ;   in Loop: Header=BB510_3 Depth=1
	s_or_b32 exec_lo, exec_lo, s11
	v_add_nc_u32_e32 v11, s7, v11
	s_add_i32 s6, s18, s6
	s_cmp_ge_i32 s6, s8
	s_cbranch_scc1 .LBB510_36
.LBB510_3:                              ; =>This Loop Header: Depth=1
                                        ;     Child Loop BB510_7 Depth 2
                                        ;       Child Loop BB510_10 Depth 3
                                        ;       Child Loop BB510_12 Depth 3
	;; [unrolled: 1-line block ×8, first 2 shown]
	s_and_saveexec_b32 s11, s1
	s_cbranch_execz .LBB510_2
; %bb.4:                                ;   in Loop: Header=BB510_3 Depth=1
	s_load_dword s2, s[16:17], 0xc
	v_mov_b32_e32 v13, v11
	v_mov_b32_e32 v15, v10
	s_mov_b32 s47, 0
	s_waitcnt lgkmcnt(0)
	s_and_b32 s19, s2, 0xffff
	v_mul_u32_u24_e32 v4, s19, v1
	s_cmp_lt_u32 s19, 2
	s_mul_i32 s46, s10, s19
	s_cselect_b32 s33, -1, 0
	v_lshl_add_u32 v12, v4, 3, 0
	v_lshl_add_u32 v14, v0, 3, v12
	s_branch .LBB510_7
.LBB510_5:                              ;   in Loop: Header=BB510_7 Depth=2
	s_or_b32 exec_lo, exec_lo, s48
.LBB510_6:                              ;   in Loop: Header=BB510_7 Depth=2
	v_add_nc_u32_e32 v15, s3, v15
	v_add_nc_u32_e32 v13, s3, v13
	v_cmp_le_i32_e32 vcc_lo, s10, v15
	s_or_b32 s47, vcc_lo, s47
	s_andn2_b32 exec_lo, exec_lo, s47
	s_cbranch_execz .LBB510_2
.LBB510_7:                              ;   Parent Loop BB510_3 Depth=1
                                        ; =>  This Loop Header: Depth=2
                                        ;       Child Loop BB510_10 Depth 3
                                        ;       Child Loop BB510_12 Depth 3
	;; [unrolled: 1-line block ×8, first 2 shown]
	s_and_b32 vcc_lo, exec_lo, s33
	s_mov_b32 s2, -1
	s_cbranch_vccz .LBB510_16
; %bb.8:                                ;   in Loop: Header=BB510_7 Depth=2
	s_and_saveexec_b32 s48, s0
	s_cbranch_execz .LBB510_15
; %bb.9:                                ;   in Loop: Header=BB510_7 Depth=2
	v_mov_b32_e32 v5, v3
	v_mov_b32_e32 v6, v13
	v_mov_b32_e32 v8, v0
	v_mov_b32_e32 v4, v2
	s_mov_b32 s49, 0
	.p2align	6
.LBB510_10:                             ;   Parent Loop BB510_3 Depth=1
                                        ;     Parent Loop BB510_7 Depth=2
                                        ; =>    This Inner Loop Header: Depth=3
	v_ashrrev_i32_e32 v7, 31, v6
	v_add_nc_u32_e32 v8, s19, v8
	v_lshlrev_b64 v[16:17], 3, v[6:7]
	v_cmp_le_i32_e64 s2, s9, v8
	v_add_nc_u32_e32 v6, s46, v6
	s_or_b32 s49, s2, s49
	v_add_co_u32 v16, vcc_lo, s14, v16
	v_add_co_ci_u32_e64 v17, null, s15, v17, vcc_lo
	global_load_dwordx2 v[16:17], v[16:17], off
	s_waitcnt vmcnt(0)
	v_cmp_lt_f64_e32 vcc_lo, v[4:5], v[16:17]
	v_cndmask_b32_e32 v5, v5, v17, vcc_lo
	v_cndmask_b32_e32 v4, v4, v16, vcc_lo
	s_andn2_b32 exec_lo, exec_lo, s49
	s_cbranch_execnz .LBB510_10
; %bb.11:                               ;   in Loop: Header=BB510_7 Depth=2
	s_or_b32 exec_lo, exec_lo, s49
	v_mov_b32_e32 v6, 0
	v_mov_b32_e32 v7, 0
	;; [unrolled: 1-line block ×4, first 2 shown]
	s_mov_b32 s49, 0
.LBB510_12:                             ;   Parent Loop BB510_3 Depth=1
                                        ;     Parent Loop BB510_7 Depth=2
                                        ; =>    This Inner Loop Header: Depth=3
	v_ashrrev_i32_e32 v9, 31, v8
	v_add_nc_u32_e32 v16, s19, v16
	v_lshlrev_b64 v[17:18], 3, v[8:9]
	v_add_nc_u32_e32 v8, s46, v8
	v_add_co_u32 v17, vcc_lo, s14, v17
	v_add_co_ci_u32_e64 v18, null, s15, v18, vcc_lo
	global_load_dwordx2 v[17:18], v[17:18], off
	s_waitcnt vmcnt(0)
	v_add_f64 v[17:18], v[17:18], -v[4:5]
	v_mul_f64 v[19:20], v[17:18], s[20:21]
	v_cmp_nlt_f64_e32 vcc_lo, 0x40900000, v[17:18]
	v_cmp_ngt_f64_e64 s2, 0xc090cc00, v[17:18]
	v_rndne_f64_e32 v[19:20], v[19:20]
	v_fma_f64 v[21:22], v[19:20], s[22:23], v[17:18]
	v_cvt_i32_f64_e32 v9, v[19:20]
	v_fma_f64 v[21:22], v[19:20], s[24:25], v[21:22]
	v_fma_f64 v[23:24], v[21:22], s[28:29], s[26:27]
	;; [unrolled: 1-line block ×10, first 2 shown]
	v_fma_f64 v[23:24], v[21:22], v[23:24], 1.0
	v_fma_f64 v[19:20], v[21:22], v[23:24], 1.0
	v_ldexp_f64 v[19:20], v[19:20], v9
	v_cndmask_b32_e32 v9, 0x7ff00000, v20, vcc_lo
	s_and_b32 vcc_lo, s2, vcc_lo
	v_cndmask_b32_e32 v17, 0, v19, vcc_lo
	v_cmp_le_i32_e32 vcc_lo, s9, v16
	v_cndmask_b32_e64 v18, 0, v9, s2
	s_or_b32 s49, vcc_lo, s49
	v_add_f64 v[6:7], v[6:7], v[17:18]
	s_andn2_b32 exec_lo, exec_lo, s49
	s_cbranch_execnz .LBB510_12
; %bb.13:                               ;   in Loop: Header=BB510_7 Depth=2
	s_or_b32 exec_lo, exec_lo, s49
	v_mov_b32_e32 v8, v13
	v_mov_b32_e32 v16, v0
	s_mov_b32 s49, 0
.LBB510_14:                             ;   Parent Loop BB510_3 Depth=1
                                        ;     Parent Loop BB510_7 Depth=2
                                        ; =>    This Inner Loop Header: Depth=3
	v_ashrrev_i32_e32 v9, 31, v8
	v_add_nc_u32_e32 v16, s19, v16
	v_lshlrev_b64 v[17:18], 3, v[8:9]
	v_add_nc_u32_e32 v8, s46, v8
	v_add_co_u32 v19, vcc_lo, s14, v17
	v_add_co_ci_u32_e64 v20, null, s15, v18, vcc_lo
	global_load_dwordx2 v[19:20], v[19:20], off
	s_waitcnt vmcnt(0)
	v_add_f64 v[19:20], v[19:20], -v[4:5]
	v_mul_f64 v[21:22], v[19:20], s[20:21]
	v_cmp_nlt_f64_e32 vcc_lo, 0x40900000, v[19:20]
	v_cmp_ngt_f64_e64 s2, 0xc090cc00, v[19:20]
	v_rndne_f64_e32 v[21:22], v[21:22]
	v_fma_f64 v[23:24], v[21:22], s[22:23], v[19:20]
	v_cvt_i32_f64_e32 v9, v[21:22]
	v_fma_f64 v[23:24], v[21:22], s[24:25], v[23:24]
	v_fma_f64 v[25:26], v[23:24], s[28:29], s[26:27]
	;; [unrolled: 1-line block ×10, first 2 shown]
	v_fma_f64 v[25:26], v[23:24], v[25:26], 1.0
	v_fma_f64 v[21:22], v[23:24], v[25:26], 1.0
	v_ldexp_f64 v[21:22], v[21:22], v9
	v_cndmask_b32_e32 v9, 0x7ff00000, v22, vcc_lo
	s_and_b32 vcc_lo, s2, vcc_lo
	v_cndmask_b32_e32 v19, 0, v21, vcc_lo
	v_cndmask_b32_e64 v20, 0, v9, s2
	v_add_co_u32 v17, s2, s12, v17
	v_add_co_ci_u32_e64 v18, null, s13, v18, s2
	v_div_scale_f64 v[21:22], null, v[6:7], v[6:7], v[19:20]
	v_rcp_f64_e32 v[23:24], v[21:22]
	v_fma_f64 v[25:26], -v[21:22], v[23:24], 1.0
	v_fma_f64 v[23:24], v[23:24], v[25:26], v[23:24]
	v_fma_f64 v[25:26], -v[21:22], v[23:24], 1.0
	v_fma_f64 v[23:24], v[23:24], v[25:26], v[23:24]
	v_div_scale_f64 v[25:26], vcc_lo, v[19:20], v[6:7], v[19:20]
	v_mul_f64 v[27:28], v[25:26], v[23:24]
	v_fma_f64 v[21:22], -v[21:22], v[27:28], v[25:26]
	v_div_fmas_f64 v[21:22], v[21:22], v[23:24], v[27:28]
	v_cmp_le_i32_e32 vcc_lo, s9, v16
	s_or_b32 s49, vcc_lo, s49
	v_div_fixup_f64 v[19:20], v[21:22], v[6:7], v[19:20]
	global_store_dwordx2 v[17:18], v[19:20], off
	s_andn2_b32 exec_lo, exec_lo, s49
	s_cbranch_execnz .LBB510_14
.LBB510_15:                             ;   in Loop: Header=BB510_7 Depth=2
	s_or_b32 exec_lo, exec_lo, s48
	s_mov_b32 s2, 0
.LBB510_16:                             ;   in Loop: Header=BB510_7 Depth=2
	s_andn2_b32 vcc_lo, exec_lo, s2
	s_cbranch_vccnz .LBB510_6
; %bb.17:                               ;   in Loop: Header=BB510_7 Depth=2
	v_mov_b32_e32 v5, v3
	v_mov_b32_e32 v4, v2
	s_and_saveexec_b32 s48, s0
	s_cbranch_execz .LBB510_21
; %bb.18:                               ;   in Loop: Header=BB510_7 Depth=2
	v_mov_b32_e32 v5, v3
	v_mov_b32_e32 v6, v13
	;; [unrolled: 1-line block ×4, first 2 shown]
	s_mov_b32 s49, 0
	.p2align	6
.LBB510_19:                             ;   Parent Loop BB510_3 Depth=1
                                        ;     Parent Loop BB510_7 Depth=2
                                        ; =>    This Inner Loop Header: Depth=3
	v_ashrrev_i32_e32 v7, 31, v6
	v_add_nc_u32_e32 v8, s19, v8
	v_lshlrev_b64 v[16:17], 3, v[6:7]
	v_cmp_le_i32_e64 s2, s9, v8
	v_add_nc_u32_e32 v6, s46, v6
	s_or_b32 s49, s2, s49
	v_add_co_u32 v16, vcc_lo, s14, v16
	v_add_co_ci_u32_e64 v17, null, s15, v17, vcc_lo
	global_load_dwordx2 v[16:17], v[16:17], off
	s_waitcnt vmcnt(0)
	v_cmp_lt_f64_e32 vcc_lo, v[4:5], v[16:17]
	v_cndmask_b32_e32 v5, v5, v17, vcc_lo
	v_cndmask_b32_e32 v4, v4, v16, vcc_lo
	s_andn2_b32 exec_lo, exec_lo, s49
	s_cbranch_execnz .LBB510_19
; %bb.20:                               ;   in Loop: Header=BB510_7 Depth=2
	s_or_b32 exec_lo, exec_lo, s49
.LBB510_21:                             ;   in Loop: Header=BB510_7 Depth=2
	s_or_b32 exec_lo, exec_lo, s48
	s_mov_b32 s2, s19
	s_waitcnt_vscnt null, 0x0
	s_barrier
	buffer_gl0_inv
	ds_write_b64 v14, v[4:5]
	s_branch .LBB510_23
	.p2align	6
.LBB510_22:                             ;   in Loop: Header=BB510_23 Depth=3
	s_or_b32 exec_lo, exec_lo, s49
	s_cmp_gt_u32 s2, 3
	s_mov_b32 s2, s48
	s_cbranch_scc0 .LBB510_25
.LBB510_23:                             ;   Parent Loop BB510_3 Depth=1
                                        ;     Parent Loop BB510_7 Depth=2
                                        ; =>    This Inner Loop Header: Depth=3
	s_lshr_b32 s48, s2, 1
	s_mov_b32 s49, exec_lo
	s_waitcnt lgkmcnt(0)
	s_barrier
	buffer_gl0_inv
	v_cmpx_gt_u32_e64 s48, v0
	s_cbranch_execz .LBB510_22
; %bb.24:                               ;   in Loop: Header=BB510_23 Depth=3
	v_lshl_add_u32 v6, s48, 3, v14
	ds_read_b64 v[4:5], v14
	ds_read_b64 v[6:7], v6
	s_waitcnt lgkmcnt(0)
	v_cmp_lt_f64_e32 vcc_lo, v[4:5], v[6:7]
	v_cndmask_b32_e32 v5, v5, v7, vcc_lo
	v_cndmask_b32_e32 v4, v4, v6, vcc_lo
	ds_write_b64 v14, v[4:5]
	s_branch .LBB510_22
.LBB510_25:                             ;   in Loop: Header=BB510_7 Depth=2
	s_waitcnt lgkmcnt(0)
	s_barrier
	buffer_gl0_inv
	ds_read_b64 v[4:5], v12
	v_mov_b32_e32 v6, 0
	v_mov_b32_e32 v7, 0
	s_and_saveexec_b32 s48, s0
	s_cbranch_execz .LBB510_29
; %bb.26:                               ;   in Loop: Header=BB510_7 Depth=2
	v_mov_b32_e32 v6, 0
	v_mov_b32_e32 v7, 0
	;; [unrolled: 1-line block ×4, first 2 shown]
	s_mov_b32 s49, 0
.LBB510_27:                             ;   Parent Loop BB510_3 Depth=1
                                        ;     Parent Loop BB510_7 Depth=2
                                        ; =>    This Inner Loop Header: Depth=3
	v_ashrrev_i32_e32 v9, 31, v8
	v_add_nc_u32_e32 v16, s19, v16
	v_lshlrev_b64 v[17:18], 3, v[8:9]
	v_add_nc_u32_e32 v8, s46, v8
	v_add_co_u32 v17, vcc_lo, s14, v17
	v_add_co_ci_u32_e64 v18, null, s15, v18, vcc_lo
	global_load_dwordx2 v[17:18], v[17:18], off
	s_waitcnt vmcnt(0) lgkmcnt(0)
	v_add_f64 v[17:18], v[17:18], -v[4:5]
	v_mul_f64 v[19:20], v[17:18], s[20:21]
	v_cmp_nlt_f64_e32 vcc_lo, 0x40900000, v[17:18]
	v_cmp_ngt_f64_e64 s2, 0xc090cc00, v[17:18]
	v_rndne_f64_e32 v[19:20], v[19:20]
	v_fma_f64 v[21:22], v[19:20], s[22:23], v[17:18]
	v_cvt_i32_f64_e32 v9, v[19:20]
	v_fma_f64 v[21:22], v[19:20], s[24:25], v[21:22]
	v_fma_f64 v[23:24], v[21:22], s[28:29], s[26:27]
	;; [unrolled: 1-line block ×10, first 2 shown]
	v_fma_f64 v[23:24], v[21:22], v[23:24], 1.0
	v_fma_f64 v[19:20], v[21:22], v[23:24], 1.0
	v_ldexp_f64 v[19:20], v[19:20], v9
	v_cndmask_b32_e32 v9, 0x7ff00000, v20, vcc_lo
	s_and_b32 vcc_lo, s2, vcc_lo
	v_cndmask_b32_e32 v17, 0, v19, vcc_lo
	v_cmp_le_i32_e32 vcc_lo, s9, v16
	v_cndmask_b32_e64 v18, 0, v9, s2
	s_or_b32 s49, vcc_lo, s49
	v_add_f64 v[6:7], v[6:7], v[17:18]
	s_andn2_b32 exec_lo, exec_lo, s49
	s_cbranch_execnz .LBB510_27
; %bb.28:                               ;   in Loop: Header=BB510_7 Depth=2
	s_or_b32 exec_lo, exec_lo, s49
.LBB510_29:                             ;   in Loop: Header=BB510_7 Depth=2
	s_or_b32 exec_lo, exec_lo, s48
	s_mov_b32 s2, s19
	s_waitcnt lgkmcnt(0)
	s_barrier
	buffer_gl0_inv
	ds_write_b64 v14, v[6:7]
	s_branch .LBB510_31
	.p2align	6
.LBB510_30:                             ;   in Loop: Header=BB510_31 Depth=3
	s_or_b32 exec_lo, exec_lo, s49
	s_cmp_gt_u32 s2, 3
	s_mov_b32 s2, s48
	s_cbranch_scc0 .LBB510_33
.LBB510_31:                             ;   Parent Loop BB510_3 Depth=1
                                        ;     Parent Loop BB510_7 Depth=2
                                        ; =>    This Inner Loop Header: Depth=3
	s_lshr_b32 s48, s2, 1
	s_mov_b32 s49, exec_lo
	s_waitcnt lgkmcnt(0)
	s_barrier
	buffer_gl0_inv
	v_cmpx_gt_u32_e64 s48, v0
	s_cbranch_execz .LBB510_30
; %bb.32:                               ;   in Loop: Header=BB510_31 Depth=3
	v_lshl_add_u32 v8, s48, 3, v14
	ds_read_b64 v[6:7], v14
	ds_read_b64 v[8:9], v8
	s_waitcnt lgkmcnt(0)
	v_add_f64 v[6:7], v[6:7], v[8:9]
	ds_write_b64 v14, v[6:7]
	s_branch .LBB510_30
.LBB510_33:                             ;   in Loop: Header=BB510_7 Depth=2
	s_waitcnt lgkmcnt(0)
	s_barrier
	buffer_gl0_inv
	s_and_saveexec_b32 s48, s0
	s_cbranch_execz .LBB510_5
; %bb.34:                               ;   in Loop: Header=BB510_7 Depth=2
	ds_read_b64 v[6:7], v12
	v_mov_b32_e32 v8, v13
	v_mov_b32_e32 v16, v0
	s_mov_b32 s49, 0
.LBB510_35:                             ;   Parent Loop BB510_3 Depth=1
                                        ;     Parent Loop BB510_7 Depth=2
                                        ; =>    This Inner Loop Header: Depth=3
	v_ashrrev_i32_e32 v9, 31, v8
	v_add_nc_u32_e32 v16, s19, v16
	v_lshlrev_b64 v[17:18], 3, v[8:9]
	v_add_nc_u32_e32 v8, s46, v8
	v_add_co_u32 v19, vcc_lo, s14, v17
	v_add_co_ci_u32_e64 v20, null, s15, v18, vcc_lo
	global_load_dwordx2 v[19:20], v[19:20], off
	s_waitcnt vmcnt(0)
	v_add_f64 v[19:20], v[19:20], -v[4:5]
	v_mul_f64 v[21:22], v[19:20], s[20:21]
	v_cmp_nlt_f64_e32 vcc_lo, 0x40900000, v[19:20]
	v_cmp_ngt_f64_e64 s2, 0xc090cc00, v[19:20]
	v_rndne_f64_e32 v[21:22], v[21:22]
	v_fma_f64 v[23:24], v[21:22], s[22:23], v[19:20]
	v_cvt_i32_f64_e32 v9, v[21:22]
	v_fma_f64 v[23:24], v[21:22], s[24:25], v[23:24]
	v_fma_f64 v[25:26], v[23:24], s[28:29], s[26:27]
	;; [unrolled: 1-line block ×10, first 2 shown]
	v_fma_f64 v[25:26], v[23:24], v[25:26], 1.0
	v_fma_f64 v[21:22], v[23:24], v[25:26], 1.0
	v_ldexp_f64 v[21:22], v[21:22], v9
	v_cndmask_b32_e32 v9, 0x7ff00000, v22, vcc_lo
	s_and_b32 vcc_lo, s2, vcc_lo
	v_cndmask_b32_e32 v19, 0, v21, vcc_lo
	v_cndmask_b32_e64 v20, 0, v9, s2
	v_add_co_u32 v17, s2, s12, v17
	v_add_co_ci_u32_e64 v18, null, s13, v18, s2
	s_waitcnt lgkmcnt(0)
	v_div_scale_f64 v[21:22], null, v[6:7], v[6:7], v[19:20]
	v_rcp_f64_e32 v[23:24], v[21:22]
	v_fma_f64 v[25:26], -v[21:22], v[23:24], 1.0
	v_fma_f64 v[23:24], v[23:24], v[25:26], v[23:24]
	v_fma_f64 v[25:26], -v[21:22], v[23:24], 1.0
	v_fma_f64 v[23:24], v[23:24], v[25:26], v[23:24]
	v_div_scale_f64 v[25:26], vcc_lo, v[19:20], v[6:7], v[19:20]
	v_mul_f64 v[27:28], v[25:26], v[23:24]
	v_fma_f64 v[21:22], -v[21:22], v[27:28], v[25:26]
	v_div_fmas_f64 v[21:22], v[21:22], v[23:24], v[27:28]
	v_cmp_le_i32_e32 vcc_lo, s9, v16
	s_or_b32 s49, vcc_lo, s49
	v_div_fixup_f64 v[19:20], v[21:22], v[6:7], v[19:20]
	global_store_dwordx2 v[17:18], v[19:20], off
	s_andn2_b32 exec_lo, exec_lo, s49
	s_cbranch_execnz .LBB510_35
	s_branch .LBB510_5
.LBB510_36:
	s_endpgm
	.section	.rodata,"a",@progbits
	.p2align	6, 0x0
	.amdhsa_kernel _ZN2at6native12_GLOBAL__N_126cunn_SpatialSoftMaxForwardIdddiNS1_22SoftMaxForwardEpilogueEEEvPT1_PKT_T2_S9_S9_
		.amdhsa_group_segment_fixed_size 0
		.amdhsa_private_segment_fixed_size 0
		.amdhsa_kernarg_size 288
		.amdhsa_user_sgpr_count 6
		.amdhsa_user_sgpr_private_segment_buffer 1
		.amdhsa_user_sgpr_dispatch_ptr 0
		.amdhsa_user_sgpr_queue_ptr 0
		.amdhsa_user_sgpr_kernarg_segment_ptr 1
		.amdhsa_user_sgpr_dispatch_id 0
		.amdhsa_user_sgpr_flat_scratch_init 0
		.amdhsa_user_sgpr_private_segment_size 0
		.amdhsa_wavefront_size32 1
		.amdhsa_uses_dynamic_stack 0
		.amdhsa_system_sgpr_private_segment_wavefront_offset 0
		.amdhsa_system_sgpr_workgroup_id_x 1
		.amdhsa_system_sgpr_workgroup_id_y 1
		.amdhsa_system_sgpr_workgroup_id_z 0
		.amdhsa_system_sgpr_workgroup_info 0
		.amdhsa_system_vgpr_workitem_id 1
		.amdhsa_next_free_vgpr 29
		.amdhsa_next_free_sgpr 50
		.amdhsa_reserve_vcc 1
		.amdhsa_reserve_flat_scratch 0
		.amdhsa_float_round_mode_32 0
		.amdhsa_float_round_mode_16_64 0
		.amdhsa_float_denorm_mode_32 3
		.amdhsa_float_denorm_mode_16_64 3
		.amdhsa_dx10_clamp 1
		.amdhsa_ieee_mode 1
		.amdhsa_fp16_overflow 0
		.amdhsa_workgroup_processor_mode 1
		.amdhsa_memory_ordered 1
		.amdhsa_forward_progress 1
		.amdhsa_shared_vgpr_count 0
		.amdhsa_exception_fp_ieee_invalid_op 0
		.amdhsa_exception_fp_denorm_src 0
		.amdhsa_exception_fp_ieee_div_zero 0
		.amdhsa_exception_fp_ieee_overflow 0
		.amdhsa_exception_fp_ieee_underflow 0
		.amdhsa_exception_fp_ieee_inexact 0
		.amdhsa_exception_int_div_zero 0
	.end_amdhsa_kernel
	.section	.text._ZN2at6native12_GLOBAL__N_126cunn_SpatialSoftMaxForwardIdddiNS1_22SoftMaxForwardEpilogueEEEvPT1_PKT_T2_S9_S9_,"axG",@progbits,_ZN2at6native12_GLOBAL__N_126cunn_SpatialSoftMaxForwardIdddiNS1_22SoftMaxForwardEpilogueEEEvPT1_PKT_T2_S9_S9_,comdat
.Lfunc_end510:
	.size	_ZN2at6native12_GLOBAL__N_126cunn_SpatialSoftMaxForwardIdddiNS1_22SoftMaxForwardEpilogueEEEvPT1_PKT_T2_S9_S9_, .Lfunc_end510-_ZN2at6native12_GLOBAL__N_126cunn_SpatialSoftMaxForwardIdddiNS1_22SoftMaxForwardEpilogueEEEvPT1_PKT_T2_S9_S9_
                                        ; -- End function
	.set _ZN2at6native12_GLOBAL__N_126cunn_SpatialSoftMaxForwardIdddiNS1_22SoftMaxForwardEpilogueEEEvPT1_PKT_T2_S9_S9_.num_vgpr, 29
	.set _ZN2at6native12_GLOBAL__N_126cunn_SpatialSoftMaxForwardIdddiNS1_22SoftMaxForwardEpilogueEEEvPT1_PKT_T2_S9_S9_.num_agpr, 0
	.set _ZN2at6native12_GLOBAL__N_126cunn_SpatialSoftMaxForwardIdddiNS1_22SoftMaxForwardEpilogueEEEvPT1_PKT_T2_S9_S9_.numbered_sgpr, 50
	.set _ZN2at6native12_GLOBAL__N_126cunn_SpatialSoftMaxForwardIdddiNS1_22SoftMaxForwardEpilogueEEEvPT1_PKT_T2_S9_S9_.num_named_barrier, 0
	.set _ZN2at6native12_GLOBAL__N_126cunn_SpatialSoftMaxForwardIdddiNS1_22SoftMaxForwardEpilogueEEEvPT1_PKT_T2_S9_S9_.private_seg_size, 0
	.set _ZN2at6native12_GLOBAL__N_126cunn_SpatialSoftMaxForwardIdddiNS1_22SoftMaxForwardEpilogueEEEvPT1_PKT_T2_S9_S9_.uses_vcc, 1
	.set _ZN2at6native12_GLOBAL__N_126cunn_SpatialSoftMaxForwardIdddiNS1_22SoftMaxForwardEpilogueEEEvPT1_PKT_T2_S9_S9_.uses_flat_scratch, 0
	.set _ZN2at6native12_GLOBAL__N_126cunn_SpatialSoftMaxForwardIdddiNS1_22SoftMaxForwardEpilogueEEEvPT1_PKT_T2_S9_S9_.has_dyn_sized_stack, 0
	.set _ZN2at6native12_GLOBAL__N_126cunn_SpatialSoftMaxForwardIdddiNS1_22SoftMaxForwardEpilogueEEEvPT1_PKT_T2_S9_S9_.has_recursion, 0
	.set _ZN2at6native12_GLOBAL__N_126cunn_SpatialSoftMaxForwardIdddiNS1_22SoftMaxForwardEpilogueEEEvPT1_PKT_T2_S9_S9_.has_indirect_call, 0
	.section	.AMDGPU.csdata,"",@progbits
; Kernel info:
; codeLenInByte = 2492
; TotalNumSgprs: 52
; NumVgprs: 29
; ScratchSize: 0
; MemoryBound: 0
; FloatMode: 240
; IeeeMode: 1
; LDSByteSize: 0 bytes/workgroup (compile time only)
; SGPRBlocks: 0
; VGPRBlocks: 3
; NumSGPRsForWavesPerEU: 52
; NumVGPRsForWavesPerEU: 29
; Occupancy: 16
; WaveLimiterHint : 0
; COMPUTE_PGM_RSRC2:SCRATCH_EN: 0
; COMPUTE_PGM_RSRC2:USER_SGPR: 6
; COMPUTE_PGM_RSRC2:TRAP_HANDLER: 0
; COMPUTE_PGM_RSRC2:TGID_X_EN: 1
; COMPUTE_PGM_RSRC2:TGID_Y_EN: 1
; COMPUTE_PGM_RSRC2:TGID_Z_EN: 0
; COMPUTE_PGM_RSRC2:TIDIG_COMP_CNT: 1
	.section	.text._ZN2at6native12_GLOBAL__N_126cunn_SpatialSoftMaxForwardIdddlNS1_22SoftMaxForwardEpilogueEEEvPT1_PKT_T2_S9_S9_,"axG",@progbits,_ZN2at6native12_GLOBAL__N_126cunn_SpatialSoftMaxForwardIdddlNS1_22SoftMaxForwardEpilogueEEEvPT1_PKT_T2_S9_S9_,comdat
	.globl	_ZN2at6native12_GLOBAL__N_126cunn_SpatialSoftMaxForwardIdddlNS1_22SoftMaxForwardEpilogueEEEvPT1_PKT_T2_S9_S9_ ; -- Begin function _ZN2at6native12_GLOBAL__N_126cunn_SpatialSoftMaxForwardIdddlNS1_22SoftMaxForwardEpilogueEEEvPT1_PKT_T2_S9_S9_
	.p2align	8
	.type	_ZN2at6native12_GLOBAL__N_126cunn_SpatialSoftMaxForwardIdddlNS1_22SoftMaxForwardEpilogueEEEvPT1_PKT_T2_S9_S9_,@function
_ZN2at6native12_GLOBAL__N_126cunn_SpatialSoftMaxForwardIdddlNS1_22SoftMaxForwardEpilogueEEEvPT1_PKT_T2_S9_S9_: ; @_ZN2at6native12_GLOBAL__N_126cunn_SpatialSoftMaxForwardIdddlNS1_22SoftMaxForwardEpilogueEEEvPT1_PKT_T2_S9_S9_
; %bb.0:
	s_load_dwordx8 s[8:15], s[4:5], 0x0
	s_mov_b32 s0, s7
	s_mov_b32 s7, 0
	s_waitcnt lgkmcnt(0)
	v_cmp_le_i64_e64 s1, s[12:13], s[6:7]
	s_and_b32 vcc_lo, exec_lo, s1
	s_cbranch_vccnz .LBB511_36
; %bb.1:
	s_clause 0x1
	s_load_dword s1, s[4:5], 0x34
	s_load_dwordx4 s[16:19], s[4:5], 0x20
	v_mov_b32_e32 v2, v0
	s_add_u32 s4, s4, 40
	s_addc_u32 s5, s5, 0
	s_mov_b32 s21, s7
	s_mov_b32 s22, 0x652b82fe
	;; [unrolled: 1-line block ×15, first 2 shown]
	s_waitcnt lgkmcnt(0)
	s_lshr_b32 s1, s1, 16
	s_mul_i32 s26, s16, s14
	v_mad_u64_u32 v[4:5], null, s0, s1, v[1:2]
	v_mov_b32_e32 v5, 0
	v_mad_u64_u32 v[6:7], null, s16, v2, 0
	s_mul_i32 s2, s16, s15
	s_mul_hi_u32 s3, s16, s14
	v_mov_b32_e32 v3, v5
	v_mad_u64_u32 v[8:9], null, s26, s6, v[4:5]
	s_mul_i32 s0, s17, s14
	v_mov_b32_e32 v0, v7
	v_mad_u64_u32 v[10:11], null, s14, s6, v[2:3]
	s_mul_i32 s20, s19, s1
	s_add_i32 s1, s3, s2
	v_mov_b32_e32 v7, v9
	s_add_i32 s0, s1, s0
	v_mad_u64_u32 v[12:13], null, s17, v2, v[0:1]
	v_mov_b32_e32 v0, v11
	v_mad_u64_u32 v[13:14], null, s0, s6, v[7:8]
	s_mul_hi_u32 s3, s26, s18
	s_mul_i32 s1, s0, s18
	v_mad_u64_u32 v[14:15], null, s15, s6, v[0:1]
	v_mov_b32_e32 v7, v12
	v_mul_lo_u32 v0, s17, v10
	v_mov_b32_e32 v9, v13
	v_mad_u64_u32 v[10:11], null, s16, v10, 0
	v_lshlrev_b64 v[6:7], 3, v[6:7]
	v_mul_lo_u32 v14, s16, v14
	v_lshlrev_b64 v[8:9], 3, v[8:9]
	v_lshlrev_b64 v[12:13], 3, v[4:5]
	s_add_i32 s3, s3, s1
	v_cmp_gt_i64_e64 s0, s[16:17], v[4:5]
	v_cmp_gt_i64_e64 s1, s[14:15], v[2:3]
	s_mul_i32 s2, s26, s18
	v_add_co_u32 v6, vcc_lo, v6, v8
	v_add_co_ci_u32_e64 v7, null, v7, v9, vcc_lo
	v_add3_u32 v11, v11, v14, v0
	v_add_co_u32 v6, vcc_lo, s10, v6
	v_add_co_ci_u32_e64 v7, null, s11, v7, vcc_lo
	v_lshlrev_b64 v[8:9], 3, v[10:11]
	v_add_co_u32 v10, vcc_lo, v10, v4
	v_add_co_ci_u32_e64 v11, null, 0, v11, vcc_lo
	s_lshl_b64 s[24:25], s[16:17], 3
	v_add_co_u32 v0, vcc_lo, v8, v12
	v_lshlrev_b64 v[10:11], 3, v[10:11]
	v_add_co_ci_u32_e64 v9, null, v9, v13, vcc_lo
	v_add_co_u32 v8, vcc_lo, s8, v0
	v_mov_b32_e32 v12, -1
	v_add_co_ci_u32_e64 v9, null, s9, v9, vcc_lo
	v_add_co_u32 v10, vcc_lo, s10, v10
	v_add_co_ci_u32_e64 v11, null, s11, v11, vcc_lo
	v_mov_b32_e32 v13, 0xffefffff
	s_mov_b32 s8, 0xfefa39ef
	s_mov_b32 s10, 0x3b39803f
	s_lshl_b64 s[26:27], s[20:21], 3
	s_lshl_b64 s[28:29], s[2:3], 3
	s_mov_b32 s9, 0xbfe62e42
	s_mov_b32 s11, 0xbc7abc9e
	s_mov_b32 s37, 0x3ec71dee
	s_mov_b32 s39, 0x3efa0199
	s_mov_b32 s41, 0x3f2a01a0
	s_mov_b32 s43, 0x3f56c16c
	s_mov_b32 s45, 0x3f811111
	s_mov_b32 s47, 0x3fa55555
	s_mov_b32 s49, 0x3fc55555
	s_mov_b32 s51, 0x3fe00000
	s_branch .LBB511_3
.LBB511_2:                              ;   in Loop: Header=BB511_3 Depth=1
	s_or_b32 exec_lo, exec_lo, s19
	s_add_u32 s6, s6, s18
	v_add_co_u32 v6, vcc_lo, v6, s28
	s_addc_u32 s7, s7, 0
	v_add_co_ci_u32_e64 v7, null, s29, v7, vcc_lo
	v_add_co_u32 v8, vcc_lo, v8, s28
	v_cmp_ge_i64_e64 s2, s[6:7], s[12:13]
	v_add_co_ci_u32_e64 v9, null, s29, v9, vcc_lo
	v_add_co_u32 v10, vcc_lo, v10, s28
	v_add_co_ci_u32_e64 v11, null, s29, v11, vcc_lo
	s_and_b32 vcc_lo, exec_lo, s2
	s_cbranch_vccnz .LBB511_36
.LBB511_3:                              ; =>This Loop Header: Depth=1
                                        ;     Child Loop BB511_7 Depth 2
                                        ;       Child Loop BB511_10 Depth 3
                                        ;       Child Loop BB511_12 Depth 3
	;; [unrolled: 1-line block ×8, first 2 shown]
	s_and_saveexec_b32 s19, s0
	s_cbranch_execz .LBB511_2
; %bb.4:                                ;   in Loop: Header=BB511_3 Depth=1
	s_load_dword s2, s[4:5], 0xc
	v_mov_b32_e32 v15, v11
	v_mov_b32_e32 v17, v9
	;; [unrolled: 1-line block ×8, first 2 shown]
	s_mov_b32 s56, 0
	s_waitcnt lgkmcnt(0)
	s_and_b32 s21, s2, 0xffff
	v_mul_u32_u24_e32 v0, s21, v1
	s_cmp_lt_u32 s21, 2
	s_mul_i32 s2, s25, s21
	s_mul_hi_u32 s3, s24, s21
	s_cselect_b32 s33, -1, 0
	v_lshl_add_u32 v0, v0, 3, 0
	s_add_i32 s54, s3, s2
	s_mul_i32 s55, s24, s21
	v_lshl_add_u32 v30, v2, 3, v0
	s_branch .LBB511_7
.LBB511_5:                              ;   in Loop: Header=BB511_7 Depth=2
	s_or_b32 exec_lo, exec_lo, s3
.LBB511_6:                              ;   in Loop: Header=BB511_7 Depth=2
	v_add_co_u32 v20, vcc_lo, v20, s20
	v_add_co_ci_u32_e64 v21, null, 0, v21, vcc_lo
	v_add_co_u32 v18, vcc_lo, v18, s26
	v_add_co_ci_u32_e64 v19, null, s27, v19, vcc_lo
	;; [unrolled: 2-line block ×3, first 2 shown]
	v_cmp_le_i64_e32 vcc_lo, s[16:17], v[20:21]
	v_add_co_u32 v14, s2, v14, s26
	v_add_co_ci_u32_e64 v15, null, s27, v15, s2
	s_or_b32 s56, vcc_lo, s56
	s_andn2_b32 exec_lo, exec_lo, s56
	s_cbranch_execz .LBB511_2
.LBB511_7:                              ;   Parent Loop BB511_3 Depth=1
                                        ; =>  This Loop Header: Depth=2
                                        ;       Child Loop BB511_10 Depth 3
                                        ;       Child Loop BB511_12 Depth 3
	;; [unrolled: 1-line block ×8, first 2 shown]
	s_and_b32 vcc_lo, exec_lo, s33
	s_mov_b32 s2, -1
	s_cbranch_vccz .LBB511_16
; %bb.8:                                ;   in Loop: Header=BB511_7 Depth=2
	s_and_saveexec_b32 s57, s1
	s_cbranch_execz .LBB511_15
; %bb.9:                                ;   in Loop: Header=BB511_7 Depth=2
	v_mov_b32_e32 v25, v19
	v_mov_b32_e32 v27, v3
	;; [unrolled: 1-line block ×6, first 2 shown]
	s_mov_b32 s52, 0
	.p2align	6
.LBB511_10:                             ;   Parent Loop BB511_3 Depth=1
                                        ;     Parent Loop BB511_7 Depth=2
                                        ; =>    This Inner Loop Header: Depth=3
	global_load_dwordx2 v[28:29], v[24:25], off
	v_add_co_u32 v26, s2, v26, s21
	v_add_co_ci_u32_e64 v27, null, 0, v27, s2
	v_add_co_u32 v24, s2, v24, s55
	v_add_co_ci_u32_e64 v25, null, s54, v25, s2
	v_cmp_le_i64_e64 s3, s[14:15], v[26:27]
	s_or_b32 s52, s3, s52
	s_waitcnt vmcnt(0)
	v_cmp_lt_f64_e32 vcc_lo, v[22:23], v[28:29]
	v_cndmask_b32_e32 v23, v23, v29, vcc_lo
	v_cndmask_b32_e32 v22, v22, v28, vcc_lo
	s_andn2_b32 exec_lo, exec_lo, s52
	s_cbranch_execnz .LBB511_10
; %bb.11:                               ;   in Loop: Header=BB511_7 Depth=2
	s_or_b32 exec_lo, exec_lo, s52
	v_mov_b32_e32 v24, 0
	v_mov_b32_e32 v27, v19
	;; [unrolled: 1-line block ×6, first 2 shown]
	s_mov_b32 s3, 0
.LBB511_12:                             ;   Parent Loop BB511_3 Depth=1
                                        ;     Parent Loop BB511_7 Depth=2
                                        ; =>    This Inner Loop Header: Depth=3
	global_load_dwordx2 v[31:32], v[26:27], off
	s_waitcnt vmcnt(0)
	v_add_f64 v[31:32], v[31:32], -v[22:23]
	v_mul_f64 v[33:34], v[31:32], s[22:23]
	v_cmp_nlt_f64_e32 vcc_lo, 0x40900000, v[31:32]
	v_cmp_ngt_f64_e64 s2, 0xc090cc00, v[31:32]
	v_rndne_f64_e32 v[33:34], v[33:34]
	v_fma_f64 v[35:36], v[33:34], s[8:9], v[31:32]
	v_cvt_i32_f64_e32 v39, v[33:34]
	v_fma_f64 v[35:36], v[33:34], s[10:11], v[35:36]
	v_fma_f64 v[37:38], v[35:36], s[34:35], s[30:31]
	;; [unrolled: 1-line block ×10, first 2 shown]
	v_fma_f64 v[37:38], v[35:36], v[37:38], 1.0
	v_fma_f64 v[33:34], v[35:36], v[37:38], 1.0
	v_ldexp_f64 v[33:34], v[33:34], v39
	v_cndmask_b32_e32 v34, 0x7ff00000, v34, vcc_lo
	s_and_b32 vcc_lo, s2, vcc_lo
	v_cndmask_b32_e32 v31, 0, v33, vcc_lo
	v_add_co_u32 v28, vcc_lo, v28, s21
	v_cndmask_b32_e64 v32, 0, v34, s2
	v_add_co_ci_u32_e64 v29, null, 0, v29, vcc_lo
	v_add_co_u32 v26, s2, v26, s55
	v_add_f64 v[24:25], v[24:25], v[31:32]
	v_cmp_le_i64_e32 vcc_lo, s[14:15], v[28:29]
	v_add_co_ci_u32_e64 v27, null, s54, v27, s2
	s_or_b32 s3, vcc_lo, s3
	s_andn2_b32 exec_lo, exec_lo, s3
	s_cbranch_execnz .LBB511_12
; %bb.13:                               ;   in Loop: Header=BB511_7 Depth=2
	s_or_b32 exec_lo, exec_lo, s3
	v_mov_b32_e32 v27, v3
	v_mov_b32_e32 v26, v2
	s_mov_b64 s[52:53], 0
	s_mov_b32 s3, 0
.LBB511_14:                             ;   Parent Loop BB511_3 Depth=1
                                        ;     Parent Loop BB511_7 Depth=2
                                        ; =>    This Inner Loop Header: Depth=3
	v_add_co_u32 v28, vcc_lo, v18, s52
	v_add_co_ci_u32_e64 v29, null, s53, v19, vcc_lo
	global_load_dwordx2 v[28:29], v[28:29], off
	s_waitcnt vmcnt(0)
	v_add_f64 v[28:29], v[28:29], -v[22:23]
	v_mul_f64 v[31:32], v[28:29], s[22:23]
	v_cmp_nlt_f64_e32 vcc_lo, 0x40900000, v[28:29]
	v_cmp_ngt_f64_e64 s2, 0xc090cc00, v[28:29]
	v_rndne_f64_e32 v[31:32], v[31:32]
	v_fma_f64 v[33:34], v[31:32], s[8:9], v[28:29]
	v_cvt_i32_f64_e32 v37, v[31:32]
	v_fma_f64 v[33:34], v[31:32], s[10:11], v[33:34]
	v_fma_f64 v[35:36], v[33:34], s[34:35], s[30:31]
	;; [unrolled: 1-line block ×10, first 2 shown]
	v_fma_f64 v[35:36], v[33:34], v[35:36], 1.0
	v_fma_f64 v[31:32], v[33:34], v[35:36], 1.0
	v_ldexp_f64 v[31:32], v[31:32], v37
	v_cndmask_b32_e32 v32, 0x7ff00000, v32, vcc_lo
	s_and_b32 vcc_lo, s2, vcc_lo
	v_cndmask_b32_e32 v28, 0, v31, vcc_lo
	v_cndmask_b32_e64 v29, 0, v32, s2
	v_div_scale_f64 v[31:32], null, v[24:25], v[24:25], v[28:29]
	v_div_scale_f64 v[37:38], vcc_lo, v[28:29], v[24:25], v[28:29]
	v_rcp_f64_e32 v[33:34], v[31:32]
	v_fma_f64 v[35:36], -v[31:32], v[33:34], 1.0
	v_fma_f64 v[33:34], v[33:34], v[35:36], v[33:34]
	v_fma_f64 v[35:36], -v[31:32], v[33:34], 1.0
	v_fma_f64 v[33:34], v[33:34], v[35:36], v[33:34]
	v_mul_f64 v[35:36], v[37:38], v[33:34]
	v_fma_f64 v[31:32], -v[31:32], v[35:36], v[37:38]
	v_div_fmas_f64 v[31:32], v[31:32], v[33:34], v[35:36]
	v_add_co_u32 v26, vcc_lo, v26, s21
	v_add_co_ci_u32_e64 v27, null, 0, v27, vcc_lo
	v_cmp_le_i64_e32 vcc_lo, s[14:15], v[26:27]
	v_div_fixup_f64 v[28:29], v[31:32], v[24:25], v[28:29]
	v_add_co_u32 v31, s2, v16, s52
	v_add_co_ci_u32_e64 v32, null, s53, v17, s2
	s_add_u32 s52, s52, s55
	s_addc_u32 s53, s53, s54
	s_or_b32 s3, vcc_lo, s3
	global_store_dwordx2 v[31:32], v[28:29], off
	s_andn2_b32 exec_lo, exec_lo, s3
	s_cbranch_execnz .LBB511_14
.LBB511_15:                             ;   in Loop: Header=BB511_7 Depth=2
	s_or_b32 exec_lo, exec_lo, s57
	s_mov_b32 s2, 0
.LBB511_16:                             ;   in Loop: Header=BB511_7 Depth=2
	s_andn2_b32 vcc_lo, exec_lo, s2
	s_cbranch_vccnz .LBB511_6
; %bb.17:                               ;   in Loop: Header=BB511_7 Depth=2
	v_mov_b32_e32 v23, v13
	v_mov_b32_e32 v22, v12
	s_and_saveexec_b32 s52, s1
	s_cbranch_execz .LBB511_21
; %bb.18:                               ;   in Loop: Header=BB511_7 Depth=2
	v_mov_b32_e32 v25, v19
	v_mov_b32_e32 v27, v3
	;; [unrolled: 1-line block ×6, first 2 shown]
	s_mov_b32 s53, 0
	.p2align	6
.LBB511_19:                             ;   Parent Loop BB511_3 Depth=1
                                        ;     Parent Loop BB511_7 Depth=2
                                        ; =>    This Inner Loop Header: Depth=3
	global_load_dwordx2 v[28:29], v[24:25], off
	v_add_co_u32 v26, s2, v26, s21
	v_add_co_ci_u32_e64 v27, null, 0, v27, s2
	v_add_co_u32 v24, s2, v24, s55
	v_add_co_ci_u32_e64 v25, null, s54, v25, s2
	v_cmp_le_i64_e64 s3, s[14:15], v[26:27]
	s_or_b32 s53, s3, s53
	s_waitcnt vmcnt(0)
	v_cmp_lt_f64_e32 vcc_lo, v[22:23], v[28:29]
	v_cndmask_b32_e32 v23, v23, v29, vcc_lo
	v_cndmask_b32_e32 v22, v22, v28, vcc_lo
	s_andn2_b32 exec_lo, exec_lo, s53
	s_cbranch_execnz .LBB511_19
; %bb.20:                               ;   in Loop: Header=BB511_7 Depth=2
	s_or_b32 exec_lo, exec_lo, s53
.LBB511_21:                             ;   in Loop: Header=BB511_7 Depth=2
	s_or_b32 exec_lo, exec_lo, s52
	s_mov_b32 s2, s21
	s_waitcnt_vscnt null, 0x0
	s_barrier
	buffer_gl0_inv
	ds_write_b64 v30, v[22:23]
	s_branch .LBB511_23
	.p2align	6
.LBB511_22:                             ;   in Loop: Header=BB511_23 Depth=3
	s_or_b32 exec_lo, exec_lo, s52
	s_cmp_gt_u32 s2, 3
	s_mov_b32 s2, s3
	s_cbranch_scc0 .LBB511_25
.LBB511_23:                             ;   Parent Loop BB511_3 Depth=1
                                        ;     Parent Loop BB511_7 Depth=2
                                        ; =>    This Inner Loop Header: Depth=3
	s_lshr_b32 s3, s2, 1
	s_mov_b32 s52, exec_lo
	s_waitcnt lgkmcnt(0)
	s_barrier
	buffer_gl0_inv
	v_cmpx_gt_u32_e64 s3, v2
	s_cbranch_execz .LBB511_22
; %bb.24:                               ;   in Loop: Header=BB511_23 Depth=3
	v_lshl_add_u32 v24, s3, 3, v30
	ds_read_b64 v[22:23], v30
	ds_read_b64 v[24:25], v24
	s_waitcnt lgkmcnt(0)
	v_cmp_lt_f64_e32 vcc_lo, v[22:23], v[24:25]
	v_cndmask_b32_e32 v23, v23, v25, vcc_lo
	v_cndmask_b32_e32 v22, v22, v24, vcc_lo
	ds_write_b64 v30, v[22:23]
	s_branch .LBB511_22
.LBB511_25:                             ;   in Loop: Header=BB511_7 Depth=2
	s_waitcnt lgkmcnt(0)
	s_barrier
	buffer_gl0_inv
	ds_read_b64 v[22:23], v0
	v_mov_b32_e32 v24, 0
	v_mov_b32_e32 v25, 0
	s_and_saveexec_b32 s3, s1
	s_cbranch_execz .LBB511_29
; %bb.26:                               ;   in Loop: Header=BB511_7 Depth=2
	v_mov_b32_e32 v24, 0
	v_mov_b32_e32 v27, v19
	;; [unrolled: 1-line block ×6, first 2 shown]
	s_mov_b32 s52, 0
.LBB511_27:                             ;   Parent Loop BB511_3 Depth=1
                                        ;     Parent Loop BB511_7 Depth=2
                                        ; =>    This Inner Loop Header: Depth=3
	global_load_dwordx2 v[31:32], v[26:27], off
	s_waitcnt vmcnt(0) lgkmcnt(0)
	v_add_f64 v[31:32], v[31:32], -v[22:23]
	v_mul_f64 v[33:34], v[31:32], s[22:23]
	v_cmp_nlt_f64_e32 vcc_lo, 0x40900000, v[31:32]
	v_cmp_ngt_f64_e64 s2, 0xc090cc00, v[31:32]
	v_rndne_f64_e32 v[33:34], v[33:34]
	v_fma_f64 v[35:36], v[33:34], s[8:9], v[31:32]
	v_cvt_i32_f64_e32 v39, v[33:34]
	v_fma_f64 v[35:36], v[33:34], s[10:11], v[35:36]
	v_fma_f64 v[37:38], v[35:36], s[34:35], s[30:31]
	v_fma_f64 v[37:38], v[35:36], v[37:38], s[36:37]
	v_fma_f64 v[37:38], v[35:36], v[37:38], s[38:39]
	v_fma_f64 v[37:38], v[35:36], v[37:38], s[40:41]
	v_fma_f64 v[37:38], v[35:36], v[37:38], s[42:43]
	v_fma_f64 v[37:38], v[35:36], v[37:38], s[44:45]
	v_fma_f64 v[37:38], v[35:36], v[37:38], s[46:47]
	v_fma_f64 v[37:38], v[35:36], v[37:38], s[48:49]
	v_fma_f64 v[37:38], v[35:36], v[37:38], s[50:51]
	v_fma_f64 v[37:38], v[35:36], v[37:38], 1.0
	v_fma_f64 v[33:34], v[35:36], v[37:38], 1.0
	v_ldexp_f64 v[33:34], v[33:34], v39
	v_cndmask_b32_e32 v34, 0x7ff00000, v34, vcc_lo
	s_and_b32 vcc_lo, s2, vcc_lo
	v_cndmask_b32_e32 v31, 0, v33, vcc_lo
	v_add_co_u32 v28, vcc_lo, v28, s21
	v_cndmask_b32_e64 v32, 0, v34, s2
	v_add_co_ci_u32_e64 v29, null, 0, v29, vcc_lo
	v_add_co_u32 v26, s2, v26, s55
	v_add_f64 v[24:25], v[24:25], v[31:32]
	v_cmp_le_i64_e32 vcc_lo, s[14:15], v[28:29]
	v_add_co_ci_u32_e64 v27, null, s54, v27, s2
	s_or_b32 s52, vcc_lo, s52
	s_andn2_b32 exec_lo, exec_lo, s52
	s_cbranch_execnz .LBB511_27
; %bb.28:                               ;   in Loop: Header=BB511_7 Depth=2
	s_or_b32 exec_lo, exec_lo, s52
.LBB511_29:                             ;   in Loop: Header=BB511_7 Depth=2
	s_or_b32 exec_lo, exec_lo, s3
	s_mov_b32 s2, s21
	s_waitcnt lgkmcnt(0)
	s_barrier
	buffer_gl0_inv
	ds_write_b64 v30, v[24:25]
	s_branch .LBB511_31
	.p2align	6
.LBB511_30:                             ;   in Loop: Header=BB511_31 Depth=3
	s_or_b32 exec_lo, exec_lo, s52
	s_cmp_gt_u32 s2, 3
	s_mov_b32 s2, s3
	s_cbranch_scc0 .LBB511_33
.LBB511_31:                             ;   Parent Loop BB511_3 Depth=1
                                        ;     Parent Loop BB511_7 Depth=2
                                        ; =>    This Inner Loop Header: Depth=3
	s_lshr_b32 s3, s2, 1
	s_mov_b32 s52, exec_lo
	s_waitcnt lgkmcnt(0)
	s_barrier
	buffer_gl0_inv
	v_cmpx_gt_u32_e64 s3, v2
	s_cbranch_execz .LBB511_30
; %bb.32:                               ;   in Loop: Header=BB511_31 Depth=3
	v_lshl_add_u32 v26, s3, 3, v30
	ds_read_b64 v[24:25], v30
	ds_read_b64 v[26:27], v26
	s_waitcnt lgkmcnt(0)
	v_add_f64 v[24:25], v[24:25], v[26:27]
	ds_write_b64 v30, v[24:25]
	s_branch .LBB511_30
.LBB511_33:                             ;   in Loop: Header=BB511_7 Depth=2
	s_waitcnt lgkmcnt(0)
	s_barrier
	buffer_gl0_inv
	s_and_saveexec_b32 s3, s1
	s_cbranch_execz .LBB511_5
; %bb.34:                               ;   in Loop: Header=BB511_7 Depth=2
	ds_read_b64 v[24:25], v0
	v_mov_b32_e32 v27, v3
	v_mov_b32_e32 v26, v2
	s_mov_b64 s[52:53], 0
	s_mov_b32 s57, 0
.LBB511_35:                             ;   Parent Loop BB511_3 Depth=1
                                        ;     Parent Loop BB511_7 Depth=2
                                        ; =>    This Inner Loop Header: Depth=3
	v_add_co_u32 v28, vcc_lo, v14, s52
	v_add_co_ci_u32_e64 v29, null, s53, v15, vcc_lo
	global_load_dwordx2 v[28:29], v[28:29], off
	s_waitcnt vmcnt(0)
	v_add_f64 v[28:29], v[28:29], -v[22:23]
	v_mul_f64 v[31:32], v[28:29], s[22:23]
	v_cmp_nlt_f64_e32 vcc_lo, 0x40900000, v[28:29]
	v_cmp_ngt_f64_e64 s2, 0xc090cc00, v[28:29]
	v_rndne_f64_e32 v[31:32], v[31:32]
	v_fma_f64 v[33:34], v[31:32], s[8:9], v[28:29]
	v_cvt_i32_f64_e32 v37, v[31:32]
	v_fma_f64 v[33:34], v[31:32], s[10:11], v[33:34]
	v_fma_f64 v[35:36], v[33:34], s[34:35], s[30:31]
	;; [unrolled: 1-line block ×10, first 2 shown]
	v_fma_f64 v[35:36], v[33:34], v[35:36], 1.0
	v_fma_f64 v[31:32], v[33:34], v[35:36], 1.0
	v_ldexp_f64 v[31:32], v[31:32], v37
	v_cndmask_b32_e32 v32, 0x7ff00000, v32, vcc_lo
	s_and_b32 vcc_lo, s2, vcc_lo
	v_cndmask_b32_e32 v28, 0, v31, vcc_lo
	v_cndmask_b32_e64 v29, 0, v32, s2
	s_waitcnt lgkmcnt(0)
	v_div_scale_f64 v[31:32], null, v[24:25], v[24:25], v[28:29]
	v_div_scale_f64 v[37:38], vcc_lo, v[28:29], v[24:25], v[28:29]
	v_rcp_f64_e32 v[33:34], v[31:32]
	v_fma_f64 v[35:36], -v[31:32], v[33:34], 1.0
	v_fma_f64 v[33:34], v[33:34], v[35:36], v[33:34]
	v_fma_f64 v[35:36], -v[31:32], v[33:34], 1.0
	v_fma_f64 v[33:34], v[33:34], v[35:36], v[33:34]
	v_mul_f64 v[35:36], v[37:38], v[33:34]
	v_fma_f64 v[31:32], -v[31:32], v[35:36], v[37:38]
	v_div_fmas_f64 v[31:32], v[31:32], v[33:34], v[35:36]
	v_add_co_u32 v26, vcc_lo, v26, s21
	v_add_co_ci_u32_e64 v27, null, 0, v27, vcc_lo
	v_cmp_le_i64_e32 vcc_lo, s[14:15], v[26:27]
	v_div_fixup_f64 v[28:29], v[31:32], v[24:25], v[28:29]
	v_add_co_u32 v31, s2, v16, s52
	v_add_co_ci_u32_e64 v32, null, s53, v17, s2
	s_add_u32 s52, s52, s55
	s_addc_u32 s53, s53, s54
	s_or_b32 s57, vcc_lo, s57
	global_store_dwordx2 v[31:32], v[28:29], off
	s_andn2_b32 exec_lo, exec_lo, s57
	s_cbranch_execnz .LBB511_35
	s_branch .LBB511_5
.LBB511_36:
	s_endpgm
	.section	.rodata,"a",@progbits
	.p2align	6, 0x0
	.amdhsa_kernel _ZN2at6native12_GLOBAL__N_126cunn_SpatialSoftMaxForwardIdddlNS1_22SoftMaxForwardEpilogueEEEvPT1_PKT_T2_S9_S9_
		.amdhsa_group_segment_fixed_size 0
		.amdhsa_private_segment_fixed_size 0
		.amdhsa_kernarg_size 296
		.amdhsa_user_sgpr_count 6
		.amdhsa_user_sgpr_private_segment_buffer 1
		.amdhsa_user_sgpr_dispatch_ptr 0
		.amdhsa_user_sgpr_queue_ptr 0
		.amdhsa_user_sgpr_kernarg_segment_ptr 1
		.amdhsa_user_sgpr_dispatch_id 0
		.amdhsa_user_sgpr_flat_scratch_init 0
		.amdhsa_user_sgpr_private_segment_size 0
		.amdhsa_wavefront_size32 1
		.amdhsa_uses_dynamic_stack 0
		.amdhsa_system_sgpr_private_segment_wavefront_offset 0
		.amdhsa_system_sgpr_workgroup_id_x 1
		.amdhsa_system_sgpr_workgroup_id_y 1
		.amdhsa_system_sgpr_workgroup_id_z 0
		.amdhsa_system_sgpr_workgroup_info 0
		.amdhsa_system_vgpr_workitem_id 1
		.amdhsa_next_free_vgpr 40
		.amdhsa_next_free_sgpr 58
		.amdhsa_reserve_vcc 1
		.amdhsa_reserve_flat_scratch 0
		.amdhsa_float_round_mode_32 0
		.amdhsa_float_round_mode_16_64 0
		.amdhsa_float_denorm_mode_32 3
		.amdhsa_float_denorm_mode_16_64 3
		.amdhsa_dx10_clamp 1
		.amdhsa_ieee_mode 1
		.amdhsa_fp16_overflow 0
		.amdhsa_workgroup_processor_mode 1
		.amdhsa_memory_ordered 1
		.amdhsa_forward_progress 1
		.amdhsa_shared_vgpr_count 0
		.amdhsa_exception_fp_ieee_invalid_op 0
		.amdhsa_exception_fp_denorm_src 0
		.amdhsa_exception_fp_ieee_div_zero 0
		.amdhsa_exception_fp_ieee_overflow 0
		.amdhsa_exception_fp_ieee_underflow 0
		.amdhsa_exception_fp_ieee_inexact 0
		.amdhsa_exception_int_div_zero 0
	.end_amdhsa_kernel
	.section	.text._ZN2at6native12_GLOBAL__N_126cunn_SpatialSoftMaxForwardIdddlNS1_22SoftMaxForwardEpilogueEEEvPT1_PKT_T2_S9_S9_,"axG",@progbits,_ZN2at6native12_GLOBAL__N_126cunn_SpatialSoftMaxForwardIdddlNS1_22SoftMaxForwardEpilogueEEEvPT1_PKT_T2_S9_S9_,comdat
.Lfunc_end511:
	.size	_ZN2at6native12_GLOBAL__N_126cunn_SpatialSoftMaxForwardIdddlNS1_22SoftMaxForwardEpilogueEEEvPT1_PKT_T2_S9_S9_, .Lfunc_end511-_ZN2at6native12_GLOBAL__N_126cunn_SpatialSoftMaxForwardIdddlNS1_22SoftMaxForwardEpilogueEEEvPT1_PKT_T2_S9_S9_
                                        ; -- End function
	.set _ZN2at6native12_GLOBAL__N_126cunn_SpatialSoftMaxForwardIdddlNS1_22SoftMaxForwardEpilogueEEEvPT1_PKT_T2_S9_S9_.num_vgpr, 40
	.set _ZN2at6native12_GLOBAL__N_126cunn_SpatialSoftMaxForwardIdddlNS1_22SoftMaxForwardEpilogueEEEvPT1_PKT_T2_S9_S9_.num_agpr, 0
	.set _ZN2at6native12_GLOBAL__N_126cunn_SpatialSoftMaxForwardIdddlNS1_22SoftMaxForwardEpilogueEEEvPT1_PKT_T2_S9_S9_.numbered_sgpr, 58
	.set _ZN2at6native12_GLOBAL__N_126cunn_SpatialSoftMaxForwardIdddlNS1_22SoftMaxForwardEpilogueEEEvPT1_PKT_T2_S9_S9_.num_named_barrier, 0
	.set _ZN2at6native12_GLOBAL__N_126cunn_SpatialSoftMaxForwardIdddlNS1_22SoftMaxForwardEpilogueEEEvPT1_PKT_T2_S9_S9_.private_seg_size, 0
	.set _ZN2at6native12_GLOBAL__N_126cunn_SpatialSoftMaxForwardIdddlNS1_22SoftMaxForwardEpilogueEEEvPT1_PKT_T2_S9_S9_.uses_vcc, 1
	.set _ZN2at6native12_GLOBAL__N_126cunn_SpatialSoftMaxForwardIdddlNS1_22SoftMaxForwardEpilogueEEEvPT1_PKT_T2_S9_S9_.uses_flat_scratch, 0
	.set _ZN2at6native12_GLOBAL__N_126cunn_SpatialSoftMaxForwardIdddlNS1_22SoftMaxForwardEpilogueEEEvPT1_PKT_T2_S9_S9_.has_dyn_sized_stack, 0
	.set _ZN2at6native12_GLOBAL__N_126cunn_SpatialSoftMaxForwardIdddlNS1_22SoftMaxForwardEpilogueEEEvPT1_PKT_T2_S9_S9_.has_recursion, 0
	.set _ZN2at6native12_GLOBAL__N_126cunn_SpatialSoftMaxForwardIdddlNS1_22SoftMaxForwardEpilogueEEEvPT1_PKT_T2_S9_S9_.has_indirect_call, 0
	.section	.AMDGPU.csdata,"",@progbits
; Kernel info:
; codeLenInByte = 2948
; TotalNumSgprs: 60
; NumVgprs: 40
; ScratchSize: 0
; MemoryBound: 0
; FloatMode: 240
; IeeeMode: 1
; LDSByteSize: 0 bytes/workgroup (compile time only)
; SGPRBlocks: 0
; VGPRBlocks: 4
; NumSGPRsForWavesPerEU: 60
; NumVGPRsForWavesPerEU: 40
; Occupancy: 16
; WaveLimiterHint : 0
; COMPUTE_PGM_RSRC2:SCRATCH_EN: 0
; COMPUTE_PGM_RSRC2:USER_SGPR: 6
; COMPUTE_PGM_RSRC2:TRAP_HANDLER: 0
; COMPUTE_PGM_RSRC2:TGID_X_EN: 1
; COMPUTE_PGM_RSRC2:TGID_Y_EN: 1
; COMPUTE_PGM_RSRC2:TGID_Z_EN: 0
; COMPUTE_PGM_RSRC2:TIDIG_COMP_CNT: 1
	.section	.text._ZN2at6native12_GLOBAL__N_126cunn_SpatialSoftMaxForwardIfffiNS1_22SoftMaxForwardEpilogueEEEvPT1_PKT_T2_S9_S9_,"axG",@progbits,_ZN2at6native12_GLOBAL__N_126cunn_SpatialSoftMaxForwardIfffiNS1_22SoftMaxForwardEpilogueEEEvPT1_PKT_T2_S9_S9_,comdat
	.globl	_ZN2at6native12_GLOBAL__N_126cunn_SpatialSoftMaxForwardIfffiNS1_22SoftMaxForwardEpilogueEEEvPT1_PKT_T2_S9_S9_ ; -- Begin function _ZN2at6native12_GLOBAL__N_126cunn_SpatialSoftMaxForwardIfffiNS1_22SoftMaxForwardEpilogueEEEvPT1_PKT_T2_S9_S9_
	.p2align	8
	.type	_ZN2at6native12_GLOBAL__N_126cunn_SpatialSoftMaxForwardIfffiNS1_22SoftMaxForwardEpilogueEEEvPT1_PKT_T2_S9_S9_,@function
_ZN2at6native12_GLOBAL__N_126cunn_SpatialSoftMaxForwardIfffiNS1_22SoftMaxForwardEpilogueEEEvPT1_PKT_T2_S9_S9_: ; @_ZN2at6native12_GLOBAL__N_126cunn_SpatialSoftMaxForwardIfffiNS1_22SoftMaxForwardEpilogueEEEvPT1_PKT_T2_S9_S9_
; %bb.0:
	s_load_dwordx4 s[8:11], s[4:5], 0x10
	s_waitcnt lgkmcnt(0)
	s_cmp_ge_i32 s6, s8
	s_cbranch_scc1 .LBB512_36
; %bb.1:
	s_clause 0x1
	s_load_dword s0, s[4:5], 0x2c
	s_load_dwordx2 s[16:17], s[4:5], 0x20
	v_mad_u64_u32 v[2:3], null, s6, s9, v[0:1]
	s_load_dwordx4 s[12:15], s[4:5], 0x0
	s_add_u32 s4, s4, 32
	s_addc_u32 s5, s5, 0
	v_mul_lo_u32 v2, s10, v2
	s_waitcnt lgkmcnt(0)
	s_lshr_b32 s2, s0, 16
	v_cmp_gt_i32_e64 s0, s9, v0
	s_mul_i32 s7, s7, s2
	s_mul_i32 s3, s17, s2
	v_add_nc_u32_e32 v4, s7, v1
	v_add3_u32 v5, v1, v2, s7
	s_mul_i32 s7, s16, s10
	s_mul_i32 s7, s7, s9
	v_cmp_gt_i32_e64 s1, s10, v4
	s_branch .LBB512_3
.LBB512_2:                              ;   in Loop: Header=BB512_3 Depth=1
	s_or_b32 exec_lo, exec_lo, s11
	v_add_nc_u32_e32 v5, s7, v5
	s_add_i32 s6, s16, s6
	s_cmp_ge_i32 s6, s8
	s_cbranch_scc1 .LBB512_36
.LBB512_3:                              ; =>This Loop Header: Depth=1
                                        ;     Child Loop BB512_7 Depth 2
                                        ;       Child Loop BB512_10 Depth 3
                                        ;       Child Loop BB512_12 Depth 3
	;; [unrolled: 1-line block ×8, first 2 shown]
	s_and_saveexec_b32 s11, s1
	s_cbranch_execz .LBB512_2
; %bb.4:                                ;   in Loop: Header=BB512_3 Depth=1
	s_load_dword s2, s[4:5], 0xc
	v_mov_b32_e32 v7, v5
	v_mov_b32_e32 v9, v4
	s_mov_b32 s20, 0
	s_waitcnt lgkmcnt(0)
	s_and_b32 s17, s2, 0xffff
	v_mul_u32_u24_e32 v2, s17, v1
	s_cmp_lt_u32 s17, 2
	s_mul_i32 s19, s10, s17
	s_cselect_b32 s18, -1, 0
	v_lshl_add_u32 v6, v2, 2, 0
	v_lshl_add_u32 v8, v0, 2, v6
	s_branch .LBB512_7
.LBB512_5:                              ;   in Loop: Header=BB512_7 Depth=2
	s_or_b32 exec_lo, exec_lo, s21
.LBB512_6:                              ;   in Loop: Header=BB512_7 Depth=2
	v_add_nc_u32_e32 v9, s3, v9
	v_add_nc_u32_e32 v7, s3, v7
	v_cmp_le_i32_e32 vcc_lo, s10, v9
	s_or_b32 s20, vcc_lo, s20
	s_andn2_b32 exec_lo, exec_lo, s20
	s_cbranch_execz .LBB512_2
.LBB512_7:                              ;   Parent Loop BB512_3 Depth=1
                                        ; =>  This Loop Header: Depth=2
                                        ;       Child Loop BB512_10 Depth 3
                                        ;       Child Loop BB512_12 Depth 3
	;; [unrolled: 1-line block ×8, first 2 shown]
	s_and_b32 vcc_lo, exec_lo, s18
	s_mov_b32 s2, -1
	s_cbranch_vccz .LBB512_16
; %bb.8:                                ;   in Loop: Header=BB512_7 Depth=2
	s_and_saveexec_b32 s21, s0
	s_cbranch_execz .LBB512_15
; %bb.9:                                ;   in Loop: Header=BB512_7 Depth=2
	v_mov_b32_e32 v10, 0xff7fffff
	v_mov_b32_e32 v2, v7
	;; [unrolled: 1-line block ×3, first 2 shown]
	s_mov_b32 s22, 0
	.p2align	6
.LBB512_10:                             ;   Parent Loop BB512_3 Depth=1
                                        ;     Parent Loop BB512_7 Depth=2
                                        ; =>    This Inner Loop Header: Depth=3
	v_ashrrev_i32_e32 v3, 31, v2
	v_add_nc_u32_e32 v11, s17, v11
	v_lshlrev_b64 v[12:13], 2, v[2:3]
	v_add_nc_u32_e32 v2, s19, v2
	v_add_co_u32 v12, vcc_lo, s14, v12
	v_add_co_ci_u32_e64 v13, null, s15, v13, vcc_lo
	v_cmp_le_i32_e32 vcc_lo, s9, v11
	global_load_dword v3, v[12:13], off
	s_or_b32 s22, vcc_lo, s22
	s_waitcnt vmcnt(0)
	v_cmp_lt_f32_e64 s2, v10, v3
	v_cndmask_b32_e64 v10, v10, v3, s2
	s_andn2_b32 exec_lo, exec_lo, s22
	s_cbranch_execnz .LBB512_10
; %bb.11:                               ;   in Loop: Header=BB512_7 Depth=2
	s_or_b32 exec_lo, exec_lo, s22
	v_mov_b32_e32 v11, 0
	v_mov_b32_e32 v2, v7
	;; [unrolled: 1-line block ×3, first 2 shown]
	s_mov_b32 s2, 0
	s_inst_prefetch 0x1
	.p2align	6
.LBB512_12:                             ;   Parent Loop BB512_3 Depth=1
                                        ;     Parent Loop BB512_7 Depth=2
                                        ; =>    This Inner Loop Header: Depth=3
	v_ashrrev_i32_e32 v3, 31, v2
	v_add_nc_u32_e32 v12, s17, v12
	v_lshlrev_b64 v[13:14], 2, v[2:3]
	v_add_nc_u32_e32 v2, s19, v2
	v_add_co_u32 v13, vcc_lo, s14, v13
	v_add_co_ci_u32_e64 v14, null, s15, v14, vcc_lo
	global_load_dword v3, v[13:14], off
	s_waitcnt vmcnt(0)
	v_sub_f32_e32 v3, v3, v10
	v_mul_f32_e32 v13, 0x3fb8aa3b, v3
	v_cmp_ngt_f32_e32 vcc_lo, 0xc2ce8ed0, v3
	v_fma_f32 v14, 0x3fb8aa3b, v3, -v13
	v_rndne_f32_e32 v15, v13
	v_fmac_f32_e32 v14, 0x32a5705f, v3
	v_sub_f32_e32 v13, v13, v15
	v_add_f32_e32 v13, v13, v14
	v_cvt_i32_f32_e32 v14, v15
	v_exp_f32_e32 v13, v13
	v_ldexp_f32 v13, v13, v14
	v_cndmask_b32_e32 v13, 0, v13, vcc_lo
	v_cmp_nlt_f32_e32 vcc_lo, 0x42b17218, v3
	v_cndmask_b32_e32 v3, 0x7f800000, v13, vcc_lo
	v_cmp_le_i32_e32 vcc_lo, s9, v12
	v_add_f32_e32 v11, v11, v3
	s_or_b32 s2, vcc_lo, s2
	s_andn2_b32 exec_lo, exec_lo, s2
	s_cbranch_execnz .LBB512_12
; %bb.13:                               ;   in Loop: Header=BB512_7 Depth=2
	s_inst_prefetch 0x2
	s_or_b32 exec_lo, exec_lo, s2
	v_mov_b32_e32 v2, v7
	v_mov_b32_e32 v12, v0
	s_mov_b32 s22, 0
.LBB512_14:                             ;   Parent Loop BB512_3 Depth=1
                                        ;     Parent Loop BB512_7 Depth=2
                                        ; =>    This Inner Loop Header: Depth=3
	v_ashrrev_i32_e32 v3, 31, v2
	v_add_nc_u32_e32 v12, s17, v12
	v_lshlrev_b64 v[13:14], 2, v[2:3]
	v_add_nc_u32_e32 v2, s19, v2
	v_add_co_u32 v15, vcc_lo, s14, v13
	v_add_co_ci_u32_e64 v16, null, s15, v14, vcc_lo
	v_add_co_u32 v13, s2, s12, v13
	v_add_co_ci_u32_e64 v14, null, s13, v14, s2
	global_load_dword v3, v[15:16], off
	s_waitcnt vmcnt(0)
	v_sub_f32_e32 v3, v3, v10
	v_mul_f32_e32 v15, 0x3fb8aa3b, v3
	v_cmp_ngt_f32_e32 vcc_lo, 0xc2ce8ed0, v3
	v_fma_f32 v16, 0x3fb8aa3b, v3, -v15
	v_rndne_f32_e32 v17, v15
	v_fmac_f32_e32 v16, 0x32a5705f, v3
	v_sub_f32_e32 v15, v15, v17
	v_add_f32_e32 v15, v15, v16
	v_cvt_i32_f32_e32 v16, v17
	v_exp_f32_e32 v15, v15
	v_ldexp_f32 v15, v15, v16
	v_cndmask_b32_e32 v15, 0, v15, vcc_lo
	v_cmp_nlt_f32_e32 vcc_lo, 0x42b17218, v3
	v_cndmask_b32_e32 v3, 0x7f800000, v15, vcc_lo
	v_div_scale_f32 v15, null, v11, v11, v3
	v_div_scale_f32 v18, vcc_lo, v3, v11, v3
	v_rcp_f32_e32 v16, v15
	v_fma_f32 v17, -v15, v16, 1.0
	v_fmac_f32_e32 v16, v17, v16
	v_mul_f32_e32 v17, v18, v16
	v_fma_f32 v19, -v15, v17, v18
	v_fmac_f32_e32 v17, v19, v16
	v_fma_f32 v15, -v15, v17, v18
	v_div_fmas_f32 v15, v15, v16, v17
	v_cmp_le_i32_e32 vcc_lo, s9, v12
	v_div_fixup_f32 v3, v15, v11, v3
	s_or_b32 s22, vcc_lo, s22
	global_store_dword v[13:14], v3, off
	s_andn2_b32 exec_lo, exec_lo, s22
	s_cbranch_execnz .LBB512_14
.LBB512_15:                             ;   in Loop: Header=BB512_7 Depth=2
	s_or_b32 exec_lo, exec_lo, s21
	s_mov_b32 s2, 0
.LBB512_16:                             ;   in Loop: Header=BB512_7 Depth=2
	s_andn2_b32 vcc_lo, exec_lo, s2
	s_cbranch_vccnz .LBB512_6
; %bb.17:                               ;   in Loop: Header=BB512_7 Depth=2
	v_mov_b32_e32 v10, 0xff7fffff
	s_and_saveexec_b32 s21, s0
	s_cbranch_execz .LBB512_21
; %bb.18:                               ;   in Loop: Header=BB512_7 Depth=2
	v_mov_b32_e32 v10, 0xff7fffff
	v_mov_b32_e32 v2, v7
	;; [unrolled: 1-line block ×3, first 2 shown]
	s_mov_b32 s22, 0
	.p2align	6
.LBB512_19:                             ;   Parent Loop BB512_3 Depth=1
                                        ;     Parent Loop BB512_7 Depth=2
                                        ; =>    This Inner Loop Header: Depth=3
	v_ashrrev_i32_e32 v3, 31, v2
	v_add_nc_u32_e32 v11, s17, v11
	v_lshlrev_b64 v[12:13], 2, v[2:3]
	v_add_nc_u32_e32 v2, s19, v2
	v_add_co_u32 v12, vcc_lo, s14, v12
	v_add_co_ci_u32_e64 v13, null, s15, v13, vcc_lo
	v_cmp_le_i32_e32 vcc_lo, s9, v11
	global_load_dword v3, v[12:13], off
	s_or_b32 s22, vcc_lo, s22
	s_waitcnt vmcnt(0)
	v_cmp_lt_f32_e64 s2, v10, v3
	v_cndmask_b32_e64 v10, v10, v3, s2
	s_andn2_b32 exec_lo, exec_lo, s22
	s_cbranch_execnz .LBB512_19
; %bb.20:                               ;   in Loop: Header=BB512_7 Depth=2
	s_or_b32 exec_lo, exec_lo, s22
.LBB512_21:                             ;   in Loop: Header=BB512_7 Depth=2
	s_or_b32 exec_lo, exec_lo, s21
	s_mov_b32 s2, s17
	s_waitcnt_vscnt null, 0x0
	s_barrier
	buffer_gl0_inv
	ds_write_b32 v8, v10
	s_branch .LBB512_23
	.p2align	6
.LBB512_22:                             ;   in Loop: Header=BB512_23 Depth=3
	s_or_b32 exec_lo, exec_lo, s22
	s_cmp_gt_u32 s2, 3
	s_mov_b32 s2, s21
	s_cbranch_scc0 .LBB512_25
.LBB512_23:                             ;   Parent Loop BB512_3 Depth=1
                                        ;     Parent Loop BB512_7 Depth=2
                                        ; =>    This Inner Loop Header: Depth=3
	s_lshr_b32 s21, s2, 1
	s_mov_b32 s22, exec_lo
	s_waitcnt lgkmcnt(0)
	s_barrier
	buffer_gl0_inv
	v_cmpx_gt_u32_e64 s21, v0
	s_cbranch_execz .LBB512_22
; %bb.24:                               ;   in Loop: Header=BB512_23 Depth=3
	v_lshl_add_u32 v2, s21, 2, v8
	ds_read_b32 v3, v8
	ds_read_b32 v2, v2
	s_waitcnt lgkmcnt(0)
	v_cmp_lt_f32_e32 vcc_lo, v3, v2
	v_cndmask_b32_e32 v2, v3, v2, vcc_lo
	ds_write_b32 v8, v2
	s_branch .LBB512_22
.LBB512_25:                             ;   in Loop: Header=BB512_7 Depth=2
	s_waitcnt lgkmcnt(0)
	s_barrier
	buffer_gl0_inv
	ds_read_b32 v10, v6
	v_mov_b32_e32 v11, 0
	s_and_saveexec_b32 s2, s0
	s_cbranch_execz .LBB512_29
; %bb.26:                               ;   in Loop: Header=BB512_7 Depth=2
	v_mov_b32_e32 v11, 0
	v_mov_b32_e32 v2, v7
	;; [unrolled: 1-line block ×3, first 2 shown]
	s_mov_b32 s21, 0
	s_inst_prefetch 0x1
	.p2align	6
.LBB512_27:                             ;   Parent Loop BB512_3 Depth=1
                                        ;     Parent Loop BB512_7 Depth=2
                                        ; =>    This Inner Loop Header: Depth=3
	v_ashrrev_i32_e32 v3, 31, v2
	v_add_nc_u32_e32 v12, s17, v12
	v_lshlrev_b64 v[13:14], 2, v[2:3]
	v_add_nc_u32_e32 v2, s19, v2
	v_add_co_u32 v13, vcc_lo, s14, v13
	v_add_co_ci_u32_e64 v14, null, s15, v14, vcc_lo
	global_load_dword v3, v[13:14], off
	s_waitcnt vmcnt(0) lgkmcnt(0)
	v_sub_f32_e32 v3, v3, v10
	v_mul_f32_e32 v13, 0x3fb8aa3b, v3
	v_cmp_ngt_f32_e32 vcc_lo, 0xc2ce8ed0, v3
	v_fma_f32 v14, 0x3fb8aa3b, v3, -v13
	v_rndne_f32_e32 v15, v13
	v_fmac_f32_e32 v14, 0x32a5705f, v3
	v_sub_f32_e32 v13, v13, v15
	v_add_f32_e32 v13, v13, v14
	v_cvt_i32_f32_e32 v14, v15
	v_exp_f32_e32 v13, v13
	v_ldexp_f32 v13, v13, v14
	v_cndmask_b32_e32 v13, 0, v13, vcc_lo
	v_cmp_nlt_f32_e32 vcc_lo, 0x42b17218, v3
	v_cndmask_b32_e32 v3, 0x7f800000, v13, vcc_lo
	v_cmp_le_i32_e32 vcc_lo, s9, v12
	v_add_f32_e32 v11, v11, v3
	s_or_b32 s21, vcc_lo, s21
	s_andn2_b32 exec_lo, exec_lo, s21
	s_cbranch_execnz .LBB512_27
; %bb.28:                               ;   in Loop: Header=BB512_7 Depth=2
	s_inst_prefetch 0x2
	s_or_b32 exec_lo, exec_lo, s21
.LBB512_29:                             ;   in Loop: Header=BB512_7 Depth=2
	s_or_b32 exec_lo, exec_lo, s2
	s_mov_b32 s2, s17
	s_waitcnt lgkmcnt(0)
	s_barrier
	buffer_gl0_inv
	ds_write_b32 v8, v11
	s_branch .LBB512_31
	.p2align	6
.LBB512_30:                             ;   in Loop: Header=BB512_31 Depth=3
	s_or_b32 exec_lo, exec_lo, s22
	s_cmp_gt_u32 s2, 3
	s_mov_b32 s2, s21
	s_cbranch_scc0 .LBB512_33
.LBB512_31:                             ;   Parent Loop BB512_3 Depth=1
                                        ;     Parent Loop BB512_7 Depth=2
                                        ; =>    This Inner Loop Header: Depth=3
	s_lshr_b32 s21, s2, 1
	s_mov_b32 s22, exec_lo
	s_waitcnt lgkmcnt(0)
	s_barrier
	buffer_gl0_inv
	v_cmpx_gt_u32_e64 s21, v0
	s_cbranch_execz .LBB512_30
; %bb.32:                               ;   in Loop: Header=BB512_31 Depth=3
	v_lshl_add_u32 v2, s21, 2, v8
	ds_read_b32 v3, v8
	ds_read_b32 v2, v2
	s_waitcnt lgkmcnt(0)
	v_add_f32_e32 v2, v3, v2
	ds_write_b32 v8, v2
	s_branch .LBB512_30
.LBB512_33:                             ;   in Loop: Header=BB512_7 Depth=2
	s_waitcnt lgkmcnt(0)
	s_barrier
	buffer_gl0_inv
	s_and_saveexec_b32 s21, s0
	s_cbranch_execz .LBB512_5
; %bb.34:                               ;   in Loop: Header=BB512_7 Depth=2
	ds_read_b32 v11, v6
	v_mov_b32_e32 v2, v7
	v_mov_b32_e32 v12, v0
	s_mov_b32 s22, 0
.LBB512_35:                             ;   Parent Loop BB512_3 Depth=1
                                        ;     Parent Loop BB512_7 Depth=2
                                        ; =>    This Inner Loop Header: Depth=3
	v_ashrrev_i32_e32 v3, 31, v2
	v_add_nc_u32_e32 v12, s17, v12
	v_lshlrev_b64 v[13:14], 2, v[2:3]
	v_add_nc_u32_e32 v2, s19, v2
	v_add_co_u32 v15, vcc_lo, s14, v13
	v_add_co_ci_u32_e64 v16, null, s15, v14, vcc_lo
	v_add_co_u32 v13, s2, s12, v13
	v_add_co_ci_u32_e64 v14, null, s13, v14, s2
	global_load_dword v3, v[15:16], off
	s_waitcnt vmcnt(0)
	v_sub_f32_e32 v3, v3, v10
	v_mul_f32_e32 v15, 0x3fb8aa3b, v3
	v_cmp_ngt_f32_e32 vcc_lo, 0xc2ce8ed0, v3
	v_fma_f32 v16, 0x3fb8aa3b, v3, -v15
	v_rndne_f32_e32 v17, v15
	v_fmac_f32_e32 v16, 0x32a5705f, v3
	v_sub_f32_e32 v15, v15, v17
	v_add_f32_e32 v15, v15, v16
	v_cvt_i32_f32_e32 v16, v17
	v_exp_f32_e32 v15, v15
	v_ldexp_f32 v15, v15, v16
	v_cndmask_b32_e32 v15, 0, v15, vcc_lo
	v_cmp_nlt_f32_e32 vcc_lo, 0x42b17218, v3
	v_cndmask_b32_e32 v3, 0x7f800000, v15, vcc_lo
	s_waitcnt lgkmcnt(0)
	v_div_scale_f32 v15, null, v11, v11, v3
	v_div_scale_f32 v18, vcc_lo, v3, v11, v3
	v_rcp_f32_e32 v16, v15
	v_fma_f32 v17, -v15, v16, 1.0
	v_fmac_f32_e32 v16, v17, v16
	v_mul_f32_e32 v17, v18, v16
	v_fma_f32 v19, -v15, v17, v18
	v_fmac_f32_e32 v17, v19, v16
	v_fma_f32 v15, -v15, v17, v18
	v_div_fmas_f32 v15, v15, v16, v17
	v_cmp_le_i32_e32 vcc_lo, s9, v12
	v_div_fixup_f32 v3, v15, v11, v3
	s_or_b32 s22, vcc_lo, s22
	global_store_dword v[13:14], v3, off
	s_andn2_b32 exec_lo, exec_lo, s22
	s_cbranch_execnz .LBB512_35
	s_branch .LBB512_5
.LBB512_36:
	s_endpgm
	.section	.rodata,"a",@progbits
	.p2align	6, 0x0
	.amdhsa_kernel _ZN2at6native12_GLOBAL__N_126cunn_SpatialSoftMaxForwardIfffiNS1_22SoftMaxForwardEpilogueEEEvPT1_PKT_T2_S9_S9_
		.amdhsa_group_segment_fixed_size 0
		.amdhsa_private_segment_fixed_size 0
		.amdhsa_kernarg_size 288
		.amdhsa_user_sgpr_count 6
		.amdhsa_user_sgpr_private_segment_buffer 1
		.amdhsa_user_sgpr_dispatch_ptr 0
		.amdhsa_user_sgpr_queue_ptr 0
		.amdhsa_user_sgpr_kernarg_segment_ptr 1
		.amdhsa_user_sgpr_dispatch_id 0
		.amdhsa_user_sgpr_flat_scratch_init 0
		.amdhsa_user_sgpr_private_segment_size 0
		.amdhsa_wavefront_size32 1
		.amdhsa_uses_dynamic_stack 0
		.amdhsa_system_sgpr_private_segment_wavefront_offset 0
		.amdhsa_system_sgpr_workgroup_id_x 1
		.amdhsa_system_sgpr_workgroup_id_y 1
		.amdhsa_system_sgpr_workgroup_id_z 0
		.amdhsa_system_sgpr_workgroup_info 0
		.amdhsa_system_vgpr_workitem_id 1
		.amdhsa_next_free_vgpr 20
		.amdhsa_next_free_sgpr 23
		.amdhsa_reserve_vcc 1
		.amdhsa_reserve_flat_scratch 0
		.amdhsa_float_round_mode_32 0
		.amdhsa_float_round_mode_16_64 0
		.amdhsa_float_denorm_mode_32 3
		.amdhsa_float_denorm_mode_16_64 3
		.amdhsa_dx10_clamp 1
		.amdhsa_ieee_mode 1
		.amdhsa_fp16_overflow 0
		.amdhsa_workgroup_processor_mode 1
		.amdhsa_memory_ordered 1
		.amdhsa_forward_progress 1
		.amdhsa_shared_vgpr_count 0
		.amdhsa_exception_fp_ieee_invalid_op 0
		.amdhsa_exception_fp_denorm_src 0
		.amdhsa_exception_fp_ieee_div_zero 0
		.amdhsa_exception_fp_ieee_overflow 0
		.amdhsa_exception_fp_ieee_underflow 0
		.amdhsa_exception_fp_ieee_inexact 0
		.amdhsa_exception_int_div_zero 0
	.end_amdhsa_kernel
	.section	.text._ZN2at6native12_GLOBAL__N_126cunn_SpatialSoftMaxForwardIfffiNS1_22SoftMaxForwardEpilogueEEEvPT1_PKT_T2_S9_S9_,"axG",@progbits,_ZN2at6native12_GLOBAL__N_126cunn_SpatialSoftMaxForwardIfffiNS1_22SoftMaxForwardEpilogueEEEvPT1_PKT_T2_S9_S9_,comdat
.Lfunc_end512:
	.size	_ZN2at6native12_GLOBAL__N_126cunn_SpatialSoftMaxForwardIfffiNS1_22SoftMaxForwardEpilogueEEEvPT1_PKT_T2_S9_S9_, .Lfunc_end512-_ZN2at6native12_GLOBAL__N_126cunn_SpatialSoftMaxForwardIfffiNS1_22SoftMaxForwardEpilogueEEEvPT1_PKT_T2_S9_S9_
                                        ; -- End function
	.set _ZN2at6native12_GLOBAL__N_126cunn_SpatialSoftMaxForwardIfffiNS1_22SoftMaxForwardEpilogueEEEvPT1_PKT_T2_S9_S9_.num_vgpr, 20
	.set _ZN2at6native12_GLOBAL__N_126cunn_SpatialSoftMaxForwardIfffiNS1_22SoftMaxForwardEpilogueEEEvPT1_PKT_T2_S9_S9_.num_agpr, 0
	.set _ZN2at6native12_GLOBAL__N_126cunn_SpatialSoftMaxForwardIfffiNS1_22SoftMaxForwardEpilogueEEEvPT1_PKT_T2_S9_S9_.numbered_sgpr, 23
	.set _ZN2at6native12_GLOBAL__N_126cunn_SpatialSoftMaxForwardIfffiNS1_22SoftMaxForwardEpilogueEEEvPT1_PKT_T2_S9_S9_.num_named_barrier, 0
	.set _ZN2at6native12_GLOBAL__N_126cunn_SpatialSoftMaxForwardIfffiNS1_22SoftMaxForwardEpilogueEEEvPT1_PKT_T2_S9_S9_.private_seg_size, 0
	.set _ZN2at6native12_GLOBAL__N_126cunn_SpatialSoftMaxForwardIfffiNS1_22SoftMaxForwardEpilogueEEEvPT1_PKT_T2_S9_S9_.uses_vcc, 1
	.set _ZN2at6native12_GLOBAL__N_126cunn_SpatialSoftMaxForwardIfffiNS1_22SoftMaxForwardEpilogueEEEvPT1_PKT_T2_S9_S9_.uses_flat_scratch, 0
	.set _ZN2at6native12_GLOBAL__N_126cunn_SpatialSoftMaxForwardIfffiNS1_22SoftMaxForwardEpilogueEEEvPT1_PKT_T2_S9_S9_.has_dyn_sized_stack, 0
	.set _ZN2at6native12_GLOBAL__N_126cunn_SpatialSoftMaxForwardIfffiNS1_22SoftMaxForwardEpilogueEEEvPT1_PKT_T2_S9_S9_.has_recursion, 0
	.set _ZN2at6native12_GLOBAL__N_126cunn_SpatialSoftMaxForwardIfffiNS1_22SoftMaxForwardEpilogueEEEvPT1_PKT_T2_S9_S9_.has_indirect_call, 0
	.section	.AMDGPU.csdata,"",@progbits
; Kernel info:
; codeLenInByte = 1936
; TotalNumSgprs: 25
; NumVgprs: 20
; ScratchSize: 0
; MemoryBound: 0
; FloatMode: 240
; IeeeMode: 1
; LDSByteSize: 0 bytes/workgroup (compile time only)
; SGPRBlocks: 0
; VGPRBlocks: 2
; NumSGPRsForWavesPerEU: 25
; NumVGPRsForWavesPerEU: 20
; Occupancy: 16
; WaveLimiterHint : 0
; COMPUTE_PGM_RSRC2:SCRATCH_EN: 0
; COMPUTE_PGM_RSRC2:USER_SGPR: 6
; COMPUTE_PGM_RSRC2:TRAP_HANDLER: 0
; COMPUTE_PGM_RSRC2:TGID_X_EN: 1
; COMPUTE_PGM_RSRC2:TGID_Y_EN: 1
; COMPUTE_PGM_RSRC2:TGID_Z_EN: 0
; COMPUTE_PGM_RSRC2:TIDIG_COMP_CNT: 1
	.section	.text._ZN2at6native12_GLOBAL__N_126cunn_SpatialSoftMaxForwardIffflNS1_22SoftMaxForwardEpilogueEEEvPT1_PKT_T2_S9_S9_,"axG",@progbits,_ZN2at6native12_GLOBAL__N_126cunn_SpatialSoftMaxForwardIffflNS1_22SoftMaxForwardEpilogueEEEvPT1_PKT_T2_S9_S9_,comdat
	.globl	_ZN2at6native12_GLOBAL__N_126cunn_SpatialSoftMaxForwardIffflNS1_22SoftMaxForwardEpilogueEEEvPT1_PKT_T2_S9_S9_ ; -- Begin function _ZN2at6native12_GLOBAL__N_126cunn_SpatialSoftMaxForwardIffflNS1_22SoftMaxForwardEpilogueEEEvPT1_PKT_T2_S9_S9_
	.p2align	8
	.type	_ZN2at6native12_GLOBAL__N_126cunn_SpatialSoftMaxForwardIffflNS1_22SoftMaxForwardEpilogueEEEvPT1_PKT_T2_S9_S9_,@function
_ZN2at6native12_GLOBAL__N_126cunn_SpatialSoftMaxForwardIffflNS1_22SoftMaxForwardEpilogueEEEvPT1_PKT_T2_S9_S9_: ; @_ZN2at6native12_GLOBAL__N_126cunn_SpatialSoftMaxForwardIffflNS1_22SoftMaxForwardEpilogueEEEvPT1_PKT_T2_S9_S9_
; %bb.0:
	s_load_dwordx8 s[8:15], s[4:5], 0x0
	s_mov_b32 s0, s7
	s_mov_b32 s7, 0
	s_waitcnt lgkmcnt(0)
	v_cmp_le_i64_e64 s1, s[12:13], s[6:7]
	s_and_b32 vcc_lo, exec_lo, s1
	s_cbranch_vccnz .LBB513_36
; %bb.1:
	s_clause 0x1
	s_load_dword s1, s[4:5], 0x34
	s_load_dwordx4 s[16:19], s[4:5], 0x20
	v_mov_b32_e32 v2, v0
	s_add_u32 s4, s4, 40
	s_addc_u32 s5, s5, 0
	s_mov_b32 s21, s7
	s_waitcnt lgkmcnt(0)
	s_lshr_b32 s1, s1, 16
	s_mul_i32 s22, s16, s14
	v_mad_u64_u32 v[4:5], null, s0, s1, v[1:2]
	v_mov_b32_e32 v5, 0
	v_mad_u64_u32 v[6:7], null, s16, v2, 0
	s_mul_i32 s0, s16, s15
	s_mul_hi_u32 s2, s16, s14
	v_mov_b32_e32 v3, v5
	v_mad_u64_u32 v[8:9], null, s22, s6, v[4:5]
	s_mul_i32 s3, s17, s14
	v_mov_b32_e32 v0, v7
	v_mad_u64_u32 v[10:11], null, s14, s6, v[2:3]
	s_add_i32 s0, s2, s0
	s_mul_i32 s20, s19, s1
	v_mov_b32_e32 v7, v9
	s_add_i32 s0, s0, s3
	v_mad_u64_u32 v[12:13], null, s17, v2, v[0:1]
	v_mov_b32_e32 v0, v11
	v_mad_u64_u32 v[13:14], null, s0, s6, v[7:8]
	s_mul_hi_u32 s1, s22, s18
	s_mul_i32 s0, s0, s18
	v_mad_u64_u32 v[14:15], null, s15, s6, v[0:1]
	v_mov_b32_e32 v7, v12
	v_mul_lo_u32 v0, s17, v10
	v_mov_b32_e32 v9, v13
	v_mad_u64_u32 v[10:11], null, s16, v10, 0
	v_lshlrev_b64 v[6:7], 2, v[6:7]
	v_mul_lo_u32 v14, s16, v14
	v_lshlrev_b64 v[8:9], 2, v[8:9]
	v_lshlrev_b64 v[12:13], 2, v[4:5]
	s_add_i32 s3, s1, s0
	v_cmp_gt_i64_e64 s0, s[16:17], v[4:5]
	v_cmp_gt_i64_e64 s1, s[14:15], v[2:3]
	s_mul_i32 s2, s22, s18
	v_add_co_u32 v6, vcc_lo, v6, v8
	v_add_co_ci_u32_e64 v7, null, v7, v9, vcc_lo
	v_add3_u32 v11, v11, v14, v0
	v_add_co_u32 v6, vcc_lo, s10, v6
	v_add_co_ci_u32_e64 v7, null, s11, v7, vcc_lo
	v_lshlrev_b64 v[8:9], 2, v[10:11]
	v_add_co_u32 v10, vcc_lo, v10, v4
	v_add_co_ci_u32_e64 v11, null, 0, v11, vcc_lo
	s_lshl_b64 s[22:23], s[16:17], 2
	v_add_co_u32 v0, vcc_lo, v8, v12
	v_lshlrev_b64 v[10:11], 2, v[10:11]
	v_add_co_ci_u32_e64 v9, null, v9, v13, vcc_lo
	v_add_co_u32 v8, vcc_lo, s8, v0
	v_add_co_ci_u32_e64 v9, null, s9, v9, vcc_lo
	v_add_co_u32 v10, vcc_lo, s10, v10
	v_add_co_ci_u32_e64 v11, null, s11, v11, vcc_lo
	s_lshl_b64 s[8:9], s[2:3], 2
	s_lshl_b64 s[10:11], s[20:21], 2
	s_branch .LBB513_3
.LBB513_2:                              ;   in Loop: Header=BB513_3 Depth=1
	s_or_b32 exec_lo, exec_lo, s3
	s_add_u32 s6, s6, s18
	v_add_co_u32 v6, vcc_lo, v6, s8
	s_addc_u32 s7, s7, 0
	v_add_co_ci_u32_e64 v7, null, s9, v7, vcc_lo
	v_add_co_u32 v8, vcc_lo, v8, s8
	v_cmp_ge_i64_e64 s2, s[6:7], s[12:13]
	v_add_co_ci_u32_e64 v9, null, s9, v9, vcc_lo
	v_add_co_u32 v10, vcc_lo, v10, s8
	v_add_co_ci_u32_e64 v11, null, s9, v11, vcc_lo
	s_and_b32 vcc_lo, exec_lo, s2
	s_cbranch_vccnz .LBB513_36
.LBB513_3:                              ; =>This Loop Header: Depth=1
                                        ;     Child Loop BB513_7 Depth 2
                                        ;       Child Loop BB513_10 Depth 3
                                        ;       Child Loop BB513_12 Depth 3
	;; [unrolled: 1-line block ×8, first 2 shown]
	s_and_saveexec_b32 s3, s0
	s_cbranch_execz .LBB513_2
; %bb.4:                                ;   in Loop: Header=BB513_3 Depth=1
	s_load_dword s2, s[4:5], 0xc
	v_mov_b32_e32 v13, v11
	v_mov_b32_e32 v15, v9
	;; [unrolled: 1-line block ×8, first 2 shown]
	s_mov_b32 s28, 0
	s_waitcnt lgkmcnt(0)
	s_and_b32 s19, s2, 0xffff
	v_mul_u32_u24_e32 v0, s19, v1
	s_cmp_lt_u32 s19, 2
	s_mul_i32 s2, s23, s19
	s_mul_hi_u32 s24, s22, s19
	s_cselect_b32 s21, -1, 0
	v_lshl_add_u32 v0, v0, 2, 0
	s_add_i32 s26, s24, s2
	s_mul_i32 s27, s22, s19
	v_lshl_add_u32 v24, v2, 2, v0
	s_branch .LBB513_7
.LBB513_5:                              ;   in Loop: Header=BB513_7 Depth=2
	s_or_b32 exec_lo, exec_lo, s29
.LBB513_6:                              ;   in Loop: Header=BB513_7 Depth=2
	v_add_co_u32 v18, vcc_lo, v18, s20
	v_add_co_ci_u32_e64 v19, null, 0, v19, vcc_lo
	v_add_co_u32 v16, vcc_lo, v16, s10
	v_add_co_ci_u32_e64 v17, null, s11, v17, vcc_lo
	;; [unrolled: 2-line block ×3, first 2 shown]
	v_cmp_le_i64_e32 vcc_lo, s[16:17], v[18:19]
	v_add_co_u32 v12, s2, v12, s10
	v_add_co_ci_u32_e64 v13, null, s11, v13, s2
	s_or_b32 s28, vcc_lo, s28
	s_andn2_b32 exec_lo, exec_lo, s28
	s_cbranch_execz .LBB513_2
.LBB513_7:                              ;   Parent Loop BB513_3 Depth=1
                                        ; =>  This Loop Header: Depth=2
                                        ;       Child Loop BB513_10 Depth 3
                                        ;       Child Loop BB513_12 Depth 3
	;; [unrolled: 1-line block ×8, first 2 shown]
	s_and_b32 vcc_lo, exec_lo, s21
	s_mov_b32 s2, -1
	s_cbranch_vccz .LBB513_16
; %bb.8:                                ;   in Loop: Header=BB513_7 Depth=2
	s_and_saveexec_b32 s29, s1
	s_cbranch_execz .LBB513_15
; %bb.9:                                ;   in Loop: Header=BB513_7 Depth=2
	v_mov_b32_e32 v21, v17
	v_mov_b32_e32 v23, v3
	;; [unrolled: 1-line block ×5, first 2 shown]
	s_mov_b32 s24, 0
	.p2align	6
.LBB513_10:                             ;   Parent Loop BB513_3 Depth=1
                                        ;     Parent Loop BB513_7 Depth=2
                                        ; =>    This Inner Loop Header: Depth=3
	global_load_dword v26, v[20:21], off
	v_add_co_u32 v22, vcc_lo, v22, s19
	v_add_co_ci_u32_e64 v23, null, 0, v23, vcc_lo
	v_add_co_u32 v20, vcc_lo, v20, s27
	v_add_co_ci_u32_e64 v21, null, s26, v21, vcc_lo
	v_cmp_le_i64_e64 s2, s[14:15], v[22:23]
	s_or_b32 s24, s2, s24
	s_waitcnt vmcnt(0)
	v_cmp_lt_f32_e32 vcc_lo, v25, v26
	v_cndmask_b32_e32 v25, v25, v26, vcc_lo
	s_andn2_b32 exec_lo, exec_lo, s24
	s_cbranch_execnz .LBB513_10
; %bb.11:                               ;   in Loop: Header=BB513_7 Depth=2
	s_or_b32 exec_lo, exec_lo, s24
	v_mov_b32_e32 v21, v17
	v_mov_b32_e32 v23, v3
	;; [unrolled: 1-line block ×5, first 2 shown]
	s_mov_b32 s24, 0
	s_inst_prefetch 0x1
	.p2align	6
.LBB513_12:                             ;   Parent Loop BB513_3 Depth=1
                                        ;     Parent Loop BB513_7 Depth=2
                                        ; =>    This Inner Loop Header: Depth=3
	global_load_dword v27, v[20:21], off
	v_add_co_u32 v22, vcc_lo, v22, s19
	v_add_co_ci_u32_e64 v23, null, 0, v23, vcc_lo
	v_cmp_le_i64_e32 vcc_lo, s[14:15], v[22:23]
	s_or_b32 s24, vcc_lo, s24
	s_waitcnt vmcnt(0)
	v_sub_f32_e32 v27, v27, v25
	v_mul_f32_e32 v28, 0x3fb8aa3b, v27
	v_cmp_ngt_f32_e64 s2, 0xc2ce8ed0, v27
	v_fma_f32 v29, 0x3fb8aa3b, v27, -v28
	v_rndne_f32_e32 v30, v28
	v_fmac_f32_e32 v29, 0x32a5705f, v27
	v_sub_f32_e32 v28, v28, v30
	v_add_f32_e32 v28, v28, v29
	v_cvt_i32_f32_e32 v29, v30
	v_exp_f32_e32 v28, v28
	v_ldexp_f32 v28, v28, v29
	v_cndmask_b32_e64 v28, 0, v28, s2
	v_cmp_nlt_f32_e64 s2, 0x42b17218, v27
	v_cndmask_b32_e64 v27, 0x7f800000, v28, s2
	v_add_co_u32 v20, s2, v20, s27
	v_add_co_ci_u32_e64 v21, null, s26, v21, s2
	v_add_f32_e32 v26, v26, v27
	s_andn2_b32 exec_lo, exec_lo, s24
	s_cbranch_execnz .LBB513_12
; %bb.13:                               ;   in Loop: Header=BB513_7 Depth=2
	s_inst_prefetch 0x2
	s_or_b32 exec_lo, exec_lo, s24
	v_mov_b32_e32 v21, v3
	v_mov_b32_e32 v20, v2
	s_mov_b64 s[24:25], 0
	s_mov_b32 s30, 0
.LBB513_14:                             ;   Parent Loop BB513_3 Depth=1
                                        ;     Parent Loop BB513_7 Depth=2
                                        ; =>    This Inner Loop Header: Depth=3
	v_add_co_u32 v22, vcc_lo, v16, s24
	v_add_co_ci_u32_e64 v23, null, s25, v17, vcc_lo
	v_add_co_u32 v20, s2, v20, s19
	v_add_co_ci_u32_e64 v21, null, 0, v21, s2
	global_load_dword v22, v[22:23], off
	v_cmp_le_i64_e64 s2, s[14:15], v[20:21]
	s_waitcnt vmcnt(0)
	v_sub_f32_e32 v22, v22, v25
	v_mul_f32_e32 v23, 0x3fb8aa3b, v22
	v_cmp_ngt_f32_e32 vcc_lo, 0xc2ce8ed0, v22
	v_fma_f32 v27, 0x3fb8aa3b, v22, -v23
	v_rndne_f32_e32 v28, v23
	v_fmac_f32_e32 v27, 0x32a5705f, v22
	v_sub_f32_e32 v23, v23, v28
	v_add_f32_e32 v23, v23, v27
	v_cvt_i32_f32_e32 v27, v28
	v_exp_f32_e32 v23, v23
	v_ldexp_f32 v23, v23, v27
	v_cndmask_b32_e32 v23, 0, v23, vcc_lo
	v_cmp_nlt_f32_e32 vcc_lo, 0x42b17218, v22
	v_cndmask_b32_e32 v27, 0x7f800000, v23, vcc_lo
	v_div_scale_f32 v22, null, v26, v26, v27
	v_div_scale_f32 v29, vcc_lo, v27, v26, v27
	v_rcp_f32_e32 v23, v22
	v_fma_f32 v28, -v22, v23, 1.0
	v_fmac_f32_e32 v23, v28, v23
	v_mul_f32_e32 v28, v29, v23
	v_fma_f32 v30, -v22, v28, v29
	v_fmac_f32_e32 v28, v30, v23
	v_fma_f32 v22, -v22, v28, v29
	v_div_fmas_f32 v28, v22, v23, v28
	v_add_co_u32 v22, vcc_lo, v14, s24
	v_add_co_ci_u32_e64 v23, null, s25, v15, vcc_lo
	v_div_fixup_f32 v27, v28, v26, v27
	s_add_u32 s24, s24, s27
	s_addc_u32 s25, s25, s26
	s_or_b32 s30, s2, s30
	global_store_dword v[22:23], v27, off
	s_andn2_b32 exec_lo, exec_lo, s30
	s_cbranch_execnz .LBB513_14
.LBB513_15:                             ;   in Loop: Header=BB513_7 Depth=2
	s_or_b32 exec_lo, exec_lo, s29
	s_mov_b32 s2, 0
.LBB513_16:                             ;   in Loop: Header=BB513_7 Depth=2
	s_andn2_b32 vcc_lo, exec_lo, s2
	s_cbranch_vccnz .LBB513_6
; %bb.17:                               ;   in Loop: Header=BB513_7 Depth=2
	v_mov_b32_e32 v25, 0xff7fffff
	s_and_saveexec_b32 s24, s1
	s_cbranch_execz .LBB513_21
; %bb.18:                               ;   in Loop: Header=BB513_7 Depth=2
	v_mov_b32_e32 v21, v17
	v_mov_b32_e32 v23, v3
	v_mov_b32_e32 v25, 0xff7fffff
	v_mov_b32_e32 v20, v16
	v_mov_b32_e32 v22, v2
	s_mov_b32 s25, 0
	.p2align	6
.LBB513_19:                             ;   Parent Loop BB513_3 Depth=1
                                        ;     Parent Loop BB513_7 Depth=2
                                        ; =>    This Inner Loop Header: Depth=3
	global_load_dword v26, v[20:21], off
	v_add_co_u32 v22, vcc_lo, v22, s19
	v_add_co_ci_u32_e64 v23, null, 0, v23, vcc_lo
	v_add_co_u32 v20, vcc_lo, v20, s27
	v_add_co_ci_u32_e64 v21, null, s26, v21, vcc_lo
	v_cmp_le_i64_e64 s2, s[14:15], v[22:23]
	s_or_b32 s25, s2, s25
	s_waitcnt vmcnt(0)
	v_cmp_lt_f32_e32 vcc_lo, v25, v26
	v_cndmask_b32_e32 v25, v25, v26, vcc_lo
	s_andn2_b32 exec_lo, exec_lo, s25
	s_cbranch_execnz .LBB513_19
; %bb.20:                               ;   in Loop: Header=BB513_7 Depth=2
	s_or_b32 exec_lo, exec_lo, s25
.LBB513_21:                             ;   in Loop: Header=BB513_7 Depth=2
	s_or_b32 exec_lo, exec_lo, s24
	s_mov_b32 s2, s19
	s_waitcnt_vscnt null, 0x0
	s_barrier
	buffer_gl0_inv
	ds_write_b32 v24, v25
	s_branch .LBB513_23
	.p2align	6
.LBB513_22:                             ;   in Loop: Header=BB513_23 Depth=3
	s_or_b32 exec_lo, exec_lo, s25
	s_cmp_gt_u32 s2, 3
	s_mov_b32 s2, s24
	s_cbranch_scc0 .LBB513_25
.LBB513_23:                             ;   Parent Loop BB513_3 Depth=1
                                        ;     Parent Loop BB513_7 Depth=2
                                        ; =>    This Inner Loop Header: Depth=3
	s_lshr_b32 s24, s2, 1
	s_mov_b32 s25, exec_lo
	s_waitcnt lgkmcnt(0)
	s_barrier
	buffer_gl0_inv
	v_cmpx_gt_u32_e64 s24, v2
	s_cbranch_execz .LBB513_22
; %bb.24:                               ;   in Loop: Header=BB513_23 Depth=3
	v_lshl_add_u32 v20, s24, 2, v24
	ds_read_b32 v21, v24
	ds_read_b32 v20, v20
	s_waitcnt lgkmcnt(0)
	v_cmp_lt_f32_e32 vcc_lo, v21, v20
	v_cndmask_b32_e32 v20, v21, v20, vcc_lo
	ds_write_b32 v24, v20
	s_branch .LBB513_22
.LBB513_25:                             ;   in Loop: Header=BB513_7 Depth=2
	s_waitcnt lgkmcnt(0)
	s_barrier
	buffer_gl0_inv
	ds_read_b32 v25, v0
	v_mov_b32_e32 v26, 0
	s_and_saveexec_b32 s24, s1
	s_cbranch_execz .LBB513_29
; %bb.26:                               ;   in Loop: Header=BB513_7 Depth=2
	v_mov_b32_e32 v21, v17
	v_mov_b32_e32 v23, v3
	;; [unrolled: 1-line block ×5, first 2 shown]
	s_mov_b32 s25, 0
	s_inst_prefetch 0x1
	.p2align	6
.LBB513_27:                             ;   Parent Loop BB513_3 Depth=1
                                        ;     Parent Loop BB513_7 Depth=2
                                        ; =>    This Inner Loop Header: Depth=3
	global_load_dword v27, v[20:21], off
	v_add_co_u32 v22, vcc_lo, v22, s19
	v_add_co_ci_u32_e64 v23, null, 0, v23, vcc_lo
	v_cmp_le_i64_e32 vcc_lo, s[14:15], v[22:23]
	s_or_b32 s25, vcc_lo, s25
	s_waitcnt vmcnt(0) lgkmcnt(0)
	v_sub_f32_e32 v27, v27, v25
	v_mul_f32_e32 v28, 0x3fb8aa3b, v27
	v_cmp_ngt_f32_e64 s2, 0xc2ce8ed0, v27
	v_fma_f32 v29, 0x3fb8aa3b, v27, -v28
	v_rndne_f32_e32 v30, v28
	v_fmac_f32_e32 v29, 0x32a5705f, v27
	v_sub_f32_e32 v28, v28, v30
	v_add_f32_e32 v28, v28, v29
	v_cvt_i32_f32_e32 v29, v30
	v_exp_f32_e32 v28, v28
	v_ldexp_f32 v28, v28, v29
	v_cndmask_b32_e64 v28, 0, v28, s2
	v_cmp_nlt_f32_e64 s2, 0x42b17218, v27
	v_cndmask_b32_e64 v27, 0x7f800000, v28, s2
	v_add_co_u32 v20, s2, v20, s27
	v_add_co_ci_u32_e64 v21, null, s26, v21, s2
	v_add_f32_e32 v26, v26, v27
	s_andn2_b32 exec_lo, exec_lo, s25
	s_cbranch_execnz .LBB513_27
; %bb.28:                               ;   in Loop: Header=BB513_7 Depth=2
	s_inst_prefetch 0x2
	s_or_b32 exec_lo, exec_lo, s25
.LBB513_29:                             ;   in Loop: Header=BB513_7 Depth=2
	s_or_b32 exec_lo, exec_lo, s24
	s_mov_b32 s2, s19
	s_waitcnt lgkmcnt(0)
	s_barrier
	buffer_gl0_inv
	ds_write_b32 v24, v26
	s_branch .LBB513_31
	.p2align	6
.LBB513_30:                             ;   in Loop: Header=BB513_31 Depth=3
	s_or_b32 exec_lo, exec_lo, s25
	s_cmp_gt_u32 s2, 3
	s_mov_b32 s2, s24
	s_cbranch_scc0 .LBB513_33
.LBB513_31:                             ;   Parent Loop BB513_3 Depth=1
                                        ;     Parent Loop BB513_7 Depth=2
                                        ; =>    This Inner Loop Header: Depth=3
	s_lshr_b32 s24, s2, 1
	s_mov_b32 s25, exec_lo
	s_waitcnt lgkmcnt(0)
	s_barrier
	buffer_gl0_inv
	v_cmpx_gt_u32_e64 s24, v2
	s_cbranch_execz .LBB513_30
; %bb.32:                               ;   in Loop: Header=BB513_31 Depth=3
	v_lshl_add_u32 v20, s24, 2, v24
	ds_read_b32 v21, v24
	ds_read_b32 v20, v20
	s_waitcnt lgkmcnt(0)
	v_add_f32_e32 v20, v21, v20
	ds_write_b32 v24, v20
	s_branch .LBB513_30
.LBB513_33:                             ;   in Loop: Header=BB513_7 Depth=2
	s_waitcnt lgkmcnt(0)
	s_barrier
	buffer_gl0_inv
	s_and_saveexec_b32 s29, s1
	s_cbranch_execz .LBB513_5
; %bb.34:                               ;   in Loop: Header=BB513_7 Depth=2
	ds_read_b32 v22, v0
	v_mov_b32_e32 v21, v3
	v_mov_b32_e32 v20, v2
	s_mov_b64 s[24:25], 0
	s_mov_b32 s30, 0
.LBB513_35:                             ;   Parent Loop BB513_3 Depth=1
                                        ;     Parent Loop BB513_7 Depth=2
                                        ; =>    This Inner Loop Header: Depth=3
	v_add_co_u32 v26, vcc_lo, v12, s24
	v_add_co_ci_u32_e64 v27, null, s25, v13, vcc_lo
	v_add_co_u32 v20, s2, v20, s19
	v_add_co_ci_u32_e64 v21, null, 0, v21, s2
	global_load_dword v23, v[26:27], off
	v_cmp_le_i64_e64 s2, s[14:15], v[20:21]
	s_waitcnt vmcnt(0)
	v_sub_f32_e32 v23, v23, v25
	v_mul_f32_e32 v26, 0x3fb8aa3b, v23
	v_cmp_ngt_f32_e32 vcc_lo, 0xc2ce8ed0, v23
	v_fma_f32 v27, 0x3fb8aa3b, v23, -v26
	v_rndne_f32_e32 v28, v26
	v_fmac_f32_e32 v27, 0x32a5705f, v23
	v_sub_f32_e32 v26, v26, v28
	v_add_f32_e32 v26, v26, v27
	v_cvt_i32_f32_e32 v27, v28
	v_exp_f32_e32 v26, v26
	v_ldexp_f32 v26, v26, v27
	v_cndmask_b32_e32 v26, 0, v26, vcc_lo
	v_cmp_nlt_f32_e32 vcc_lo, 0x42b17218, v23
	v_cndmask_b32_e32 v23, 0x7f800000, v26, vcc_lo
	s_waitcnt lgkmcnt(0)
	v_div_scale_f32 v26, null, v22, v22, v23
	v_div_scale_f32 v29, vcc_lo, v23, v22, v23
	v_rcp_f32_e32 v27, v26
	v_fma_f32 v28, -v26, v27, 1.0
	v_fmac_f32_e32 v27, v28, v27
	v_mul_f32_e32 v28, v29, v27
	v_fma_f32 v30, -v26, v28, v29
	v_fmac_f32_e32 v28, v30, v27
	v_fma_f32 v26, -v26, v28, v29
	v_div_fmas_f32 v28, v26, v27, v28
	v_add_co_u32 v26, vcc_lo, v14, s24
	v_add_co_ci_u32_e64 v27, null, s25, v15, vcc_lo
	v_div_fixup_f32 v23, v28, v22, v23
	s_add_u32 s24, s24, s27
	s_addc_u32 s25, s25, s26
	s_or_b32 s30, s2, s30
	global_store_dword v[26:27], v23, off
	s_andn2_b32 exec_lo, exec_lo, s30
	s_cbranch_execnz .LBB513_35
	s_branch .LBB513_5
.LBB513_36:
	s_endpgm
	.section	.rodata,"a",@progbits
	.p2align	6, 0x0
	.amdhsa_kernel _ZN2at6native12_GLOBAL__N_126cunn_SpatialSoftMaxForwardIffflNS1_22SoftMaxForwardEpilogueEEEvPT1_PKT_T2_S9_S9_
		.amdhsa_group_segment_fixed_size 0
		.amdhsa_private_segment_fixed_size 0
		.amdhsa_kernarg_size 296
		.amdhsa_user_sgpr_count 6
		.amdhsa_user_sgpr_private_segment_buffer 1
		.amdhsa_user_sgpr_dispatch_ptr 0
		.amdhsa_user_sgpr_queue_ptr 0
		.amdhsa_user_sgpr_kernarg_segment_ptr 1
		.amdhsa_user_sgpr_dispatch_id 0
		.amdhsa_user_sgpr_flat_scratch_init 0
		.amdhsa_user_sgpr_private_segment_size 0
		.amdhsa_wavefront_size32 1
		.amdhsa_uses_dynamic_stack 0
		.amdhsa_system_sgpr_private_segment_wavefront_offset 0
		.amdhsa_system_sgpr_workgroup_id_x 1
		.amdhsa_system_sgpr_workgroup_id_y 1
		.amdhsa_system_sgpr_workgroup_id_z 0
		.amdhsa_system_sgpr_workgroup_info 0
		.amdhsa_system_vgpr_workitem_id 1
		.amdhsa_next_free_vgpr 31
		.amdhsa_next_free_sgpr 31
		.amdhsa_reserve_vcc 1
		.amdhsa_reserve_flat_scratch 0
		.amdhsa_float_round_mode_32 0
		.amdhsa_float_round_mode_16_64 0
		.amdhsa_float_denorm_mode_32 3
		.amdhsa_float_denorm_mode_16_64 3
		.amdhsa_dx10_clamp 1
		.amdhsa_ieee_mode 1
		.amdhsa_fp16_overflow 0
		.amdhsa_workgroup_processor_mode 1
		.amdhsa_memory_ordered 1
		.amdhsa_forward_progress 1
		.amdhsa_shared_vgpr_count 0
		.amdhsa_exception_fp_ieee_invalid_op 0
		.amdhsa_exception_fp_denorm_src 0
		.amdhsa_exception_fp_ieee_div_zero 0
		.amdhsa_exception_fp_ieee_overflow 0
		.amdhsa_exception_fp_ieee_underflow 0
		.amdhsa_exception_fp_ieee_inexact 0
		.amdhsa_exception_int_div_zero 0
	.end_amdhsa_kernel
	.section	.text._ZN2at6native12_GLOBAL__N_126cunn_SpatialSoftMaxForwardIffflNS1_22SoftMaxForwardEpilogueEEEvPT1_PKT_T2_S9_S9_,"axG",@progbits,_ZN2at6native12_GLOBAL__N_126cunn_SpatialSoftMaxForwardIffflNS1_22SoftMaxForwardEpilogueEEEvPT1_PKT_T2_S9_S9_,comdat
.Lfunc_end513:
	.size	_ZN2at6native12_GLOBAL__N_126cunn_SpatialSoftMaxForwardIffflNS1_22SoftMaxForwardEpilogueEEEvPT1_PKT_T2_S9_S9_, .Lfunc_end513-_ZN2at6native12_GLOBAL__N_126cunn_SpatialSoftMaxForwardIffflNS1_22SoftMaxForwardEpilogueEEEvPT1_PKT_T2_S9_S9_
                                        ; -- End function
	.set _ZN2at6native12_GLOBAL__N_126cunn_SpatialSoftMaxForwardIffflNS1_22SoftMaxForwardEpilogueEEEvPT1_PKT_T2_S9_S9_.num_vgpr, 31
	.set _ZN2at6native12_GLOBAL__N_126cunn_SpatialSoftMaxForwardIffflNS1_22SoftMaxForwardEpilogueEEEvPT1_PKT_T2_S9_S9_.num_agpr, 0
	.set _ZN2at6native12_GLOBAL__N_126cunn_SpatialSoftMaxForwardIffflNS1_22SoftMaxForwardEpilogueEEEvPT1_PKT_T2_S9_S9_.numbered_sgpr, 31
	.set _ZN2at6native12_GLOBAL__N_126cunn_SpatialSoftMaxForwardIffflNS1_22SoftMaxForwardEpilogueEEEvPT1_PKT_T2_S9_S9_.num_named_barrier, 0
	.set _ZN2at6native12_GLOBAL__N_126cunn_SpatialSoftMaxForwardIffflNS1_22SoftMaxForwardEpilogueEEEvPT1_PKT_T2_S9_S9_.private_seg_size, 0
	.set _ZN2at6native12_GLOBAL__N_126cunn_SpatialSoftMaxForwardIffflNS1_22SoftMaxForwardEpilogueEEEvPT1_PKT_T2_S9_S9_.uses_vcc, 1
	.set _ZN2at6native12_GLOBAL__N_126cunn_SpatialSoftMaxForwardIffflNS1_22SoftMaxForwardEpilogueEEEvPT1_PKT_T2_S9_S9_.uses_flat_scratch, 0
	.set _ZN2at6native12_GLOBAL__N_126cunn_SpatialSoftMaxForwardIffflNS1_22SoftMaxForwardEpilogueEEEvPT1_PKT_T2_S9_S9_.has_dyn_sized_stack, 0
	.set _ZN2at6native12_GLOBAL__N_126cunn_SpatialSoftMaxForwardIffflNS1_22SoftMaxForwardEpilogueEEEvPT1_PKT_T2_S9_S9_.has_recursion, 0
	.set _ZN2at6native12_GLOBAL__N_126cunn_SpatialSoftMaxForwardIffflNS1_22SoftMaxForwardEpilogueEEEvPT1_PKT_T2_S9_S9_.has_indirect_call, 0
	.section	.AMDGPU.csdata,"",@progbits
; Kernel info:
; codeLenInByte = 2396
; TotalNumSgprs: 33
; NumVgprs: 31
; ScratchSize: 0
; MemoryBound: 0
; FloatMode: 240
; IeeeMode: 1
; LDSByteSize: 0 bytes/workgroup (compile time only)
; SGPRBlocks: 0
; VGPRBlocks: 3
; NumSGPRsForWavesPerEU: 33
; NumVGPRsForWavesPerEU: 31
; Occupancy: 16
; WaveLimiterHint : 0
; COMPUTE_PGM_RSRC2:SCRATCH_EN: 0
; COMPUTE_PGM_RSRC2:USER_SGPR: 6
; COMPUTE_PGM_RSRC2:TRAP_HANDLER: 0
; COMPUTE_PGM_RSRC2:TGID_X_EN: 1
; COMPUTE_PGM_RSRC2:TGID_Y_EN: 1
; COMPUTE_PGM_RSRC2:TGID_Z_EN: 0
; COMPUTE_PGM_RSRC2:TIDIG_COMP_CNT: 1
	.section	.text._ZN2at6native12_GLOBAL__N_126cunn_SpatialSoftMaxForwardIN3c104HalfEfS4_iNS1_22SoftMaxForwardEpilogueEEEvPT1_PKT_T2_SB_SB_,"axG",@progbits,_ZN2at6native12_GLOBAL__N_126cunn_SpatialSoftMaxForwardIN3c104HalfEfS4_iNS1_22SoftMaxForwardEpilogueEEEvPT1_PKT_T2_SB_SB_,comdat
	.globl	_ZN2at6native12_GLOBAL__N_126cunn_SpatialSoftMaxForwardIN3c104HalfEfS4_iNS1_22SoftMaxForwardEpilogueEEEvPT1_PKT_T2_SB_SB_ ; -- Begin function _ZN2at6native12_GLOBAL__N_126cunn_SpatialSoftMaxForwardIN3c104HalfEfS4_iNS1_22SoftMaxForwardEpilogueEEEvPT1_PKT_T2_SB_SB_
	.p2align	8
	.type	_ZN2at6native12_GLOBAL__N_126cunn_SpatialSoftMaxForwardIN3c104HalfEfS4_iNS1_22SoftMaxForwardEpilogueEEEvPT1_PKT_T2_SB_SB_,@function
_ZN2at6native12_GLOBAL__N_126cunn_SpatialSoftMaxForwardIN3c104HalfEfS4_iNS1_22SoftMaxForwardEpilogueEEEvPT1_PKT_T2_SB_SB_: ; @_ZN2at6native12_GLOBAL__N_126cunn_SpatialSoftMaxForwardIN3c104HalfEfS4_iNS1_22SoftMaxForwardEpilogueEEEvPT1_PKT_T2_SB_SB_
; %bb.0:
	s_load_dwordx4 s[8:11], s[4:5], 0x10
	s_waitcnt lgkmcnt(0)
	s_cmp_ge_i32 s6, s8
	s_cbranch_scc1 .LBB514_36
; %bb.1:
	s_clause 0x1
	s_load_dword s0, s[4:5], 0x2c
	s_load_dwordx2 s[16:17], s[4:5], 0x20
	v_mad_u64_u32 v[2:3], null, s6, s9, v[0:1]
	s_load_dwordx4 s[12:15], s[4:5], 0x0
	s_add_u32 s4, s4, 32
	s_addc_u32 s5, s5, 0
	v_mul_lo_u32 v2, s10, v2
	s_waitcnt lgkmcnt(0)
	s_lshr_b32 s2, s0, 16
	v_cmp_gt_i32_e64 s0, s9, v0
	s_mul_i32 s7, s7, s2
	s_mul_i32 s3, s17, s2
	v_add_nc_u32_e32 v4, s7, v1
	v_add3_u32 v5, v1, v2, s7
	s_mul_i32 s7, s16, s10
	s_mul_i32 s7, s7, s9
	v_cmp_gt_i32_e64 s1, s10, v4
	s_branch .LBB514_3
.LBB514_2:                              ;   in Loop: Header=BB514_3 Depth=1
	s_or_b32 exec_lo, exec_lo, s11
	v_add_nc_u32_e32 v5, s7, v5
	s_add_i32 s6, s16, s6
	s_cmp_ge_i32 s6, s8
	s_cbranch_scc1 .LBB514_36
.LBB514_3:                              ; =>This Loop Header: Depth=1
                                        ;     Child Loop BB514_7 Depth 2
                                        ;       Child Loop BB514_10 Depth 3
                                        ;       Child Loop BB514_12 Depth 3
	;; [unrolled: 1-line block ×8, first 2 shown]
	s_and_saveexec_b32 s11, s1
	s_cbranch_execz .LBB514_2
; %bb.4:                                ;   in Loop: Header=BB514_3 Depth=1
	s_load_dword s2, s[4:5], 0xc
	v_mov_b32_e32 v7, v5
	v_mov_b32_e32 v9, v4
	s_mov_b32 s20, 0
	s_waitcnt lgkmcnt(0)
	s_and_b32 s17, s2, 0xffff
	v_mul_u32_u24_e32 v2, s17, v1
	s_cmp_lt_u32 s17, 2
	s_mul_i32 s19, s10, s17
	s_cselect_b32 s18, -1, 0
	v_lshl_add_u32 v6, v2, 2, 0
	v_lshl_add_u32 v8, v0, 2, v6
	s_branch .LBB514_7
.LBB514_5:                              ;   in Loop: Header=BB514_7 Depth=2
	s_or_b32 exec_lo, exec_lo, s21
.LBB514_6:                              ;   in Loop: Header=BB514_7 Depth=2
	v_add_nc_u32_e32 v9, s3, v9
	v_add_nc_u32_e32 v7, s3, v7
	v_cmp_le_i32_e32 vcc_lo, s10, v9
	s_or_b32 s20, vcc_lo, s20
	s_andn2_b32 exec_lo, exec_lo, s20
	s_cbranch_execz .LBB514_2
.LBB514_7:                              ;   Parent Loop BB514_3 Depth=1
                                        ; =>  This Loop Header: Depth=2
                                        ;       Child Loop BB514_10 Depth 3
                                        ;       Child Loop BB514_12 Depth 3
	;; [unrolled: 1-line block ×8, first 2 shown]
	s_and_b32 vcc_lo, exec_lo, s18
	s_mov_b32 s2, -1
	s_cbranch_vccz .LBB514_16
; %bb.8:                                ;   in Loop: Header=BB514_7 Depth=2
	s_and_saveexec_b32 s21, s0
	s_cbranch_execz .LBB514_15
; %bb.9:                                ;   in Loop: Header=BB514_7 Depth=2
	v_mov_b32_e32 v10, 0xff7fffff
	v_mov_b32_e32 v2, v7
	;; [unrolled: 1-line block ×3, first 2 shown]
	s_mov_b32 s22, 0
	.p2align	6
.LBB514_10:                             ;   Parent Loop BB514_3 Depth=1
                                        ;     Parent Loop BB514_7 Depth=2
                                        ; =>    This Inner Loop Header: Depth=3
	v_ashrrev_i32_e32 v3, 31, v2
	v_add_nc_u32_e32 v11, s17, v11
	v_lshlrev_b64 v[12:13], 1, v[2:3]
	v_add_nc_u32_e32 v2, s19, v2
	v_add_co_u32 v12, vcc_lo, s14, v12
	v_add_co_ci_u32_e64 v13, null, s15, v13, vcc_lo
	v_cmp_le_i32_e32 vcc_lo, s9, v11
	global_load_ushort v3, v[12:13], off
	s_or_b32 s22, vcc_lo, s22
	s_waitcnt vmcnt(0)
	v_cvt_f32_f16_e32 v3, v3
	v_cmp_lt_f32_e64 s2, v10, v3
	v_cndmask_b32_e64 v10, v10, v3, s2
	s_andn2_b32 exec_lo, exec_lo, s22
	s_cbranch_execnz .LBB514_10
; %bb.11:                               ;   in Loop: Header=BB514_7 Depth=2
	s_or_b32 exec_lo, exec_lo, s22
	v_mov_b32_e32 v11, 0
	v_mov_b32_e32 v2, v7
	;; [unrolled: 1-line block ×3, first 2 shown]
	s_mov_b32 s2, 0
	s_inst_prefetch 0x1
	.p2align	6
.LBB514_12:                             ;   Parent Loop BB514_3 Depth=1
                                        ;     Parent Loop BB514_7 Depth=2
                                        ; =>    This Inner Loop Header: Depth=3
	v_ashrrev_i32_e32 v3, 31, v2
	v_add_nc_u32_e32 v12, s17, v12
	v_lshlrev_b64 v[13:14], 1, v[2:3]
	v_add_nc_u32_e32 v2, s19, v2
	v_add_co_u32 v13, vcc_lo, s14, v13
	v_add_co_ci_u32_e64 v14, null, s15, v14, vcc_lo
	global_load_ushort v3, v[13:14], off
	s_waitcnt vmcnt(0)
	v_cvt_f32_f16_e32 v3, v3
	v_sub_f32_e32 v3, v3, v10
	v_mul_f32_e32 v13, 0x3fb8aa3b, v3
	v_cmp_ngt_f32_e32 vcc_lo, 0xc2ce8ed0, v3
	v_fma_f32 v14, 0x3fb8aa3b, v3, -v13
	v_rndne_f32_e32 v15, v13
	v_fmac_f32_e32 v14, 0x32a5705f, v3
	v_sub_f32_e32 v13, v13, v15
	v_add_f32_e32 v13, v13, v14
	v_cvt_i32_f32_e32 v14, v15
	v_exp_f32_e32 v13, v13
	v_ldexp_f32 v13, v13, v14
	v_cndmask_b32_e32 v13, 0, v13, vcc_lo
	v_cmp_nlt_f32_e32 vcc_lo, 0x42b17218, v3
	v_cndmask_b32_e32 v3, 0x7f800000, v13, vcc_lo
	v_cmp_le_i32_e32 vcc_lo, s9, v12
	v_add_f32_e32 v11, v11, v3
	s_or_b32 s2, vcc_lo, s2
	s_andn2_b32 exec_lo, exec_lo, s2
	s_cbranch_execnz .LBB514_12
; %bb.13:                               ;   in Loop: Header=BB514_7 Depth=2
	s_inst_prefetch 0x2
	s_or_b32 exec_lo, exec_lo, s2
	v_mov_b32_e32 v2, v7
	v_mov_b32_e32 v12, v0
	s_mov_b32 s22, 0
.LBB514_14:                             ;   Parent Loop BB514_3 Depth=1
                                        ;     Parent Loop BB514_7 Depth=2
                                        ; =>    This Inner Loop Header: Depth=3
	v_ashrrev_i32_e32 v3, 31, v2
	v_add_nc_u32_e32 v12, s17, v12
	v_lshlrev_b64 v[13:14], 1, v[2:3]
	v_add_nc_u32_e32 v2, s19, v2
	v_add_co_u32 v15, vcc_lo, s14, v13
	v_add_co_ci_u32_e64 v16, null, s15, v14, vcc_lo
	v_add_co_u32 v13, s2, s12, v13
	v_add_co_ci_u32_e64 v14, null, s13, v14, s2
	global_load_ushort v3, v[15:16], off
	s_waitcnt vmcnt(0)
	v_cvt_f32_f16_e32 v3, v3
	v_sub_f32_e32 v3, v3, v10
	v_mul_f32_e32 v15, 0x3fb8aa3b, v3
	v_cmp_ngt_f32_e32 vcc_lo, 0xc2ce8ed0, v3
	v_fma_f32 v16, 0x3fb8aa3b, v3, -v15
	v_rndne_f32_e32 v17, v15
	v_fmac_f32_e32 v16, 0x32a5705f, v3
	v_sub_f32_e32 v15, v15, v17
	v_add_f32_e32 v15, v15, v16
	v_cvt_i32_f32_e32 v16, v17
	v_exp_f32_e32 v15, v15
	v_ldexp_f32 v15, v15, v16
	v_cndmask_b32_e32 v15, 0, v15, vcc_lo
	v_cmp_nlt_f32_e32 vcc_lo, 0x42b17218, v3
	v_cndmask_b32_e32 v3, 0x7f800000, v15, vcc_lo
	v_div_scale_f32 v15, null, v11, v11, v3
	v_div_scale_f32 v18, vcc_lo, v3, v11, v3
	v_rcp_f32_e32 v16, v15
	v_fma_f32 v17, -v15, v16, 1.0
	v_fmac_f32_e32 v16, v17, v16
	v_mul_f32_e32 v17, v18, v16
	v_fma_f32 v19, -v15, v17, v18
	v_fmac_f32_e32 v17, v19, v16
	v_fma_f32 v15, -v15, v17, v18
	v_div_fmas_f32 v15, v15, v16, v17
	v_cmp_le_i32_e32 vcc_lo, s9, v12
	v_div_fixup_f32 v3, v15, v11, v3
	s_or_b32 s22, vcc_lo, s22
	v_cvt_f16_f32_e32 v3, v3
	global_store_short v[13:14], v3, off
	s_andn2_b32 exec_lo, exec_lo, s22
	s_cbranch_execnz .LBB514_14
.LBB514_15:                             ;   in Loop: Header=BB514_7 Depth=2
	s_or_b32 exec_lo, exec_lo, s21
	s_mov_b32 s2, 0
.LBB514_16:                             ;   in Loop: Header=BB514_7 Depth=2
	s_andn2_b32 vcc_lo, exec_lo, s2
	s_cbranch_vccnz .LBB514_6
; %bb.17:                               ;   in Loop: Header=BB514_7 Depth=2
	v_mov_b32_e32 v10, 0xff7fffff
	s_and_saveexec_b32 s21, s0
	s_cbranch_execz .LBB514_21
; %bb.18:                               ;   in Loop: Header=BB514_7 Depth=2
	v_mov_b32_e32 v10, 0xff7fffff
	v_mov_b32_e32 v2, v7
	;; [unrolled: 1-line block ×3, first 2 shown]
	s_mov_b32 s22, 0
	.p2align	6
.LBB514_19:                             ;   Parent Loop BB514_3 Depth=1
                                        ;     Parent Loop BB514_7 Depth=2
                                        ; =>    This Inner Loop Header: Depth=3
	v_ashrrev_i32_e32 v3, 31, v2
	v_add_nc_u32_e32 v11, s17, v11
	v_lshlrev_b64 v[12:13], 1, v[2:3]
	v_add_nc_u32_e32 v2, s19, v2
	v_add_co_u32 v12, vcc_lo, s14, v12
	v_add_co_ci_u32_e64 v13, null, s15, v13, vcc_lo
	v_cmp_le_i32_e32 vcc_lo, s9, v11
	global_load_ushort v3, v[12:13], off
	s_or_b32 s22, vcc_lo, s22
	s_waitcnt vmcnt(0)
	v_cvt_f32_f16_e32 v3, v3
	v_cmp_lt_f32_e64 s2, v10, v3
	v_cndmask_b32_e64 v10, v10, v3, s2
	s_andn2_b32 exec_lo, exec_lo, s22
	s_cbranch_execnz .LBB514_19
; %bb.20:                               ;   in Loop: Header=BB514_7 Depth=2
	s_or_b32 exec_lo, exec_lo, s22
.LBB514_21:                             ;   in Loop: Header=BB514_7 Depth=2
	s_or_b32 exec_lo, exec_lo, s21
	s_mov_b32 s2, s17
	s_waitcnt_vscnt null, 0x0
	s_barrier
	buffer_gl0_inv
	ds_write_b32 v8, v10
	s_branch .LBB514_23
	.p2align	6
.LBB514_22:                             ;   in Loop: Header=BB514_23 Depth=3
	s_or_b32 exec_lo, exec_lo, s22
	s_cmp_gt_u32 s2, 3
	s_mov_b32 s2, s21
	s_cbranch_scc0 .LBB514_25
.LBB514_23:                             ;   Parent Loop BB514_3 Depth=1
                                        ;     Parent Loop BB514_7 Depth=2
                                        ; =>    This Inner Loop Header: Depth=3
	s_lshr_b32 s21, s2, 1
	s_mov_b32 s22, exec_lo
	s_waitcnt lgkmcnt(0)
	s_barrier
	buffer_gl0_inv
	v_cmpx_gt_u32_e64 s21, v0
	s_cbranch_execz .LBB514_22
; %bb.24:                               ;   in Loop: Header=BB514_23 Depth=3
	v_lshl_add_u32 v2, s21, 2, v8
	ds_read_b32 v3, v8
	ds_read_b32 v2, v2
	s_waitcnt lgkmcnt(0)
	v_cmp_lt_f32_e32 vcc_lo, v3, v2
	v_cndmask_b32_e32 v2, v3, v2, vcc_lo
	ds_write_b32 v8, v2
	s_branch .LBB514_22
.LBB514_25:                             ;   in Loop: Header=BB514_7 Depth=2
	s_waitcnt lgkmcnt(0)
	s_barrier
	buffer_gl0_inv
	ds_read_b32 v10, v6
	v_mov_b32_e32 v11, 0
	s_and_saveexec_b32 s2, s0
	s_cbranch_execz .LBB514_29
; %bb.26:                               ;   in Loop: Header=BB514_7 Depth=2
	v_mov_b32_e32 v11, 0
	v_mov_b32_e32 v2, v7
	;; [unrolled: 1-line block ×3, first 2 shown]
	s_mov_b32 s21, 0
	s_inst_prefetch 0x1
	.p2align	6
.LBB514_27:                             ;   Parent Loop BB514_3 Depth=1
                                        ;     Parent Loop BB514_7 Depth=2
                                        ; =>    This Inner Loop Header: Depth=3
	v_ashrrev_i32_e32 v3, 31, v2
	v_add_nc_u32_e32 v12, s17, v12
	v_lshlrev_b64 v[13:14], 1, v[2:3]
	v_add_nc_u32_e32 v2, s19, v2
	v_add_co_u32 v13, vcc_lo, s14, v13
	v_add_co_ci_u32_e64 v14, null, s15, v14, vcc_lo
	global_load_ushort v3, v[13:14], off
	s_waitcnt vmcnt(0)
	v_cvt_f32_f16_e32 v3, v3
	s_waitcnt lgkmcnt(0)
	v_sub_f32_e32 v3, v3, v10
	v_mul_f32_e32 v13, 0x3fb8aa3b, v3
	v_cmp_ngt_f32_e32 vcc_lo, 0xc2ce8ed0, v3
	v_fma_f32 v14, 0x3fb8aa3b, v3, -v13
	v_rndne_f32_e32 v15, v13
	v_fmac_f32_e32 v14, 0x32a5705f, v3
	v_sub_f32_e32 v13, v13, v15
	v_add_f32_e32 v13, v13, v14
	v_cvt_i32_f32_e32 v14, v15
	v_exp_f32_e32 v13, v13
	v_ldexp_f32 v13, v13, v14
	v_cndmask_b32_e32 v13, 0, v13, vcc_lo
	v_cmp_nlt_f32_e32 vcc_lo, 0x42b17218, v3
	v_cndmask_b32_e32 v3, 0x7f800000, v13, vcc_lo
	v_cmp_le_i32_e32 vcc_lo, s9, v12
	v_add_f32_e32 v11, v11, v3
	s_or_b32 s21, vcc_lo, s21
	s_andn2_b32 exec_lo, exec_lo, s21
	s_cbranch_execnz .LBB514_27
; %bb.28:                               ;   in Loop: Header=BB514_7 Depth=2
	s_inst_prefetch 0x2
	s_or_b32 exec_lo, exec_lo, s21
.LBB514_29:                             ;   in Loop: Header=BB514_7 Depth=2
	s_or_b32 exec_lo, exec_lo, s2
	s_mov_b32 s2, s17
	s_waitcnt lgkmcnt(0)
	s_barrier
	buffer_gl0_inv
	ds_write_b32 v8, v11
	s_branch .LBB514_31
	.p2align	6
.LBB514_30:                             ;   in Loop: Header=BB514_31 Depth=3
	s_or_b32 exec_lo, exec_lo, s22
	s_cmp_gt_u32 s2, 3
	s_mov_b32 s2, s21
	s_cbranch_scc0 .LBB514_33
.LBB514_31:                             ;   Parent Loop BB514_3 Depth=1
                                        ;     Parent Loop BB514_7 Depth=2
                                        ; =>    This Inner Loop Header: Depth=3
	s_lshr_b32 s21, s2, 1
	s_mov_b32 s22, exec_lo
	s_waitcnt lgkmcnt(0)
	s_barrier
	buffer_gl0_inv
	v_cmpx_gt_u32_e64 s21, v0
	s_cbranch_execz .LBB514_30
; %bb.32:                               ;   in Loop: Header=BB514_31 Depth=3
	v_lshl_add_u32 v2, s21, 2, v8
	ds_read_b32 v3, v8
	ds_read_b32 v2, v2
	s_waitcnt lgkmcnt(0)
	v_add_f32_e32 v2, v3, v2
	ds_write_b32 v8, v2
	s_branch .LBB514_30
.LBB514_33:                             ;   in Loop: Header=BB514_7 Depth=2
	s_waitcnt lgkmcnt(0)
	s_barrier
	buffer_gl0_inv
	s_and_saveexec_b32 s21, s0
	s_cbranch_execz .LBB514_5
; %bb.34:                               ;   in Loop: Header=BB514_7 Depth=2
	ds_read_b32 v11, v6
	v_mov_b32_e32 v2, v7
	v_mov_b32_e32 v12, v0
	s_mov_b32 s22, 0
.LBB514_35:                             ;   Parent Loop BB514_3 Depth=1
                                        ;     Parent Loop BB514_7 Depth=2
                                        ; =>    This Inner Loop Header: Depth=3
	v_ashrrev_i32_e32 v3, 31, v2
	v_add_nc_u32_e32 v12, s17, v12
	v_lshlrev_b64 v[13:14], 1, v[2:3]
	v_add_nc_u32_e32 v2, s19, v2
	v_add_co_u32 v15, vcc_lo, s14, v13
	v_add_co_ci_u32_e64 v16, null, s15, v14, vcc_lo
	v_add_co_u32 v13, s2, s12, v13
	v_add_co_ci_u32_e64 v14, null, s13, v14, s2
	global_load_ushort v3, v[15:16], off
	s_waitcnt vmcnt(0)
	v_cvt_f32_f16_e32 v3, v3
	v_sub_f32_e32 v3, v3, v10
	v_mul_f32_e32 v15, 0x3fb8aa3b, v3
	v_cmp_ngt_f32_e32 vcc_lo, 0xc2ce8ed0, v3
	v_fma_f32 v16, 0x3fb8aa3b, v3, -v15
	v_rndne_f32_e32 v17, v15
	v_fmac_f32_e32 v16, 0x32a5705f, v3
	v_sub_f32_e32 v15, v15, v17
	v_add_f32_e32 v15, v15, v16
	v_cvt_i32_f32_e32 v16, v17
	v_exp_f32_e32 v15, v15
	v_ldexp_f32 v15, v15, v16
	v_cndmask_b32_e32 v15, 0, v15, vcc_lo
	v_cmp_nlt_f32_e32 vcc_lo, 0x42b17218, v3
	v_cndmask_b32_e32 v3, 0x7f800000, v15, vcc_lo
	s_waitcnt lgkmcnt(0)
	v_div_scale_f32 v15, null, v11, v11, v3
	v_div_scale_f32 v18, vcc_lo, v3, v11, v3
	v_rcp_f32_e32 v16, v15
	v_fma_f32 v17, -v15, v16, 1.0
	v_fmac_f32_e32 v16, v17, v16
	v_mul_f32_e32 v17, v18, v16
	v_fma_f32 v19, -v15, v17, v18
	v_fmac_f32_e32 v17, v19, v16
	v_fma_f32 v15, -v15, v17, v18
	v_div_fmas_f32 v15, v15, v16, v17
	v_cmp_le_i32_e32 vcc_lo, s9, v12
	v_div_fixup_f32 v3, v15, v11, v3
	s_or_b32 s22, vcc_lo, s22
	v_cvt_f16_f32_e32 v3, v3
	global_store_short v[13:14], v3, off
	s_andn2_b32 exec_lo, exec_lo, s22
	s_cbranch_execnz .LBB514_35
	s_branch .LBB514_5
.LBB514_36:
	s_endpgm
	.section	.rodata,"a",@progbits
	.p2align	6, 0x0
	.amdhsa_kernel _ZN2at6native12_GLOBAL__N_126cunn_SpatialSoftMaxForwardIN3c104HalfEfS4_iNS1_22SoftMaxForwardEpilogueEEEvPT1_PKT_T2_SB_SB_
		.amdhsa_group_segment_fixed_size 0
		.amdhsa_private_segment_fixed_size 0
		.amdhsa_kernarg_size 288
		.amdhsa_user_sgpr_count 6
		.amdhsa_user_sgpr_private_segment_buffer 1
		.amdhsa_user_sgpr_dispatch_ptr 0
		.amdhsa_user_sgpr_queue_ptr 0
		.amdhsa_user_sgpr_kernarg_segment_ptr 1
		.amdhsa_user_sgpr_dispatch_id 0
		.amdhsa_user_sgpr_flat_scratch_init 0
		.amdhsa_user_sgpr_private_segment_size 0
		.amdhsa_wavefront_size32 1
		.amdhsa_uses_dynamic_stack 0
		.amdhsa_system_sgpr_private_segment_wavefront_offset 0
		.amdhsa_system_sgpr_workgroup_id_x 1
		.amdhsa_system_sgpr_workgroup_id_y 1
		.amdhsa_system_sgpr_workgroup_id_z 0
		.amdhsa_system_sgpr_workgroup_info 0
		.amdhsa_system_vgpr_workitem_id 1
		.amdhsa_next_free_vgpr 20
		.amdhsa_next_free_sgpr 23
		.amdhsa_reserve_vcc 1
		.amdhsa_reserve_flat_scratch 0
		.amdhsa_float_round_mode_32 0
		.amdhsa_float_round_mode_16_64 0
		.amdhsa_float_denorm_mode_32 3
		.amdhsa_float_denorm_mode_16_64 3
		.amdhsa_dx10_clamp 1
		.amdhsa_ieee_mode 1
		.amdhsa_fp16_overflow 0
		.amdhsa_workgroup_processor_mode 1
		.amdhsa_memory_ordered 1
		.amdhsa_forward_progress 1
		.amdhsa_shared_vgpr_count 0
		.amdhsa_exception_fp_ieee_invalid_op 0
		.amdhsa_exception_fp_denorm_src 0
		.amdhsa_exception_fp_ieee_div_zero 0
		.amdhsa_exception_fp_ieee_overflow 0
		.amdhsa_exception_fp_ieee_underflow 0
		.amdhsa_exception_fp_ieee_inexact 0
		.amdhsa_exception_int_div_zero 0
	.end_amdhsa_kernel
	.section	.text._ZN2at6native12_GLOBAL__N_126cunn_SpatialSoftMaxForwardIN3c104HalfEfS4_iNS1_22SoftMaxForwardEpilogueEEEvPT1_PKT_T2_SB_SB_,"axG",@progbits,_ZN2at6native12_GLOBAL__N_126cunn_SpatialSoftMaxForwardIN3c104HalfEfS4_iNS1_22SoftMaxForwardEpilogueEEEvPT1_PKT_T2_SB_SB_,comdat
.Lfunc_end514:
	.size	_ZN2at6native12_GLOBAL__N_126cunn_SpatialSoftMaxForwardIN3c104HalfEfS4_iNS1_22SoftMaxForwardEpilogueEEEvPT1_PKT_T2_SB_SB_, .Lfunc_end514-_ZN2at6native12_GLOBAL__N_126cunn_SpatialSoftMaxForwardIN3c104HalfEfS4_iNS1_22SoftMaxForwardEpilogueEEEvPT1_PKT_T2_SB_SB_
                                        ; -- End function
	.set _ZN2at6native12_GLOBAL__N_126cunn_SpatialSoftMaxForwardIN3c104HalfEfS4_iNS1_22SoftMaxForwardEpilogueEEEvPT1_PKT_T2_SB_SB_.num_vgpr, 20
	.set _ZN2at6native12_GLOBAL__N_126cunn_SpatialSoftMaxForwardIN3c104HalfEfS4_iNS1_22SoftMaxForwardEpilogueEEEvPT1_PKT_T2_SB_SB_.num_agpr, 0
	.set _ZN2at6native12_GLOBAL__N_126cunn_SpatialSoftMaxForwardIN3c104HalfEfS4_iNS1_22SoftMaxForwardEpilogueEEEvPT1_PKT_T2_SB_SB_.numbered_sgpr, 23
	.set _ZN2at6native12_GLOBAL__N_126cunn_SpatialSoftMaxForwardIN3c104HalfEfS4_iNS1_22SoftMaxForwardEpilogueEEEvPT1_PKT_T2_SB_SB_.num_named_barrier, 0
	.set _ZN2at6native12_GLOBAL__N_126cunn_SpatialSoftMaxForwardIN3c104HalfEfS4_iNS1_22SoftMaxForwardEpilogueEEEvPT1_PKT_T2_SB_SB_.private_seg_size, 0
	.set _ZN2at6native12_GLOBAL__N_126cunn_SpatialSoftMaxForwardIN3c104HalfEfS4_iNS1_22SoftMaxForwardEpilogueEEEvPT1_PKT_T2_SB_SB_.uses_vcc, 1
	.set _ZN2at6native12_GLOBAL__N_126cunn_SpatialSoftMaxForwardIN3c104HalfEfS4_iNS1_22SoftMaxForwardEpilogueEEEvPT1_PKT_T2_SB_SB_.uses_flat_scratch, 0
	.set _ZN2at6native12_GLOBAL__N_126cunn_SpatialSoftMaxForwardIN3c104HalfEfS4_iNS1_22SoftMaxForwardEpilogueEEEvPT1_PKT_T2_SB_SB_.has_dyn_sized_stack, 0
	.set _ZN2at6native12_GLOBAL__N_126cunn_SpatialSoftMaxForwardIN3c104HalfEfS4_iNS1_22SoftMaxForwardEpilogueEEEvPT1_PKT_T2_SB_SB_.has_recursion, 0
	.set _ZN2at6native12_GLOBAL__N_126cunn_SpatialSoftMaxForwardIN3c104HalfEfS4_iNS1_22SoftMaxForwardEpilogueEEEvPT1_PKT_T2_SB_SB_.has_indirect_call, 0
	.section	.AMDGPU.csdata,"",@progbits
; Kernel info:
; codeLenInByte = 1944
; TotalNumSgprs: 25
; NumVgprs: 20
; ScratchSize: 0
; MemoryBound: 0
; FloatMode: 240
; IeeeMode: 1
; LDSByteSize: 0 bytes/workgroup (compile time only)
; SGPRBlocks: 0
; VGPRBlocks: 2
; NumSGPRsForWavesPerEU: 25
; NumVGPRsForWavesPerEU: 20
; Occupancy: 16
; WaveLimiterHint : 0
; COMPUTE_PGM_RSRC2:SCRATCH_EN: 0
; COMPUTE_PGM_RSRC2:USER_SGPR: 6
; COMPUTE_PGM_RSRC2:TRAP_HANDLER: 0
; COMPUTE_PGM_RSRC2:TGID_X_EN: 1
; COMPUTE_PGM_RSRC2:TGID_Y_EN: 1
; COMPUTE_PGM_RSRC2:TGID_Z_EN: 0
; COMPUTE_PGM_RSRC2:TIDIG_COMP_CNT: 1
	.section	.text._ZN2at6native12_GLOBAL__N_126cunn_SpatialSoftMaxForwardIN3c104HalfEffiNS1_22SoftMaxForwardEpilogueEEEvPT1_PKT_T2_SB_SB_,"axG",@progbits,_ZN2at6native12_GLOBAL__N_126cunn_SpatialSoftMaxForwardIN3c104HalfEffiNS1_22SoftMaxForwardEpilogueEEEvPT1_PKT_T2_SB_SB_,comdat
	.globl	_ZN2at6native12_GLOBAL__N_126cunn_SpatialSoftMaxForwardIN3c104HalfEffiNS1_22SoftMaxForwardEpilogueEEEvPT1_PKT_T2_SB_SB_ ; -- Begin function _ZN2at6native12_GLOBAL__N_126cunn_SpatialSoftMaxForwardIN3c104HalfEffiNS1_22SoftMaxForwardEpilogueEEEvPT1_PKT_T2_SB_SB_
	.p2align	8
	.type	_ZN2at6native12_GLOBAL__N_126cunn_SpatialSoftMaxForwardIN3c104HalfEffiNS1_22SoftMaxForwardEpilogueEEEvPT1_PKT_T2_SB_SB_,@function
_ZN2at6native12_GLOBAL__N_126cunn_SpatialSoftMaxForwardIN3c104HalfEffiNS1_22SoftMaxForwardEpilogueEEEvPT1_PKT_T2_SB_SB_: ; @_ZN2at6native12_GLOBAL__N_126cunn_SpatialSoftMaxForwardIN3c104HalfEffiNS1_22SoftMaxForwardEpilogueEEEvPT1_PKT_T2_SB_SB_
; %bb.0:
	s_load_dwordx4 s[8:11], s[4:5], 0x10
	s_waitcnt lgkmcnt(0)
	s_cmp_ge_i32 s6, s8
	s_cbranch_scc1 .LBB515_36
; %bb.1:
	s_clause 0x1
	s_load_dword s0, s[4:5], 0x2c
	s_load_dwordx2 s[16:17], s[4:5], 0x20
	v_mad_u64_u32 v[2:3], null, s6, s9, v[0:1]
	s_load_dwordx4 s[12:15], s[4:5], 0x0
	s_add_u32 s4, s4, 32
	s_addc_u32 s5, s5, 0
	v_mul_lo_u32 v2, s10, v2
	s_waitcnt lgkmcnt(0)
	s_lshr_b32 s2, s0, 16
	v_cmp_gt_i32_e64 s0, s9, v0
	s_mul_i32 s7, s7, s2
	s_mul_i32 s3, s17, s2
	v_add_nc_u32_e32 v4, s7, v1
	v_add3_u32 v5, v1, v2, s7
	s_mul_i32 s7, s16, s10
	s_mul_i32 s7, s7, s9
	v_cmp_gt_i32_e64 s1, s10, v4
	s_branch .LBB515_3
.LBB515_2:                              ;   in Loop: Header=BB515_3 Depth=1
	s_or_b32 exec_lo, exec_lo, s11
	v_add_nc_u32_e32 v5, s7, v5
	s_add_i32 s6, s16, s6
	s_cmp_ge_i32 s6, s8
	s_cbranch_scc1 .LBB515_36
.LBB515_3:                              ; =>This Loop Header: Depth=1
                                        ;     Child Loop BB515_7 Depth 2
                                        ;       Child Loop BB515_10 Depth 3
                                        ;       Child Loop BB515_12 Depth 3
	;; [unrolled: 1-line block ×8, first 2 shown]
	s_and_saveexec_b32 s11, s1
	s_cbranch_execz .LBB515_2
; %bb.4:                                ;   in Loop: Header=BB515_3 Depth=1
	s_load_dword s2, s[4:5], 0xc
	v_mov_b32_e32 v7, v5
	v_mov_b32_e32 v9, v4
	s_mov_b32 s20, 0
	s_waitcnt lgkmcnt(0)
	s_and_b32 s17, s2, 0xffff
	v_mul_u32_u24_e32 v2, s17, v1
	s_cmp_lt_u32 s17, 2
	s_mul_i32 s19, s10, s17
	s_cselect_b32 s18, -1, 0
	v_lshl_add_u32 v6, v2, 2, 0
	v_lshl_add_u32 v8, v0, 2, v6
	s_branch .LBB515_7
.LBB515_5:                              ;   in Loop: Header=BB515_7 Depth=2
	s_or_b32 exec_lo, exec_lo, s21
.LBB515_6:                              ;   in Loop: Header=BB515_7 Depth=2
	v_add_nc_u32_e32 v9, s3, v9
	v_add_nc_u32_e32 v7, s3, v7
	v_cmp_le_i32_e32 vcc_lo, s10, v9
	s_or_b32 s20, vcc_lo, s20
	s_andn2_b32 exec_lo, exec_lo, s20
	s_cbranch_execz .LBB515_2
.LBB515_7:                              ;   Parent Loop BB515_3 Depth=1
                                        ; =>  This Loop Header: Depth=2
                                        ;       Child Loop BB515_10 Depth 3
                                        ;       Child Loop BB515_12 Depth 3
	;; [unrolled: 1-line block ×8, first 2 shown]
	s_and_b32 vcc_lo, exec_lo, s18
	s_mov_b32 s2, -1
	s_cbranch_vccz .LBB515_16
; %bb.8:                                ;   in Loop: Header=BB515_7 Depth=2
	s_and_saveexec_b32 s21, s0
	s_cbranch_execz .LBB515_15
; %bb.9:                                ;   in Loop: Header=BB515_7 Depth=2
	v_mov_b32_e32 v10, 0xff7fffff
	v_mov_b32_e32 v2, v7
	;; [unrolled: 1-line block ×3, first 2 shown]
	s_mov_b32 s22, 0
	.p2align	6
.LBB515_10:                             ;   Parent Loop BB515_3 Depth=1
                                        ;     Parent Loop BB515_7 Depth=2
                                        ; =>    This Inner Loop Header: Depth=3
	v_ashrrev_i32_e32 v3, 31, v2
	v_add_nc_u32_e32 v11, s17, v11
	v_lshlrev_b64 v[12:13], 1, v[2:3]
	v_add_nc_u32_e32 v2, s19, v2
	v_add_co_u32 v12, vcc_lo, s14, v12
	v_add_co_ci_u32_e64 v13, null, s15, v13, vcc_lo
	v_cmp_le_i32_e32 vcc_lo, s9, v11
	global_load_ushort v3, v[12:13], off
	s_or_b32 s22, vcc_lo, s22
	s_waitcnt vmcnt(0)
	v_cvt_f32_f16_e32 v3, v3
	v_cmp_lt_f32_e64 s2, v10, v3
	v_cndmask_b32_e64 v10, v10, v3, s2
	s_andn2_b32 exec_lo, exec_lo, s22
	s_cbranch_execnz .LBB515_10
; %bb.11:                               ;   in Loop: Header=BB515_7 Depth=2
	s_or_b32 exec_lo, exec_lo, s22
	v_mov_b32_e32 v11, 0
	v_mov_b32_e32 v2, v7
	;; [unrolled: 1-line block ×3, first 2 shown]
	s_mov_b32 s2, 0
	s_inst_prefetch 0x1
	.p2align	6
.LBB515_12:                             ;   Parent Loop BB515_3 Depth=1
                                        ;     Parent Loop BB515_7 Depth=2
                                        ; =>    This Inner Loop Header: Depth=3
	v_ashrrev_i32_e32 v3, 31, v2
	v_add_nc_u32_e32 v12, s17, v12
	v_lshlrev_b64 v[13:14], 1, v[2:3]
	v_add_nc_u32_e32 v2, s19, v2
	v_add_co_u32 v13, vcc_lo, s14, v13
	v_add_co_ci_u32_e64 v14, null, s15, v14, vcc_lo
	global_load_ushort v3, v[13:14], off
	s_waitcnt vmcnt(0)
	v_cvt_f32_f16_e32 v3, v3
	v_sub_f32_e32 v3, v3, v10
	v_mul_f32_e32 v13, 0x3fb8aa3b, v3
	v_cmp_ngt_f32_e32 vcc_lo, 0xc2ce8ed0, v3
	v_fma_f32 v14, 0x3fb8aa3b, v3, -v13
	v_rndne_f32_e32 v15, v13
	v_fmac_f32_e32 v14, 0x32a5705f, v3
	v_sub_f32_e32 v13, v13, v15
	v_add_f32_e32 v13, v13, v14
	v_cvt_i32_f32_e32 v14, v15
	v_exp_f32_e32 v13, v13
	v_ldexp_f32 v13, v13, v14
	v_cndmask_b32_e32 v13, 0, v13, vcc_lo
	v_cmp_nlt_f32_e32 vcc_lo, 0x42b17218, v3
	v_cndmask_b32_e32 v3, 0x7f800000, v13, vcc_lo
	v_cmp_le_i32_e32 vcc_lo, s9, v12
	v_add_f32_e32 v11, v11, v3
	s_or_b32 s2, vcc_lo, s2
	s_andn2_b32 exec_lo, exec_lo, s2
	s_cbranch_execnz .LBB515_12
; %bb.13:                               ;   in Loop: Header=BB515_7 Depth=2
	s_inst_prefetch 0x2
	s_or_b32 exec_lo, exec_lo, s2
	v_mov_b32_e32 v2, v7
	v_mov_b32_e32 v12, v0
	s_mov_b32 s22, 0
.LBB515_14:                             ;   Parent Loop BB515_3 Depth=1
                                        ;     Parent Loop BB515_7 Depth=2
                                        ; =>    This Inner Loop Header: Depth=3
	v_ashrrev_i32_e32 v3, 31, v2
	v_add_nc_u32_e32 v12, s17, v12
	v_lshlrev_b64 v[13:14], 1, v[2:3]
	v_add_co_u32 v13, vcc_lo, s14, v13
	v_add_co_ci_u32_e64 v14, null, s15, v14, vcc_lo
	global_load_ushort v13, v[13:14], off
	s_waitcnt vmcnt(0)
	v_cvt_f32_f16_e32 v13, v13
	v_sub_f32_e32 v13, v13, v10
	v_mul_f32_e32 v14, 0x3fb8aa3b, v13
	v_cmp_ngt_f32_e32 vcc_lo, 0xc2ce8ed0, v13
	v_fma_f32 v15, 0x3fb8aa3b, v13, -v14
	v_rndne_f32_e32 v16, v14
	v_fmac_f32_e32 v15, 0x32a5705f, v13
	v_sub_f32_e32 v14, v14, v16
	v_add_f32_e32 v14, v14, v15
	v_cvt_i32_f32_e32 v15, v16
	v_exp_f32_e32 v14, v14
	v_ldexp_f32 v14, v14, v15
	v_cndmask_b32_e32 v14, 0, v14, vcc_lo
	v_cmp_nlt_f32_e32 vcc_lo, 0x42b17218, v13
	v_cndmask_b32_e32 v15, 0x7f800000, v14, vcc_lo
	v_div_scale_f32 v13, null, v11, v11, v15
	v_div_scale_f32 v17, vcc_lo, v15, v11, v15
	v_rcp_f32_e32 v14, v13
	v_fma_f32 v16, -v13, v14, 1.0
	v_fmac_f32_e32 v14, v16, v14
	v_mul_f32_e32 v16, v17, v14
	v_fma_f32 v18, -v13, v16, v17
	v_fmac_f32_e32 v16, v18, v14
	v_fma_f32 v13, -v13, v16, v17
	v_div_fmas_f32 v16, v13, v14, v16
	v_lshlrev_b64 v[13:14], 2, v[2:3]
	v_cmp_le_i32_e32 vcc_lo, s9, v12
	v_add_nc_u32_e32 v2, s19, v2
	v_div_fixup_f32 v3, v16, v11, v15
	v_add_co_u32 v13, s2, s12, v13
	v_add_co_ci_u32_e64 v14, null, s13, v14, s2
	s_or_b32 s22, vcc_lo, s22
	global_store_dword v[13:14], v3, off
	s_andn2_b32 exec_lo, exec_lo, s22
	s_cbranch_execnz .LBB515_14
.LBB515_15:                             ;   in Loop: Header=BB515_7 Depth=2
	s_or_b32 exec_lo, exec_lo, s21
	s_mov_b32 s2, 0
.LBB515_16:                             ;   in Loop: Header=BB515_7 Depth=2
	s_andn2_b32 vcc_lo, exec_lo, s2
	s_cbranch_vccnz .LBB515_6
; %bb.17:                               ;   in Loop: Header=BB515_7 Depth=2
	v_mov_b32_e32 v10, 0xff7fffff
	s_and_saveexec_b32 s21, s0
	s_cbranch_execz .LBB515_21
; %bb.18:                               ;   in Loop: Header=BB515_7 Depth=2
	v_mov_b32_e32 v10, 0xff7fffff
	v_mov_b32_e32 v2, v7
	;; [unrolled: 1-line block ×3, first 2 shown]
	s_mov_b32 s22, 0
	.p2align	6
.LBB515_19:                             ;   Parent Loop BB515_3 Depth=1
                                        ;     Parent Loop BB515_7 Depth=2
                                        ; =>    This Inner Loop Header: Depth=3
	v_ashrrev_i32_e32 v3, 31, v2
	v_add_nc_u32_e32 v11, s17, v11
	v_lshlrev_b64 v[12:13], 1, v[2:3]
	v_add_nc_u32_e32 v2, s19, v2
	v_add_co_u32 v12, vcc_lo, s14, v12
	v_add_co_ci_u32_e64 v13, null, s15, v13, vcc_lo
	v_cmp_le_i32_e32 vcc_lo, s9, v11
	global_load_ushort v3, v[12:13], off
	s_or_b32 s22, vcc_lo, s22
	s_waitcnt vmcnt(0)
	v_cvt_f32_f16_e32 v3, v3
	v_cmp_lt_f32_e64 s2, v10, v3
	v_cndmask_b32_e64 v10, v10, v3, s2
	s_andn2_b32 exec_lo, exec_lo, s22
	s_cbranch_execnz .LBB515_19
; %bb.20:                               ;   in Loop: Header=BB515_7 Depth=2
	s_or_b32 exec_lo, exec_lo, s22
.LBB515_21:                             ;   in Loop: Header=BB515_7 Depth=2
	s_or_b32 exec_lo, exec_lo, s21
	s_mov_b32 s2, s17
	s_waitcnt_vscnt null, 0x0
	s_barrier
	buffer_gl0_inv
	ds_write_b32 v8, v10
	s_branch .LBB515_23
	.p2align	6
.LBB515_22:                             ;   in Loop: Header=BB515_23 Depth=3
	s_or_b32 exec_lo, exec_lo, s22
	s_cmp_gt_u32 s2, 3
	s_mov_b32 s2, s21
	s_cbranch_scc0 .LBB515_25
.LBB515_23:                             ;   Parent Loop BB515_3 Depth=1
                                        ;     Parent Loop BB515_7 Depth=2
                                        ; =>    This Inner Loop Header: Depth=3
	s_lshr_b32 s21, s2, 1
	s_mov_b32 s22, exec_lo
	s_waitcnt lgkmcnt(0)
	s_barrier
	buffer_gl0_inv
	v_cmpx_gt_u32_e64 s21, v0
	s_cbranch_execz .LBB515_22
; %bb.24:                               ;   in Loop: Header=BB515_23 Depth=3
	v_lshl_add_u32 v2, s21, 2, v8
	ds_read_b32 v3, v8
	ds_read_b32 v2, v2
	s_waitcnt lgkmcnt(0)
	v_cmp_lt_f32_e32 vcc_lo, v3, v2
	v_cndmask_b32_e32 v2, v3, v2, vcc_lo
	ds_write_b32 v8, v2
	s_branch .LBB515_22
.LBB515_25:                             ;   in Loop: Header=BB515_7 Depth=2
	s_waitcnt lgkmcnt(0)
	s_barrier
	buffer_gl0_inv
	ds_read_b32 v10, v6
	v_mov_b32_e32 v11, 0
	s_and_saveexec_b32 s2, s0
	s_cbranch_execz .LBB515_29
; %bb.26:                               ;   in Loop: Header=BB515_7 Depth=2
	v_mov_b32_e32 v11, 0
	v_mov_b32_e32 v2, v7
	;; [unrolled: 1-line block ×3, first 2 shown]
	s_mov_b32 s21, 0
	s_inst_prefetch 0x1
	.p2align	6
.LBB515_27:                             ;   Parent Loop BB515_3 Depth=1
                                        ;     Parent Loop BB515_7 Depth=2
                                        ; =>    This Inner Loop Header: Depth=3
	v_ashrrev_i32_e32 v3, 31, v2
	v_add_nc_u32_e32 v12, s17, v12
	v_lshlrev_b64 v[13:14], 1, v[2:3]
	v_add_nc_u32_e32 v2, s19, v2
	v_add_co_u32 v13, vcc_lo, s14, v13
	v_add_co_ci_u32_e64 v14, null, s15, v14, vcc_lo
	global_load_ushort v3, v[13:14], off
	s_waitcnt vmcnt(0)
	v_cvt_f32_f16_e32 v3, v3
	s_waitcnt lgkmcnt(0)
	v_sub_f32_e32 v3, v3, v10
	v_mul_f32_e32 v13, 0x3fb8aa3b, v3
	v_cmp_ngt_f32_e32 vcc_lo, 0xc2ce8ed0, v3
	v_fma_f32 v14, 0x3fb8aa3b, v3, -v13
	v_rndne_f32_e32 v15, v13
	v_fmac_f32_e32 v14, 0x32a5705f, v3
	v_sub_f32_e32 v13, v13, v15
	v_add_f32_e32 v13, v13, v14
	v_cvt_i32_f32_e32 v14, v15
	v_exp_f32_e32 v13, v13
	v_ldexp_f32 v13, v13, v14
	v_cndmask_b32_e32 v13, 0, v13, vcc_lo
	v_cmp_nlt_f32_e32 vcc_lo, 0x42b17218, v3
	v_cndmask_b32_e32 v3, 0x7f800000, v13, vcc_lo
	v_cmp_le_i32_e32 vcc_lo, s9, v12
	v_add_f32_e32 v11, v11, v3
	s_or_b32 s21, vcc_lo, s21
	s_andn2_b32 exec_lo, exec_lo, s21
	s_cbranch_execnz .LBB515_27
; %bb.28:                               ;   in Loop: Header=BB515_7 Depth=2
	s_inst_prefetch 0x2
	s_or_b32 exec_lo, exec_lo, s21
.LBB515_29:                             ;   in Loop: Header=BB515_7 Depth=2
	s_or_b32 exec_lo, exec_lo, s2
	s_mov_b32 s2, s17
	s_waitcnt lgkmcnt(0)
	s_barrier
	buffer_gl0_inv
	ds_write_b32 v8, v11
	s_branch .LBB515_31
	.p2align	6
.LBB515_30:                             ;   in Loop: Header=BB515_31 Depth=3
	s_or_b32 exec_lo, exec_lo, s22
	s_cmp_gt_u32 s2, 3
	s_mov_b32 s2, s21
	s_cbranch_scc0 .LBB515_33
.LBB515_31:                             ;   Parent Loop BB515_3 Depth=1
                                        ;     Parent Loop BB515_7 Depth=2
                                        ; =>    This Inner Loop Header: Depth=3
	s_lshr_b32 s21, s2, 1
	s_mov_b32 s22, exec_lo
	s_waitcnt lgkmcnt(0)
	s_barrier
	buffer_gl0_inv
	v_cmpx_gt_u32_e64 s21, v0
	s_cbranch_execz .LBB515_30
; %bb.32:                               ;   in Loop: Header=BB515_31 Depth=3
	v_lshl_add_u32 v2, s21, 2, v8
	ds_read_b32 v3, v8
	ds_read_b32 v2, v2
	s_waitcnt lgkmcnt(0)
	v_add_f32_e32 v2, v3, v2
	ds_write_b32 v8, v2
	s_branch .LBB515_30
.LBB515_33:                             ;   in Loop: Header=BB515_7 Depth=2
	s_waitcnt lgkmcnt(0)
	s_barrier
	buffer_gl0_inv
	s_and_saveexec_b32 s21, s0
	s_cbranch_execz .LBB515_5
; %bb.34:                               ;   in Loop: Header=BB515_7 Depth=2
	ds_read_b32 v11, v6
	v_mov_b32_e32 v2, v7
	v_mov_b32_e32 v12, v0
	s_mov_b32 s22, 0
.LBB515_35:                             ;   Parent Loop BB515_3 Depth=1
                                        ;     Parent Loop BB515_7 Depth=2
                                        ; =>    This Inner Loop Header: Depth=3
	v_ashrrev_i32_e32 v3, 31, v2
	v_add_nc_u32_e32 v12, s17, v12
	v_lshlrev_b64 v[13:14], 1, v[2:3]
	v_add_co_u32 v13, vcc_lo, s14, v13
	v_add_co_ci_u32_e64 v14, null, s15, v14, vcc_lo
	global_load_ushort v13, v[13:14], off
	s_waitcnt vmcnt(0)
	v_cvt_f32_f16_e32 v13, v13
	v_sub_f32_e32 v13, v13, v10
	v_mul_f32_e32 v14, 0x3fb8aa3b, v13
	v_cmp_ngt_f32_e32 vcc_lo, 0xc2ce8ed0, v13
	v_fma_f32 v15, 0x3fb8aa3b, v13, -v14
	v_rndne_f32_e32 v16, v14
	v_fmac_f32_e32 v15, 0x32a5705f, v13
	v_sub_f32_e32 v14, v14, v16
	v_add_f32_e32 v14, v14, v15
	v_cvt_i32_f32_e32 v15, v16
	v_exp_f32_e32 v14, v14
	v_ldexp_f32 v14, v14, v15
	v_cndmask_b32_e32 v14, 0, v14, vcc_lo
	v_cmp_nlt_f32_e32 vcc_lo, 0x42b17218, v13
	v_cndmask_b32_e32 v15, 0x7f800000, v14, vcc_lo
	s_waitcnt lgkmcnt(0)
	v_div_scale_f32 v13, null, v11, v11, v15
	v_div_scale_f32 v17, vcc_lo, v15, v11, v15
	v_rcp_f32_e32 v14, v13
	v_fma_f32 v16, -v13, v14, 1.0
	v_fmac_f32_e32 v14, v16, v14
	v_mul_f32_e32 v16, v17, v14
	v_fma_f32 v18, -v13, v16, v17
	v_fmac_f32_e32 v16, v18, v14
	v_fma_f32 v13, -v13, v16, v17
	v_div_fmas_f32 v16, v13, v14, v16
	v_lshlrev_b64 v[13:14], 2, v[2:3]
	v_cmp_le_i32_e32 vcc_lo, s9, v12
	v_add_nc_u32_e32 v2, s19, v2
	v_div_fixup_f32 v3, v16, v11, v15
	v_add_co_u32 v13, s2, s12, v13
	v_add_co_ci_u32_e64 v14, null, s13, v14, s2
	s_or_b32 s22, vcc_lo, s22
	global_store_dword v[13:14], v3, off
	s_andn2_b32 exec_lo, exec_lo, s22
	s_cbranch_execnz .LBB515_35
	s_branch .LBB515_5
.LBB515_36:
	s_endpgm
	.section	.rodata,"a",@progbits
	.p2align	6, 0x0
	.amdhsa_kernel _ZN2at6native12_GLOBAL__N_126cunn_SpatialSoftMaxForwardIN3c104HalfEffiNS1_22SoftMaxForwardEpilogueEEEvPT1_PKT_T2_SB_SB_
		.amdhsa_group_segment_fixed_size 0
		.amdhsa_private_segment_fixed_size 0
		.amdhsa_kernarg_size 288
		.amdhsa_user_sgpr_count 6
		.amdhsa_user_sgpr_private_segment_buffer 1
		.amdhsa_user_sgpr_dispatch_ptr 0
		.amdhsa_user_sgpr_queue_ptr 0
		.amdhsa_user_sgpr_kernarg_segment_ptr 1
		.amdhsa_user_sgpr_dispatch_id 0
		.amdhsa_user_sgpr_flat_scratch_init 0
		.amdhsa_user_sgpr_private_segment_size 0
		.amdhsa_wavefront_size32 1
		.amdhsa_uses_dynamic_stack 0
		.amdhsa_system_sgpr_private_segment_wavefront_offset 0
		.amdhsa_system_sgpr_workgroup_id_x 1
		.amdhsa_system_sgpr_workgroup_id_y 1
		.amdhsa_system_sgpr_workgroup_id_z 0
		.amdhsa_system_sgpr_workgroup_info 0
		.amdhsa_system_vgpr_workitem_id 1
		.amdhsa_next_free_vgpr 19
		.amdhsa_next_free_sgpr 23
		.amdhsa_reserve_vcc 1
		.amdhsa_reserve_flat_scratch 0
		.amdhsa_float_round_mode_32 0
		.amdhsa_float_round_mode_16_64 0
		.amdhsa_float_denorm_mode_32 3
		.amdhsa_float_denorm_mode_16_64 3
		.amdhsa_dx10_clamp 1
		.amdhsa_ieee_mode 1
		.amdhsa_fp16_overflow 0
		.amdhsa_workgroup_processor_mode 1
		.amdhsa_memory_ordered 1
		.amdhsa_forward_progress 1
		.amdhsa_shared_vgpr_count 0
		.amdhsa_exception_fp_ieee_invalid_op 0
		.amdhsa_exception_fp_denorm_src 0
		.amdhsa_exception_fp_ieee_div_zero 0
		.amdhsa_exception_fp_ieee_overflow 0
		.amdhsa_exception_fp_ieee_underflow 0
		.amdhsa_exception_fp_ieee_inexact 0
		.amdhsa_exception_int_div_zero 0
	.end_amdhsa_kernel
	.section	.text._ZN2at6native12_GLOBAL__N_126cunn_SpatialSoftMaxForwardIN3c104HalfEffiNS1_22SoftMaxForwardEpilogueEEEvPT1_PKT_T2_SB_SB_,"axG",@progbits,_ZN2at6native12_GLOBAL__N_126cunn_SpatialSoftMaxForwardIN3c104HalfEffiNS1_22SoftMaxForwardEpilogueEEEvPT1_PKT_T2_SB_SB_,comdat
.Lfunc_end515:
	.size	_ZN2at6native12_GLOBAL__N_126cunn_SpatialSoftMaxForwardIN3c104HalfEffiNS1_22SoftMaxForwardEpilogueEEEvPT1_PKT_T2_SB_SB_, .Lfunc_end515-_ZN2at6native12_GLOBAL__N_126cunn_SpatialSoftMaxForwardIN3c104HalfEffiNS1_22SoftMaxForwardEpilogueEEEvPT1_PKT_T2_SB_SB_
                                        ; -- End function
	.set _ZN2at6native12_GLOBAL__N_126cunn_SpatialSoftMaxForwardIN3c104HalfEffiNS1_22SoftMaxForwardEpilogueEEEvPT1_PKT_T2_SB_SB_.num_vgpr, 19
	.set _ZN2at6native12_GLOBAL__N_126cunn_SpatialSoftMaxForwardIN3c104HalfEffiNS1_22SoftMaxForwardEpilogueEEEvPT1_PKT_T2_SB_SB_.num_agpr, 0
	.set _ZN2at6native12_GLOBAL__N_126cunn_SpatialSoftMaxForwardIN3c104HalfEffiNS1_22SoftMaxForwardEpilogueEEEvPT1_PKT_T2_SB_SB_.numbered_sgpr, 23
	.set _ZN2at6native12_GLOBAL__N_126cunn_SpatialSoftMaxForwardIN3c104HalfEffiNS1_22SoftMaxForwardEpilogueEEEvPT1_PKT_T2_SB_SB_.num_named_barrier, 0
	.set _ZN2at6native12_GLOBAL__N_126cunn_SpatialSoftMaxForwardIN3c104HalfEffiNS1_22SoftMaxForwardEpilogueEEEvPT1_PKT_T2_SB_SB_.private_seg_size, 0
	.set _ZN2at6native12_GLOBAL__N_126cunn_SpatialSoftMaxForwardIN3c104HalfEffiNS1_22SoftMaxForwardEpilogueEEEvPT1_PKT_T2_SB_SB_.uses_vcc, 1
	.set _ZN2at6native12_GLOBAL__N_126cunn_SpatialSoftMaxForwardIN3c104HalfEffiNS1_22SoftMaxForwardEpilogueEEEvPT1_PKT_T2_SB_SB_.uses_flat_scratch, 0
	.set _ZN2at6native12_GLOBAL__N_126cunn_SpatialSoftMaxForwardIN3c104HalfEffiNS1_22SoftMaxForwardEpilogueEEEvPT1_PKT_T2_SB_SB_.has_dyn_sized_stack, 0
	.set _ZN2at6native12_GLOBAL__N_126cunn_SpatialSoftMaxForwardIN3c104HalfEffiNS1_22SoftMaxForwardEpilogueEEEvPT1_PKT_T2_SB_SB_.has_recursion, 0
	.set _ZN2at6native12_GLOBAL__N_126cunn_SpatialSoftMaxForwardIN3c104HalfEffiNS1_22SoftMaxForwardEpilogueEEEvPT1_PKT_T2_SB_SB_.has_indirect_call, 0
	.section	.AMDGPU.csdata,"",@progbits
; Kernel info:
; codeLenInByte = 1948
; TotalNumSgprs: 25
; NumVgprs: 19
; ScratchSize: 0
; MemoryBound: 0
; FloatMode: 240
; IeeeMode: 1
; LDSByteSize: 0 bytes/workgroup (compile time only)
; SGPRBlocks: 0
; VGPRBlocks: 2
; NumSGPRsForWavesPerEU: 25
; NumVGPRsForWavesPerEU: 19
; Occupancy: 16
; WaveLimiterHint : 0
; COMPUTE_PGM_RSRC2:SCRATCH_EN: 0
; COMPUTE_PGM_RSRC2:USER_SGPR: 6
; COMPUTE_PGM_RSRC2:TRAP_HANDLER: 0
; COMPUTE_PGM_RSRC2:TGID_X_EN: 1
; COMPUTE_PGM_RSRC2:TGID_Y_EN: 1
; COMPUTE_PGM_RSRC2:TGID_Z_EN: 0
; COMPUTE_PGM_RSRC2:TIDIG_COMP_CNT: 1
	.section	.text._ZN2at6native12_GLOBAL__N_126cunn_SpatialSoftMaxForwardIN3c104HalfEfS4_lNS1_22SoftMaxForwardEpilogueEEEvPT1_PKT_T2_SB_SB_,"axG",@progbits,_ZN2at6native12_GLOBAL__N_126cunn_SpatialSoftMaxForwardIN3c104HalfEfS4_lNS1_22SoftMaxForwardEpilogueEEEvPT1_PKT_T2_SB_SB_,comdat
	.globl	_ZN2at6native12_GLOBAL__N_126cunn_SpatialSoftMaxForwardIN3c104HalfEfS4_lNS1_22SoftMaxForwardEpilogueEEEvPT1_PKT_T2_SB_SB_ ; -- Begin function _ZN2at6native12_GLOBAL__N_126cunn_SpatialSoftMaxForwardIN3c104HalfEfS4_lNS1_22SoftMaxForwardEpilogueEEEvPT1_PKT_T2_SB_SB_
	.p2align	8
	.type	_ZN2at6native12_GLOBAL__N_126cunn_SpatialSoftMaxForwardIN3c104HalfEfS4_lNS1_22SoftMaxForwardEpilogueEEEvPT1_PKT_T2_SB_SB_,@function
_ZN2at6native12_GLOBAL__N_126cunn_SpatialSoftMaxForwardIN3c104HalfEfS4_lNS1_22SoftMaxForwardEpilogueEEEvPT1_PKT_T2_SB_SB_: ; @_ZN2at6native12_GLOBAL__N_126cunn_SpatialSoftMaxForwardIN3c104HalfEfS4_lNS1_22SoftMaxForwardEpilogueEEEvPT1_PKT_T2_SB_SB_
; %bb.0:
	s_load_dwordx8 s[8:15], s[4:5], 0x0
	s_mov_b32 s0, s7
	s_mov_b32 s7, 0
	s_waitcnt lgkmcnt(0)
	v_cmp_le_i64_e64 s1, s[12:13], s[6:7]
	s_and_b32 vcc_lo, exec_lo, s1
	s_cbranch_vccnz .LBB516_36
; %bb.1:
	s_clause 0x1
	s_load_dword s1, s[4:5], 0x34
	s_load_dwordx4 s[16:19], s[4:5], 0x20
	v_mov_b32_e32 v2, v0
	s_add_u32 s4, s4, 40
	s_addc_u32 s5, s5, 0
	s_mov_b32 s21, s7
	s_waitcnt lgkmcnt(0)
	s_lshr_b32 s1, s1, 16
	s_mul_i32 s22, s16, s14
	v_mad_u64_u32 v[4:5], null, s0, s1, v[1:2]
	v_mov_b32_e32 v5, 0
	v_mad_u64_u32 v[6:7], null, s16, v2, 0
	s_mul_i32 s0, s16, s15
	s_mul_hi_u32 s2, s16, s14
	v_mov_b32_e32 v3, v5
	v_mad_u64_u32 v[8:9], null, s22, s6, v[4:5]
	s_mul_i32 s3, s17, s14
	v_mov_b32_e32 v0, v7
	v_mad_u64_u32 v[10:11], null, s14, s6, v[2:3]
	s_add_i32 s0, s2, s0
	s_mul_i32 s20, s19, s1
	v_mov_b32_e32 v7, v9
	s_add_i32 s0, s0, s3
	v_mad_u64_u32 v[12:13], null, s17, v2, v[0:1]
	v_mov_b32_e32 v0, v11
	v_mad_u64_u32 v[13:14], null, s0, s6, v[7:8]
	s_mul_hi_u32 s1, s22, s18
	s_mul_i32 s0, s0, s18
	v_mad_u64_u32 v[14:15], null, s15, s6, v[0:1]
	v_mov_b32_e32 v7, v12
	v_mul_lo_u32 v0, s17, v10
	v_mov_b32_e32 v9, v13
	v_mad_u64_u32 v[10:11], null, s16, v10, 0
	v_lshlrev_b64 v[6:7], 1, v[6:7]
	v_mul_lo_u32 v14, s16, v14
	v_lshlrev_b64 v[8:9], 1, v[8:9]
	v_lshlrev_b64 v[12:13], 1, v[4:5]
	s_add_i32 s3, s1, s0
	v_cmp_gt_i64_e64 s0, s[16:17], v[4:5]
	v_cmp_gt_i64_e64 s1, s[14:15], v[2:3]
	s_mul_i32 s2, s22, s18
	v_add_co_u32 v6, vcc_lo, v6, v8
	v_add_co_ci_u32_e64 v7, null, v7, v9, vcc_lo
	v_add3_u32 v11, v11, v14, v0
	v_add_co_u32 v6, vcc_lo, s10, v6
	v_add_co_ci_u32_e64 v7, null, s11, v7, vcc_lo
	v_lshlrev_b64 v[8:9], 1, v[10:11]
	v_add_co_u32 v10, vcc_lo, v10, v4
	v_add_co_ci_u32_e64 v11, null, 0, v11, vcc_lo
	s_lshl_b64 s[22:23], s[16:17], 1
	v_add_co_u32 v0, vcc_lo, v8, v12
	v_lshlrev_b64 v[10:11], 1, v[10:11]
	v_add_co_ci_u32_e64 v9, null, v9, v13, vcc_lo
	v_add_co_u32 v8, vcc_lo, s8, v0
	v_add_co_ci_u32_e64 v9, null, s9, v9, vcc_lo
	v_add_co_u32 v10, vcc_lo, s10, v10
	v_add_co_ci_u32_e64 v11, null, s11, v11, vcc_lo
	s_lshl_b64 s[8:9], s[2:3], 1
	s_lshl_b64 s[10:11], s[20:21], 1
	s_branch .LBB516_3
.LBB516_2:                              ;   in Loop: Header=BB516_3 Depth=1
	s_or_b32 exec_lo, exec_lo, s3
	s_add_u32 s6, s6, s18
	v_add_co_u32 v6, vcc_lo, v6, s8
	s_addc_u32 s7, s7, 0
	v_add_co_ci_u32_e64 v7, null, s9, v7, vcc_lo
	v_add_co_u32 v8, vcc_lo, v8, s8
	v_cmp_ge_i64_e64 s2, s[6:7], s[12:13]
	v_add_co_ci_u32_e64 v9, null, s9, v9, vcc_lo
	v_add_co_u32 v10, vcc_lo, v10, s8
	v_add_co_ci_u32_e64 v11, null, s9, v11, vcc_lo
	s_and_b32 vcc_lo, exec_lo, s2
	s_cbranch_vccnz .LBB516_36
.LBB516_3:                              ; =>This Loop Header: Depth=1
                                        ;     Child Loop BB516_7 Depth 2
                                        ;       Child Loop BB516_10 Depth 3
                                        ;       Child Loop BB516_12 Depth 3
	;; [unrolled: 1-line block ×8, first 2 shown]
	s_and_saveexec_b32 s3, s0
	s_cbranch_execz .LBB516_2
; %bb.4:                                ;   in Loop: Header=BB516_3 Depth=1
	s_load_dword s2, s[4:5], 0xc
	v_mov_b32_e32 v13, v11
	v_mov_b32_e32 v15, v9
	;; [unrolled: 1-line block ×8, first 2 shown]
	s_mov_b32 s28, 0
	s_waitcnt lgkmcnt(0)
	s_and_b32 s19, s2, 0xffff
	v_mul_u32_u24_e32 v0, s19, v1
	s_cmp_lt_u32 s19, 2
	s_mul_i32 s2, s23, s19
	s_mul_hi_u32 s24, s22, s19
	s_cselect_b32 s21, -1, 0
	v_lshl_add_u32 v0, v0, 2, 0
	s_add_i32 s26, s24, s2
	s_mul_i32 s27, s22, s19
	v_lshl_add_u32 v24, v2, 2, v0
	s_branch .LBB516_7
.LBB516_5:                              ;   in Loop: Header=BB516_7 Depth=2
	s_or_b32 exec_lo, exec_lo, s29
.LBB516_6:                              ;   in Loop: Header=BB516_7 Depth=2
	v_add_co_u32 v18, vcc_lo, v18, s20
	v_add_co_ci_u32_e64 v19, null, 0, v19, vcc_lo
	v_add_co_u32 v16, vcc_lo, v16, s10
	v_add_co_ci_u32_e64 v17, null, s11, v17, vcc_lo
	;; [unrolled: 2-line block ×3, first 2 shown]
	v_cmp_le_i64_e32 vcc_lo, s[16:17], v[18:19]
	v_add_co_u32 v12, s2, v12, s10
	v_add_co_ci_u32_e64 v13, null, s11, v13, s2
	s_or_b32 s28, vcc_lo, s28
	s_andn2_b32 exec_lo, exec_lo, s28
	s_cbranch_execz .LBB516_2
.LBB516_7:                              ;   Parent Loop BB516_3 Depth=1
                                        ; =>  This Loop Header: Depth=2
                                        ;       Child Loop BB516_10 Depth 3
                                        ;       Child Loop BB516_12 Depth 3
	;; [unrolled: 1-line block ×8, first 2 shown]
	s_and_b32 vcc_lo, exec_lo, s21
	s_mov_b32 s2, -1
	s_cbranch_vccz .LBB516_16
; %bb.8:                                ;   in Loop: Header=BB516_7 Depth=2
	s_and_saveexec_b32 s29, s1
	s_cbranch_execz .LBB516_15
; %bb.9:                                ;   in Loop: Header=BB516_7 Depth=2
	v_mov_b32_e32 v21, v17
	v_mov_b32_e32 v23, v3
	;; [unrolled: 1-line block ×5, first 2 shown]
	s_mov_b32 s24, 0
	.p2align	6
.LBB516_10:                             ;   Parent Loop BB516_3 Depth=1
                                        ;     Parent Loop BB516_7 Depth=2
                                        ; =>    This Inner Loop Header: Depth=3
	global_load_ushort v26, v[20:21], off
	v_add_co_u32 v22, vcc_lo, v22, s19
	v_add_co_ci_u32_e64 v23, null, 0, v23, vcc_lo
	v_add_co_u32 v20, vcc_lo, v20, s27
	v_add_co_ci_u32_e64 v21, null, s26, v21, vcc_lo
	v_cmp_le_i64_e64 s2, s[14:15], v[22:23]
	s_or_b32 s24, s2, s24
	s_waitcnt vmcnt(0)
	v_cvt_f32_f16_e32 v26, v26
	v_cmp_lt_f32_e32 vcc_lo, v25, v26
	v_cndmask_b32_e32 v25, v25, v26, vcc_lo
	s_andn2_b32 exec_lo, exec_lo, s24
	s_cbranch_execnz .LBB516_10
; %bb.11:                               ;   in Loop: Header=BB516_7 Depth=2
	s_or_b32 exec_lo, exec_lo, s24
	v_mov_b32_e32 v21, v17
	v_mov_b32_e32 v23, v3
	;; [unrolled: 1-line block ×5, first 2 shown]
	s_mov_b32 s24, 0
	s_inst_prefetch 0x1
	.p2align	6
.LBB516_12:                             ;   Parent Loop BB516_3 Depth=1
                                        ;     Parent Loop BB516_7 Depth=2
                                        ; =>    This Inner Loop Header: Depth=3
	global_load_ushort v27, v[20:21], off
	v_add_co_u32 v22, vcc_lo, v22, s19
	v_add_co_ci_u32_e64 v23, null, 0, v23, vcc_lo
	v_cmp_le_i64_e32 vcc_lo, s[14:15], v[22:23]
	s_or_b32 s24, vcc_lo, s24
	s_waitcnt vmcnt(0)
	v_cvt_f32_f16_e32 v27, v27
	v_sub_f32_e32 v27, v27, v25
	v_mul_f32_e32 v28, 0x3fb8aa3b, v27
	v_cmp_ngt_f32_e64 s2, 0xc2ce8ed0, v27
	v_fma_f32 v29, 0x3fb8aa3b, v27, -v28
	v_rndne_f32_e32 v30, v28
	v_fmac_f32_e32 v29, 0x32a5705f, v27
	v_sub_f32_e32 v28, v28, v30
	v_add_f32_e32 v28, v28, v29
	v_cvt_i32_f32_e32 v29, v30
	v_exp_f32_e32 v28, v28
	v_ldexp_f32 v28, v28, v29
	v_cndmask_b32_e64 v28, 0, v28, s2
	v_cmp_nlt_f32_e64 s2, 0x42b17218, v27
	v_cndmask_b32_e64 v27, 0x7f800000, v28, s2
	v_add_co_u32 v20, s2, v20, s27
	v_add_co_ci_u32_e64 v21, null, s26, v21, s2
	v_add_f32_e32 v26, v26, v27
	s_andn2_b32 exec_lo, exec_lo, s24
	s_cbranch_execnz .LBB516_12
; %bb.13:                               ;   in Loop: Header=BB516_7 Depth=2
	s_inst_prefetch 0x2
	s_or_b32 exec_lo, exec_lo, s24
	v_mov_b32_e32 v21, v3
	v_mov_b32_e32 v20, v2
	s_mov_b64 s[24:25], 0
	s_mov_b32 s30, 0
.LBB516_14:                             ;   Parent Loop BB516_3 Depth=1
                                        ;     Parent Loop BB516_7 Depth=2
                                        ; =>    This Inner Loop Header: Depth=3
	v_add_co_u32 v22, vcc_lo, v16, s24
	v_add_co_ci_u32_e64 v23, null, s25, v17, vcc_lo
	v_add_co_u32 v20, s2, v20, s19
	v_add_co_ci_u32_e64 v21, null, 0, v21, s2
	global_load_ushort v22, v[22:23], off
	v_cmp_le_i64_e64 s2, s[14:15], v[20:21]
	s_waitcnt vmcnt(0)
	v_cvt_f32_f16_e32 v22, v22
	v_sub_f32_e32 v22, v22, v25
	v_mul_f32_e32 v23, 0x3fb8aa3b, v22
	v_cmp_ngt_f32_e32 vcc_lo, 0xc2ce8ed0, v22
	v_fma_f32 v27, 0x3fb8aa3b, v22, -v23
	v_rndne_f32_e32 v28, v23
	v_fmac_f32_e32 v27, 0x32a5705f, v22
	v_sub_f32_e32 v23, v23, v28
	v_add_f32_e32 v23, v23, v27
	v_cvt_i32_f32_e32 v27, v28
	v_exp_f32_e32 v23, v23
	v_ldexp_f32 v23, v23, v27
	v_cndmask_b32_e32 v23, 0, v23, vcc_lo
	v_cmp_nlt_f32_e32 vcc_lo, 0x42b17218, v22
	v_cndmask_b32_e32 v22, 0x7f800000, v23, vcc_lo
	v_div_scale_f32 v23, null, v26, v26, v22
	v_div_scale_f32 v29, vcc_lo, v22, v26, v22
	v_rcp_f32_e32 v27, v23
	v_fma_f32 v28, -v23, v27, 1.0
	v_fmac_f32_e32 v27, v28, v27
	v_mul_f32_e32 v28, v29, v27
	v_fma_f32 v30, -v23, v28, v29
	v_fmac_f32_e32 v28, v30, v27
	v_fma_f32 v23, -v23, v28, v29
	v_div_fmas_f32 v23, v23, v27, v28
	v_div_fixup_f32 v27, v23, v26, v22
	v_add_co_u32 v22, vcc_lo, v14, s24
	v_add_co_ci_u32_e64 v23, null, s25, v15, vcc_lo
	v_cvt_f16_f32_e32 v27, v27
	s_add_u32 s24, s24, s27
	s_addc_u32 s25, s25, s26
	s_or_b32 s30, s2, s30
	global_store_short v[22:23], v27, off
	s_andn2_b32 exec_lo, exec_lo, s30
	s_cbranch_execnz .LBB516_14
.LBB516_15:                             ;   in Loop: Header=BB516_7 Depth=2
	s_or_b32 exec_lo, exec_lo, s29
	s_mov_b32 s2, 0
.LBB516_16:                             ;   in Loop: Header=BB516_7 Depth=2
	s_andn2_b32 vcc_lo, exec_lo, s2
	s_cbranch_vccnz .LBB516_6
; %bb.17:                               ;   in Loop: Header=BB516_7 Depth=2
	v_mov_b32_e32 v25, 0xff7fffff
	s_and_saveexec_b32 s24, s1
	s_cbranch_execz .LBB516_21
; %bb.18:                               ;   in Loop: Header=BB516_7 Depth=2
	v_mov_b32_e32 v21, v17
	v_mov_b32_e32 v23, v3
	v_mov_b32_e32 v25, 0xff7fffff
	v_mov_b32_e32 v20, v16
	v_mov_b32_e32 v22, v2
	s_mov_b32 s25, 0
	.p2align	6
.LBB516_19:                             ;   Parent Loop BB516_3 Depth=1
                                        ;     Parent Loop BB516_7 Depth=2
                                        ; =>    This Inner Loop Header: Depth=3
	global_load_ushort v26, v[20:21], off
	v_add_co_u32 v22, vcc_lo, v22, s19
	v_add_co_ci_u32_e64 v23, null, 0, v23, vcc_lo
	v_add_co_u32 v20, vcc_lo, v20, s27
	v_add_co_ci_u32_e64 v21, null, s26, v21, vcc_lo
	v_cmp_le_i64_e64 s2, s[14:15], v[22:23]
	s_or_b32 s25, s2, s25
	s_waitcnt vmcnt(0)
	v_cvt_f32_f16_e32 v26, v26
	v_cmp_lt_f32_e32 vcc_lo, v25, v26
	v_cndmask_b32_e32 v25, v25, v26, vcc_lo
	s_andn2_b32 exec_lo, exec_lo, s25
	s_cbranch_execnz .LBB516_19
; %bb.20:                               ;   in Loop: Header=BB516_7 Depth=2
	s_or_b32 exec_lo, exec_lo, s25
.LBB516_21:                             ;   in Loop: Header=BB516_7 Depth=2
	s_or_b32 exec_lo, exec_lo, s24
	s_mov_b32 s2, s19
	s_waitcnt_vscnt null, 0x0
	s_barrier
	buffer_gl0_inv
	ds_write_b32 v24, v25
	s_branch .LBB516_23
	.p2align	6
.LBB516_22:                             ;   in Loop: Header=BB516_23 Depth=3
	s_or_b32 exec_lo, exec_lo, s25
	s_cmp_gt_u32 s2, 3
	s_mov_b32 s2, s24
	s_cbranch_scc0 .LBB516_25
.LBB516_23:                             ;   Parent Loop BB516_3 Depth=1
                                        ;     Parent Loop BB516_7 Depth=2
                                        ; =>    This Inner Loop Header: Depth=3
	s_lshr_b32 s24, s2, 1
	s_mov_b32 s25, exec_lo
	s_waitcnt lgkmcnt(0)
	s_barrier
	buffer_gl0_inv
	v_cmpx_gt_u32_e64 s24, v2
	s_cbranch_execz .LBB516_22
; %bb.24:                               ;   in Loop: Header=BB516_23 Depth=3
	v_lshl_add_u32 v20, s24, 2, v24
	ds_read_b32 v21, v24
	ds_read_b32 v20, v20
	s_waitcnt lgkmcnt(0)
	v_cmp_lt_f32_e32 vcc_lo, v21, v20
	v_cndmask_b32_e32 v20, v21, v20, vcc_lo
	ds_write_b32 v24, v20
	s_branch .LBB516_22
.LBB516_25:                             ;   in Loop: Header=BB516_7 Depth=2
	s_waitcnt lgkmcnt(0)
	s_barrier
	buffer_gl0_inv
	ds_read_b32 v25, v0
	v_mov_b32_e32 v26, 0
	s_and_saveexec_b32 s24, s1
	s_cbranch_execz .LBB516_29
; %bb.26:                               ;   in Loop: Header=BB516_7 Depth=2
	v_mov_b32_e32 v21, v17
	v_mov_b32_e32 v23, v3
	v_mov_b32_e32 v26, 0
	v_mov_b32_e32 v20, v16
	v_mov_b32_e32 v22, v2
	s_mov_b32 s25, 0
	s_inst_prefetch 0x1
	.p2align	6
.LBB516_27:                             ;   Parent Loop BB516_3 Depth=1
                                        ;     Parent Loop BB516_7 Depth=2
                                        ; =>    This Inner Loop Header: Depth=3
	global_load_ushort v27, v[20:21], off
	v_add_co_u32 v22, vcc_lo, v22, s19
	v_add_co_ci_u32_e64 v23, null, 0, v23, vcc_lo
	v_cmp_le_i64_e32 vcc_lo, s[14:15], v[22:23]
	s_or_b32 s25, vcc_lo, s25
	s_waitcnt vmcnt(0)
	v_cvt_f32_f16_e32 v27, v27
	s_waitcnt lgkmcnt(0)
	v_sub_f32_e32 v27, v27, v25
	v_mul_f32_e32 v28, 0x3fb8aa3b, v27
	v_cmp_ngt_f32_e64 s2, 0xc2ce8ed0, v27
	v_fma_f32 v29, 0x3fb8aa3b, v27, -v28
	v_rndne_f32_e32 v30, v28
	v_fmac_f32_e32 v29, 0x32a5705f, v27
	v_sub_f32_e32 v28, v28, v30
	v_add_f32_e32 v28, v28, v29
	v_cvt_i32_f32_e32 v29, v30
	v_exp_f32_e32 v28, v28
	v_ldexp_f32 v28, v28, v29
	v_cndmask_b32_e64 v28, 0, v28, s2
	v_cmp_nlt_f32_e64 s2, 0x42b17218, v27
	v_cndmask_b32_e64 v27, 0x7f800000, v28, s2
	v_add_co_u32 v20, s2, v20, s27
	v_add_co_ci_u32_e64 v21, null, s26, v21, s2
	v_add_f32_e32 v26, v26, v27
	s_andn2_b32 exec_lo, exec_lo, s25
	s_cbranch_execnz .LBB516_27
; %bb.28:                               ;   in Loop: Header=BB516_7 Depth=2
	s_inst_prefetch 0x2
	s_or_b32 exec_lo, exec_lo, s25
.LBB516_29:                             ;   in Loop: Header=BB516_7 Depth=2
	s_or_b32 exec_lo, exec_lo, s24
	s_mov_b32 s2, s19
	s_waitcnt lgkmcnt(0)
	s_barrier
	buffer_gl0_inv
	ds_write_b32 v24, v26
	s_branch .LBB516_31
	.p2align	6
.LBB516_30:                             ;   in Loop: Header=BB516_31 Depth=3
	s_or_b32 exec_lo, exec_lo, s25
	s_cmp_gt_u32 s2, 3
	s_mov_b32 s2, s24
	s_cbranch_scc0 .LBB516_33
.LBB516_31:                             ;   Parent Loop BB516_3 Depth=1
                                        ;     Parent Loop BB516_7 Depth=2
                                        ; =>    This Inner Loop Header: Depth=3
	s_lshr_b32 s24, s2, 1
	s_mov_b32 s25, exec_lo
	s_waitcnt lgkmcnt(0)
	s_barrier
	buffer_gl0_inv
	v_cmpx_gt_u32_e64 s24, v2
	s_cbranch_execz .LBB516_30
; %bb.32:                               ;   in Loop: Header=BB516_31 Depth=3
	v_lshl_add_u32 v20, s24, 2, v24
	ds_read_b32 v21, v24
	ds_read_b32 v20, v20
	s_waitcnt lgkmcnt(0)
	v_add_f32_e32 v20, v21, v20
	ds_write_b32 v24, v20
	s_branch .LBB516_30
.LBB516_33:                             ;   in Loop: Header=BB516_7 Depth=2
	s_waitcnt lgkmcnt(0)
	s_barrier
	buffer_gl0_inv
	s_and_saveexec_b32 s29, s1
	s_cbranch_execz .LBB516_5
; %bb.34:                               ;   in Loop: Header=BB516_7 Depth=2
	ds_read_b32 v22, v0
	v_mov_b32_e32 v21, v3
	v_mov_b32_e32 v20, v2
	s_mov_b64 s[24:25], 0
	s_mov_b32 s30, 0
.LBB516_35:                             ;   Parent Loop BB516_3 Depth=1
                                        ;     Parent Loop BB516_7 Depth=2
                                        ; =>    This Inner Loop Header: Depth=3
	v_add_co_u32 v26, vcc_lo, v12, s24
	v_add_co_ci_u32_e64 v27, null, s25, v13, vcc_lo
	v_add_co_u32 v20, s2, v20, s19
	v_add_co_ci_u32_e64 v21, null, 0, v21, s2
	global_load_ushort v23, v[26:27], off
	v_cmp_le_i64_e64 s2, s[14:15], v[20:21]
	s_waitcnt vmcnt(0)
	v_cvt_f32_f16_e32 v23, v23
	v_sub_f32_e32 v23, v23, v25
	v_mul_f32_e32 v26, 0x3fb8aa3b, v23
	v_cmp_ngt_f32_e32 vcc_lo, 0xc2ce8ed0, v23
	v_fma_f32 v27, 0x3fb8aa3b, v23, -v26
	v_rndne_f32_e32 v28, v26
	v_fmac_f32_e32 v27, 0x32a5705f, v23
	v_sub_f32_e32 v26, v26, v28
	v_add_f32_e32 v26, v26, v27
	v_cvt_i32_f32_e32 v27, v28
	v_exp_f32_e32 v26, v26
	v_ldexp_f32 v26, v26, v27
	v_cndmask_b32_e32 v26, 0, v26, vcc_lo
	v_cmp_nlt_f32_e32 vcc_lo, 0x42b17218, v23
	v_cndmask_b32_e32 v23, 0x7f800000, v26, vcc_lo
	s_waitcnt lgkmcnt(0)
	v_div_scale_f32 v26, null, v22, v22, v23
	v_div_scale_f32 v29, vcc_lo, v23, v22, v23
	v_rcp_f32_e32 v27, v26
	v_fma_f32 v28, -v26, v27, 1.0
	v_fmac_f32_e32 v27, v28, v27
	v_mul_f32_e32 v28, v29, v27
	v_fma_f32 v30, -v26, v28, v29
	v_fmac_f32_e32 v28, v30, v27
	v_fma_f32 v26, -v26, v28, v29
	v_div_fmas_f32 v26, v26, v27, v28
	v_div_fixup_f32 v23, v26, v22, v23
	v_add_co_u32 v26, vcc_lo, v14, s24
	v_add_co_ci_u32_e64 v27, null, s25, v15, vcc_lo
	v_cvt_f16_f32_e32 v23, v23
	s_add_u32 s24, s24, s27
	s_addc_u32 s25, s25, s26
	s_or_b32 s30, s2, s30
	global_store_short v[26:27], v23, off
	s_andn2_b32 exec_lo, exec_lo, s30
	s_cbranch_execnz .LBB516_35
	s_branch .LBB516_5
.LBB516_36:
	s_endpgm
	.section	.rodata,"a",@progbits
	.p2align	6, 0x0
	.amdhsa_kernel _ZN2at6native12_GLOBAL__N_126cunn_SpatialSoftMaxForwardIN3c104HalfEfS4_lNS1_22SoftMaxForwardEpilogueEEEvPT1_PKT_T2_SB_SB_
		.amdhsa_group_segment_fixed_size 0
		.amdhsa_private_segment_fixed_size 0
		.amdhsa_kernarg_size 296
		.amdhsa_user_sgpr_count 6
		.amdhsa_user_sgpr_private_segment_buffer 1
		.amdhsa_user_sgpr_dispatch_ptr 0
		.amdhsa_user_sgpr_queue_ptr 0
		.amdhsa_user_sgpr_kernarg_segment_ptr 1
		.amdhsa_user_sgpr_dispatch_id 0
		.amdhsa_user_sgpr_flat_scratch_init 0
		.amdhsa_user_sgpr_private_segment_size 0
		.amdhsa_wavefront_size32 1
		.amdhsa_uses_dynamic_stack 0
		.amdhsa_system_sgpr_private_segment_wavefront_offset 0
		.amdhsa_system_sgpr_workgroup_id_x 1
		.amdhsa_system_sgpr_workgroup_id_y 1
		.amdhsa_system_sgpr_workgroup_id_z 0
		.amdhsa_system_sgpr_workgroup_info 0
		.amdhsa_system_vgpr_workitem_id 1
		.amdhsa_next_free_vgpr 31
		.amdhsa_next_free_sgpr 31
		.amdhsa_reserve_vcc 1
		.amdhsa_reserve_flat_scratch 0
		.amdhsa_float_round_mode_32 0
		.amdhsa_float_round_mode_16_64 0
		.amdhsa_float_denorm_mode_32 3
		.amdhsa_float_denorm_mode_16_64 3
		.amdhsa_dx10_clamp 1
		.amdhsa_ieee_mode 1
		.amdhsa_fp16_overflow 0
		.amdhsa_workgroup_processor_mode 1
		.amdhsa_memory_ordered 1
		.amdhsa_forward_progress 1
		.amdhsa_shared_vgpr_count 0
		.amdhsa_exception_fp_ieee_invalid_op 0
		.amdhsa_exception_fp_denorm_src 0
		.amdhsa_exception_fp_ieee_div_zero 0
		.amdhsa_exception_fp_ieee_overflow 0
		.amdhsa_exception_fp_ieee_underflow 0
		.amdhsa_exception_fp_ieee_inexact 0
		.amdhsa_exception_int_div_zero 0
	.end_amdhsa_kernel
	.section	.text._ZN2at6native12_GLOBAL__N_126cunn_SpatialSoftMaxForwardIN3c104HalfEfS4_lNS1_22SoftMaxForwardEpilogueEEEvPT1_PKT_T2_SB_SB_,"axG",@progbits,_ZN2at6native12_GLOBAL__N_126cunn_SpatialSoftMaxForwardIN3c104HalfEfS4_lNS1_22SoftMaxForwardEpilogueEEEvPT1_PKT_T2_SB_SB_,comdat
.Lfunc_end516:
	.size	_ZN2at6native12_GLOBAL__N_126cunn_SpatialSoftMaxForwardIN3c104HalfEfS4_lNS1_22SoftMaxForwardEpilogueEEEvPT1_PKT_T2_SB_SB_, .Lfunc_end516-_ZN2at6native12_GLOBAL__N_126cunn_SpatialSoftMaxForwardIN3c104HalfEfS4_lNS1_22SoftMaxForwardEpilogueEEEvPT1_PKT_T2_SB_SB_
                                        ; -- End function
	.set _ZN2at6native12_GLOBAL__N_126cunn_SpatialSoftMaxForwardIN3c104HalfEfS4_lNS1_22SoftMaxForwardEpilogueEEEvPT1_PKT_T2_SB_SB_.num_vgpr, 31
	.set _ZN2at6native12_GLOBAL__N_126cunn_SpatialSoftMaxForwardIN3c104HalfEfS4_lNS1_22SoftMaxForwardEpilogueEEEvPT1_PKT_T2_SB_SB_.num_agpr, 0
	.set _ZN2at6native12_GLOBAL__N_126cunn_SpatialSoftMaxForwardIN3c104HalfEfS4_lNS1_22SoftMaxForwardEpilogueEEEvPT1_PKT_T2_SB_SB_.numbered_sgpr, 31
	.set _ZN2at6native12_GLOBAL__N_126cunn_SpatialSoftMaxForwardIN3c104HalfEfS4_lNS1_22SoftMaxForwardEpilogueEEEvPT1_PKT_T2_SB_SB_.num_named_barrier, 0
	.set _ZN2at6native12_GLOBAL__N_126cunn_SpatialSoftMaxForwardIN3c104HalfEfS4_lNS1_22SoftMaxForwardEpilogueEEEvPT1_PKT_T2_SB_SB_.private_seg_size, 0
	.set _ZN2at6native12_GLOBAL__N_126cunn_SpatialSoftMaxForwardIN3c104HalfEfS4_lNS1_22SoftMaxForwardEpilogueEEEvPT1_PKT_T2_SB_SB_.uses_vcc, 1
	.set _ZN2at6native12_GLOBAL__N_126cunn_SpatialSoftMaxForwardIN3c104HalfEfS4_lNS1_22SoftMaxForwardEpilogueEEEvPT1_PKT_T2_SB_SB_.uses_flat_scratch, 0
	.set _ZN2at6native12_GLOBAL__N_126cunn_SpatialSoftMaxForwardIN3c104HalfEfS4_lNS1_22SoftMaxForwardEpilogueEEEvPT1_PKT_T2_SB_SB_.has_dyn_sized_stack, 0
	.set _ZN2at6native12_GLOBAL__N_126cunn_SpatialSoftMaxForwardIN3c104HalfEfS4_lNS1_22SoftMaxForwardEpilogueEEEvPT1_PKT_T2_SB_SB_.has_recursion, 0
	.set _ZN2at6native12_GLOBAL__N_126cunn_SpatialSoftMaxForwardIN3c104HalfEfS4_lNS1_22SoftMaxForwardEpilogueEEEvPT1_PKT_T2_SB_SB_.has_indirect_call, 0
	.section	.AMDGPU.csdata,"",@progbits
; Kernel info:
; codeLenInByte = 2468
; TotalNumSgprs: 33
; NumVgprs: 31
; ScratchSize: 0
; MemoryBound: 0
; FloatMode: 240
; IeeeMode: 1
; LDSByteSize: 0 bytes/workgroup (compile time only)
; SGPRBlocks: 0
; VGPRBlocks: 3
; NumSGPRsForWavesPerEU: 33
; NumVGPRsForWavesPerEU: 31
; Occupancy: 16
; WaveLimiterHint : 0
; COMPUTE_PGM_RSRC2:SCRATCH_EN: 0
; COMPUTE_PGM_RSRC2:USER_SGPR: 6
; COMPUTE_PGM_RSRC2:TRAP_HANDLER: 0
; COMPUTE_PGM_RSRC2:TGID_X_EN: 1
; COMPUTE_PGM_RSRC2:TGID_Y_EN: 1
; COMPUTE_PGM_RSRC2:TGID_Z_EN: 0
; COMPUTE_PGM_RSRC2:TIDIG_COMP_CNT: 1
	.section	.text._ZN2at6native12_GLOBAL__N_126cunn_SpatialSoftMaxForwardIN3c104HalfEfflNS1_22SoftMaxForwardEpilogueEEEvPT1_PKT_T2_SB_SB_,"axG",@progbits,_ZN2at6native12_GLOBAL__N_126cunn_SpatialSoftMaxForwardIN3c104HalfEfflNS1_22SoftMaxForwardEpilogueEEEvPT1_PKT_T2_SB_SB_,comdat
	.globl	_ZN2at6native12_GLOBAL__N_126cunn_SpatialSoftMaxForwardIN3c104HalfEfflNS1_22SoftMaxForwardEpilogueEEEvPT1_PKT_T2_SB_SB_ ; -- Begin function _ZN2at6native12_GLOBAL__N_126cunn_SpatialSoftMaxForwardIN3c104HalfEfflNS1_22SoftMaxForwardEpilogueEEEvPT1_PKT_T2_SB_SB_
	.p2align	8
	.type	_ZN2at6native12_GLOBAL__N_126cunn_SpatialSoftMaxForwardIN3c104HalfEfflNS1_22SoftMaxForwardEpilogueEEEvPT1_PKT_T2_SB_SB_,@function
_ZN2at6native12_GLOBAL__N_126cunn_SpatialSoftMaxForwardIN3c104HalfEfflNS1_22SoftMaxForwardEpilogueEEEvPT1_PKT_T2_SB_SB_: ; @_ZN2at6native12_GLOBAL__N_126cunn_SpatialSoftMaxForwardIN3c104HalfEfflNS1_22SoftMaxForwardEpilogueEEEvPT1_PKT_T2_SB_SB_
; %bb.0:
	s_load_dwordx8 s[8:15], s[4:5], 0x0
	s_mov_b32 s0, s7
	s_mov_b32 s7, 0
	s_waitcnt lgkmcnt(0)
	v_cmp_le_i64_e64 s1, s[12:13], s[6:7]
	s_and_b32 vcc_lo, exec_lo, s1
	s_cbranch_vccnz .LBB517_36
; %bb.1:
	s_clause 0x1
	s_load_dword s1, s[4:5], 0x34
	s_load_dwordx4 s[16:19], s[4:5], 0x20
	v_mov_b32_e32 v2, v0
	s_add_u32 s4, s4, 40
	s_addc_u32 s5, s5, 0
	s_mov_b32 s21, s7
	s_waitcnt lgkmcnt(0)
	s_lshr_b32 s1, s1, 16
	v_mad_u64_u32 v[6:7], null, s16, v2, 0
	v_mad_u64_u32 v[4:5], null, s0, s1, v[1:2]
	v_mov_b32_e32 v5, 0
	s_mul_i32 s24, s16, s14
	s_mul_i32 s0, s16, s15
	s_mul_hi_u32 s2, s16, s14
	v_mov_b32_e32 v0, v7
	v_mov_b32_e32 v3, v5
	v_mad_u64_u32 v[8:9], null, s24, s6, v[4:5]
	s_mul_i32 s3, s17, s14
	s_add_i32 s0, s2, s0
	v_mad_u64_u32 v[10:11], null, s14, s6, v[2:3]
	v_mad_u64_u32 v[12:13], null, s17, v2, v[0:1]
	v_mov_b32_e32 v7, v9
	s_add_i32 s0, s0, s3
	s_mul_i32 s20, s19, s1
	s_mul_hi_u32 s1, s24, s18
	v_mov_b32_e32 v0, v11
	v_mad_u64_u32 v[13:14], null, s0, s6, v[7:8]
	v_mov_b32_e32 v7, v12
	v_mad_u64_u32 v[11:12], null, s16, v10, v[4:5]
	v_mad_u64_u32 v[14:15], null, s15, s6, v[0:1]
	v_mul_lo_u32 v0, s17, v10
	v_mov_b32_e32 v9, v13
	v_lshlrev_b64 v[6:7], 1, v[6:7]
	s_mul_i32 s0, s0, s18
	s_mul_i32 s2, s24, s18
	s_add_i32 s3, s1, s0
	v_mul_lo_u32 v10, s16, v14
	v_lshlrev_b64 v[8:9], 1, v[8:9]
	v_cmp_gt_i64_e64 s0, s[16:17], v[4:5]
	v_cmp_gt_i64_e64 s1, s[14:15], v[2:3]
	s_lshl_b64 s[22:23], s[16:17], 1
	s_lshl_b64 s[24:25], s[20:21], 1
	;; [unrolled: 1-line block ×4, first 2 shown]
	v_add3_u32 v12, v0, v12, v10
	v_add_co_u32 v0, vcc_lo, v6, v8
	v_add_co_ci_u32_e64 v7, null, v7, v9, vcc_lo
	v_lshlrev_b64 v[8:9], 2, v[11:12]
	v_lshlrev_b64 v[10:11], 1, v[11:12]
	v_add_co_u32 v6, vcc_lo, s10, v0
	v_add_co_ci_u32_e64 v7, null, s11, v7, vcc_lo
	v_add_co_u32 v8, vcc_lo, s8, v8
	v_add_co_ci_u32_e64 v9, null, s9, v9, vcc_lo
	;; [unrolled: 2-line block ×3, first 2 shown]
	s_lshl_b64 s[8:9], s[2:3], 2
	s_lshl_b64 s[10:11], s[20:21], 2
	s_branch .LBB517_3
.LBB517_2:                              ;   in Loop: Header=BB517_3 Depth=1
	s_or_b32 exec_lo, exec_lo, s3
	s_add_u32 s6, s6, s18
	v_add_co_u32 v6, vcc_lo, v6, s26
	s_addc_u32 s7, s7, 0
	v_add_co_ci_u32_e64 v7, null, s27, v7, vcc_lo
	v_add_co_u32 v8, vcc_lo, v8, s8
	v_cmp_ge_i64_e64 s2, s[6:7], s[12:13]
	v_add_co_ci_u32_e64 v9, null, s9, v9, vcc_lo
	v_add_co_u32 v10, vcc_lo, v10, s26
	v_add_co_ci_u32_e64 v11, null, s27, v11, vcc_lo
	s_and_b32 vcc_lo, exec_lo, s2
	s_cbranch_vccnz .LBB517_36
.LBB517_3:                              ; =>This Loop Header: Depth=1
                                        ;     Child Loop BB517_7 Depth 2
                                        ;       Child Loop BB517_10 Depth 3
                                        ;       Child Loop BB517_12 Depth 3
	;; [unrolled: 1-line block ×8, first 2 shown]
	s_and_saveexec_b32 s3, s0
	s_cbranch_execz .LBB517_2
; %bb.4:                                ;   in Loop: Header=BB517_3 Depth=1
	s_load_dword s2, s[4:5], 0xc
	v_mov_b32_e32 v13, v11
	v_mov_b32_e32 v15, v9
	;; [unrolled: 1-line block ×8, first 2 shown]
	s_mov_b32 s35, 0
	s_waitcnt lgkmcnt(0)
	s_and_b32 s19, s2, 0xffff
	v_mul_u32_u24_e32 v0, s19, v1
	s_cmp_lt_u32 s19, 2
	s_mul_i32 s2, s23, s19
	s_mul_hi_u32 s31, s22, s19
	s_mul_i32 s33, s29, s19
	v_lshl_add_u32 v0, v0, 2, 0
	s_mul_hi_u32 s34, s28, s19
	s_mul_i32 s21, s22, s19
	s_cselect_b32 s30, -1, 0
	s_add_i32 s31, s31, s2
	v_lshl_add_u32 v26, v2, 2, v0
	s_add_i32 s33, s34, s33
	s_mul_i32 s34, s28, s19
	s_branch .LBB517_7
.LBB517_5:                              ;   in Loop: Header=BB517_7 Depth=2
	s_or_b32 exec_lo, exec_lo, s36
.LBB517_6:                              ;   in Loop: Header=BB517_7 Depth=2
	v_add_co_u32 v18, vcc_lo, v18, s20
	v_add_co_ci_u32_e64 v19, null, 0, v19, vcc_lo
	v_add_co_u32 v16, vcc_lo, v16, s24
	v_add_co_ci_u32_e64 v17, null, s25, v17, vcc_lo
	;; [unrolled: 2-line block ×3, first 2 shown]
	v_cmp_le_i64_e32 vcc_lo, s[16:17], v[18:19]
	v_add_co_u32 v12, s2, v12, s24
	v_add_co_ci_u32_e64 v13, null, s25, v13, s2
	s_or_b32 s35, vcc_lo, s35
	s_andn2_b32 exec_lo, exec_lo, s35
	s_cbranch_execz .LBB517_2
.LBB517_7:                              ;   Parent Loop BB517_3 Depth=1
                                        ; =>  This Loop Header: Depth=2
                                        ;       Child Loop BB517_10 Depth 3
                                        ;       Child Loop BB517_12 Depth 3
	;; [unrolled: 1-line block ×8, first 2 shown]
	s_and_b32 vcc_lo, exec_lo, s30
	s_mov_b32 s2, -1
	s_cbranch_vccz .LBB517_16
; %bb.8:                                ;   in Loop: Header=BB517_7 Depth=2
	s_and_saveexec_b32 s36, s1
	s_cbranch_execz .LBB517_15
; %bb.9:                                ;   in Loop: Header=BB517_7 Depth=2
	v_mov_b32_e32 v21, v17
	v_mov_b32_e32 v23, v3
	;; [unrolled: 1-line block ×5, first 2 shown]
	s_mov_b32 s37, 0
	.p2align	6
.LBB517_10:                             ;   Parent Loop BB517_3 Depth=1
                                        ;     Parent Loop BB517_7 Depth=2
                                        ; =>    This Inner Loop Header: Depth=3
	global_load_ushort v24, v[20:21], off
	v_add_co_u32 v22, vcc_lo, v22, s19
	v_add_co_ci_u32_e64 v23, null, 0, v23, vcc_lo
	v_add_co_u32 v20, vcc_lo, v20, s21
	v_add_co_ci_u32_e64 v21, null, s31, v21, vcc_lo
	v_cmp_le_i64_e64 s2, s[14:15], v[22:23]
	s_or_b32 s37, s2, s37
	s_waitcnt vmcnt(0)
	v_cvt_f32_f16_e32 v24, v24
	v_cmp_lt_f32_e32 vcc_lo, v27, v24
	v_cndmask_b32_e32 v27, v27, v24, vcc_lo
	s_andn2_b32 exec_lo, exec_lo, s37
	s_cbranch_execnz .LBB517_10
; %bb.11:                               ;   in Loop: Header=BB517_7 Depth=2
	s_or_b32 exec_lo, exec_lo, s37
	v_mov_b32_e32 v21, v17
	v_mov_b32_e32 v23, v3
	v_mov_b32_e32 v28, 0
	v_mov_b32_e32 v20, v16
	v_mov_b32_e32 v22, v2
	s_mov_b32 s37, 0
	s_inst_prefetch 0x1
	.p2align	6
.LBB517_12:                             ;   Parent Loop BB517_3 Depth=1
                                        ;     Parent Loop BB517_7 Depth=2
                                        ; =>    This Inner Loop Header: Depth=3
	global_load_ushort v24, v[20:21], off
	v_add_co_u32 v22, vcc_lo, v22, s19
	v_add_co_ci_u32_e64 v23, null, 0, v23, vcc_lo
	v_cmp_le_i64_e32 vcc_lo, s[14:15], v[22:23]
	s_or_b32 s37, vcc_lo, s37
	s_waitcnt vmcnt(0)
	v_cvt_f32_f16_e32 v24, v24
	v_sub_f32_e32 v24, v24, v27
	v_mul_f32_e32 v25, 0x3fb8aa3b, v24
	v_cmp_ngt_f32_e64 s2, 0xc2ce8ed0, v24
	v_fma_f32 v29, 0x3fb8aa3b, v24, -v25
	v_rndne_f32_e32 v30, v25
	v_fmac_f32_e32 v29, 0x32a5705f, v24
	v_sub_f32_e32 v25, v25, v30
	v_add_f32_e32 v25, v25, v29
	v_cvt_i32_f32_e32 v29, v30
	v_exp_f32_e32 v25, v25
	v_ldexp_f32 v25, v25, v29
	v_cndmask_b32_e64 v25, 0, v25, s2
	v_cmp_nlt_f32_e64 s2, 0x42b17218, v24
	v_cndmask_b32_e64 v24, 0x7f800000, v25, s2
	v_add_co_u32 v20, s2, v20, s21
	v_add_co_ci_u32_e64 v21, null, s31, v21, s2
	v_add_f32_e32 v28, v28, v24
	s_andn2_b32 exec_lo, exec_lo, s37
	s_cbranch_execnz .LBB517_12
; %bb.13:                               ;   in Loop: Header=BB517_7 Depth=2
	s_inst_prefetch 0x2
	s_or_b32 exec_lo, exec_lo, s37
	v_mov_b32_e32 v21, v15
	v_mov_b32_e32 v23, v17
	v_mov_b32_e32 v25, v3
	v_mov_b32_e32 v20, v14
	v_mov_b32_e32 v22, v16
	v_mov_b32_e32 v24, v2
	s_mov_b32 s37, 0
.LBB517_14:                             ;   Parent Loop BB517_3 Depth=1
                                        ;     Parent Loop BB517_7 Depth=2
                                        ; =>    This Inner Loop Header: Depth=3
	global_load_ushort v29, v[22:23], off
	v_add_co_u32 v24, vcc_lo, v24, s19
	v_add_co_ci_u32_e64 v25, null, 0, v25, vcc_lo
	v_add_co_u32 v22, vcc_lo, v22, s21
	v_add_co_ci_u32_e64 v23, null, s31, v23, vcc_lo
	s_waitcnt vmcnt(0)
	v_cvt_f32_f16_e32 v29, v29
	v_sub_f32_e32 v29, v29, v27
	v_mul_f32_e32 v30, 0x3fb8aa3b, v29
	v_cmp_ngt_f32_e64 s2, 0xc2ce8ed0, v29
	v_fma_f32 v31, 0x3fb8aa3b, v29, -v30
	v_rndne_f32_e32 v32, v30
	v_fmac_f32_e32 v31, 0x32a5705f, v29
	v_sub_f32_e32 v30, v30, v32
	v_add_f32_e32 v30, v30, v31
	v_cvt_i32_f32_e32 v31, v32
	v_exp_f32_e32 v30, v30
	v_ldexp_f32 v30, v30, v31
	v_cndmask_b32_e64 v30, 0, v30, s2
	v_cmp_nlt_f32_e64 s2, 0x42b17218, v29
	v_cndmask_b32_e64 v29, 0x7f800000, v30, s2
	v_cmp_le_i64_e64 s2, s[14:15], v[24:25]
	v_div_scale_f32 v30, null, v28, v28, v29
	v_div_scale_f32 v32, vcc_lo, v29, v28, v29
	s_or_b32 s37, s2, s37
	v_rcp_f32_e32 v31, v30
	v_fma_f32 v33, -v30, v31, 1.0
	v_fmac_f32_e32 v31, v33, v31
	v_mul_f32_e32 v33, v32, v31
	v_fma_f32 v34, -v30, v33, v32
	v_fmac_f32_e32 v33, v34, v31
	v_fma_f32 v30, -v30, v33, v32
	v_div_fmas_f32 v30, v30, v31, v33
	v_div_fixup_f32 v29, v30, v28, v29
	global_store_dword v[20:21], v29, off
	v_add_co_u32 v20, vcc_lo, v20, s34
	v_add_co_ci_u32_e64 v21, null, s33, v21, vcc_lo
	s_andn2_b32 exec_lo, exec_lo, s37
	s_cbranch_execnz .LBB517_14
.LBB517_15:                             ;   in Loop: Header=BB517_7 Depth=2
	s_or_b32 exec_lo, exec_lo, s36
	s_mov_b32 s2, 0
.LBB517_16:                             ;   in Loop: Header=BB517_7 Depth=2
	s_andn2_b32 vcc_lo, exec_lo, s2
	s_cbranch_vccnz .LBB517_6
; %bb.17:                               ;   in Loop: Header=BB517_7 Depth=2
	v_mov_b32_e32 v24, 0xff7fffff
	s_and_saveexec_b32 s36, s1
	s_cbranch_execz .LBB517_21
; %bb.18:                               ;   in Loop: Header=BB517_7 Depth=2
	v_mov_b32_e32 v21, v17
	v_mov_b32_e32 v23, v3
	;; [unrolled: 1-line block ×5, first 2 shown]
	s_mov_b32 s37, 0
	.p2align	6
.LBB517_19:                             ;   Parent Loop BB517_3 Depth=1
                                        ;     Parent Loop BB517_7 Depth=2
                                        ; =>    This Inner Loop Header: Depth=3
	global_load_ushort v25, v[20:21], off
	v_add_co_u32 v22, vcc_lo, v22, s19
	v_add_co_ci_u32_e64 v23, null, 0, v23, vcc_lo
	v_add_co_u32 v20, vcc_lo, v20, s21
	v_add_co_ci_u32_e64 v21, null, s31, v21, vcc_lo
	v_cmp_le_i64_e64 s2, s[14:15], v[22:23]
	s_or_b32 s37, s2, s37
	s_waitcnt vmcnt(0)
	v_cvt_f32_f16_e32 v25, v25
	v_cmp_lt_f32_e32 vcc_lo, v24, v25
	v_cndmask_b32_e32 v24, v24, v25, vcc_lo
	s_andn2_b32 exec_lo, exec_lo, s37
	s_cbranch_execnz .LBB517_19
; %bb.20:                               ;   in Loop: Header=BB517_7 Depth=2
	s_or_b32 exec_lo, exec_lo, s37
.LBB517_21:                             ;   in Loop: Header=BB517_7 Depth=2
	s_or_b32 exec_lo, exec_lo, s36
	s_mov_b32 s2, s19
	s_waitcnt_vscnt null, 0x0
	s_barrier
	buffer_gl0_inv
	ds_write_b32 v26, v24
	s_branch .LBB517_23
	.p2align	6
.LBB517_22:                             ;   in Loop: Header=BB517_23 Depth=3
	s_or_b32 exec_lo, exec_lo, s37
	s_cmp_gt_u32 s2, 3
	s_mov_b32 s2, s36
	s_cbranch_scc0 .LBB517_25
.LBB517_23:                             ;   Parent Loop BB517_3 Depth=1
                                        ;     Parent Loop BB517_7 Depth=2
                                        ; =>    This Inner Loop Header: Depth=3
	s_lshr_b32 s36, s2, 1
	s_mov_b32 s37, exec_lo
	s_waitcnt lgkmcnt(0)
	s_barrier
	buffer_gl0_inv
	v_cmpx_gt_u32_e64 s36, v2
	s_cbranch_execz .LBB517_22
; %bb.24:                               ;   in Loop: Header=BB517_23 Depth=3
	v_lshl_add_u32 v20, s36, 2, v26
	ds_read_b32 v21, v26
	ds_read_b32 v20, v20
	s_waitcnt lgkmcnt(0)
	v_cmp_lt_f32_e32 vcc_lo, v21, v20
	v_cndmask_b32_e32 v20, v21, v20, vcc_lo
	ds_write_b32 v26, v20
	s_branch .LBB517_22
.LBB517_25:                             ;   in Loop: Header=BB517_7 Depth=2
	s_waitcnt lgkmcnt(0)
	s_barrier
	buffer_gl0_inv
	ds_read_b32 v27, v0
	v_mov_b32_e32 v24, 0
	s_and_saveexec_b32 s36, s1
	s_cbranch_execz .LBB517_29
; %bb.26:                               ;   in Loop: Header=BB517_7 Depth=2
	v_mov_b32_e32 v21, v17
	v_mov_b32_e32 v23, v3
	;; [unrolled: 1-line block ×5, first 2 shown]
	s_mov_b32 s37, 0
	s_inst_prefetch 0x1
	.p2align	6
.LBB517_27:                             ;   Parent Loop BB517_3 Depth=1
                                        ;     Parent Loop BB517_7 Depth=2
                                        ; =>    This Inner Loop Header: Depth=3
	global_load_ushort v25, v[20:21], off
	v_add_co_u32 v22, vcc_lo, v22, s19
	v_add_co_ci_u32_e64 v23, null, 0, v23, vcc_lo
	v_cmp_le_i64_e32 vcc_lo, s[14:15], v[22:23]
	s_or_b32 s37, vcc_lo, s37
	s_waitcnt vmcnt(0)
	v_cvt_f32_f16_e32 v25, v25
	s_waitcnt lgkmcnt(0)
	v_sub_f32_e32 v25, v25, v27
	v_mul_f32_e32 v28, 0x3fb8aa3b, v25
	v_cmp_ngt_f32_e64 s2, 0xc2ce8ed0, v25
	v_fma_f32 v29, 0x3fb8aa3b, v25, -v28
	v_rndne_f32_e32 v30, v28
	v_fmac_f32_e32 v29, 0x32a5705f, v25
	v_sub_f32_e32 v28, v28, v30
	v_add_f32_e32 v28, v28, v29
	v_cvt_i32_f32_e32 v29, v30
	v_exp_f32_e32 v28, v28
	v_ldexp_f32 v28, v28, v29
	v_cndmask_b32_e64 v28, 0, v28, s2
	v_cmp_nlt_f32_e64 s2, 0x42b17218, v25
	v_cndmask_b32_e64 v25, 0x7f800000, v28, s2
	v_add_co_u32 v20, s2, v20, s21
	v_add_co_ci_u32_e64 v21, null, s31, v21, s2
	v_add_f32_e32 v24, v24, v25
	s_andn2_b32 exec_lo, exec_lo, s37
	s_cbranch_execnz .LBB517_27
; %bb.28:                               ;   in Loop: Header=BB517_7 Depth=2
	s_inst_prefetch 0x2
	s_or_b32 exec_lo, exec_lo, s37
.LBB517_29:                             ;   in Loop: Header=BB517_7 Depth=2
	s_or_b32 exec_lo, exec_lo, s36
	s_mov_b32 s2, s19
	s_waitcnt lgkmcnt(0)
	s_barrier
	buffer_gl0_inv
	ds_write_b32 v26, v24
	s_branch .LBB517_31
	.p2align	6
.LBB517_30:                             ;   in Loop: Header=BB517_31 Depth=3
	s_or_b32 exec_lo, exec_lo, s37
	s_cmp_gt_u32 s2, 3
	s_mov_b32 s2, s36
	s_cbranch_scc0 .LBB517_33
.LBB517_31:                             ;   Parent Loop BB517_3 Depth=1
                                        ;     Parent Loop BB517_7 Depth=2
                                        ; =>    This Inner Loop Header: Depth=3
	s_lshr_b32 s36, s2, 1
	s_mov_b32 s37, exec_lo
	s_waitcnt lgkmcnt(0)
	s_barrier
	buffer_gl0_inv
	v_cmpx_gt_u32_e64 s36, v2
	s_cbranch_execz .LBB517_30
; %bb.32:                               ;   in Loop: Header=BB517_31 Depth=3
	v_lshl_add_u32 v20, s36, 2, v26
	ds_read_b32 v21, v26
	ds_read_b32 v20, v20
	s_waitcnt lgkmcnt(0)
	v_add_f32_e32 v20, v21, v20
	ds_write_b32 v26, v20
	s_branch .LBB517_30
.LBB517_33:                             ;   in Loop: Header=BB517_7 Depth=2
	s_waitcnt lgkmcnt(0)
	s_barrier
	buffer_gl0_inv
	s_and_saveexec_b32 s36, s1
	s_cbranch_execz .LBB517_5
; %bb.34:                               ;   in Loop: Header=BB517_7 Depth=2
	ds_read_b32 v28, v0
	v_mov_b32_e32 v21, v15
	v_mov_b32_e32 v23, v13
	;; [unrolled: 1-line block ×6, first 2 shown]
	s_mov_b32 s37, 0
.LBB517_35:                             ;   Parent Loop BB517_3 Depth=1
                                        ;     Parent Loop BB517_7 Depth=2
                                        ; =>    This Inner Loop Header: Depth=3
	global_load_ushort v29, v[22:23], off
	v_add_co_u32 v24, vcc_lo, v24, s19
	v_add_co_ci_u32_e64 v25, null, 0, v25, vcc_lo
	v_add_co_u32 v22, vcc_lo, v22, s21
	v_add_co_ci_u32_e64 v23, null, s31, v23, vcc_lo
	s_waitcnt vmcnt(0)
	v_cvt_f32_f16_e32 v29, v29
	v_sub_f32_e32 v29, v29, v27
	v_mul_f32_e32 v30, 0x3fb8aa3b, v29
	v_cmp_ngt_f32_e64 s2, 0xc2ce8ed0, v29
	v_fma_f32 v31, 0x3fb8aa3b, v29, -v30
	v_rndne_f32_e32 v32, v30
	v_fmac_f32_e32 v31, 0x32a5705f, v29
	v_sub_f32_e32 v30, v30, v32
	v_add_f32_e32 v30, v30, v31
	v_cvt_i32_f32_e32 v31, v32
	v_exp_f32_e32 v30, v30
	v_ldexp_f32 v30, v30, v31
	v_cndmask_b32_e64 v30, 0, v30, s2
	v_cmp_nlt_f32_e64 s2, 0x42b17218, v29
	v_cndmask_b32_e64 v29, 0x7f800000, v30, s2
	v_cmp_le_i64_e64 s2, s[14:15], v[24:25]
	s_waitcnt lgkmcnt(0)
	v_div_scale_f32 v30, null, v28, v28, v29
	v_div_scale_f32 v32, vcc_lo, v29, v28, v29
	s_or_b32 s37, s2, s37
	v_rcp_f32_e32 v31, v30
	v_fma_f32 v33, -v30, v31, 1.0
	v_fmac_f32_e32 v31, v33, v31
	v_mul_f32_e32 v33, v32, v31
	v_fma_f32 v34, -v30, v33, v32
	v_fmac_f32_e32 v33, v34, v31
	v_fma_f32 v30, -v30, v33, v32
	v_div_fmas_f32 v30, v30, v31, v33
	v_div_fixup_f32 v29, v30, v28, v29
	global_store_dword v[20:21], v29, off
	v_add_co_u32 v20, vcc_lo, v20, s34
	v_add_co_ci_u32_e64 v21, null, s33, v21, vcc_lo
	s_andn2_b32 exec_lo, exec_lo, s37
	s_cbranch_execnz .LBB517_35
	s_branch .LBB517_5
.LBB517_36:
	s_endpgm
	.section	.rodata,"a",@progbits
	.p2align	6, 0x0
	.amdhsa_kernel _ZN2at6native12_GLOBAL__N_126cunn_SpatialSoftMaxForwardIN3c104HalfEfflNS1_22SoftMaxForwardEpilogueEEEvPT1_PKT_T2_SB_SB_
		.amdhsa_group_segment_fixed_size 0
		.amdhsa_private_segment_fixed_size 0
		.amdhsa_kernarg_size 296
		.amdhsa_user_sgpr_count 6
		.amdhsa_user_sgpr_private_segment_buffer 1
		.amdhsa_user_sgpr_dispatch_ptr 0
		.amdhsa_user_sgpr_queue_ptr 0
		.amdhsa_user_sgpr_kernarg_segment_ptr 1
		.amdhsa_user_sgpr_dispatch_id 0
		.amdhsa_user_sgpr_flat_scratch_init 0
		.amdhsa_user_sgpr_private_segment_size 0
		.amdhsa_wavefront_size32 1
		.amdhsa_uses_dynamic_stack 0
		.amdhsa_system_sgpr_private_segment_wavefront_offset 0
		.amdhsa_system_sgpr_workgroup_id_x 1
		.amdhsa_system_sgpr_workgroup_id_y 1
		.amdhsa_system_sgpr_workgroup_id_z 0
		.amdhsa_system_sgpr_workgroup_info 0
		.amdhsa_system_vgpr_workitem_id 1
		.amdhsa_next_free_vgpr 35
		.amdhsa_next_free_sgpr 38
		.amdhsa_reserve_vcc 1
		.amdhsa_reserve_flat_scratch 0
		.amdhsa_float_round_mode_32 0
		.amdhsa_float_round_mode_16_64 0
		.amdhsa_float_denorm_mode_32 3
		.amdhsa_float_denorm_mode_16_64 3
		.amdhsa_dx10_clamp 1
		.amdhsa_ieee_mode 1
		.amdhsa_fp16_overflow 0
		.amdhsa_workgroup_processor_mode 1
		.amdhsa_memory_ordered 1
		.amdhsa_forward_progress 1
		.amdhsa_shared_vgpr_count 0
		.amdhsa_exception_fp_ieee_invalid_op 0
		.amdhsa_exception_fp_denorm_src 0
		.amdhsa_exception_fp_ieee_div_zero 0
		.amdhsa_exception_fp_ieee_overflow 0
		.amdhsa_exception_fp_ieee_underflow 0
		.amdhsa_exception_fp_ieee_inexact 0
		.amdhsa_exception_int_div_zero 0
	.end_amdhsa_kernel
	.section	.text._ZN2at6native12_GLOBAL__N_126cunn_SpatialSoftMaxForwardIN3c104HalfEfflNS1_22SoftMaxForwardEpilogueEEEvPT1_PKT_T2_SB_SB_,"axG",@progbits,_ZN2at6native12_GLOBAL__N_126cunn_SpatialSoftMaxForwardIN3c104HalfEfflNS1_22SoftMaxForwardEpilogueEEEvPT1_PKT_T2_SB_SB_,comdat
.Lfunc_end517:
	.size	_ZN2at6native12_GLOBAL__N_126cunn_SpatialSoftMaxForwardIN3c104HalfEfflNS1_22SoftMaxForwardEpilogueEEEvPT1_PKT_T2_SB_SB_, .Lfunc_end517-_ZN2at6native12_GLOBAL__N_126cunn_SpatialSoftMaxForwardIN3c104HalfEfflNS1_22SoftMaxForwardEpilogueEEEvPT1_PKT_T2_SB_SB_
                                        ; -- End function
	.set _ZN2at6native12_GLOBAL__N_126cunn_SpatialSoftMaxForwardIN3c104HalfEfflNS1_22SoftMaxForwardEpilogueEEEvPT1_PKT_T2_SB_SB_.num_vgpr, 35
	.set _ZN2at6native12_GLOBAL__N_126cunn_SpatialSoftMaxForwardIN3c104HalfEfflNS1_22SoftMaxForwardEpilogueEEEvPT1_PKT_T2_SB_SB_.num_agpr, 0
	.set _ZN2at6native12_GLOBAL__N_126cunn_SpatialSoftMaxForwardIN3c104HalfEfflNS1_22SoftMaxForwardEpilogueEEEvPT1_PKT_T2_SB_SB_.numbered_sgpr, 38
	.set _ZN2at6native12_GLOBAL__N_126cunn_SpatialSoftMaxForwardIN3c104HalfEfflNS1_22SoftMaxForwardEpilogueEEEvPT1_PKT_T2_SB_SB_.num_named_barrier, 0
	.set _ZN2at6native12_GLOBAL__N_126cunn_SpatialSoftMaxForwardIN3c104HalfEfflNS1_22SoftMaxForwardEpilogueEEEvPT1_PKT_T2_SB_SB_.private_seg_size, 0
	.set _ZN2at6native12_GLOBAL__N_126cunn_SpatialSoftMaxForwardIN3c104HalfEfflNS1_22SoftMaxForwardEpilogueEEEvPT1_PKT_T2_SB_SB_.uses_vcc, 1
	.set _ZN2at6native12_GLOBAL__N_126cunn_SpatialSoftMaxForwardIN3c104HalfEfflNS1_22SoftMaxForwardEpilogueEEEvPT1_PKT_T2_SB_SB_.uses_flat_scratch, 0
	.set _ZN2at6native12_GLOBAL__N_126cunn_SpatialSoftMaxForwardIN3c104HalfEfflNS1_22SoftMaxForwardEpilogueEEEvPT1_PKT_T2_SB_SB_.has_dyn_sized_stack, 0
	.set _ZN2at6native12_GLOBAL__N_126cunn_SpatialSoftMaxForwardIN3c104HalfEfflNS1_22SoftMaxForwardEpilogueEEEvPT1_PKT_T2_SB_SB_.has_recursion, 0
	.set _ZN2at6native12_GLOBAL__N_126cunn_SpatialSoftMaxForwardIN3c104HalfEfflNS1_22SoftMaxForwardEpilogueEEEvPT1_PKT_T2_SB_SB_.has_indirect_call, 0
	.section	.AMDGPU.csdata,"",@progbits
; Kernel info:
; codeLenInByte = 2484
; TotalNumSgprs: 40
; NumVgprs: 35
; ScratchSize: 0
; MemoryBound: 0
; FloatMode: 240
; IeeeMode: 1
; LDSByteSize: 0 bytes/workgroup (compile time only)
; SGPRBlocks: 0
; VGPRBlocks: 4
; NumSGPRsForWavesPerEU: 40
; NumVGPRsForWavesPerEU: 35
; Occupancy: 16
; WaveLimiterHint : 0
; COMPUTE_PGM_RSRC2:SCRATCH_EN: 0
; COMPUTE_PGM_RSRC2:USER_SGPR: 6
; COMPUTE_PGM_RSRC2:TRAP_HANDLER: 0
; COMPUTE_PGM_RSRC2:TGID_X_EN: 1
; COMPUTE_PGM_RSRC2:TGID_Y_EN: 1
; COMPUTE_PGM_RSRC2:TGID_Z_EN: 0
; COMPUTE_PGM_RSRC2:TIDIG_COMP_CNT: 1
	.section	.text._ZN2at6native12_GLOBAL__N_126cunn_SpatialSoftMaxForwardIN3c108BFloat16EfS4_iNS1_22SoftMaxForwardEpilogueEEEvPT1_PKT_T2_SB_SB_,"axG",@progbits,_ZN2at6native12_GLOBAL__N_126cunn_SpatialSoftMaxForwardIN3c108BFloat16EfS4_iNS1_22SoftMaxForwardEpilogueEEEvPT1_PKT_T2_SB_SB_,comdat
	.globl	_ZN2at6native12_GLOBAL__N_126cunn_SpatialSoftMaxForwardIN3c108BFloat16EfS4_iNS1_22SoftMaxForwardEpilogueEEEvPT1_PKT_T2_SB_SB_ ; -- Begin function _ZN2at6native12_GLOBAL__N_126cunn_SpatialSoftMaxForwardIN3c108BFloat16EfS4_iNS1_22SoftMaxForwardEpilogueEEEvPT1_PKT_T2_SB_SB_
	.p2align	8
	.type	_ZN2at6native12_GLOBAL__N_126cunn_SpatialSoftMaxForwardIN3c108BFloat16EfS4_iNS1_22SoftMaxForwardEpilogueEEEvPT1_PKT_T2_SB_SB_,@function
_ZN2at6native12_GLOBAL__N_126cunn_SpatialSoftMaxForwardIN3c108BFloat16EfS4_iNS1_22SoftMaxForwardEpilogueEEEvPT1_PKT_T2_SB_SB_: ; @_ZN2at6native12_GLOBAL__N_126cunn_SpatialSoftMaxForwardIN3c108BFloat16EfS4_iNS1_22SoftMaxForwardEpilogueEEEvPT1_PKT_T2_SB_SB_
; %bb.0:
	s_load_dwordx4 s[8:11], s[4:5], 0x10
	s_waitcnt lgkmcnt(0)
	s_cmp_ge_i32 s6, s8
	s_cbranch_scc1 .LBB518_36
; %bb.1:
	s_clause 0x1
	s_load_dword s0, s[4:5], 0x2c
	s_load_dwordx2 s[16:17], s[4:5], 0x20
	v_mad_u64_u32 v[2:3], null, s6, s9, v[0:1]
	s_load_dwordx4 s[12:15], s[4:5], 0x0
	s_add_u32 s4, s4, 32
	s_addc_u32 s5, s5, 0
	v_mul_lo_u32 v2, s10, v2
	s_waitcnt lgkmcnt(0)
	s_lshr_b32 s2, s0, 16
	v_cmp_gt_i32_e64 s0, s9, v0
	s_mul_i32 s7, s7, s2
	s_mul_i32 s3, s17, s2
	v_add_nc_u32_e32 v4, s7, v1
	v_add3_u32 v5, v1, v2, s7
	s_mul_i32 s7, s16, s10
	s_mul_i32 s7, s7, s9
	v_cmp_gt_i32_e64 s1, s10, v4
	s_branch .LBB518_3
.LBB518_2:                              ;   in Loop: Header=BB518_3 Depth=1
	s_or_b32 exec_lo, exec_lo, s11
	v_add_nc_u32_e32 v5, s7, v5
	s_add_i32 s6, s16, s6
	s_cmp_ge_i32 s6, s8
	s_cbranch_scc1 .LBB518_36
.LBB518_3:                              ; =>This Loop Header: Depth=1
                                        ;     Child Loop BB518_7 Depth 2
                                        ;       Child Loop BB518_10 Depth 3
                                        ;       Child Loop BB518_12 Depth 3
	;; [unrolled: 1-line block ×8, first 2 shown]
	s_and_saveexec_b32 s11, s1
	s_cbranch_execz .LBB518_2
; %bb.4:                                ;   in Loop: Header=BB518_3 Depth=1
	s_load_dword s2, s[4:5], 0xc
	v_mov_b32_e32 v7, v5
	v_mov_b32_e32 v9, v4
	s_mov_b32 s20, 0
	s_waitcnt lgkmcnt(0)
	s_and_b32 s17, s2, 0xffff
	v_mul_u32_u24_e32 v2, s17, v1
	s_cmp_lt_u32 s17, 2
	s_mul_i32 s19, s10, s17
	s_cselect_b32 s18, -1, 0
	v_lshl_add_u32 v6, v2, 2, 0
	v_lshl_add_u32 v8, v0, 2, v6
	s_branch .LBB518_7
.LBB518_5:                              ;   in Loop: Header=BB518_7 Depth=2
	s_or_b32 exec_lo, exec_lo, s21
.LBB518_6:                              ;   in Loop: Header=BB518_7 Depth=2
	v_add_nc_u32_e32 v9, s3, v9
	v_add_nc_u32_e32 v7, s3, v7
	v_cmp_le_i32_e32 vcc_lo, s10, v9
	s_or_b32 s20, vcc_lo, s20
	s_andn2_b32 exec_lo, exec_lo, s20
	s_cbranch_execz .LBB518_2
.LBB518_7:                              ;   Parent Loop BB518_3 Depth=1
                                        ; =>  This Loop Header: Depth=2
                                        ;       Child Loop BB518_10 Depth 3
                                        ;       Child Loop BB518_12 Depth 3
	;; [unrolled: 1-line block ×8, first 2 shown]
	s_and_b32 vcc_lo, exec_lo, s18
	s_mov_b32 s2, -1
	s_cbranch_vccz .LBB518_16
; %bb.8:                                ;   in Loop: Header=BB518_7 Depth=2
	s_and_saveexec_b32 s21, s0
	s_cbranch_execz .LBB518_15
; %bb.9:                                ;   in Loop: Header=BB518_7 Depth=2
	v_mov_b32_e32 v10, 0xff7fffff
	v_mov_b32_e32 v2, v7
	;; [unrolled: 1-line block ×3, first 2 shown]
	s_mov_b32 s22, 0
	.p2align	6
.LBB518_10:                             ;   Parent Loop BB518_3 Depth=1
                                        ;     Parent Loop BB518_7 Depth=2
                                        ; =>    This Inner Loop Header: Depth=3
	v_ashrrev_i32_e32 v3, 31, v2
	v_add_nc_u32_e32 v11, s17, v11
	v_lshlrev_b64 v[12:13], 1, v[2:3]
	v_add_nc_u32_e32 v2, s19, v2
	v_add_co_u32 v12, vcc_lo, s14, v12
	v_add_co_ci_u32_e64 v13, null, s15, v13, vcc_lo
	v_cmp_le_i32_e32 vcc_lo, s9, v11
	global_load_ushort v3, v[12:13], off
	s_or_b32 s22, vcc_lo, s22
	s_waitcnt vmcnt(0)
	v_lshlrev_b32_e32 v3, 16, v3
	v_cmp_lt_f32_e64 s2, v10, v3
	v_cndmask_b32_e64 v10, v10, v3, s2
	s_andn2_b32 exec_lo, exec_lo, s22
	s_cbranch_execnz .LBB518_10
; %bb.11:                               ;   in Loop: Header=BB518_7 Depth=2
	s_or_b32 exec_lo, exec_lo, s22
	v_mov_b32_e32 v11, 0
	v_mov_b32_e32 v2, v7
	;; [unrolled: 1-line block ×3, first 2 shown]
	s_mov_b32 s2, 0
	s_inst_prefetch 0x1
	.p2align	6
.LBB518_12:                             ;   Parent Loop BB518_3 Depth=1
                                        ;     Parent Loop BB518_7 Depth=2
                                        ; =>    This Inner Loop Header: Depth=3
	v_ashrrev_i32_e32 v3, 31, v2
	v_add_nc_u32_e32 v12, s17, v12
	v_lshlrev_b64 v[13:14], 1, v[2:3]
	v_add_nc_u32_e32 v2, s19, v2
	v_add_co_u32 v13, vcc_lo, s14, v13
	v_add_co_ci_u32_e64 v14, null, s15, v14, vcc_lo
	global_load_ushort v3, v[13:14], off
	s_waitcnt vmcnt(0)
	v_lshlrev_b32_e32 v3, 16, v3
	v_sub_f32_e32 v3, v3, v10
	v_mul_f32_e32 v13, 0x3fb8aa3b, v3
	v_cmp_ngt_f32_e32 vcc_lo, 0xc2ce8ed0, v3
	v_fma_f32 v14, 0x3fb8aa3b, v3, -v13
	v_rndne_f32_e32 v15, v13
	v_fmac_f32_e32 v14, 0x32a5705f, v3
	v_sub_f32_e32 v13, v13, v15
	v_add_f32_e32 v13, v13, v14
	v_cvt_i32_f32_e32 v14, v15
	v_exp_f32_e32 v13, v13
	v_ldexp_f32 v13, v13, v14
	v_cndmask_b32_e32 v13, 0, v13, vcc_lo
	v_cmp_nlt_f32_e32 vcc_lo, 0x42b17218, v3
	v_cndmask_b32_e32 v3, 0x7f800000, v13, vcc_lo
	v_cmp_le_i32_e32 vcc_lo, s9, v12
	v_add_f32_e32 v11, v11, v3
	s_or_b32 s2, vcc_lo, s2
	s_andn2_b32 exec_lo, exec_lo, s2
	s_cbranch_execnz .LBB518_12
; %bb.13:                               ;   in Loop: Header=BB518_7 Depth=2
	s_inst_prefetch 0x2
	s_or_b32 exec_lo, exec_lo, s2
	v_mov_b32_e32 v2, v7
	v_mov_b32_e32 v12, v0
	s_mov_b32 s22, 0
.LBB518_14:                             ;   Parent Loop BB518_3 Depth=1
                                        ;     Parent Loop BB518_7 Depth=2
                                        ; =>    This Inner Loop Header: Depth=3
	v_ashrrev_i32_e32 v3, 31, v2
	v_add_nc_u32_e32 v12, s17, v12
	v_lshlrev_b64 v[13:14], 1, v[2:3]
	v_add_nc_u32_e32 v2, s19, v2
	v_add_co_u32 v15, vcc_lo, s14, v13
	v_add_co_ci_u32_e64 v16, null, s15, v14, vcc_lo
	global_load_ushort v3, v[15:16], off
	s_waitcnt vmcnt(0)
	v_lshlrev_b32_e32 v3, 16, v3
	v_sub_f32_e32 v3, v3, v10
	v_mul_f32_e32 v15, 0x3fb8aa3b, v3
	v_cmp_ngt_f32_e32 vcc_lo, 0xc2ce8ed0, v3
	v_fma_f32 v16, 0x3fb8aa3b, v3, -v15
	v_rndne_f32_e32 v17, v15
	v_fmac_f32_e32 v16, 0x32a5705f, v3
	v_sub_f32_e32 v15, v15, v17
	v_add_f32_e32 v15, v15, v16
	v_cvt_i32_f32_e32 v16, v17
	v_exp_f32_e32 v15, v15
	v_ldexp_f32 v15, v15, v16
	v_cndmask_b32_e32 v15, 0, v15, vcc_lo
	v_cmp_nlt_f32_e32 vcc_lo, 0x42b17218, v3
	v_cndmask_b32_e32 v3, 0x7f800000, v15, vcc_lo
	v_div_scale_f32 v15, null, v11, v11, v3
	v_div_scale_f32 v18, vcc_lo, v3, v11, v3
	v_rcp_f32_e32 v16, v15
	v_fma_f32 v17, -v15, v16, 1.0
	v_fmac_f32_e32 v16, v17, v16
	v_mul_f32_e32 v17, v18, v16
	v_fma_f32 v19, -v15, v17, v18
	v_fmac_f32_e32 v17, v19, v16
	v_fma_f32 v15, -v15, v17, v18
	v_div_fmas_f32 v15, v15, v16, v17
	v_cmp_le_i32_e32 vcc_lo, s9, v12
	v_div_fixup_f32 v3, v15, v11, v3
	s_or_b32 s22, vcc_lo, s22
	v_bfe_u32 v15, v3, 16, 1
	v_cmp_o_f32_e64 s2, v3, v3
	v_add3_u32 v15, v3, v15, 0x7fff
	v_lshrrev_b32_e32 v15, 16, v15
	v_cndmask_b32_e64 v3, 0x7fc0, v15, s2
	v_add_co_u32 v13, s2, s12, v13
	v_add_co_ci_u32_e64 v14, null, s13, v14, s2
	global_store_short v[13:14], v3, off
	s_andn2_b32 exec_lo, exec_lo, s22
	s_cbranch_execnz .LBB518_14
.LBB518_15:                             ;   in Loop: Header=BB518_7 Depth=2
	s_or_b32 exec_lo, exec_lo, s21
	s_mov_b32 s2, 0
.LBB518_16:                             ;   in Loop: Header=BB518_7 Depth=2
	s_andn2_b32 vcc_lo, exec_lo, s2
	s_cbranch_vccnz .LBB518_6
; %bb.17:                               ;   in Loop: Header=BB518_7 Depth=2
	v_mov_b32_e32 v10, 0xff7fffff
	s_and_saveexec_b32 s21, s0
	s_cbranch_execz .LBB518_21
; %bb.18:                               ;   in Loop: Header=BB518_7 Depth=2
	v_mov_b32_e32 v10, 0xff7fffff
	v_mov_b32_e32 v2, v7
	;; [unrolled: 1-line block ×3, first 2 shown]
	s_mov_b32 s22, 0
	.p2align	6
.LBB518_19:                             ;   Parent Loop BB518_3 Depth=1
                                        ;     Parent Loop BB518_7 Depth=2
                                        ; =>    This Inner Loop Header: Depth=3
	v_ashrrev_i32_e32 v3, 31, v2
	v_add_nc_u32_e32 v11, s17, v11
	v_lshlrev_b64 v[12:13], 1, v[2:3]
	v_add_nc_u32_e32 v2, s19, v2
	v_add_co_u32 v12, vcc_lo, s14, v12
	v_add_co_ci_u32_e64 v13, null, s15, v13, vcc_lo
	v_cmp_le_i32_e32 vcc_lo, s9, v11
	global_load_ushort v3, v[12:13], off
	s_or_b32 s22, vcc_lo, s22
	s_waitcnt vmcnt(0)
	v_lshlrev_b32_e32 v3, 16, v3
	v_cmp_lt_f32_e64 s2, v10, v3
	v_cndmask_b32_e64 v10, v10, v3, s2
	s_andn2_b32 exec_lo, exec_lo, s22
	s_cbranch_execnz .LBB518_19
; %bb.20:                               ;   in Loop: Header=BB518_7 Depth=2
	s_or_b32 exec_lo, exec_lo, s22
.LBB518_21:                             ;   in Loop: Header=BB518_7 Depth=2
	s_or_b32 exec_lo, exec_lo, s21
	s_mov_b32 s2, s17
	s_waitcnt_vscnt null, 0x0
	s_barrier
	buffer_gl0_inv
	ds_write_b32 v8, v10
	s_branch .LBB518_23
	.p2align	6
.LBB518_22:                             ;   in Loop: Header=BB518_23 Depth=3
	s_or_b32 exec_lo, exec_lo, s22
	s_cmp_gt_u32 s2, 3
	s_mov_b32 s2, s21
	s_cbranch_scc0 .LBB518_25
.LBB518_23:                             ;   Parent Loop BB518_3 Depth=1
                                        ;     Parent Loop BB518_7 Depth=2
                                        ; =>    This Inner Loop Header: Depth=3
	s_lshr_b32 s21, s2, 1
	s_mov_b32 s22, exec_lo
	s_waitcnt lgkmcnt(0)
	s_barrier
	buffer_gl0_inv
	v_cmpx_gt_u32_e64 s21, v0
	s_cbranch_execz .LBB518_22
; %bb.24:                               ;   in Loop: Header=BB518_23 Depth=3
	v_lshl_add_u32 v2, s21, 2, v8
	ds_read_b32 v3, v8
	ds_read_b32 v2, v2
	s_waitcnt lgkmcnt(0)
	v_cmp_lt_f32_e32 vcc_lo, v3, v2
	v_cndmask_b32_e32 v2, v3, v2, vcc_lo
	ds_write_b32 v8, v2
	s_branch .LBB518_22
.LBB518_25:                             ;   in Loop: Header=BB518_7 Depth=2
	s_waitcnt lgkmcnt(0)
	s_barrier
	buffer_gl0_inv
	ds_read_b32 v10, v6
	v_mov_b32_e32 v11, 0
	s_and_saveexec_b32 s2, s0
	s_cbranch_execz .LBB518_29
; %bb.26:                               ;   in Loop: Header=BB518_7 Depth=2
	v_mov_b32_e32 v11, 0
	v_mov_b32_e32 v2, v7
	;; [unrolled: 1-line block ×3, first 2 shown]
	s_mov_b32 s21, 0
	s_inst_prefetch 0x1
	.p2align	6
.LBB518_27:                             ;   Parent Loop BB518_3 Depth=1
                                        ;     Parent Loop BB518_7 Depth=2
                                        ; =>    This Inner Loop Header: Depth=3
	v_ashrrev_i32_e32 v3, 31, v2
	v_add_nc_u32_e32 v12, s17, v12
	v_lshlrev_b64 v[13:14], 1, v[2:3]
	v_add_nc_u32_e32 v2, s19, v2
	v_add_co_u32 v13, vcc_lo, s14, v13
	v_add_co_ci_u32_e64 v14, null, s15, v14, vcc_lo
	global_load_ushort v3, v[13:14], off
	s_waitcnt vmcnt(0)
	v_lshlrev_b32_e32 v3, 16, v3
	s_waitcnt lgkmcnt(0)
	v_sub_f32_e32 v3, v3, v10
	v_mul_f32_e32 v13, 0x3fb8aa3b, v3
	v_cmp_ngt_f32_e32 vcc_lo, 0xc2ce8ed0, v3
	v_fma_f32 v14, 0x3fb8aa3b, v3, -v13
	v_rndne_f32_e32 v15, v13
	v_fmac_f32_e32 v14, 0x32a5705f, v3
	v_sub_f32_e32 v13, v13, v15
	v_add_f32_e32 v13, v13, v14
	v_cvt_i32_f32_e32 v14, v15
	v_exp_f32_e32 v13, v13
	v_ldexp_f32 v13, v13, v14
	v_cndmask_b32_e32 v13, 0, v13, vcc_lo
	v_cmp_nlt_f32_e32 vcc_lo, 0x42b17218, v3
	v_cndmask_b32_e32 v3, 0x7f800000, v13, vcc_lo
	v_cmp_le_i32_e32 vcc_lo, s9, v12
	v_add_f32_e32 v11, v11, v3
	s_or_b32 s21, vcc_lo, s21
	s_andn2_b32 exec_lo, exec_lo, s21
	s_cbranch_execnz .LBB518_27
; %bb.28:                               ;   in Loop: Header=BB518_7 Depth=2
	s_inst_prefetch 0x2
	s_or_b32 exec_lo, exec_lo, s21
.LBB518_29:                             ;   in Loop: Header=BB518_7 Depth=2
	s_or_b32 exec_lo, exec_lo, s2
	s_mov_b32 s2, s17
	s_waitcnt lgkmcnt(0)
	s_barrier
	buffer_gl0_inv
	ds_write_b32 v8, v11
	s_branch .LBB518_31
	.p2align	6
.LBB518_30:                             ;   in Loop: Header=BB518_31 Depth=3
	s_or_b32 exec_lo, exec_lo, s22
	s_cmp_gt_u32 s2, 3
	s_mov_b32 s2, s21
	s_cbranch_scc0 .LBB518_33
.LBB518_31:                             ;   Parent Loop BB518_3 Depth=1
                                        ;     Parent Loop BB518_7 Depth=2
                                        ; =>    This Inner Loop Header: Depth=3
	s_lshr_b32 s21, s2, 1
	s_mov_b32 s22, exec_lo
	s_waitcnt lgkmcnt(0)
	s_barrier
	buffer_gl0_inv
	v_cmpx_gt_u32_e64 s21, v0
	s_cbranch_execz .LBB518_30
; %bb.32:                               ;   in Loop: Header=BB518_31 Depth=3
	v_lshl_add_u32 v2, s21, 2, v8
	ds_read_b32 v3, v8
	ds_read_b32 v2, v2
	s_waitcnt lgkmcnt(0)
	v_add_f32_e32 v2, v3, v2
	ds_write_b32 v8, v2
	s_branch .LBB518_30
.LBB518_33:                             ;   in Loop: Header=BB518_7 Depth=2
	s_waitcnt lgkmcnt(0)
	s_barrier
	buffer_gl0_inv
	s_and_saveexec_b32 s21, s0
	s_cbranch_execz .LBB518_5
; %bb.34:                               ;   in Loop: Header=BB518_7 Depth=2
	ds_read_b32 v11, v6
	v_mov_b32_e32 v2, v7
	v_mov_b32_e32 v12, v0
	s_mov_b32 s22, 0
.LBB518_35:                             ;   Parent Loop BB518_3 Depth=1
                                        ;     Parent Loop BB518_7 Depth=2
                                        ; =>    This Inner Loop Header: Depth=3
	v_ashrrev_i32_e32 v3, 31, v2
	v_add_nc_u32_e32 v12, s17, v12
	v_lshlrev_b64 v[13:14], 1, v[2:3]
	v_add_nc_u32_e32 v2, s19, v2
	v_add_co_u32 v15, vcc_lo, s14, v13
	v_add_co_ci_u32_e64 v16, null, s15, v14, vcc_lo
	global_load_ushort v3, v[15:16], off
	s_waitcnt vmcnt(0)
	v_lshlrev_b32_e32 v3, 16, v3
	v_sub_f32_e32 v3, v3, v10
	v_mul_f32_e32 v15, 0x3fb8aa3b, v3
	v_cmp_ngt_f32_e32 vcc_lo, 0xc2ce8ed0, v3
	v_fma_f32 v16, 0x3fb8aa3b, v3, -v15
	v_rndne_f32_e32 v17, v15
	v_fmac_f32_e32 v16, 0x32a5705f, v3
	v_sub_f32_e32 v15, v15, v17
	v_add_f32_e32 v15, v15, v16
	v_cvt_i32_f32_e32 v16, v17
	v_exp_f32_e32 v15, v15
	v_ldexp_f32 v15, v15, v16
	v_cndmask_b32_e32 v15, 0, v15, vcc_lo
	v_cmp_nlt_f32_e32 vcc_lo, 0x42b17218, v3
	v_cndmask_b32_e32 v3, 0x7f800000, v15, vcc_lo
	s_waitcnt lgkmcnt(0)
	v_div_scale_f32 v15, null, v11, v11, v3
	v_div_scale_f32 v18, vcc_lo, v3, v11, v3
	v_rcp_f32_e32 v16, v15
	v_fma_f32 v17, -v15, v16, 1.0
	v_fmac_f32_e32 v16, v17, v16
	v_mul_f32_e32 v17, v18, v16
	v_fma_f32 v19, -v15, v17, v18
	v_fmac_f32_e32 v17, v19, v16
	v_fma_f32 v15, -v15, v17, v18
	v_div_fmas_f32 v15, v15, v16, v17
	v_cmp_le_i32_e32 vcc_lo, s9, v12
	v_div_fixup_f32 v3, v15, v11, v3
	s_or_b32 s22, vcc_lo, s22
	v_bfe_u32 v15, v3, 16, 1
	v_cmp_o_f32_e64 s2, v3, v3
	v_add3_u32 v15, v3, v15, 0x7fff
	v_lshrrev_b32_e32 v15, 16, v15
	v_cndmask_b32_e64 v3, 0x7fc0, v15, s2
	v_add_co_u32 v13, s2, s12, v13
	v_add_co_ci_u32_e64 v14, null, s13, v14, s2
	global_store_short v[13:14], v3, off
	s_andn2_b32 exec_lo, exec_lo, s22
	s_cbranch_execnz .LBB518_35
	s_branch .LBB518_5
.LBB518_36:
	s_endpgm
	.section	.rodata,"a",@progbits
	.p2align	6, 0x0
	.amdhsa_kernel _ZN2at6native12_GLOBAL__N_126cunn_SpatialSoftMaxForwardIN3c108BFloat16EfS4_iNS1_22SoftMaxForwardEpilogueEEEvPT1_PKT_T2_SB_SB_
		.amdhsa_group_segment_fixed_size 0
		.amdhsa_private_segment_fixed_size 0
		.amdhsa_kernarg_size 288
		.amdhsa_user_sgpr_count 6
		.amdhsa_user_sgpr_private_segment_buffer 1
		.amdhsa_user_sgpr_dispatch_ptr 0
		.amdhsa_user_sgpr_queue_ptr 0
		.amdhsa_user_sgpr_kernarg_segment_ptr 1
		.amdhsa_user_sgpr_dispatch_id 0
		.amdhsa_user_sgpr_flat_scratch_init 0
		.amdhsa_user_sgpr_private_segment_size 0
		.amdhsa_wavefront_size32 1
		.amdhsa_uses_dynamic_stack 0
		.amdhsa_system_sgpr_private_segment_wavefront_offset 0
		.amdhsa_system_sgpr_workgroup_id_x 1
		.amdhsa_system_sgpr_workgroup_id_y 1
		.amdhsa_system_sgpr_workgroup_id_z 0
		.amdhsa_system_sgpr_workgroup_info 0
		.amdhsa_system_vgpr_workitem_id 1
		.amdhsa_next_free_vgpr 20
		.amdhsa_next_free_sgpr 23
		.amdhsa_reserve_vcc 1
		.amdhsa_reserve_flat_scratch 0
		.amdhsa_float_round_mode_32 0
		.amdhsa_float_round_mode_16_64 0
		.amdhsa_float_denorm_mode_32 3
		.amdhsa_float_denorm_mode_16_64 3
		.amdhsa_dx10_clamp 1
		.amdhsa_ieee_mode 1
		.amdhsa_fp16_overflow 0
		.amdhsa_workgroup_processor_mode 1
		.amdhsa_memory_ordered 1
		.amdhsa_forward_progress 1
		.amdhsa_shared_vgpr_count 0
		.amdhsa_exception_fp_ieee_invalid_op 0
		.amdhsa_exception_fp_denorm_src 0
		.amdhsa_exception_fp_ieee_div_zero 0
		.amdhsa_exception_fp_ieee_overflow 0
		.amdhsa_exception_fp_ieee_underflow 0
		.amdhsa_exception_fp_ieee_inexact 0
		.amdhsa_exception_int_div_zero 0
	.end_amdhsa_kernel
	.section	.text._ZN2at6native12_GLOBAL__N_126cunn_SpatialSoftMaxForwardIN3c108BFloat16EfS4_iNS1_22SoftMaxForwardEpilogueEEEvPT1_PKT_T2_SB_SB_,"axG",@progbits,_ZN2at6native12_GLOBAL__N_126cunn_SpatialSoftMaxForwardIN3c108BFloat16EfS4_iNS1_22SoftMaxForwardEpilogueEEEvPT1_PKT_T2_SB_SB_,comdat
.Lfunc_end518:
	.size	_ZN2at6native12_GLOBAL__N_126cunn_SpatialSoftMaxForwardIN3c108BFloat16EfS4_iNS1_22SoftMaxForwardEpilogueEEEvPT1_PKT_T2_SB_SB_, .Lfunc_end518-_ZN2at6native12_GLOBAL__N_126cunn_SpatialSoftMaxForwardIN3c108BFloat16EfS4_iNS1_22SoftMaxForwardEpilogueEEEvPT1_PKT_T2_SB_SB_
                                        ; -- End function
	.set _ZN2at6native12_GLOBAL__N_126cunn_SpatialSoftMaxForwardIN3c108BFloat16EfS4_iNS1_22SoftMaxForwardEpilogueEEEvPT1_PKT_T2_SB_SB_.num_vgpr, 20
	.set _ZN2at6native12_GLOBAL__N_126cunn_SpatialSoftMaxForwardIN3c108BFloat16EfS4_iNS1_22SoftMaxForwardEpilogueEEEvPT1_PKT_T2_SB_SB_.num_agpr, 0
	.set _ZN2at6native12_GLOBAL__N_126cunn_SpatialSoftMaxForwardIN3c108BFloat16EfS4_iNS1_22SoftMaxForwardEpilogueEEEvPT1_PKT_T2_SB_SB_.numbered_sgpr, 23
	.set _ZN2at6native12_GLOBAL__N_126cunn_SpatialSoftMaxForwardIN3c108BFloat16EfS4_iNS1_22SoftMaxForwardEpilogueEEEvPT1_PKT_T2_SB_SB_.num_named_barrier, 0
	.set _ZN2at6native12_GLOBAL__N_126cunn_SpatialSoftMaxForwardIN3c108BFloat16EfS4_iNS1_22SoftMaxForwardEpilogueEEEvPT1_PKT_T2_SB_SB_.private_seg_size, 0
	.set _ZN2at6native12_GLOBAL__N_126cunn_SpatialSoftMaxForwardIN3c108BFloat16EfS4_iNS1_22SoftMaxForwardEpilogueEEEvPT1_PKT_T2_SB_SB_.uses_vcc, 1
	.set _ZN2at6native12_GLOBAL__N_126cunn_SpatialSoftMaxForwardIN3c108BFloat16EfS4_iNS1_22SoftMaxForwardEpilogueEEEvPT1_PKT_T2_SB_SB_.uses_flat_scratch, 0
	.set _ZN2at6native12_GLOBAL__N_126cunn_SpatialSoftMaxForwardIN3c108BFloat16EfS4_iNS1_22SoftMaxForwardEpilogueEEEvPT1_PKT_T2_SB_SB_.has_dyn_sized_stack, 0
	.set _ZN2at6native12_GLOBAL__N_126cunn_SpatialSoftMaxForwardIN3c108BFloat16EfS4_iNS1_22SoftMaxForwardEpilogueEEEvPT1_PKT_T2_SB_SB_.has_recursion, 0
	.set _ZN2at6native12_GLOBAL__N_126cunn_SpatialSoftMaxForwardIN3c108BFloat16EfS4_iNS1_22SoftMaxForwardEpilogueEEEvPT1_PKT_T2_SB_SB_.has_indirect_call, 0
	.section	.AMDGPU.csdata,"",@progbits
; Kernel info:
; codeLenInByte = 2048
; TotalNumSgprs: 25
; NumVgprs: 20
; ScratchSize: 0
; MemoryBound: 0
; FloatMode: 240
; IeeeMode: 1
; LDSByteSize: 0 bytes/workgroup (compile time only)
; SGPRBlocks: 0
; VGPRBlocks: 2
; NumSGPRsForWavesPerEU: 25
; NumVGPRsForWavesPerEU: 20
; Occupancy: 16
; WaveLimiterHint : 0
; COMPUTE_PGM_RSRC2:SCRATCH_EN: 0
; COMPUTE_PGM_RSRC2:USER_SGPR: 6
; COMPUTE_PGM_RSRC2:TRAP_HANDLER: 0
; COMPUTE_PGM_RSRC2:TGID_X_EN: 1
; COMPUTE_PGM_RSRC2:TGID_Y_EN: 1
; COMPUTE_PGM_RSRC2:TGID_Z_EN: 0
; COMPUTE_PGM_RSRC2:TIDIG_COMP_CNT: 1
	.section	.text._ZN2at6native12_GLOBAL__N_126cunn_SpatialSoftMaxForwardIN3c108BFloat16EffiNS1_22SoftMaxForwardEpilogueEEEvPT1_PKT_T2_SB_SB_,"axG",@progbits,_ZN2at6native12_GLOBAL__N_126cunn_SpatialSoftMaxForwardIN3c108BFloat16EffiNS1_22SoftMaxForwardEpilogueEEEvPT1_PKT_T2_SB_SB_,comdat
	.globl	_ZN2at6native12_GLOBAL__N_126cunn_SpatialSoftMaxForwardIN3c108BFloat16EffiNS1_22SoftMaxForwardEpilogueEEEvPT1_PKT_T2_SB_SB_ ; -- Begin function _ZN2at6native12_GLOBAL__N_126cunn_SpatialSoftMaxForwardIN3c108BFloat16EffiNS1_22SoftMaxForwardEpilogueEEEvPT1_PKT_T2_SB_SB_
	.p2align	8
	.type	_ZN2at6native12_GLOBAL__N_126cunn_SpatialSoftMaxForwardIN3c108BFloat16EffiNS1_22SoftMaxForwardEpilogueEEEvPT1_PKT_T2_SB_SB_,@function
_ZN2at6native12_GLOBAL__N_126cunn_SpatialSoftMaxForwardIN3c108BFloat16EffiNS1_22SoftMaxForwardEpilogueEEEvPT1_PKT_T2_SB_SB_: ; @_ZN2at6native12_GLOBAL__N_126cunn_SpatialSoftMaxForwardIN3c108BFloat16EffiNS1_22SoftMaxForwardEpilogueEEEvPT1_PKT_T2_SB_SB_
; %bb.0:
	s_load_dwordx4 s[8:11], s[4:5], 0x10
	s_waitcnt lgkmcnt(0)
	s_cmp_ge_i32 s6, s8
	s_cbranch_scc1 .LBB519_36
; %bb.1:
	s_clause 0x1
	s_load_dword s0, s[4:5], 0x2c
	s_load_dwordx2 s[16:17], s[4:5], 0x20
	v_mad_u64_u32 v[2:3], null, s6, s9, v[0:1]
	s_load_dwordx4 s[12:15], s[4:5], 0x0
	s_add_u32 s4, s4, 32
	s_addc_u32 s5, s5, 0
	v_mul_lo_u32 v2, s10, v2
	s_waitcnt lgkmcnt(0)
	s_lshr_b32 s2, s0, 16
	v_cmp_gt_i32_e64 s0, s9, v0
	s_mul_i32 s7, s7, s2
	s_mul_i32 s3, s17, s2
	v_add_nc_u32_e32 v4, s7, v1
	v_add3_u32 v5, v1, v2, s7
	s_mul_i32 s7, s16, s10
	s_mul_i32 s7, s7, s9
	v_cmp_gt_i32_e64 s1, s10, v4
	s_branch .LBB519_3
.LBB519_2:                              ;   in Loop: Header=BB519_3 Depth=1
	s_or_b32 exec_lo, exec_lo, s11
	v_add_nc_u32_e32 v5, s7, v5
	s_add_i32 s6, s16, s6
	s_cmp_ge_i32 s6, s8
	s_cbranch_scc1 .LBB519_36
.LBB519_3:                              ; =>This Loop Header: Depth=1
                                        ;     Child Loop BB519_7 Depth 2
                                        ;       Child Loop BB519_10 Depth 3
                                        ;       Child Loop BB519_12 Depth 3
	;; [unrolled: 1-line block ×8, first 2 shown]
	s_and_saveexec_b32 s11, s1
	s_cbranch_execz .LBB519_2
; %bb.4:                                ;   in Loop: Header=BB519_3 Depth=1
	s_load_dword s2, s[4:5], 0xc
	v_mov_b32_e32 v7, v5
	v_mov_b32_e32 v9, v4
	s_mov_b32 s20, 0
	s_waitcnt lgkmcnt(0)
	s_and_b32 s17, s2, 0xffff
	v_mul_u32_u24_e32 v2, s17, v1
	s_cmp_lt_u32 s17, 2
	s_mul_i32 s19, s10, s17
	s_cselect_b32 s18, -1, 0
	v_lshl_add_u32 v6, v2, 2, 0
	v_lshl_add_u32 v8, v0, 2, v6
	s_branch .LBB519_7
.LBB519_5:                              ;   in Loop: Header=BB519_7 Depth=2
	s_or_b32 exec_lo, exec_lo, s21
.LBB519_6:                              ;   in Loop: Header=BB519_7 Depth=2
	v_add_nc_u32_e32 v9, s3, v9
	v_add_nc_u32_e32 v7, s3, v7
	v_cmp_le_i32_e32 vcc_lo, s10, v9
	s_or_b32 s20, vcc_lo, s20
	s_andn2_b32 exec_lo, exec_lo, s20
	s_cbranch_execz .LBB519_2
.LBB519_7:                              ;   Parent Loop BB519_3 Depth=1
                                        ; =>  This Loop Header: Depth=2
                                        ;       Child Loop BB519_10 Depth 3
                                        ;       Child Loop BB519_12 Depth 3
	;; [unrolled: 1-line block ×8, first 2 shown]
	s_and_b32 vcc_lo, exec_lo, s18
	s_mov_b32 s2, -1
	s_cbranch_vccz .LBB519_16
; %bb.8:                                ;   in Loop: Header=BB519_7 Depth=2
	s_and_saveexec_b32 s21, s0
	s_cbranch_execz .LBB519_15
; %bb.9:                                ;   in Loop: Header=BB519_7 Depth=2
	v_mov_b32_e32 v10, 0xff7fffff
	v_mov_b32_e32 v2, v7
	v_mov_b32_e32 v11, v0
	s_mov_b32 s22, 0
	.p2align	6
.LBB519_10:                             ;   Parent Loop BB519_3 Depth=1
                                        ;     Parent Loop BB519_7 Depth=2
                                        ; =>    This Inner Loop Header: Depth=3
	v_ashrrev_i32_e32 v3, 31, v2
	v_add_nc_u32_e32 v11, s17, v11
	v_lshlrev_b64 v[12:13], 1, v[2:3]
	v_add_nc_u32_e32 v2, s19, v2
	v_add_co_u32 v12, vcc_lo, s14, v12
	v_add_co_ci_u32_e64 v13, null, s15, v13, vcc_lo
	v_cmp_le_i32_e32 vcc_lo, s9, v11
	global_load_ushort v3, v[12:13], off
	s_or_b32 s22, vcc_lo, s22
	s_waitcnt vmcnt(0)
	v_lshlrev_b32_e32 v3, 16, v3
	v_cmp_lt_f32_e64 s2, v10, v3
	v_cndmask_b32_e64 v10, v10, v3, s2
	s_andn2_b32 exec_lo, exec_lo, s22
	s_cbranch_execnz .LBB519_10
; %bb.11:                               ;   in Loop: Header=BB519_7 Depth=2
	s_or_b32 exec_lo, exec_lo, s22
	v_mov_b32_e32 v11, 0
	v_mov_b32_e32 v2, v7
	;; [unrolled: 1-line block ×3, first 2 shown]
	s_mov_b32 s2, 0
	s_inst_prefetch 0x1
	.p2align	6
.LBB519_12:                             ;   Parent Loop BB519_3 Depth=1
                                        ;     Parent Loop BB519_7 Depth=2
                                        ; =>    This Inner Loop Header: Depth=3
	v_ashrrev_i32_e32 v3, 31, v2
	v_add_nc_u32_e32 v12, s17, v12
	v_lshlrev_b64 v[13:14], 1, v[2:3]
	v_add_nc_u32_e32 v2, s19, v2
	v_add_co_u32 v13, vcc_lo, s14, v13
	v_add_co_ci_u32_e64 v14, null, s15, v14, vcc_lo
	global_load_ushort v3, v[13:14], off
	s_waitcnt vmcnt(0)
	v_lshlrev_b32_e32 v3, 16, v3
	v_sub_f32_e32 v3, v3, v10
	v_mul_f32_e32 v13, 0x3fb8aa3b, v3
	v_cmp_ngt_f32_e32 vcc_lo, 0xc2ce8ed0, v3
	v_fma_f32 v14, 0x3fb8aa3b, v3, -v13
	v_rndne_f32_e32 v15, v13
	v_fmac_f32_e32 v14, 0x32a5705f, v3
	v_sub_f32_e32 v13, v13, v15
	v_add_f32_e32 v13, v13, v14
	v_cvt_i32_f32_e32 v14, v15
	v_exp_f32_e32 v13, v13
	v_ldexp_f32 v13, v13, v14
	v_cndmask_b32_e32 v13, 0, v13, vcc_lo
	v_cmp_nlt_f32_e32 vcc_lo, 0x42b17218, v3
	v_cndmask_b32_e32 v3, 0x7f800000, v13, vcc_lo
	v_cmp_le_i32_e32 vcc_lo, s9, v12
	v_add_f32_e32 v11, v11, v3
	s_or_b32 s2, vcc_lo, s2
	s_andn2_b32 exec_lo, exec_lo, s2
	s_cbranch_execnz .LBB519_12
; %bb.13:                               ;   in Loop: Header=BB519_7 Depth=2
	s_inst_prefetch 0x2
	s_or_b32 exec_lo, exec_lo, s2
	v_mov_b32_e32 v2, v7
	v_mov_b32_e32 v12, v0
	s_mov_b32 s22, 0
.LBB519_14:                             ;   Parent Loop BB519_3 Depth=1
                                        ;     Parent Loop BB519_7 Depth=2
                                        ; =>    This Inner Loop Header: Depth=3
	v_ashrrev_i32_e32 v3, 31, v2
	v_add_nc_u32_e32 v12, s17, v12
	v_lshlrev_b64 v[13:14], 1, v[2:3]
	v_add_co_u32 v13, vcc_lo, s14, v13
	v_add_co_ci_u32_e64 v14, null, s15, v14, vcc_lo
	global_load_ushort v13, v[13:14], off
	s_waitcnt vmcnt(0)
	v_lshlrev_b32_e32 v13, 16, v13
	v_sub_f32_e32 v13, v13, v10
	v_mul_f32_e32 v14, 0x3fb8aa3b, v13
	v_cmp_ngt_f32_e32 vcc_lo, 0xc2ce8ed0, v13
	v_fma_f32 v15, 0x3fb8aa3b, v13, -v14
	v_rndne_f32_e32 v16, v14
	v_fmac_f32_e32 v15, 0x32a5705f, v13
	v_sub_f32_e32 v14, v14, v16
	v_add_f32_e32 v14, v14, v15
	v_cvt_i32_f32_e32 v15, v16
	v_exp_f32_e32 v14, v14
	v_ldexp_f32 v14, v14, v15
	v_cndmask_b32_e32 v14, 0, v14, vcc_lo
	v_cmp_nlt_f32_e32 vcc_lo, 0x42b17218, v13
	v_cndmask_b32_e32 v15, 0x7f800000, v14, vcc_lo
	v_div_scale_f32 v13, null, v11, v11, v15
	v_div_scale_f32 v17, vcc_lo, v15, v11, v15
	v_rcp_f32_e32 v14, v13
	v_fma_f32 v16, -v13, v14, 1.0
	v_fmac_f32_e32 v14, v16, v14
	v_mul_f32_e32 v16, v17, v14
	v_fma_f32 v18, -v13, v16, v17
	v_fmac_f32_e32 v16, v18, v14
	v_fma_f32 v13, -v13, v16, v17
	v_div_fmas_f32 v16, v13, v14, v16
	v_lshlrev_b64 v[13:14], 2, v[2:3]
	v_cmp_le_i32_e32 vcc_lo, s9, v12
	v_add_nc_u32_e32 v2, s19, v2
	v_div_fixup_f32 v3, v16, v11, v15
	v_add_co_u32 v13, s2, s12, v13
	v_add_co_ci_u32_e64 v14, null, s13, v14, s2
	s_or_b32 s22, vcc_lo, s22
	global_store_dword v[13:14], v3, off
	s_andn2_b32 exec_lo, exec_lo, s22
	s_cbranch_execnz .LBB519_14
.LBB519_15:                             ;   in Loop: Header=BB519_7 Depth=2
	s_or_b32 exec_lo, exec_lo, s21
	s_mov_b32 s2, 0
.LBB519_16:                             ;   in Loop: Header=BB519_7 Depth=2
	s_andn2_b32 vcc_lo, exec_lo, s2
	s_cbranch_vccnz .LBB519_6
; %bb.17:                               ;   in Loop: Header=BB519_7 Depth=2
	v_mov_b32_e32 v10, 0xff7fffff
	s_and_saveexec_b32 s21, s0
	s_cbranch_execz .LBB519_21
; %bb.18:                               ;   in Loop: Header=BB519_7 Depth=2
	v_mov_b32_e32 v10, 0xff7fffff
	v_mov_b32_e32 v2, v7
	;; [unrolled: 1-line block ×3, first 2 shown]
	s_mov_b32 s22, 0
	.p2align	6
.LBB519_19:                             ;   Parent Loop BB519_3 Depth=1
                                        ;     Parent Loop BB519_7 Depth=2
                                        ; =>    This Inner Loop Header: Depth=3
	v_ashrrev_i32_e32 v3, 31, v2
	v_add_nc_u32_e32 v11, s17, v11
	v_lshlrev_b64 v[12:13], 1, v[2:3]
	v_add_nc_u32_e32 v2, s19, v2
	v_add_co_u32 v12, vcc_lo, s14, v12
	v_add_co_ci_u32_e64 v13, null, s15, v13, vcc_lo
	v_cmp_le_i32_e32 vcc_lo, s9, v11
	global_load_ushort v3, v[12:13], off
	s_or_b32 s22, vcc_lo, s22
	s_waitcnt vmcnt(0)
	v_lshlrev_b32_e32 v3, 16, v3
	v_cmp_lt_f32_e64 s2, v10, v3
	v_cndmask_b32_e64 v10, v10, v3, s2
	s_andn2_b32 exec_lo, exec_lo, s22
	s_cbranch_execnz .LBB519_19
; %bb.20:                               ;   in Loop: Header=BB519_7 Depth=2
	s_or_b32 exec_lo, exec_lo, s22
.LBB519_21:                             ;   in Loop: Header=BB519_7 Depth=2
	s_or_b32 exec_lo, exec_lo, s21
	s_mov_b32 s2, s17
	s_waitcnt_vscnt null, 0x0
	s_barrier
	buffer_gl0_inv
	ds_write_b32 v8, v10
	s_branch .LBB519_23
	.p2align	6
.LBB519_22:                             ;   in Loop: Header=BB519_23 Depth=3
	s_or_b32 exec_lo, exec_lo, s22
	s_cmp_gt_u32 s2, 3
	s_mov_b32 s2, s21
	s_cbranch_scc0 .LBB519_25
.LBB519_23:                             ;   Parent Loop BB519_3 Depth=1
                                        ;     Parent Loop BB519_7 Depth=2
                                        ; =>    This Inner Loop Header: Depth=3
	s_lshr_b32 s21, s2, 1
	s_mov_b32 s22, exec_lo
	s_waitcnt lgkmcnt(0)
	s_barrier
	buffer_gl0_inv
	v_cmpx_gt_u32_e64 s21, v0
	s_cbranch_execz .LBB519_22
; %bb.24:                               ;   in Loop: Header=BB519_23 Depth=3
	v_lshl_add_u32 v2, s21, 2, v8
	ds_read_b32 v3, v8
	ds_read_b32 v2, v2
	s_waitcnt lgkmcnt(0)
	v_cmp_lt_f32_e32 vcc_lo, v3, v2
	v_cndmask_b32_e32 v2, v3, v2, vcc_lo
	ds_write_b32 v8, v2
	s_branch .LBB519_22
.LBB519_25:                             ;   in Loop: Header=BB519_7 Depth=2
	s_waitcnt lgkmcnt(0)
	s_barrier
	buffer_gl0_inv
	ds_read_b32 v10, v6
	v_mov_b32_e32 v11, 0
	s_and_saveexec_b32 s2, s0
	s_cbranch_execz .LBB519_29
; %bb.26:                               ;   in Loop: Header=BB519_7 Depth=2
	v_mov_b32_e32 v11, 0
	v_mov_b32_e32 v2, v7
	v_mov_b32_e32 v12, v0
	s_mov_b32 s21, 0
	s_inst_prefetch 0x1
	.p2align	6
.LBB519_27:                             ;   Parent Loop BB519_3 Depth=1
                                        ;     Parent Loop BB519_7 Depth=2
                                        ; =>    This Inner Loop Header: Depth=3
	v_ashrrev_i32_e32 v3, 31, v2
	v_add_nc_u32_e32 v12, s17, v12
	v_lshlrev_b64 v[13:14], 1, v[2:3]
	v_add_nc_u32_e32 v2, s19, v2
	v_add_co_u32 v13, vcc_lo, s14, v13
	v_add_co_ci_u32_e64 v14, null, s15, v14, vcc_lo
	global_load_ushort v3, v[13:14], off
	s_waitcnt vmcnt(0)
	v_lshlrev_b32_e32 v3, 16, v3
	s_waitcnt lgkmcnt(0)
	v_sub_f32_e32 v3, v3, v10
	v_mul_f32_e32 v13, 0x3fb8aa3b, v3
	v_cmp_ngt_f32_e32 vcc_lo, 0xc2ce8ed0, v3
	v_fma_f32 v14, 0x3fb8aa3b, v3, -v13
	v_rndne_f32_e32 v15, v13
	v_fmac_f32_e32 v14, 0x32a5705f, v3
	v_sub_f32_e32 v13, v13, v15
	v_add_f32_e32 v13, v13, v14
	v_cvt_i32_f32_e32 v14, v15
	v_exp_f32_e32 v13, v13
	v_ldexp_f32 v13, v13, v14
	v_cndmask_b32_e32 v13, 0, v13, vcc_lo
	v_cmp_nlt_f32_e32 vcc_lo, 0x42b17218, v3
	v_cndmask_b32_e32 v3, 0x7f800000, v13, vcc_lo
	v_cmp_le_i32_e32 vcc_lo, s9, v12
	v_add_f32_e32 v11, v11, v3
	s_or_b32 s21, vcc_lo, s21
	s_andn2_b32 exec_lo, exec_lo, s21
	s_cbranch_execnz .LBB519_27
; %bb.28:                               ;   in Loop: Header=BB519_7 Depth=2
	s_inst_prefetch 0x2
	s_or_b32 exec_lo, exec_lo, s21
.LBB519_29:                             ;   in Loop: Header=BB519_7 Depth=2
	s_or_b32 exec_lo, exec_lo, s2
	s_mov_b32 s2, s17
	s_waitcnt lgkmcnt(0)
	s_barrier
	buffer_gl0_inv
	ds_write_b32 v8, v11
	s_branch .LBB519_31
	.p2align	6
.LBB519_30:                             ;   in Loop: Header=BB519_31 Depth=3
	s_or_b32 exec_lo, exec_lo, s22
	s_cmp_gt_u32 s2, 3
	s_mov_b32 s2, s21
	s_cbranch_scc0 .LBB519_33
.LBB519_31:                             ;   Parent Loop BB519_3 Depth=1
                                        ;     Parent Loop BB519_7 Depth=2
                                        ; =>    This Inner Loop Header: Depth=3
	s_lshr_b32 s21, s2, 1
	s_mov_b32 s22, exec_lo
	s_waitcnt lgkmcnt(0)
	s_barrier
	buffer_gl0_inv
	v_cmpx_gt_u32_e64 s21, v0
	s_cbranch_execz .LBB519_30
; %bb.32:                               ;   in Loop: Header=BB519_31 Depth=3
	v_lshl_add_u32 v2, s21, 2, v8
	ds_read_b32 v3, v8
	ds_read_b32 v2, v2
	s_waitcnt lgkmcnt(0)
	v_add_f32_e32 v2, v3, v2
	ds_write_b32 v8, v2
	s_branch .LBB519_30
.LBB519_33:                             ;   in Loop: Header=BB519_7 Depth=2
	s_waitcnt lgkmcnt(0)
	s_barrier
	buffer_gl0_inv
	s_and_saveexec_b32 s21, s0
	s_cbranch_execz .LBB519_5
; %bb.34:                               ;   in Loop: Header=BB519_7 Depth=2
	ds_read_b32 v11, v6
	v_mov_b32_e32 v2, v7
	v_mov_b32_e32 v12, v0
	s_mov_b32 s22, 0
.LBB519_35:                             ;   Parent Loop BB519_3 Depth=1
                                        ;     Parent Loop BB519_7 Depth=2
                                        ; =>    This Inner Loop Header: Depth=3
	v_ashrrev_i32_e32 v3, 31, v2
	v_add_nc_u32_e32 v12, s17, v12
	v_lshlrev_b64 v[13:14], 1, v[2:3]
	v_add_co_u32 v13, vcc_lo, s14, v13
	v_add_co_ci_u32_e64 v14, null, s15, v14, vcc_lo
	global_load_ushort v13, v[13:14], off
	s_waitcnt vmcnt(0)
	v_lshlrev_b32_e32 v13, 16, v13
	v_sub_f32_e32 v13, v13, v10
	v_mul_f32_e32 v14, 0x3fb8aa3b, v13
	v_cmp_ngt_f32_e32 vcc_lo, 0xc2ce8ed0, v13
	v_fma_f32 v15, 0x3fb8aa3b, v13, -v14
	v_rndne_f32_e32 v16, v14
	v_fmac_f32_e32 v15, 0x32a5705f, v13
	v_sub_f32_e32 v14, v14, v16
	v_add_f32_e32 v14, v14, v15
	v_cvt_i32_f32_e32 v15, v16
	v_exp_f32_e32 v14, v14
	v_ldexp_f32 v14, v14, v15
	v_cndmask_b32_e32 v14, 0, v14, vcc_lo
	v_cmp_nlt_f32_e32 vcc_lo, 0x42b17218, v13
	v_cndmask_b32_e32 v15, 0x7f800000, v14, vcc_lo
	s_waitcnt lgkmcnt(0)
	v_div_scale_f32 v13, null, v11, v11, v15
	v_div_scale_f32 v17, vcc_lo, v15, v11, v15
	v_rcp_f32_e32 v14, v13
	v_fma_f32 v16, -v13, v14, 1.0
	v_fmac_f32_e32 v14, v16, v14
	v_mul_f32_e32 v16, v17, v14
	v_fma_f32 v18, -v13, v16, v17
	v_fmac_f32_e32 v16, v18, v14
	v_fma_f32 v13, -v13, v16, v17
	v_div_fmas_f32 v16, v13, v14, v16
	v_lshlrev_b64 v[13:14], 2, v[2:3]
	v_cmp_le_i32_e32 vcc_lo, s9, v12
	v_add_nc_u32_e32 v2, s19, v2
	v_div_fixup_f32 v3, v16, v11, v15
	v_add_co_u32 v13, s2, s12, v13
	v_add_co_ci_u32_e64 v14, null, s13, v14, s2
	s_or_b32 s22, vcc_lo, s22
	global_store_dword v[13:14], v3, off
	s_andn2_b32 exec_lo, exec_lo, s22
	s_cbranch_execnz .LBB519_35
	s_branch .LBB519_5
.LBB519_36:
	s_endpgm
	.section	.rodata,"a",@progbits
	.p2align	6, 0x0
	.amdhsa_kernel _ZN2at6native12_GLOBAL__N_126cunn_SpatialSoftMaxForwardIN3c108BFloat16EffiNS1_22SoftMaxForwardEpilogueEEEvPT1_PKT_T2_SB_SB_
		.amdhsa_group_segment_fixed_size 0
		.amdhsa_private_segment_fixed_size 0
		.amdhsa_kernarg_size 288
		.amdhsa_user_sgpr_count 6
		.amdhsa_user_sgpr_private_segment_buffer 1
		.amdhsa_user_sgpr_dispatch_ptr 0
		.amdhsa_user_sgpr_queue_ptr 0
		.amdhsa_user_sgpr_kernarg_segment_ptr 1
		.amdhsa_user_sgpr_dispatch_id 0
		.amdhsa_user_sgpr_flat_scratch_init 0
		.amdhsa_user_sgpr_private_segment_size 0
		.amdhsa_wavefront_size32 1
		.amdhsa_uses_dynamic_stack 0
		.amdhsa_system_sgpr_private_segment_wavefront_offset 0
		.amdhsa_system_sgpr_workgroup_id_x 1
		.amdhsa_system_sgpr_workgroup_id_y 1
		.amdhsa_system_sgpr_workgroup_id_z 0
		.amdhsa_system_sgpr_workgroup_info 0
		.amdhsa_system_vgpr_workitem_id 1
		.amdhsa_next_free_vgpr 19
		.amdhsa_next_free_sgpr 23
		.amdhsa_reserve_vcc 1
		.amdhsa_reserve_flat_scratch 0
		.amdhsa_float_round_mode_32 0
		.amdhsa_float_round_mode_16_64 0
		.amdhsa_float_denorm_mode_32 3
		.amdhsa_float_denorm_mode_16_64 3
		.amdhsa_dx10_clamp 1
		.amdhsa_ieee_mode 1
		.amdhsa_fp16_overflow 0
		.amdhsa_workgroup_processor_mode 1
		.amdhsa_memory_ordered 1
		.amdhsa_forward_progress 1
		.amdhsa_shared_vgpr_count 0
		.amdhsa_exception_fp_ieee_invalid_op 0
		.amdhsa_exception_fp_denorm_src 0
		.amdhsa_exception_fp_ieee_div_zero 0
		.amdhsa_exception_fp_ieee_overflow 0
		.amdhsa_exception_fp_ieee_underflow 0
		.amdhsa_exception_fp_ieee_inexact 0
		.amdhsa_exception_int_div_zero 0
	.end_amdhsa_kernel
	.section	.text._ZN2at6native12_GLOBAL__N_126cunn_SpatialSoftMaxForwardIN3c108BFloat16EffiNS1_22SoftMaxForwardEpilogueEEEvPT1_PKT_T2_SB_SB_,"axG",@progbits,_ZN2at6native12_GLOBAL__N_126cunn_SpatialSoftMaxForwardIN3c108BFloat16EffiNS1_22SoftMaxForwardEpilogueEEEvPT1_PKT_T2_SB_SB_,comdat
.Lfunc_end519:
	.size	_ZN2at6native12_GLOBAL__N_126cunn_SpatialSoftMaxForwardIN3c108BFloat16EffiNS1_22SoftMaxForwardEpilogueEEEvPT1_PKT_T2_SB_SB_, .Lfunc_end519-_ZN2at6native12_GLOBAL__N_126cunn_SpatialSoftMaxForwardIN3c108BFloat16EffiNS1_22SoftMaxForwardEpilogueEEEvPT1_PKT_T2_SB_SB_
                                        ; -- End function
	.set _ZN2at6native12_GLOBAL__N_126cunn_SpatialSoftMaxForwardIN3c108BFloat16EffiNS1_22SoftMaxForwardEpilogueEEEvPT1_PKT_T2_SB_SB_.num_vgpr, 19
	.set _ZN2at6native12_GLOBAL__N_126cunn_SpatialSoftMaxForwardIN3c108BFloat16EffiNS1_22SoftMaxForwardEpilogueEEEvPT1_PKT_T2_SB_SB_.num_agpr, 0
	.set _ZN2at6native12_GLOBAL__N_126cunn_SpatialSoftMaxForwardIN3c108BFloat16EffiNS1_22SoftMaxForwardEpilogueEEEvPT1_PKT_T2_SB_SB_.numbered_sgpr, 23
	.set _ZN2at6native12_GLOBAL__N_126cunn_SpatialSoftMaxForwardIN3c108BFloat16EffiNS1_22SoftMaxForwardEpilogueEEEvPT1_PKT_T2_SB_SB_.num_named_barrier, 0
	.set _ZN2at6native12_GLOBAL__N_126cunn_SpatialSoftMaxForwardIN3c108BFloat16EffiNS1_22SoftMaxForwardEpilogueEEEvPT1_PKT_T2_SB_SB_.private_seg_size, 0
	.set _ZN2at6native12_GLOBAL__N_126cunn_SpatialSoftMaxForwardIN3c108BFloat16EffiNS1_22SoftMaxForwardEpilogueEEEvPT1_PKT_T2_SB_SB_.uses_vcc, 1
	.set _ZN2at6native12_GLOBAL__N_126cunn_SpatialSoftMaxForwardIN3c108BFloat16EffiNS1_22SoftMaxForwardEpilogueEEEvPT1_PKT_T2_SB_SB_.uses_flat_scratch, 0
	.set _ZN2at6native12_GLOBAL__N_126cunn_SpatialSoftMaxForwardIN3c108BFloat16EffiNS1_22SoftMaxForwardEpilogueEEEvPT1_PKT_T2_SB_SB_.has_dyn_sized_stack, 0
	.set _ZN2at6native12_GLOBAL__N_126cunn_SpatialSoftMaxForwardIN3c108BFloat16EffiNS1_22SoftMaxForwardEpilogueEEEvPT1_PKT_T2_SB_SB_.has_recursion, 0
	.set _ZN2at6native12_GLOBAL__N_126cunn_SpatialSoftMaxForwardIN3c108BFloat16EffiNS1_22SoftMaxForwardEpilogueEEEvPT1_PKT_T2_SB_SB_.has_indirect_call, 0
	.section	.AMDGPU.csdata,"",@progbits
; Kernel info:
; codeLenInByte = 1948
; TotalNumSgprs: 25
; NumVgprs: 19
; ScratchSize: 0
; MemoryBound: 0
; FloatMode: 240
; IeeeMode: 1
; LDSByteSize: 0 bytes/workgroup (compile time only)
; SGPRBlocks: 0
; VGPRBlocks: 2
; NumSGPRsForWavesPerEU: 25
; NumVGPRsForWavesPerEU: 19
; Occupancy: 16
; WaveLimiterHint : 0
; COMPUTE_PGM_RSRC2:SCRATCH_EN: 0
; COMPUTE_PGM_RSRC2:USER_SGPR: 6
; COMPUTE_PGM_RSRC2:TRAP_HANDLER: 0
; COMPUTE_PGM_RSRC2:TGID_X_EN: 1
; COMPUTE_PGM_RSRC2:TGID_Y_EN: 1
; COMPUTE_PGM_RSRC2:TGID_Z_EN: 0
; COMPUTE_PGM_RSRC2:TIDIG_COMP_CNT: 1
	.section	.text._ZN2at6native12_GLOBAL__N_126cunn_SpatialSoftMaxForwardIN3c108BFloat16EfS4_lNS1_22SoftMaxForwardEpilogueEEEvPT1_PKT_T2_SB_SB_,"axG",@progbits,_ZN2at6native12_GLOBAL__N_126cunn_SpatialSoftMaxForwardIN3c108BFloat16EfS4_lNS1_22SoftMaxForwardEpilogueEEEvPT1_PKT_T2_SB_SB_,comdat
	.globl	_ZN2at6native12_GLOBAL__N_126cunn_SpatialSoftMaxForwardIN3c108BFloat16EfS4_lNS1_22SoftMaxForwardEpilogueEEEvPT1_PKT_T2_SB_SB_ ; -- Begin function _ZN2at6native12_GLOBAL__N_126cunn_SpatialSoftMaxForwardIN3c108BFloat16EfS4_lNS1_22SoftMaxForwardEpilogueEEEvPT1_PKT_T2_SB_SB_
	.p2align	8
	.type	_ZN2at6native12_GLOBAL__N_126cunn_SpatialSoftMaxForwardIN3c108BFloat16EfS4_lNS1_22SoftMaxForwardEpilogueEEEvPT1_PKT_T2_SB_SB_,@function
_ZN2at6native12_GLOBAL__N_126cunn_SpatialSoftMaxForwardIN3c108BFloat16EfS4_lNS1_22SoftMaxForwardEpilogueEEEvPT1_PKT_T2_SB_SB_: ; @_ZN2at6native12_GLOBAL__N_126cunn_SpatialSoftMaxForwardIN3c108BFloat16EfS4_lNS1_22SoftMaxForwardEpilogueEEEvPT1_PKT_T2_SB_SB_
; %bb.0:
	s_load_dwordx8 s[8:15], s[4:5], 0x0
	s_mov_b32 s0, s7
	s_mov_b32 s7, 0
	s_waitcnt lgkmcnt(0)
	v_cmp_le_i64_e64 s1, s[12:13], s[6:7]
	s_and_b32 vcc_lo, exec_lo, s1
	s_cbranch_vccnz .LBB520_36
; %bb.1:
	s_clause 0x1
	s_load_dword s1, s[4:5], 0x34
	s_load_dwordx4 s[16:19], s[4:5], 0x20
	v_mov_b32_e32 v2, v0
	s_add_u32 s4, s4, 40
	s_addc_u32 s5, s5, 0
	s_mov_b32 s21, s7
	s_waitcnt lgkmcnt(0)
	s_lshr_b32 s1, s1, 16
	s_mul_i32 s22, s16, s14
	v_mad_u64_u32 v[4:5], null, s0, s1, v[1:2]
	v_mov_b32_e32 v5, 0
	v_mad_u64_u32 v[6:7], null, s16, v2, 0
	s_mul_i32 s0, s16, s15
	s_mul_hi_u32 s2, s16, s14
	v_mov_b32_e32 v3, v5
	v_mad_u64_u32 v[8:9], null, s22, s6, v[4:5]
	s_mul_i32 s3, s17, s14
	v_mov_b32_e32 v0, v7
	v_mad_u64_u32 v[10:11], null, s14, s6, v[2:3]
	s_add_i32 s0, s2, s0
	s_mul_i32 s20, s19, s1
	v_mov_b32_e32 v7, v9
	s_add_i32 s0, s0, s3
	v_mad_u64_u32 v[12:13], null, s17, v2, v[0:1]
	v_mov_b32_e32 v0, v11
	v_mad_u64_u32 v[13:14], null, s0, s6, v[7:8]
	s_mul_hi_u32 s1, s22, s18
	s_mul_i32 s0, s0, s18
	v_mad_u64_u32 v[14:15], null, s15, s6, v[0:1]
	v_mov_b32_e32 v7, v12
	v_mul_lo_u32 v0, s17, v10
	v_mov_b32_e32 v9, v13
	v_mad_u64_u32 v[10:11], null, s16, v10, 0
	v_lshlrev_b64 v[6:7], 1, v[6:7]
	v_mul_lo_u32 v14, s16, v14
	v_lshlrev_b64 v[8:9], 1, v[8:9]
	v_lshlrev_b64 v[12:13], 1, v[4:5]
	s_add_i32 s3, s1, s0
	v_cmp_gt_i64_e64 s0, s[16:17], v[4:5]
	v_cmp_gt_i64_e64 s1, s[14:15], v[2:3]
	s_mul_i32 s2, s22, s18
	v_add_co_u32 v6, vcc_lo, v6, v8
	v_add_co_ci_u32_e64 v7, null, v7, v9, vcc_lo
	v_add3_u32 v11, v11, v14, v0
	v_add_co_u32 v6, vcc_lo, s10, v6
	v_add_co_ci_u32_e64 v7, null, s11, v7, vcc_lo
	v_lshlrev_b64 v[8:9], 1, v[10:11]
	v_add_co_u32 v10, vcc_lo, v10, v4
	v_add_co_ci_u32_e64 v11, null, 0, v11, vcc_lo
	s_lshl_b64 s[22:23], s[16:17], 1
	v_add_co_u32 v0, vcc_lo, v8, v12
	v_lshlrev_b64 v[10:11], 1, v[10:11]
	v_add_co_ci_u32_e64 v9, null, v9, v13, vcc_lo
	v_add_co_u32 v8, vcc_lo, s8, v0
	v_add_co_ci_u32_e64 v9, null, s9, v9, vcc_lo
	v_add_co_u32 v10, vcc_lo, s10, v10
	v_add_co_ci_u32_e64 v11, null, s11, v11, vcc_lo
	s_lshl_b64 s[8:9], s[2:3], 1
	s_lshl_b64 s[10:11], s[20:21], 1
	s_branch .LBB520_3
.LBB520_2:                              ;   in Loop: Header=BB520_3 Depth=1
	s_or_b32 exec_lo, exec_lo, s3
	s_add_u32 s6, s6, s18
	v_add_co_u32 v6, vcc_lo, v6, s8
	s_addc_u32 s7, s7, 0
	v_add_co_ci_u32_e64 v7, null, s9, v7, vcc_lo
	v_add_co_u32 v8, vcc_lo, v8, s8
	v_cmp_ge_i64_e64 s2, s[6:7], s[12:13]
	v_add_co_ci_u32_e64 v9, null, s9, v9, vcc_lo
	v_add_co_u32 v10, vcc_lo, v10, s8
	v_add_co_ci_u32_e64 v11, null, s9, v11, vcc_lo
	s_and_b32 vcc_lo, exec_lo, s2
	s_cbranch_vccnz .LBB520_36
.LBB520_3:                              ; =>This Loop Header: Depth=1
                                        ;     Child Loop BB520_7 Depth 2
                                        ;       Child Loop BB520_10 Depth 3
                                        ;       Child Loop BB520_12 Depth 3
	;; [unrolled: 1-line block ×8, first 2 shown]
	s_and_saveexec_b32 s3, s0
	s_cbranch_execz .LBB520_2
; %bb.4:                                ;   in Loop: Header=BB520_3 Depth=1
	s_load_dword s2, s[4:5], 0xc
	v_mov_b32_e32 v13, v11
	v_mov_b32_e32 v15, v9
	;; [unrolled: 1-line block ×8, first 2 shown]
	s_mov_b32 s28, 0
	s_waitcnt lgkmcnt(0)
	s_and_b32 s19, s2, 0xffff
	v_mul_u32_u24_e32 v0, s19, v1
	s_cmp_lt_u32 s19, 2
	s_mul_i32 s2, s23, s19
	s_mul_hi_u32 s24, s22, s19
	s_cselect_b32 s21, -1, 0
	v_lshl_add_u32 v0, v0, 2, 0
	s_add_i32 s26, s24, s2
	s_mul_i32 s27, s22, s19
	v_lshl_add_u32 v24, v2, 2, v0
	s_branch .LBB520_7
.LBB520_5:                              ;   in Loop: Header=BB520_7 Depth=2
	s_or_b32 exec_lo, exec_lo, s29
.LBB520_6:                              ;   in Loop: Header=BB520_7 Depth=2
	v_add_co_u32 v18, vcc_lo, v18, s20
	v_add_co_ci_u32_e64 v19, null, 0, v19, vcc_lo
	v_add_co_u32 v16, vcc_lo, v16, s10
	v_add_co_ci_u32_e64 v17, null, s11, v17, vcc_lo
	;; [unrolled: 2-line block ×3, first 2 shown]
	v_cmp_le_i64_e32 vcc_lo, s[16:17], v[18:19]
	v_add_co_u32 v12, s2, v12, s10
	v_add_co_ci_u32_e64 v13, null, s11, v13, s2
	s_or_b32 s28, vcc_lo, s28
	s_andn2_b32 exec_lo, exec_lo, s28
	s_cbranch_execz .LBB520_2
.LBB520_7:                              ;   Parent Loop BB520_3 Depth=1
                                        ; =>  This Loop Header: Depth=2
                                        ;       Child Loop BB520_10 Depth 3
                                        ;       Child Loop BB520_12 Depth 3
	;; [unrolled: 1-line block ×8, first 2 shown]
	s_and_b32 vcc_lo, exec_lo, s21
	s_mov_b32 s2, -1
	s_cbranch_vccz .LBB520_16
; %bb.8:                                ;   in Loop: Header=BB520_7 Depth=2
	s_and_saveexec_b32 s29, s1
	s_cbranch_execz .LBB520_15
; %bb.9:                                ;   in Loop: Header=BB520_7 Depth=2
	v_mov_b32_e32 v21, v17
	v_mov_b32_e32 v23, v3
	v_mov_b32_e32 v25, 0xff7fffff
	v_mov_b32_e32 v20, v16
	v_mov_b32_e32 v22, v2
	s_mov_b32 s24, 0
	.p2align	6
.LBB520_10:                             ;   Parent Loop BB520_3 Depth=1
                                        ;     Parent Loop BB520_7 Depth=2
                                        ; =>    This Inner Loop Header: Depth=3
	global_load_ushort v26, v[20:21], off
	v_add_co_u32 v22, vcc_lo, v22, s19
	v_add_co_ci_u32_e64 v23, null, 0, v23, vcc_lo
	v_add_co_u32 v20, vcc_lo, v20, s27
	v_add_co_ci_u32_e64 v21, null, s26, v21, vcc_lo
	v_cmp_le_i64_e64 s2, s[14:15], v[22:23]
	s_or_b32 s24, s2, s24
	s_waitcnt vmcnt(0)
	v_lshlrev_b32_e32 v26, 16, v26
	v_cmp_lt_f32_e32 vcc_lo, v25, v26
	v_cndmask_b32_e32 v25, v25, v26, vcc_lo
	s_andn2_b32 exec_lo, exec_lo, s24
	s_cbranch_execnz .LBB520_10
; %bb.11:                               ;   in Loop: Header=BB520_7 Depth=2
	s_or_b32 exec_lo, exec_lo, s24
	v_mov_b32_e32 v21, v17
	v_mov_b32_e32 v23, v3
	v_mov_b32_e32 v26, 0
	v_mov_b32_e32 v20, v16
	v_mov_b32_e32 v22, v2
	s_mov_b32 s24, 0
	s_inst_prefetch 0x1
	.p2align	6
.LBB520_12:                             ;   Parent Loop BB520_3 Depth=1
                                        ;     Parent Loop BB520_7 Depth=2
                                        ; =>    This Inner Loop Header: Depth=3
	global_load_ushort v27, v[20:21], off
	v_add_co_u32 v22, vcc_lo, v22, s19
	v_add_co_ci_u32_e64 v23, null, 0, v23, vcc_lo
	v_cmp_le_i64_e32 vcc_lo, s[14:15], v[22:23]
	s_or_b32 s24, vcc_lo, s24
	s_waitcnt vmcnt(0)
	v_lshlrev_b32_e32 v27, 16, v27
	v_sub_f32_e32 v27, v27, v25
	v_mul_f32_e32 v28, 0x3fb8aa3b, v27
	v_cmp_ngt_f32_e64 s2, 0xc2ce8ed0, v27
	v_fma_f32 v29, 0x3fb8aa3b, v27, -v28
	v_rndne_f32_e32 v30, v28
	v_fmac_f32_e32 v29, 0x32a5705f, v27
	v_sub_f32_e32 v28, v28, v30
	v_add_f32_e32 v28, v28, v29
	v_cvt_i32_f32_e32 v29, v30
	v_exp_f32_e32 v28, v28
	v_ldexp_f32 v28, v28, v29
	v_cndmask_b32_e64 v28, 0, v28, s2
	v_cmp_nlt_f32_e64 s2, 0x42b17218, v27
	v_cndmask_b32_e64 v27, 0x7f800000, v28, s2
	v_add_co_u32 v20, s2, v20, s27
	v_add_co_ci_u32_e64 v21, null, s26, v21, s2
	v_add_f32_e32 v26, v26, v27
	s_andn2_b32 exec_lo, exec_lo, s24
	s_cbranch_execnz .LBB520_12
; %bb.13:                               ;   in Loop: Header=BB520_7 Depth=2
	s_inst_prefetch 0x2
	s_or_b32 exec_lo, exec_lo, s24
	v_mov_b32_e32 v21, v3
	v_mov_b32_e32 v20, v2
	s_mov_b64 s[24:25], 0
	s_mov_b32 s30, 0
.LBB520_14:                             ;   Parent Loop BB520_3 Depth=1
                                        ;     Parent Loop BB520_7 Depth=2
                                        ; =>    This Inner Loop Header: Depth=3
	v_add_co_u32 v22, vcc_lo, v16, s24
	v_add_co_ci_u32_e64 v23, null, s25, v17, vcc_lo
	global_load_ushort v22, v[22:23], off
	s_waitcnt vmcnt(0)
	v_lshlrev_b32_e32 v22, 16, v22
	v_sub_f32_e32 v22, v22, v25
	v_mul_f32_e32 v23, 0x3fb8aa3b, v22
	v_cmp_ngt_f32_e32 vcc_lo, 0xc2ce8ed0, v22
	v_fma_f32 v27, 0x3fb8aa3b, v22, -v23
	v_rndne_f32_e32 v28, v23
	v_fmac_f32_e32 v27, 0x32a5705f, v22
	v_sub_f32_e32 v23, v23, v28
	v_add_f32_e32 v23, v23, v27
	v_cvt_i32_f32_e32 v27, v28
	v_exp_f32_e32 v23, v23
	v_ldexp_f32 v23, v23, v27
	v_cndmask_b32_e32 v23, 0, v23, vcc_lo
	v_cmp_nlt_f32_e32 vcc_lo, 0x42b17218, v22
	v_cndmask_b32_e32 v22, 0x7f800000, v23, vcc_lo
	v_div_scale_f32 v23, null, v26, v26, v22
	v_div_scale_f32 v29, vcc_lo, v22, v26, v22
	v_rcp_f32_e32 v27, v23
	v_fma_f32 v28, -v23, v27, 1.0
	v_fmac_f32_e32 v27, v28, v27
	v_mul_f32_e32 v28, v29, v27
	v_fma_f32 v30, -v23, v28, v29
	v_fmac_f32_e32 v28, v30, v27
	v_fma_f32 v23, -v23, v28, v29
	v_div_fmas_f32 v23, v23, v27, v28
	v_add_co_u32 v20, vcc_lo, v20, s19
	v_add_co_ci_u32_e64 v21, null, 0, v21, vcc_lo
	v_div_fixup_f32 v27, v23, v26, v22
	v_cmp_le_i64_e64 s2, s[14:15], v[20:21]
	v_bfe_u32 v22, v27, 16, 1
	v_add3_u32 v23, v27, v22, 0x7fff
	v_add_co_u32 v22, vcc_lo, v14, s24
	s_add_u32 s24, s24, s27
	v_lshrrev_b32_e32 v28, 16, v23
	v_add_co_ci_u32_e64 v23, null, s25, v15, vcc_lo
	v_cmp_o_f32_e32 vcc_lo, v27, v27
	s_addc_u32 s25, s25, s26
	s_or_b32 s30, s2, s30
	v_cndmask_b32_e32 v27, 0x7fc0, v28, vcc_lo
	global_store_short v[22:23], v27, off
	s_andn2_b32 exec_lo, exec_lo, s30
	s_cbranch_execnz .LBB520_14
.LBB520_15:                             ;   in Loop: Header=BB520_7 Depth=2
	s_or_b32 exec_lo, exec_lo, s29
	s_mov_b32 s2, 0
.LBB520_16:                             ;   in Loop: Header=BB520_7 Depth=2
	s_andn2_b32 vcc_lo, exec_lo, s2
	s_cbranch_vccnz .LBB520_6
; %bb.17:                               ;   in Loop: Header=BB520_7 Depth=2
	v_mov_b32_e32 v25, 0xff7fffff
	s_and_saveexec_b32 s24, s1
	s_cbranch_execz .LBB520_21
; %bb.18:                               ;   in Loop: Header=BB520_7 Depth=2
	v_mov_b32_e32 v21, v17
	v_mov_b32_e32 v23, v3
	;; [unrolled: 1-line block ×5, first 2 shown]
	s_mov_b32 s25, 0
	.p2align	6
.LBB520_19:                             ;   Parent Loop BB520_3 Depth=1
                                        ;     Parent Loop BB520_7 Depth=2
                                        ; =>    This Inner Loop Header: Depth=3
	global_load_ushort v26, v[20:21], off
	v_add_co_u32 v22, vcc_lo, v22, s19
	v_add_co_ci_u32_e64 v23, null, 0, v23, vcc_lo
	v_add_co_u32 v20, vcc_lo, v20, s27
	v_add_co_ci_u32_e64 v21, null, s26, v21, vcc_lo
	v_cmp_le_i64_e64 s2, s[14:15], v[22:23]
	s_or_b32 s25, s2, s25
	s_waitcnt vmcnt(0)
	v_lshlrev_b32_e32 v26, 16, v26
	v_cmp_lt_f32_e32 vcc_lo, v25, v26
	v_cndmask_b32_e32 v25, v25, v26, vcc_lo
	s_andn2_b32 exec_lo, exec_lo, s25
	s_cbranch_execnz .LBB520_19
; %bb.20:                               ;   in Loop: Header=BB520_7 Depth=2
	s_or_b32 exec_lo, exec_lo, s25
.LBB520_21:                             ;   in Loop: Header=BB520_7 Depth=2
	s_or_b32 exec_lo, exec_lo, s24
	s_mov_b32 s2, s19
	s_waitcnt_vscnt null, 0x0
	s_barrier
	buffer_gl0_inv
	ds_write_b32 v24, v25
	s_branch .LBB520_23
	.p2align	6
.LBB520_22:                             ;   in Loop: Header=BB520_23 Depth=3
	s_or_b32 exec_lo, exec_lo, s25
	s_cmp_gt_u32 s2, 3
	s_mov_b32 s2, s24
	s_cbranch_scc0 .LBB520_25
.LBB520_23:                             ;   Parent Loop BB520_3 Depth=1
                                        ;     Parent Loop BB520_7 Depth=2
                                        ; =>    This Inner Loop Header: Depth=3
	s_lshr_b32 s24, s2, 1
	s_mov_b32 s25, exec_lo
	s_waitcnt lgkmcnt(0)
	s_barrier
	buffer_gl0_inv
	v_cmpx_gt_u32_e64 s24, v2
	s_cbranch_execz .LBB520_22
; %bb.24:                               ;   in Loop: Header=BB520_23 Depth=3
	v_lshl_add_u32 v20, s24, 2, v24
	ds_read_b32 v21, v24
	ds_read_b32 v20, v20
	s_waitcnt lgkmcnt(0)
	v_cmp_lt_f32_e32 vcc_lo, v21, v20
	v_cndmask_b32_e32 v20, v21, v20, vcc_lo
	ds_write_b32 v24, v20
	s_branch .LBB520_22
.LBB520_25:                             ;   in Loop: Header=BB520_7 Depth=2
	s_waitcnt lgkmcnt(0)
	s_barrier
	buffer_gl0_inv
	ds_read_b32 v25, v0
	v_mov_b32_e32 v26, 0
	s_and_saveexec_b32 s24, s1
	s_cbranch_execz .LBB520_29
; %bb.26:                               ;   in Loop: Header=BB520_7 Depth=2
	v_mov_b32_e32 v21, v17
	v_mov_b32_e32 v23, v3
	;; [unrolled: 1-line block ×5, first 2 shown]
	s_mov_b32 s25, 0
	s_inst_prefetch 0x1
	.p2align	6
.LBB520_27:                             ;   Parent Loop BB520_3 Depth=1
                                        ;     Parent Loop BB520_7 Depth=2
                                        ; =>    This Inner Loop Header: Depth=3
	global_load_ushort v27, v[20:21], off
	v_add_co_u32 v22, vcc_lo, v22, s19
	v_add_co_ci_u32_e64 v23, null, 0, v23, vcc_lo
	v_cmp_le_i64_e32 vcc_lo, s[14:15], v[22:23]
	s_or_b32 s25, vcc_lo, s25
	s_waitcnt vmcnt(0)
	v_lshlrev_b32_e32 v27, 16, v27
	s_waitcnt lgkmcnt(0)
	v_sub_f32_e32 v27, v27, v25
	v_mul_f32_e32 v28, 0x3fb8aa3b, v27
	v_cmp_ngt_f32_e64 s2, 0xc2ce8ed0, v27
	v_fma_f32 v29, 0x3fb8aa3b, v27, -v28
	v_rndne_f32_e32 v30, v28
	v_fmac_f32_e32 v29, 0x32a5705f, v27
	v_sub_f32_e32 v28, v28, v30
	v_add_f32_e32 v28, v28, v29
	v_cvt_i32_f32_e32 v29, v30
	v_exp_f32_e32 v28, v28
	v_ldexp_f32 v28, v28, v29
	v_cndmask_b32_e64 v28, 0, v28, s2
	v_cmp_nlt_f32_e64 s2, 0x42b17218, v27
	v_cndmask_b32_e64 v27, 0x7f800000, v28, s2
	v_add_co_u32 v20, s2, v20, s27
	v_add_co_ci_u32_e64 v21, null, s26, v21, s2
	v_add_f32_e32 v26, v26, v27
	s_andn2_b32 exec_lo, exec_lo, s25
	s_cbranch_execnz .LBB520_27
; %bb.28:                               ;   in Loop: Header=BB520_7 Depth=2
	s_inst_prefetch 0x2
	s_or_b32 exec_lo, exec_lo, s25
.LBB520_29:                             ;   in Loop: Header=BB520_7 Depth=2
	s_or_b32 exec_lo, exec_lo, s24
	s_mov_b32 s2, s19
	s_waitcnt lgkmcnt(0)
	s_barrier
	buffer_gl0_inv
	ds_write_b32 v24, v26
	s_branch .LBB520_31
	.p2align	6
.LBB520_30:                             ;   in Loop: Header=BB520_31 Depth=3
	s_or_b32 exec_lo, exec_lo, s25
	s_cmp_gt_u32 s2, 3
	s_mov_b32 s2, s24
	s_cbranch_scc0 .LBB520_33
.LBB520_31:                             ;   Parent Loop BB520_3 Depth=1
                                        ;     Parent Loop BB520_7 Depth=2
                                        ; =>    This Inner Loop Header: Depth=3
	s_lshr_b32 s24, s2, 1
	s_mov_b32 s25, exec_lo
	s_waitcnt lgkmcnt(0)
	s_barrier
	buffer_gl0_inv
	v_cmpx_gt_u32_e64 s24, v2
	s_cbranch_execz .LBB520_30
; %bb.32:                               ;   in Loop: Header=BB520_31 Depth=3
	v_lshl_add_u32 v20, s24, 2, v24
	ds_read_b32 v21, v24
	ds_read_b32 v20, v20
	s_waitcnt lgkmcnt(0)
	v_add_f32_e32 v20, v21, v20
	ds_write_b32 v24, v20
	s_branch .LBB520_30
.LBB520_33:                             ;   in Loop: Header=BB520_7 Depth=2
	s_waitcnt lgkmcnt(0)
	s_barrier
	buffer_gl0_inv
	s_and_saveexec_b32 s29, s1
	s_cbranch_execz .LBB520_5
; %bb.34:                               ;   in Loop: Header=BB520_7 Depth=2
	ds_read_b32 v22, v0
	v_mov_b32_e32 v21, v3
	v_mov_b32_e32 v20, v2
	s_mov_b64 s[24:25], 0
	s_mov_b32 s30, 0
.LBB520_35:                             ;   Parent Loop BB520_3 Depth=1
                                        ;     Parent Loop BB520_7 Depth=2
                                        ; =>    This Inner Loop Header: Depth=3
	v_add_co_u32 v26, vcc_lo, v12, s24
	v_add_co_ci_u32_e64 v27, null, s25, v13, vcc_lo
	global_load_ushort v23, v[26:27], off
	s_waitcnt vmcnt(0)
	v_lshlrev_b32_e32 v23, 16, v23
	v_sub_f32_e32 v23, v23, v25
	v_mul_f32_e32 v26, 0x3fb8aa3b, v23
	v_cmp_ngt_f32_e32 vcc_lo, 0xc2ce8ed0, v23
	v_fma_f32 v27, 0x3fb8aa3b, v23, -v26
	v_rndne_f32_e32 v28, v26
	v_fmac_f32_e32 v27, 0x32a5705f, v23
	v_sub_f32_e32 v26, v26, v28
	v_add_f32_e32 v26, v26, v27
	v_cvt_i32_f32_e32 v27, v28
	v_exp_f32_e32 v26, v26
	v_ldexp_f32 v26, v26, v27
	v_cndmask_b32_e32 v26, 0, v26, vcc_lo
	v_cmp_nlt_f32_e32 vcc_lo, 0x42b17218, v23
	v_cndmask_b32_e32 v23, 0x7f800000, v26, vcc_lo
	s_waitcnt lgkmcnt(0)
	v_div_scale_f32 v26, null, v22, v22, v23
	v_div_scale_f32 v29, vcc_lo, v23, v22, v23
	v_rcp_f32_e32 v27, v26
	v_fma_f32 v28, -v26, v27, 1.0
	v_fmac_f32_e32 v27, v28, v27
	v_mul_f32_e32 v28, v29, v27
	v_fma_f32 v30, -v26, v28, v29
	v_fmac_f32_e32 v28, v30, v27
	v_fma_f32 v26, -v26, v28, v29
	v_div_fmas_f32 v26, v26, v27, v28
	v_add_co_u32 v20, vcc_lo, v20, s19
	v_add_co_ci_u32_e64 v21, null, 0, v21, vcc_lo
	v_div_fixup_f32 v23, v26, v22, v23
	v_cmp_le_i64_e64 s2, s[14:15], v[20:21]
	v_bfe_u32 v26, v23, 16, 1
	v_add3_u32 v27, v23, v26, 0x7fff
	v_add_co_u32 v26, vcc_lo, v14, s24
	s_add_u32 s24, s24, s27
	v_lshrrev_b32_e32 v28, 16, v27
	v_add_co_ci_u32_e64 v27, null, s25, v15, vcc_lo
	v_cmp_o_f32_e32 vcc_lo, v23, v23
	s_addc_u32 s25, s25, s26
	s_or_b32 s30, s2, s30
	v_cndmask_b32_e32 v23, 0x7fc0, v28, vcc_lo
	global_store_short v[26:27], v23, off
	s_andn2_b32 exec_lo, exec_lo, s30
	s_cbranch_execnz .LBB520_35
	s_branch .LBB520_5
.LBB520_36:
	s_endpgm
	.section	.rodata,"a",@progbits
	.p2align	6, 0x0
	.amdhsa_kernel _ZN2at6native12_GLOBAL__N_126cunn_SpatialSoftMaxForwardIN3c108BFloat16EfS4_lNS1_22SoftMaxForwardEpilogueEEEvPT1_PKT_T2_SB_SB_
		.amdhsa_group_segment_fixed_size 0
		.amdhsa_private_segment_fixed_size 0
		.amdhsa_kernarg_size 296
		.amdhsa_user_sgpr_count 6
		.amdhsa_user_sgpr_private_segment_buffer 1
		.amdhsa_user_sgpr_dispatch_ptr 0
		.amdhsa_user_sgpr_queue_ptr 0
		.amdhsa_user_sgpr_kernarg_segment_ptr 1
		.amdhsa_user_sgpr_dispatch_id 0
		.amdhsa_user_sgpr_flat_scratch_init 0
		.amdhsa_user_sgpr_private_segment_size 0
		.amdhsa_wavefront_size32 1
		.amdhsa_uses_dynamic_stack 0
		.amdhsa_system_sgpr_private_segment_wavefront_offset 0
		.amdhsa_system_sgpr_workgroup_id_x 1
		.amdhsa_system_sgpr_workgroup_id_y 1
		.amdhsa_system_sgpr_workgroup_id_z 0
		.amdhsa_system_sgpr_workgroup_info 0
		.amdhsa_system_vgpr_workitem_id 1
		.amdhsa_next_free_vgpr 31
		.amdhsa_next_free_sgpr 31
		.amdhsa_reserve_vcc 1
		.amdhsa_reserve_flat_scratch 0
		.amdhsa_float_round_mode_32 0
		.amdhsa_float_round_mode_16_64 0
		.amdhsa_float_denorm_mode_32 3
		.amdhsa_float_denorm_mode_16_64 3
		.amdhsa_dx10_clamp 1
		.amdhsa_ieee_mode 1
		.amdhsa_fp16_overflow 0
		.amdhsa_workgroup_processor_mode 1
		.amdhsa_memory_ordered 1
		.amdhsa_forward_progress 1
		.amdhsa_shared_vgpr_count 0
		.amdhsa_exception_fp_ieee_invalid_op 0
		.amdhsa_exception_fp_denorm_src 0
		.amdhsa_exception_fp_ieee_div_zero 0
		.amdhsa_exception_fp_ieee_overflow 0
		.amdhsa_exception_fp_ieee_underflow 0
		.amdhsa_exception_fp_ieee_inexact 0
		.amdhsa_exception_int_div_zero 0
	.end_amdhsa_kernel
	.section	.text._ZN2at6native12_GLOBAL__N_126cunn_SpatialSoftMaxForwardIN3c108BFloat16EfS4_lNS1_22SoftMaxForwardEpilogueEEEvPT1_PKT_T2_SB_SB_,"axG",@progbits,_ZN2at6native12_GLOBAL__N_126cunn_SpatialSoftMaxForwardIN3c108BFloat16EfS4_lNS1_22SoftMaxForwardEpilogueEEEvPT1_PKT_T2_SB_SB_,comdat
.Lfunc_end520:
	.size	_ZN2at6native12_GLOBAL__N_126cunn_SpatialSoftMaxForwardIN3c108BFloat16EfS4_lNS1_22SoftMaxForwardEpilogueEEEvPT1_PKT_T2_SB_SB_, .Lfunc_end520-_ZN2at6native12_GLOBAL__N_126cunn_SpatialSoftMaxForwardIN3c108BFloat16EfS4_lNS1_22SoftMaxForwardEpilogueEEEvPT1_PKT_T2_SB_SB_
                                        ; -- End function
	.set _ZN2at6native12_GLOBAL__N_126cunn_SpatialSoftMaxForwardIN3c108BFloat16EfS4_lNS1_22SoftMaxForwardEpilogueEEEvPT1_PKT_T2_SB_SB_.num_vgpr, 31
	.set _ZN2at6native12_GLOBAL__N_126cunn_SpatialSoftMaxForwardIN3c108BFloat16EfS4_lNS1_22SoftMaxForwardEpilogueEEEvPT1_PKT_T2_SB_SB_.num_agpr, 0
	.set _ZN2at6native12_GLOBAL__N_126cunn_SpatialSoftMaxForwardIN3c108BFloat16EfS4_lNS1_22SoftMaxForwardEpilogueEEEvPT1_PKT_T2_SB_SB_.numbered_sgpr, 31
	.set _ZN2at6native12_GLOBAL__N_126cunn_SpatialSoftMaxForwardIN3c108BFloat16EfS4_lNS1_22SoftMaxForwardEpilogueEEEvPT1_PKT_T2_SB_SB_.num_named_barrier, 0
	.set _ZN2at6native12_GLOBAL__N_126cunn_SpatialSoftMaxForwardIN3c108BFloat16EfS4_lNS1_22SoftMaxForwardEpilogueEEEvPT1_PKT_T2_SB_SB_.private_seg_size, 0
	.set _ZN2at6native12_GLOBAL__N_126cunn_SpatialSoftMaxForwardIN3c108BFloat16EfS4_lNS1_22SoftMaxForwardEpilogueEEEvPT1_PKT_T2_SB_SB_.uses_vcc, 1
	.set _ZN2at6native12_GLOBAL__N_126cunn_SpatialSoftMaxForwardIN3c108BFloat16EfS4_lNS1_22SoftMaxForwardEpilogueEEEvPT1_PKT_T2_SB_SB_.uses_flat_scratch, 0
	.set _ZN2at6native12_GLOBAL__N_126cunn_SpatialSoftMaxForwardIN3c108BFloat16EfS4_lNS1_22SoftMaxForwardEpilogueEEEvPT1_PKT_T2_SB_SB_.has_dyn_sized_stack, 0
	.set _ZN2at6native12_GLOBAL__N_126cunn_SpatialSoftMaxForwardIN3c108BFloat16EfS4_lNS1_22SoftMaxForwardEpilogueEEEvPT1_PKT_T2_SB_SB_.has_recursion, 0
	.set _ZN2at6native12_GLOBAL__N_126cunn_SpatialSoftMaxForwardIN3c108BFloat16EfS4_lNS1_22SoftMaxForwardEpilogueEEEvPT1_PKT_T2_SB_SB_.has_indirect_call, 0
	.section	.AMDGPU.csdata,"",@progbits
; Kernel info:
; codeLenInByte = 2500
; TotalNumSgprs: 33
; NumVgprs: 31
; ScratchSize: 0
; MemoryBound: 0
; FloatMode: 240
; IeeeMode: 1
; LDSByteSize: 0 bytes/workgroup (compile time only)
; SGPRBlocks: 0
; VGPRBlocks: 3
; NumSGPRsForWavesPerEU: 33
; NumVGPRsForWavesPerEU: 31
; Occupancy: 16
; WaveLimiterHint : 0
; COMPUTE_PGM_RSRC2:SCRATCH_EN: 0
; COMPUTE_PGM_RSRC2:USER_SGPR: 6
; COMPUTE_PGM_RSRC2:TRAP_HANDLER: 0
; COMPUTE_PGM_RSRC2:TGID_X_EN: 1
; COMPUTE_PGM_RSRC2:TGID_Y_EN: 1
; COMPUTE_PGM_RSRC2:TGID_Z_EN: 0
; COMPUTE_PGM_RSRC2:TIDIG_COMP_CNT: 1
	.section	.text._ZN2at6native12_GLOBAL__N_126cunn_SpatialSoftMaxForwardIN3c108BFloat16EfflNS1_22SoftMaxForwardEpilogueEEEvPT1_PKT_T2_SB_SB_,"axG",@progbits,_ZN2at6native12_GLOBAL__N_126cunn_SpatialSoftMaxForwardIN3c108BFloat16EfflNS1_22SoftMaxForwardEpilogueEEEvPT1_PKT_T2_SB_SB_,comdat
	.globl	_ZN2at6native12_GLOBAL__N_126cunn_SpatialSoftMaxForwardIN3c108BFloat16EfflNS1_22SoftMaxForwardEpilogueEEEvPT1_PKT_T2_SB_SB_ ; -- Begin function _ZN2at6native12_GLOBAL__N_126cunn_SpatialSoftMaxForwardIN3c108BFloat16EfflNS1_22SoftMaxForwardEpilogueEEEvPT1_PKT_T2_SB_SB_
	.p2align	8
	.type	_ZN2at6native12_GLOBAL__N_126cunn_SpatialSoftMaxForwardIN3c108BFloat16EfflNS1_22SoftMaxForwardEpilogueEEEvPT1_PKT_T2_SB_SB_,@function
_ZN2at6native12_GLOBAL__N_126cunn_SpatialSoftMaxForwardIN3c108BFloat16EfflNS1_22SoftMaxForwardEpilogueEEEvPT1_PKT_T2_SB_SB_: ; @_ZN2at6native12_GLOBAL__N_126cunn_SpatialSoftMaxForwardIN3c108BFloat16EfflNS1_22SoftMaxForwardEpilogueEEEvPT1_PKT_T2_SB_SB_
; %bb.0:
	s_load_dwordx8 s[8:15], s[4:5], 0x0
	s_mov_b32 s0, s7
	s_mov_b32 s7, 0
	s_waitcnt lgkmcnt(0)
	v_cmp_le_i64_e64 s1, s[12:13], s[6:7]
	s_and_b32 vcc_lo, exec_lo, s1
	s_cbranch_vccnz .LBB521_36
; %bb.1:
	s_clause 0x1
	s_load_dword s1, s[4:5], 0x34
	s_load_dwordx4 s[16:19], s[4:5], 0x20
	v_mov_b32_e32 v2, v0
	s_add_u32 s4, s4, 40
	s_addc_u32 s5, s5, 0
	s_mov_b32 s21, s7
	s_waitcnt lgkmcnt(0)
	s_lshr_b32 s1, s1, 16
	v_mad_u64_u32 v[6:7], null, s16, v2, 0
	v_mad_u64_u32 v[4:5], null, s0, s1, v[1:2]
	v_mov_b32_e32 v5, 0
	s_mul_i32 s24, s16, s14
	s_mul_i32 s0, s16, s15
	s_mul_hi_u32 s2, s16, s14
	v_mov_b32_e32 v0, v7
	v_mov_b32_e32 v3, v5
	v_mad_u64_u32 v[8:9], null, s24, s6, v[4:5]
	s_mul_i32 s3, s17, s14
	s_add_i32 s0, s2, s0
	v_mad_u64_u32 v[10:11], null, s14, s6, v[2:3]
	v_mad_u64_u32 v[12:13], null, s17, v2, v[0:1]
	v_mov_b32_e32 v7, v9
	s_add_i32 s0, s0, s3
	s_mul_i32 s20, s19, s1
	s_mul_hi_u32 s1, s24, s18
	v_mov_b32_e32 v0, v11
	v_mad_u64_u32 v[13:14], null, s0, s6, v[7:8]
	v_mov_b32_e32 v7, v12
	v_mad_u64_u32 v[11:12], null, s16, v10, v[4:5]
	v_mad_u64_u32 v[14:15], null, s15, s6, v[0:1]
	v_mul_lo_u32 v0, s17, v10
	v_mov_b32_e32 v9, v13
	v_lshlrev_b64 v[6:7], 1, v[6:7]
	s_mul_i32 s0, s0, s18
	s_mul_i32 s2, s24, s18
	s_add_i32 s3, s1, s0
	v_mul_lo_u32 v10, s16, v14
	v_lshlrev_b64 v[8:9], 1, v[8:9]
	v_cmp_gt_i64_e64 s0, s[16:17], v[4:5]
	v_cmp_gt_i64_e64 s1, s[14:15], v[2:3]
	s_lshl_b64 s[22:23], s[16:17], 1
	s_lshl_b64 s[24:25], s[20:21], 1
	;; [unrolled: 1-line block ×4, first 2 shown]
	v_add3_u32 v12, v0, v12, v10
	v_add_co_u32 v0, vcc_lo, v6, v8
	v_add_co_ci_u32_e64 v7, null, v7, v9, vcc_lo
	v_lshlrev_b64 v[8:9], 2, v[11:12]
	v_lshlrev_b64 v[10:11], 1, v[11:12]
	v_add_co_u32 v6, vcc_lo, s10, v0
	v_add_co_ci_u32_e64 v7, null, s11, v7, vcc_lo
	v_add_co_u32 v8, vcc_lo, s8, v8
	v_add_co_ci_u32_e64 v9, null, s9, v9, vcc_lo
	;; [unrolled: 2-line block ×3, first 2 shown]
	s_lshl_b64 s[8:9], s[2:3], 2
	s_lshl_b64 s[10:11], s[20:21], 2
	s_branch .LBB521_3
.LBB521_2:                              ;   in Loop: Header=BB521_3 Depth=1
	s_or_b32 exec_lo, exec_lo, s3
	s_add_u32 s6, s6, s18
	v_add_co_u32 v6, vcc_lo, v6, s26
	s_addc_u32 s7, s7, 0
	v_add_co_ci_u32_e64 v7, null, s27, v7, vcc_lo
	v_add_co_u32 v8, vcc_lo, v8, s8
	v_cmp_ge_i64_e64 s2, s[6:7], s[12:13]
	v_add_co_ci_u32_e64 v9, null, s9, v9, vcc_lo
	v_add_co_u32 v10, vcc_lo, v10, s26
	v_add_co_ci_u32_e64 v11, null, s27, v11, vcc_lo
	s_and_b32 vcc_lo, exec_lo, s2
	s_cbranch_vccnz .LBB521_36
.LBB521_3:                              ; =>This Loop Header: Depth=1
                                        ;     Child Loop BB521_7 Depth 2
                                        ;       Child Loop BB521_10 Depth 3
                                        ;       Child Loop BB521_12 Depth 3
	;; [unrolled: 1-line block ×8, first 2 shown]
	s_and_saveexec_b32 s3, s0
	s_cbranch_execz .LBB521_2
; %bb.4:                                ;   in Loop: Header=BB521_3 Depth=1
	s_load_dword s2, s[4:5], 0xc
	v_mov_b32_e32 v13, v11
	v_mov_b32_e32 v15, v9
	v_mov_b32_e32 v17, v7
	v_mov_b32_e32 v19, v5
	v_mov_b32_e32 v12, v10
	v_mov_b32_e32 v14, v8
	v_mov_b32_e32 v16, v6
	v_mov_b32_e32 v18, v4
	s_mov_b32 s35, 0
	s_waitcnt lgkmcnt(0)
	s_and_b32 s19, s2, 0xffff
	v_mul_u32_u24_e32 v0, s19, v1
	s_cmp_lt_u32 s19, 2
	s_mul_i32 s2, s23, s19
	s_mul_hi_u32 s31, s22, s19
	s_mul_i32 s33, s29, s19
	v_lshl_add_u32 v0, v0, 2, 0
	s_mul_hi_u32 s34, s28, s19
	s_mul_i32 s21, s22, s19
	s_cselect_b32 s30, -1, 0
	s_add_i32 s31, s31, s2
	v_lshl_add_u32 v26, v2, 2, v0
	s_add_i32 s33, s34, s33
	s_mul_i32 s34, s28, s19
	s_branch .LBB521_7
.LBB521_5:                              ;   in Loop: Header=BB521_7 Depth=2
	s_or_b32 exec_lo, exec_lo, s36
.LBB521_6:                              ;   in Loop: Header=BB521_7 Depth=2
	v_add_co_u32 v18, vcc_lo, v18, s20
	v_add_co_ci_u32_e64 v19, null, 0, v19, vcc_lo
	v_add_co_u32 v16, vcc_lo, v16, s24
	v_add_co_ci_u32_e64 v17, null, s25, v17, vcc_lo
	;; [unrolled: 2-line block ×3, first 2 shown]
	v_cmp_le_i64_e32 vcc_lo, s[16:17], v[18:19]
	v_add_co_u32 v12, s2, v12, s24
	v_add_co_ci_u32_e64 v13, null, s25, v13, s2
	s_or_b32 s35, vcc_lo, s35
	s_andn2_b32 exec_lo, exec_lo, s35
	s_cbranch_execz .LBB521_2
.LBB521_7:                              ;   Parent Loop BB521_3 Depth=1
                                        ; =>  This Loop Header: Depth=2
                                        ;       Child Loop BB521_10 Depth 3
                                        ;       Child Loop BB521_12 Depth 3
	;; [unrolled: 1-line block ×8, first 2 shown]
	s_and_b32 vcc_lo, exec_lo, s30
	s_mov_b32 s2, -1
	s_cbranch_vccz .LBB521_16
; %bb.8:                                ;   in Loop: Header=BB521_7 Depth=2
	s_and_saveexec_b32 s36, s1
	s_cbranch_execz .LBB521_15
; %bb.9:                                ;   in Loop: Header=BB521_7 Depth=2
	v_mov_b32_e32 v21, v17
	v_mov_b32_e32 v23, v3
	;; [unrolled: 1-line block ×5, first 2 shown]
	s_mov_b32 s37, 0
	.p2align	6
.LBB521_10:                             ;   Parent Loop BB521_3 Depth=1
                                        ;     Parent Loop BB521_7 Depth=2
                                        ; =>    This Inner Loop Header: Depth=3
	global_load_ushort v24, v[20:21], off
	v_add_co_u32 v22, vcc_lo, v22, s19
	v_add_co_ci_u32_e64 v23, null, 0, v23, vcc_lo
	v_add_co_u32 v20, vcc_lo, v20, s21
	v_add_co_ci_u32_e64 v21, null, s31, v21, vcc_lo
	v_cmp_le_i64_e64 s2, s[14:15], v[22:23]
	s_or_b32 s37, s2, s37
	s_waitcnt vmcnt(0)
	v_lshlrev_b32_e32 v24, 16, v24
	v_cmp_lt_f32_e32 vcc_lo, v27, v24
	v_cndmask_b32_e32 v27, v27, v24, vcc_lo
	s_andn2_b32 exec_lo, exec_lo, s37
	s_cbranch_execnz .LBB521_10
; %bb.11:                               ;   in Loop: Header=BB521_7 Depth=2
	s_or_b32 exec_lo, exec_lo, s37
	v_mov_b32_e32 v21, v17
	v_mov_b32_e32 v23, v3
	;; [unrolled: 1-line block ×5, first 2 shown]
	s_mov_b32 s37, 0
	s_inst_prefetch 0x1
	.p2align	6
.LBB521_12:                             ;   Parent Loop BB521_3 Depth=1
                                        ;     Parent Loop BB521_7 Depth=2
                                        ; =>    This Inner Loop Header: Depth=3
	global_load_ushort v24, v[20:21], off
	v_add_co_u32 v22, vcc_lo, v22, s19
	v_add_co_ci_u32_e64 v23, null, 0, v23, vcc_lo
	v_cmp_le_i64_e32 vcc_lo, s[14:15], v[22:23]
	s_or_b32 s37, vcc_lo, s37
	s_waitcnt vmcnt(0)
	v_lshlrev_b32_e32 v24, 16, v24
	v_sub_f32_e32 v24, v24, v27
	v_mul_f32_e32 v25, 0x3fb8aa3b, v24
	v_cmp_ngt_f32_e64 s2, 0xc2ce8ed0, v24
	v_fma_f32 v29, 0x3fb8aa3b, v24, -v25
	v_rndne_f32_e32 v30, v25
	v_fmac_f32_e32 v29, 0x32a5705f, v24
	v_sub_f32_e32 v25, v25, v30
	v_add_f32_e32 v25, v25, v29
	v_cvt_i32_f32_e32 v29, v30
	v_exp_f32_e32 v25, v25
	v_ldexp_f32 v25, v25, v29
	v_cndmask_b32_e64 v25, 0, v25, s2
	v_cmp_nlt_f32_e64 s2, 0x42b17218, v24
	v_cndmask_b32_e64 v24, 0x7f800000, v25, s2
	v_add_co_u32 v20, s2, v20, s21
	v_add_co_ci_u32_e64 v21, null, s31, v21, s2
	v_add_f32_e32 v28, v28, v24
	s_andn2_b32 exec_lo, exec_lo, s37
	s_cbranch_execnz .LBB521_12
; %bb.13:                               ;   in Loop: Header=BB521_7 Depth=2
	s_inst_prefetch 0x2
	s_or_b32 exec_lo, exec_lo, s37
	v_mov_b32_e32 v21, v15
	v_mov_b32_e32 v23, v17
	;; [unrolled: 1-line block ×6, first 2 shown]
	s_mov_b32 s37, 0
.LBB521_14:                             ;   Parent Loop BB521_3 Depth=1
                                        ;     Parent Loop BB521_7 Depth=2
                                        ; =>    This Inner Loop Header: Depth=3
	global_load_ushort v29, v[22:23], off
	v_add_co_u32 v24, vcc_lo, v24, s19
	v_add_co_ci_u32_e64 v25, null, 0, v25, vcc_lo
	v_add_co_u32 v22, vcc_lo, v22, s21
	v_add_co_ci_u32_e64 v23, null, s31, v23, vcc_lo
	s_waitcnt vmcnt(0)
	v_lshlrev_b32_e32 v29, 16, v29
	v_sub_f32_e32 v29, v29, v27
	v_mul_f32_e32 v30, 0x3fb8aa3b, v29
	v_cmp_ngt_f32_e64 s2, 0xc2ce8ed0, v29
	v_fma_f32 v31, 0x3fb8aa3b, v29, -v30
	v_rndne_f32_e32 v32, v30
	v_fmac_f32_e32 v31, 0x32a5705f, v29
	v_sub_f32_e32 v30, v30, v32
	v_add_f32_e32 v30, v30, v31
	v_cvt_i32_f32_e32 v31, v32
	v_exp_f32_e32 v30, v30
	v_ldexp_f32 v30, v30, v31
	v_cndmask_b32_e64 v30, 0, v30, s2
	v_cmp_nlt_f32_e64 s2, 0x42b17218, v29
	v_cndmask_b32_e64 v29, 0x7f800000, v30, s2
	v_cmp_le_i64_e64 s2, s[14:15], v[24:25]
	v_div_scale_f32 v30, null, v28, v28, v29
	v_div_scale_f32 v32, vcc_lo, v29, v28, v29
	s_or_b32 s37, s2, s37
	v_rcp_f32_e32 v31, v30
	v_fma_f32 v33, -v30, v31, 1.0
	v_fmac_f32_e32 v31, v33, v31
	v_mul_f32_e32 v33, v32, v31
	v_fma_f32 v34, -v30, v33, v32
	v_fmac_f32_e32 v33, v34, v31
	v_fma_f32 v30, -v30, v33, v32
	v_div_fmas_f32 v30, v30, v31, v33
	v_div_fixup_f32 v29, v30, v28, v29
	global_store_dword v[20:21], v29, off
	v_add_co_u32 v20, vcc_lo, v20, s34
	v_add_co_ci_u32_e64 v21, null, s33, v21, vcc_lo
	s_andn2_b32 exec_lo, exec_lo, s37
	s_cbranch_execnz .LBB521_14
.LBB521_15:                             ;   in Loop: Header=BB521_7 Depth=2
	s_or_b32 exec_lo, exec_lo, s36
	s_mov_b32 s2, 0
.LBB521_16:                             ;   in Loop: Header=BB521_7 Depth=2
	s_andn2_b32 vcc_lo, exec_lo, s2
	s_cbranch_vccnz .LBB521_6
; %bb.17:                               ;   in Loop: Header=BB521_7 Depth=2
	v_mov_b32_e32 v24, 0xff7fffff
	s_and_saveexec_b32 s36, s1
	s_cbranch_execz .LBB521_21
; %bb.18:                               ;   in Loop: Header=BB521_7 Depth=2
	v_mov_b32_e32 v21, v17
	v_mov_b32_e32 v23, v3
	;; [unrolled: 1-line block ×5, first 2 shown]
	s_mov_b32 s37, 0
	.p2align	6
.LBB521_19:                             ;   Parent Loop BB521_3 Depth=1
                                        ;     Parent Loop BB521_7 Depth=2
                                        ; =>    This Inner Loop Header: Depth=3
	global_load_ushort v25, v[20:21], off
	v_add_co_u32 v22, vcc_lo, v22, s19
	v_add_co_ci_u32_e64 v23, null, 0, v23, vcc_lo
	v_add_co_u32 v20, vcc_lo, v20, s21
	v_add_co_ci_u32_e64 v21, null, s31, v21, vcc_lo
	v_cmp_le_i64_e64 s2, s[14:15], v[22:23]
	s_or_b32 s37, s2, s37
	s_waitcnt vmcnt(0)
	v_lshlrev_b32_e32 v25, 16, v25
	v_cmp_lt_f32_e32 vcc_lo, v24, v25
	v_cndmask_b32_e32 v24, v24, v25, vcc_lo
	s_andn2_b32 exec_lo, exec_lo, s37
	s_cbranch_execnz .LBB521_19
; %bb.20:                               ;   in Loop: Header=BB521_7 Depth=2
	s_or_b32 exec_lo, exec_lo, s37
.LBB521_21:                             ;   in Loop: Header=BB521_7 Depth=2
	s_or_b32 exec_lo, exec_lo, s36
	s_mov_b32 s2, s19
	s_waitcnt_vscnt null, 0x0
	s_barrier
	buffer_gl0_inv
	ds_write_b32 v26, v24
	s_branch .LBB521_23
	.p2align	6
.LBB521_22:                             ;   in Loop: Header=BB521_23 Depth=3
	s_or_b32 exec_lo, exec_lo, s37
	s_cmp_gt_u32 s2, 3
	s_mov_b32 s2, s36
	s_cbranch_scc0 .LBB521_25
.LBB521_23:                             ;   Parent Loop BB521_3 Depth=1
                                        ;     Parent Loop BB521_7 Depth=2
                                        ; =>    This Inner Loop Header: Depth=3
	s_lshr_b32 s36, s2, 1
	s_mov_b32 s37, exec_lo
	s_waitcnt lgkmcnt(0)
	s_barrier
	buffer_gl0_inv
	v_cmpx_gt_u32_e64 s36, v2
	s_cbranch_execz .LBB521_22
; %bb.24:                               ;   in Loop: Header=BB521_23 Depth=3
	v_lshl_add_u32 v20, s36, 2, v26
	ds_read_b32 v21, v26
	ds_read_b32 v20, v20
	s_waitcnt lgkmcnt(0)
	v_cmp_lt_f32_e32 vcc_lo, v21, v20
	v_cndmask_b32_e32 v20, v21, v20, vcc_lo
	ds_write_b32 v26, v20
	s_branch .LBB521_22
.LBB521_25:                             ;   in Loop: Header=BB521_7 Depth=2
	s_waitcnt lgkmcnt(0)
	s_barrier
	buffer_gl0_inv
	ds_read_b32 v27, v0
	v_mov_b32_e32 v24, 0
	s_and_saveexec_b32 s36, s1
	s_cbranch_execz .LBB521_29
; %bb.26:                               ;   in Loop: Header=BB521_7 Depth=2
	v_mov_b32_e32 v21, v17
	v_mov_b32_e32 v23, v3
	;; [unrolled: 1-line block ×5, first 2 shown]
	s_mov_b32 s37, 0
	s_inst_prefetch 0x1
	.p2align	6
.LBB521_27:                             ;   Parent Loop BB521_3 Depth=1
                                        ;     Parent Loop BB521_7 Depth=2
                                        ; =>    This Inner Loop Header: Depth=3
	global_load_ushort v25, v[20:21], off
	v_add_co_u32 v22, vcc_lo, v22, s19
	v_add_co_ci_u32_e64 v23, null, 0, v23, vcc_lo
	v_cmp_le_i64_e32 vcc_lo, s[14:15], v[22:23]
	s_or_b32 s37, vcc_lo, s37
	s_waitcnt vmcnt(0)
	v_lshlrev_b32_e32 v25, 16, v25
	s_waitcnt lgkmcnt(0)
	v_sub_f32_e32 v25, v25, v27
	v_mul_f32_e32 v28, 0x3fb8aa3b, v25
	v_cmp_ngt_f32_e64 s2, 0xc2ce8ed0, v25
	v_fma_f32 v29, 0x3fb8aa3b, v25, -v28
	v_rndne_f32_e32 v30, v28
	v_fmac_f32_e32 v29, 0x32a5705f, v25
	v_sub_f32_e32 v28, v28, v30
	v_add_f32_e32 v28, v28, v29
	v_cvt_i32_f32_e32 v29, v30
	v_exp_f32_e32 v28, v28
	v_ldexp_f32 v28, v28, v29
	v_cndmask_b32_e64 v28, 0, v28, s2
	v_cmp_nlt_f32_e64 s2, 0x42b17218, v25
	v_cndmask_b32_e64 v25, 0x7f800000, v28, s2
	v_add_co_u32 v20, s2, v20, s21
	v_add_co_ci_u32_e64 v21, null, s31, v21, s2
	v_add_f32_e32 v24, v24, v25
	s_andn2_b32 exec_lo, exec_lo, s37
	s_cbranch_execnz .LBB521_27
; %bb.28:                               ;   in Loop: Header=BB521_7 Depth=2
	s_inst_prefetch 0x2
	s_or_b32 exec_lo, exec_lo, s37
.LBB521_29:                             ;   in Loop: Header=BB521_7 Depth=2
	s_or_b32 exec_lo, exec_lo, s36
	s_mov_b32 s2, s19
	s_waitcnt lgkmcnt(0)
	s_barrier
	buffer_gl0_inv
	ds_write_b32 v26, v24
	s_branch .LBB521_31
	.p2align	6
.LBB521_30:                             ;   in Loop: Header=BB521_31 Depth=3
	s_or_b32 exec_lo, exec_lo, s37
	s_cmp_gt_u32 s2, 3
	s_mov_b32 s2, s36
	s_cbranch_scc0 .LBB521_33
.LBB521_31:                             ;   Parent Loop BB521_3 Depth=1
                                        ;     Parent Loop BB521_7 Depth=2
                                        ; =>    This Inner Loop Header: Depth=3
	s_lshr_b32 s36, s2, 1
	s_mov_b32 s37, exec_lo
	s_waitcnt lgkmcnt(0)
	s_barrier
	buffer_gl0_inv
	v_cmpx_gt_u32_e64 s36, v2
	s_cbranch_execz .LBB521_30
; %bb.32:                               ;   in Loop: Header=BB521_31 Depth=3
	v_lshl_add_u32 v20, s36, 2, v26
	ds_read_b32 v21, v26
	ds_read_b32 v20, v20
	s_waitcnt lgkmcnt(0)
	v_add_f32_e32 v20, v21, v20
	ds_write_b32 v26, v20
	s_branch .LBB521_30
.LBB521_33:                             ;   in Loop: Header=BB521_7 Depth=2
	s_waitcnt lgkmcnt(0)
	s_barrier
	buffer_gl0_inv
	s_and_saveexec_b32 s36, s1
	s_cbranch_execz .LBB521_5
; %bb.34:                               ;   in Loop: Header=BB521_7 Depth=2
	ds_read_b32 v28, v0
	v_mov_b32_e32 v21, v15
	v_mov_b32_e32 v23, v13
	;; [unrolled: 1-line block ×6, first 2 shown]
	s_mov_b32 s37, 0
.LBB521_35:                             ;   Parent Loop BB521_3 Depth=1
                                        ;     Parent Loop BB521_7 Depth=2
                                        ; =>    This Inner Loop Header: Depth=3
	global_load_ushort v29, v[22:23], off
	v_add_co_u32 v24, vcc_lo, v24, s19
	v_add_co_ci_u32_e64 v25, null, 0, v25, vcc_lo
	v_add_co_u32 v22, vcc_lo, v22, s21
	v_add_co_ci_u32_e64 v23, null, s31, v23, vcc_lo
	s_waitcnt vmcnt(0)
	v_lshlrev_b32_e32 v29, 16, v29
	v_sub_f32_e32 v29, v29, v27
	v_mul_f32_e32 v30, 0x3fb8aa3b, v29
	v_cmp_ngt_f32_e64 s2, 0xc2ce8ed0, v29
	v_fma_f32 v31, 0x3fb8aa3b, v29, -v30
	v_rndne_f32_e32 v32, v30
	v_fmac_f32_e32 v31, 0x32a5705f, v29
	v_sub_f32_e32 v30, v30, v32
	v_add_f32_e32 v30, v30, v31
	v_cvt_i32_f32_e32 v31, v32
	v_exp_f32_e32 v30, v30
	v_ldexp_f32 v30, v30, v31
	v_cndmask_b32_e64 v30, 0, v30, s2
	v_cmp_nlt_f32_e64 s2, 0x42b17218, v29
	v_cndmask_b32_e64 v29, 0x7f800000, v30, s2
	v_cmp_le_i64_e64 s2, s[14:15], v[24:25]
	s_waitcnt lgkmcnt(0)
	v_div_scale_f32 v30, null, v28, v28, v29
	v_div_scale_f32 v32, vcc_lo, v29, v28, v29
	s_or_b32 s37, s2, s37
	v_rcp_f32_e32 v31, v30
	v_fma_f32 v33, -v30, v31, 1.0
	v_fmac_f32_e32 v31, v33, v31
	v_mul_f32_e32 v33, v32, v31
	v_fma_f32 v34, -v30, v33, v32
	v_fmac_f32_e32 v33, v34, v31
	v_fma_f32 v30, -v30, v33, v32
	v_div_fmas_f32 v30, v30, v31, v33
	v_div_fixup_f32 v29, v30, v28, v29
	global_store_dword v[20:21], v29, off
	v_add_co_u32 v20, vcc_lo, v20, s34
	v_add_co_ci_u32_e64 v21, null, s33, v21, vcc_lo
	s_andn2_b32 exec_lo, exec_lo, s37
	s_cbranch_execnz .LBB521_35
	s_branch .LBB521_5
.LBB521_36:
	s_endpgm
	.section	.rodata,"a",@progbits
	.p2align	6, 0x0
	.amdhsa_kernel _ZN2at6native12_GLOBAL__N_126cunn_SpatialSoftMaxForwardIN3c108BFloat16EfflNS1_22SoftMaxForwardEpilogueEEEvPT1_PKT_T2_SB_SB_
		.amdhsa_group_segment_fixed_size 0
		.amdhsa_private_segment_fixed_size 0
		.amdhsa_kernarg_size 296
		.amdhsa_user_sgpr_count 6
		.amdhsa_user_sgpr_private_segment_buffer 1
		.amdhsa_user_sgpr_dispatch_ptr 0
		.amdhsa_user_sgpr_queue_ptr 0
		.amdhsa_user_sgpr_kernarg_segment_ptr 1
		.amdhsa_user_sgpr_dispatch_id 0
		.amdhsa_user_sgpr_flat_scratch_init 0
		.amdhsa_user_sgpr_private_segment_size 0
		.amdhsa_wavefront_size32 1
		.amdhsa_uses_dynamic_stack 0
		.amdhsa_system_sgpr_private_segment_wavefront_offset 0
		.amdhsa_system_sgpr_workgroup_id_x 1
		.amdhsa_system_sgpr_workgroup_id_y 1
		.amdhsa_system_sgpr_workgroup_id_z 0
		.amdhsa_system_sgpr_workgroup_info 0
		.amdhsa_system_vgpr_workitem_id 1
		.amdhsa_next_free_vgpr 35
		.amdhsa_next_free_sgpr 38
		.amdhsa_reserve_vcc 1
		.amdhsa_reserve_flat_scratch 0
		.amdhsa_float_round_mode_32 0
		.amdhsa_float_round_mode_16_64 0
		.amdhsa_float_denorm_mode_32 3
		.amdhsa_float_denorm_mode_16_64 3
		.amdhsa_dx10_clamp 1
		.amdhsa_ieee_mode 1
		.amdhsa_fp16_overflow 0
		.amdhsa_workgroup_processor_mode 1
		.amdhsa_memory_ordered 1
		.amdhsa_forward_progress 1
		.amdhsa_shared_vgpr_count 0
		.amdhsa_exception_fp_ieee_invalid_op 0
		.amdhsa_exception_fp_denorm_src 0
		.amdhsa_exception_fp_ieee_div_zero 0
		.amdhsa_exception_fp_ieee_overflow 0
		.amdhsa_exception_fp_ieee_underflow 0
		.amdhsa_exception_fp_ieee_inexact 0
		.amdhsa_exception_int_div_zero 0
	.end_amdhsa_kernel
	.section	.text._ZN2at6native12_GLOBAL__N_126cunn_SpatialSoftMaxForwardIN3c108BFloat16EfflNS1_22SoftMaxForwardEpilogueEEEvPT1_PKT_T2_SB_SB_,"axG",@progbits,_ZN2at6native12_GLOBAL__N_126cunn_SpatialSoftMaxForwardIN3c108BFloat16EfflNS1_22SoftMaxForwardEpilogueEEEvPT1_PKT_T2_SB_SB_,comdat
.Lfunc_end521:
	.size	_ZN2at6native12_GLOBAL__N_126cunn_SpatialSoftMaxForwardIN3c108BFloat16EfflNS1_22SoftMaxForwardEpilogueEEEvPT1_PKT_T2_SB_SB_, .Lfunc_end521-_ZN2at6native12_GLOBAL__N_126cunn_SpatialSoftMaxForwardIN3c108BFloat16EfflNS1_22SoftMaxForwardEpilogueEEEvPT1_PKT_T2_SB_SB_
                                        ; -- End function
	.set _ZN2at6native12_GLOBAL__N_126cunn_SpatialSoftMaxForwardIN3c108BFloat16EfflNS1_22SoftMaxForwardEpilogueEEEvPT1_PKT_T2_SB_SB_.num_vgpr, 35
	.set _ZN2at6native12_GLOBAL__N_126cunn_SpatialSoftMaxForwardIN3c108BFloat16EfflNS1_22SoftMaxForwardEpilogueEEEvPT1_PKT_T2_SB_SB_.num_agpr, 0
	.set _ZN2at6native12_GLOBAL__N_126cunn_SpatialSoftMaxForwardIN3c108BFloat16EfflNS1_22SoftMaxForwardEpilogueEEEvPT1_PKT_T2_SB_SB_.numbered_sgpr, 38
	.set _ZN2at6native12_GLOBAL__N_126cunn_SpatialSoftMaxForwardIN3c108BFloat16EfflNS1_22SoftMaxForwardEpilogueEEEvPT1_PKT_T2_SB_SB_.num_named_barrier, 0
	.set _ZN2at6native12_GLOBAL__N_126cunn_SpatialSoftMaxForwardIN3c108BFloat16EfflNS1_22SoftMaxForwardEpilogueEEEvPT1_PKT_T2_SB_SB_.private_seg_size, 0
	.set _ZN2at6native12_GLOBAL__N_126cunn_SpatialSoftMaxForwardIN3c108BFloat16EfflNS1_22SoftMaxForwardEpilogueEEEvPT1_PKT_T2_SB_SB_.uses_vcc, 1
	.set _ZN2at6native12_GLOBAL__N_126cunn_SpatialSoftMaxForwardIN3c108BFloat16EfflNS1_22SoftMaxForwardEpilogueEEEvPT1_PKT_T2_SB_SB_.uses_flat_scratch, 0
	.set _ZN2at6native12_GLOBAL__N_126cunn_SpatialSoftMaxForwardIN3c108BFloat16EfflNS1_22SoftMaxForwardEpilogueEEEvPT1_PKT_T2_SB_SB_.has_dyn_sized_stack, 0
	.set _ZN2at6native12_GLOBAL__N_126cunn_SpatialSoftMaxForwardIN3c108BFloat16EfflNS1_22SoftMaxForwardEpilogueEEEvPT1_PKT_T2_SB_SB_.has_recursion, 0
	.set _ZN2at6native12_GLOBAL__N_126cunn_SpatialSoftMaxForwardIN3c108BFloat16EfflNS1_22SoftMaxForwardEpilogueEEEvPT1_PKT_T2_SB_SB_.has_indirect_call, 0
	.section	.AMDGPU.csdata,"",@progbits
; Kernel info:
; codeLenInByte = 2484
; TotalNumSgprs: 40
; NumVgprs: 35
; ScratchSize: 0
; MemoryBound: 0
; FloatMode: 240
; IeeeMode: 1
; LDSByteSize: 0 bytes/workgroup (compile time only)
; SGPRBlocks: 0
; VGPRBlocks: 4
; NumSGPRsForWavesPerEU: 40
; NumVGPRsForWavesPerEU: 35
; Occupancy: 16
; WaveLimiterHint : 0
; COMPUTE_PGM_RSRC2:SCRATCH_EN: 0
; COMPUTE_PGM_RSRC2:USER_SGPR: 6
; COMPUTE_PGM_RSRC2:TRAP_HANDLER: 0
; COMPUTE_PGM_RSRC2:TGID_X_EN: 1
; COMPUTE_PGM_RSRC2:TGID_Y_EN: 1
; COMPUTE_PGM_RSRC2:TGID_Z_EN: 0
; COMPUTE_PGM_RSRC2:TIDIG_COMP_CNT: 1
	.section	.text._ZN12_GLOBAL__N_121softmax_warp_backwardIdddLi0ELb0ELb0ELi64EEEvPT0_PKT_S5_iiiPKb,"axG",@progbits,_ZN12_GLOBAL__N_121softmax_warp_backwardIdddLi0ELb0ELb0ELi64EEEvPT0_PKT_S5_iiiPKb,comdat
	.globl	_ZN12_GLOBAL__N_121softmax_warp_backwardIdddLi0ELb0ELb0ELi64EEEvPT0_PKT_S5_iiiPKb ; -- Begin function _ZN12_GLOBAL__N_121softmax_warp_backwardIdddLi0ELb0ELb0ELi64EEEvPT0_PKT_S5_iiiPKb
	.p2align	8
	.type	_ZN12_GLOBAL__N_121softmax_warp_backwardIdddLi0ELb0ELb0ELi64EEEvPT0_PKT_S5_iiiPKb,@function
_ZN12_GLOBAL__N_121softmax_warp_backwardIdddLi0ELb0ELb0ELi64EEEvPT0_PKT_S5_iiiPKb: ; @_ZN12_GLOBAL__N_121softmax_warp_backwardIdddLi0ELb0ELb0ELi64EEEvPT0_PKT_S5_iiiPKb
; %bb.0:
	s_clause 0x3
	s_load_dword s7, s[4:5], 0x3c
	s_load_dwordx4 s[0:3], s[4:5], 0x18
	s_load_dwordx4 s[8:11], s[4:5], 0x0
	s_load_dwordx2 s[4:5], s[4:5], 0x10
	v_mov_b32_e32 v4, 0
	v_mov_b32_e32 v5, 0
	s_waitcnt lgkmcnt(0)
	s_lshr_b32 s3, s7, 16
	s_and_b32 s3, s3, 0xffff
	s_cmp_gt_i32 s2, 0
	s_mul_i32 s6, s6, s3
	v_add_lshl_u32 v2, s6, v1, 1
	v_mul_lo_u32 v0, v2, s1
	v_sub_nc_u32_e32 v14, s0, v2
	v_mov_b32_e32 v2, 0
	v_mov_b32_e32 v3, 0
	s_cselect_b32 s1, -1, 0
	v_cmp_lt_i32_e32 vcc_lo, 0, v14
	v_ashrrev_i32_e32 v1, 31, v0
	s_and_b32 s3, s1, vcc_lo
	v_lshlrev_b64 v[0:1], 3, v[0:1]
	v_add_co_u32 v10, s0, s10, v0
	v_add_co_ci_u32_e64 v11, null, s11, v1, s0
	v_add_co_u32 v8, s0, s4, v0
	v_add_co_ci_u32_e64 v9, null, s5, v1, s0
	s_and_saveexec_b32 s0, s3
	s_cbranch_execz .LBB522_2
; %bb.1:
	global_load_dwordx2 v[4:5], v[10:11], off
	global_load_dwordx2 v[2:3], v[8:9], off
.LBB522_2:
	s_or_b32 exec_lo, exec_lo, s0
	v_cmp_gt_i32_e64 s0, 2, v14
	s_xor_b32 s3, s1, -1
	s_or_b32 s0, s3, s0
	s_and_saveexec_b32 s3, s0
	s_xor_b32 s0, exec_lo, s3
                                        ; implicit-def: $vgpr6_vgpr7
; %bb.3:
	s_mov_b32 s3, 0
                                        ; implicit-def: $vgpr8
                                        ; implicit-def: $vgpr10
	v_mov_b32_e32 v6, s3
	v_mov_b32_e32 v7, s3
; %bb.4:
	s_or_saveexec_b32 s4, s0
	v_mov_b32_e32 v12, 0
	v_mov_b32_e32 v13, 0
	s_xor_b32 exec_lo, exec_lo, s4
	s_cbranch_execz .LBB522_6
; %bb.5:
	s_mov_b32 s3, 0
	s_lshl_b64 s[6:7], s[2:3], 3
	v_add_co_u32 v6, s0, v10, s6
	v_add_co_ci_u32_e64 v7, null, s7, v11, s0
	v_add_co_u32 v8, s0, v8, s6
	v_add_co_ci_u32_e64 v9, null, s7, v9, s0
	global_load_dwordx2 v[6:7], v[6:7], off
	global_load_dwordx2 v[12:13], v[8:9], off
.LBB522_6:
	s_or_b32 exec_lo, exec_lo, s4
	s_and_saveexec_b32 s0, vcc_lo
	s_cbranch_execz .LBB522_11
; %bb.7:
	v_add_co_u32 v0, vcc_lo, s8, v0
	v_add_co_ci_u32_e64 v1, null, s9, v1, vcc_lo
	s_andn2_b32 vcc_lo, exec_lo, s1
	s_cbranch_vccnz .LBB522_9
; %bb.8:
	s_waitcnt vmcnt(1)
	v_add_f64 v[8:9], v[4:5], 0
	s_waitcnt vmcnt(0)
	v_fma_f64 v[2:3], -v[2:3], v[8:9], v[4:5]
	global_store_dwordx2 v[0:1], v[2:3], off
.LBB522_9:
	v_cmp_ne_u32_e32 vcc_lo, 1, v14
	s_and_b32 s0, vcc_lo, s1
	s_and_b32 exec_lo, exec_lo, s0
	s_cbranch_execz .LBB522_11
; %bb.10:
	s_waitcnt vmcnt(0)
	v_add_f64 v[2:3], v[6:7], 0
	s_mov_b32 s3, 0
	s_lshl_b64 s[0:1], s[2:3], 3
	v_add_co_u32 v0, vcc_lo, v0, s0
	v_add_co_ci_u32_e64 v1, null, s1, v1, vcc_lo
	v_fma_f64 v[2:3], -v[12:13], v[2:3], v[6:7]
	global_store_dwordx2 v[0:1], v[2:3], off
.LBB522_11:
	s_endpgm
	.section	.rodata,"a",@progbits
	.p2align	6, 0x0
	.amdhsa_kernel _ZN12_GLOBAL__N_121softmax_warp_backwardIdddLi0ELb0ELb0ELi64EEEvPT0_PKT_S5_iiiPKb
		.amdhsa_group_segment_fixed_size 0
		.amdhsa_private_segment_fixed_size 0
		.amdhsa_kernarg_size 304
		.amdhsa_user_sgpr_count 6
		.amdhsa_user_sgpr_private_segment_buffer 1
		.amdhsa_user_sgpr_dispatch_ptr 0
		.amdhsa_user_sgpr_queue_ptr 0
		.amdhsa_user_sgpr_kernarg_segment_ptr 1
		.amdhsa_user_sgpr_dispatch_id 0
		.amdhsa_user_sgpr_flat_scratch_init 0
		.amdhsa_user_sgpr_private_segment_size 0
		.amdhsa_wavefront_size32 1
		.amdhsa_uses_dynamic_stack 0
		.amdhsa_system_sgpr_private_segment_wavefront_offset 0
		.amdhsa_system_sgpr_workgroup_id_x 1
		.amdhsa_system_sgpr_workgroup_id_y 0
		.amdhsa_system_sgpr_workgroup_id_z 0
		.amdhsa_system_sgpr_workgroup_info 0
		.amdhsa_system_vgpr_workitem_id 1
		.amdhsa_next_free_vgpr 15
		.amdhsa_next_free_sgpr 12
		.amdhsa_reserve_vcc 1
		.amdhsa_reserve_flat_scratch 0
		.amdhsa_float_round_mode_32 0
		.amdhsa_float_round_mode_16_64 0
		.amdhsa_float_denorm_mode_32 3
		.amdhsa_float_denorm_mode_16_64 3
		.amdhsa_dx10_clamp 1
		.amdhsa_ieee_mode 1
		.amdhsa_fp16_overflow 0
		.amdhsa_workgroup_processor_mode 1
		.amdhsa_memory_ordered 1
		.amdhsa_forward_progress 1
		.amdhsa_shared_vgpr_count 0
		.amdhsa_exception_fp_ieee_invalid_op 0
		.amdhsa_exception_fp_denorm_src 0
		.amdhsa_exception_fp_ieee_div_zero 0
		.amdhsa_exception_fp_ieee_overflow 0
		.amdhsa_exception_fp_ieee_underflow 0
		.amdhsa_exception_fp_ieee_inexact 0
		.amdhsa_exception_int_div_zero 0
	.end_amdhsa_kernel
	.section	.text._ZN12_GLOBAL__N_121softmax_warp_backwardIdddLi0ELb0ELb0ELi64EEEvPT0_PKT_S5_iiiPKb,"axG",@progbits,_ZN12_GLOBAL__N_121softmax_warp_backwardIdddLi0ELb0ELb0ELi64EEEvPT0_PKT_S5_iiiPKb,comdat
.Lfunc_end522:
	.size	_ZN12_GLOBAL__N_121softmax_warp_backwardIdddLi0ELb0ELb0ELi64EEEvPT0_PKT_S5_iiiPKb, .Lfunc_end522-_ZN12_GLOBAL__N_121softmax_warp_backwardIdddLi0ELb0ELb0ELi64EEEvPT0_PKT_S5_iiiPKb
                                        ; -- End function
	.set _ZN12_GLOBAL__N_121softmax_warp_backwardIdddLi0ELb0ELb0ELi64EEEvPT0_PKT_S5_iiiPKb.num_vgpr, 15
	.set _ZN12_GLOBAL__N_121softmax_warp_backwardIdddLi0ELb0ELb0ELi64EEEvPT0_PKT_S5_iiiPKb.num_agpr, 0
	.set _ZN12_GLOBAL__N_121softmax_warp_backwardIdddLi0ELb0ELb0ELi64EEEvPT0_PKT_S5_iiiPKb.numbered_sgpr, 12
	.set _ZN12_GLOBAL__N_121softmax_warp_backwardIdddLi0ELb0ELb0ELi64EEEvPT0_PKT_S5_iiiPKb.num_named_barrier, 0
	.set _ZN12_GLOBAL__N_121softmax_warp_backwardIdddLi0ELb0ELb0ELi64EEEvPT0_PKT_S5_iiiPKb.private_seg_size, 0
	.set _ZN12_GLOBAL__N_121softmax_warp_backwardIdddLi0ELb0ELb0ELi64EEEvPT0_PKT_S5_iiiPKb.uses_vcc, 1
	.set _ZN12_GLOBAL__N_121softmax_warp_backwardIdddLi0ELb0ELb0ELi64EEEvPT0_PKT_S5_iiiPKb.uses_flat_scratch, 0
	.set _ZN12_GLOBAL__N_121softmax_warp_backwardIdddLi0ELb0ELb0ELi64EEEvPT0_PKT_S5_iiiPKb.has_dyn_sized_stack, 0
	.set _ZN12_GLOBAL__N_121softmax_warp_backwardIdddLi0ELb0ELb0ELi64EEEvPT0_PKT_S5_iiiPKb.has_recursion, 0
	.set _ZN12_GLOBAL__N_121softmax_warp_backwardIdddLi0ELb0ELb0ELi64EEEvPT0_PKT_S5_iiiPKb.has_indirect_call, 0
	.section	.AMDGPU.csdata,"",@progbits
; Kernel info:
; codeLenInByte = 432
; TotalNumSgprs: 14
; NumVgprs: 15
; ScratchSize: 0
; MemoryBound: 1
; FloatMode: 240
; IeeeMode: 1
; LDSByteSize: 0 bytes/workgroup (compile time only)
; SGPRBlocks: 0
; VGPRBlocks: 1
; NumSGPRsForWavesPerEU: 14
; NumVGPRsForWavesPerEU: 15
; Occupancy: 16
; WaveLimiterHint : 0
; COMPUTE_PGM_RSRC2:SCRATCH_EN: 0
; COMPUTE_PGM_RSRC2:USER_SGPR: 6
; COMPUTE_PGM_RSRC2:TRAP_HANDLER: 0
; COMPUTE_PGM_RSRC2:TGID_X_EN: 1
; COMPUTE_PGM_RSRC2:TGID_Y_EN: 0
; COMPUTE_PGM_RSRC2:TGID_Z_EN: 0
; COMPUTE_PGM_RSRC2:TIDIG_COMP_CNT: 1
	.section	.text._ZN12_GLOBAL__N_121softmax_warp_backwardIdddLi0ELb0ELb0ELi32EEEvPT0_PKT_S5_iiiPKb,"axG",@progbits,_ZN12_GLOBAL__N_121softmax_warp_backwardIdddLi0ELb0ELb0ELi32EEEvPT0_PKT_S5_iiiPKb,comdat
	.globl	_ZN12_GLOBAL__N_121softmax_warp_backwardIdddLi0ELb0ELb0ELi32EEEvPT0_PKT_S5_iiiPKb ; -- Begin function _ZN12_GLOBAL__N_121softmax_warp_backwardIdddLi0ELb0ELb0ELi32EEEvPT0_PKT_S5_iiiPKb
	.p2align	8
	.type	_ZN12_GLOBAL__N_121softmax_warp_backwardIdddLi0ELb0ELb0ELi32EEEvPT0_PKT_S5_iiiPKb,@function
_ZN12_GLOBAL__N_121softmax_warp_backwardIdddLi0ELb0ELb0ELi32EEEvPT0_PKT_S5_iiiPKb: ; @_ZN12_GLOBAL__N_121softmax_warp_backwardIdddLi0ELb0ELb0ELi32EEEvPT0_PKT_S5_iiiPKb
; %bb.0:
	s_clause 0x3
	s_load_dword s7, s[4:5], 0x3c
	s_load_dwordx4 s[0:3], s[4:5], 0x18
	s_load_dwordx4 s[8:11], s[4:5], 0x0
	s_load_dwordx2 s[4:5], s[4:5], 0x10
	v_mov_b32_e32 v4, 0
	v_mov_b32_e32 v5, 0
	s_waitcnt lgkmcnt(0)
	s_lshr_b32 s3, s7, 16
	s_and_b32 s3, s3, 0xffff
	s_cmp_gt_i32 s2, 0
	s_mul_i32 s6, s6, s3
	v_add_lshl_u32 v2, s6, v1, 1
	v_mul_lo_u32 v0, v2, s1
	v_sub_nc_u32_e32 v14, s0, v2
	v_mov_b32_e32 v2, 0
	v_mov_b32_e32 v3, 0
	s_cselect_b32 s1, -1, 0
	v_cmp_lt_i32_e32 vcc_lo, 0, v14
	v_ashrrev_i32_e32 v1, 31, v0
	s_and_b32 s3, s1, vcc_lo
	v_lshlrev_b64 v[0:1], 3, v[0:1]
	v_add_co_u32 v10, s0, s10, v0
	v_add_co_ci_u32_e64 v11, null, s11, v1, s0
	v_add_co_u32 v8, s0, s4, v0
	v_add_co_ci_u32_e64 v9, null, s5, v1, s0
	s_and_saveexec_b32 s0, s3
	s_cbranch_execz .LBB523_2
; %bb.1:
	global_load_dwordx2 v[4:5], v[10:11], off
	global_load_dwordx2 v[2:3], v[8:9], off
.LBB523_2:
	s_or_b32 exec_lo, exec_lo, s0
	v_cmp_gt_i32_e64 s0, 2, v14
	s_xor_b32 s3, s1, -1
	s_or_b32 s0, s3, s0
	s_and_saveexec_b32 s3, s0
	s_xor_b32 s0, exec_lo, s3
                                        ; implicit-def: $vgpr6_vgpr7
; %bb.3:
	s_mov_b32 s3, 0
                                        ; implicit-def: $vgpr8
                                        ; implicit-def: $vgpr10
	v_mov_b32_e32 v6, s3
	v_mov_b32_e32 v7, s3
; %bb.4:
	s_or_saveexec_b32 s4, s0
	v_mov_b32_e32 v12, 0
	v_mov_b32_e32 v13, 0
	s_xor_b32 exec_lo, exec_lo, s4
	s_cbranch_execz .LBB523_6
; %bb.5:
	s_mov_b32 s3, 0
	s_lshl_b64 s[6:7], s[2:3], 3
	v_add_co_u32 v6, s0, v10, s6
	v_add_co_ci_u32_e64 v7, null, s7, v11, s0
	v_add_co_u32 v8, s0, v8, s6
	v_add_co_ci_u32_e64 v9, null, s7, v9, s0
	global_load_dwordx2 v[6:7], v[6:7], off
	global_load_dwordx2 v[12:13], v[8:9], off
.LBB523_6:
	s_or_b32 exec_lo, exec_lo, s4
	s_and_saveexec_b32 s0, vcc_lo
	s_cbranch_execz .LBB523_11
; %bb.7:
	v_add_co_u32 v0, vcc_lo, s8, v0
	v_add_co_ci_u32_e64 v1, null, s9, v1, vcc_lo
	s_andn2_b32 vcc_lo, exec_lo, s1
	s_cbranch_vccnz .LBB523_9
; %bb.8:
	s_waitcnt vmcnt(1)
	v_add_f64 v[8:9], v[4:5], 0
	s_waitcnt vmcnt(0)
	v_fma_f64 v[2:3], -v[2:3], v[8:9], v[4:5]
	global_store_dwordx2 v[0:1], v[2:3], off
.LBB523_9:
	v_cmp_ne_u32_e32 vcc_lo, 1, v14
	s_and_b32 s0, vcc_lo, s1
	s_and_b32 exec_lo, exec_lo, s0
	s_cbranch_execz .LBB523_11
; %bb.10:
	s_waitcnt vmcnt(0)
	v_add_f64 v[2:3], v[6:7], 0
	s_mov_b32 s3, 0
	s_lshl_b64 s[0:1], s[2:3], 3
	v_add_co_u32 v0, vcc_lo, v0, s0
	v_add_co_ci_u32_e64 v1, null, s1, v1, vcc_lo
	v_fma_f64 v[2:3], -v[12:13], v[2:3], v[6:7]
	global_store_dwordx2 v[0:1], v[2:3], off
.LBB523_11:
	s_endpgm
	.section	.rodata,"a",@progbits
	.p2align	6, 0x0
	.amdhsa_kernel _ZN12_GLOBAL__N_121softmax_warp_backwardIdddLi0ELb0ELb0ELi32EEEvPT0_PKT_S5_iiiPKb
		.amdhsa_group_segment_fixed_size 0
		.amdhsa_private_segment_fixed_size 0
		.amdhsa_kernarg_size 304
		.amdhsa_user_sgpr_count 6
		.amdhsa_user_sgpr_private_segment_buffer 1
		.amdhsa_user_sgpr_dispatch_ptr 0
		.amdhsa_user_sgpr_queue_ptr 0
		.amdhsa_user_sgpr_kernarg_segment_ptr 1
		.amdhsa_user_sgpr_dispatch_id 0
		.amdhsa_user_sgpr_flat_scratch_init 0
		.amdhsa_user_sgpr_private_segment_size 0
		.amdhsa_wavefront_size32 1
		.amdhsa_uses_dynamic_stack 0
		.amdhsa_system_sgpr_private_segment_wavefront_offset 0
		.amdhsa_system_sgpr_workgroup_id_x 1
		.amdhsa_system_sgpr_workgroup_id_y 0
		.amdhsa_system_sgpr_workgroup_id_z 0
		.amdhsa_system_sgpr_workgroup_info 0
		.amdhsa_system_vgpr_workitem_id 1
		.amdhsa_next_free_vgpr 15
		.amdhsa_next_free_sgpr 12
		.amdhsa_reserve_vcc 1
		.amdhsa_reserve_flat_scratch 0
		.amdhsa_float_round_mode_32 0
		.amdhsa_float_round_mode_16_64 0
		.amdhsa_float_denorm_mode_32 3
		.amdhsa_float_denorm_mode_16_64 3
		.amdhsa_dx10_clamp 1
		.amdhsa_ieee_mode 1
		.amdhsa_fp16_overflow 0
		.amdhsa_workgroup_processor_mode 1
		.amdhsa_memory_ordered 1
		.amdhsa_forward_progress 1
		.amdhsa_shared_vgpr_count 0
		.amdhsa_exception_fp_ieee_invalid_op 0
		.amdhsa_exception_fp_denorm_src 0
		.amdhsa_exception_fp_ieee_div_zero 0
		.amdhsa_exception_fp_ieee_overflow 0
		.amdhsa_exception_fp_ieee_underflow 0
		.amdhsa_exception_fp_ieee_inexact 0
		.amdhsa_exception_int_div_zero 0
	.end_amdhsa_kernel
	.section	.text._ZN12_GLOBAL__N_121softmax_warp_backwardIdddLi0ELb0ELb0ELi32EEEvPT0_PKT_S5_iiiPKb,"axG",@progbits,_ZN12_GLOBAL__N_121softmax_warp_backwardIdddLi0ELb0ELb0ELi32EEEvPT0_PKT_S5_iiiPKb,comdat
.Lfunc_end523:
	.size	_ZN12_GLOBAL__N_121softmax_warp_backwardIdddLi0ELb0ELb0ELi32EEEvPT0_PKT_S5_iiiPKb, .Lfunc_end523-_ZN12_GLOBAL__N_121softmax_warp_backwardIdddLi0ELb0ELb0ELi32EEEvPT0_PKT_S5_iiiPKb
                                        ; -- End function
	.set _ZN12_GLOBAL__N_121softmax_warp_backwardIdddLi0ELb0ELb0ELi32EEEvPT0_PKT_S5_iiiPKb.num_vgpr, 15
	.set _ZN12_GLOBAL__N_121softmax_warp_backwardIdddLi0ELb0ELb0ELi32EEEvPT0_PKT_S5_iiiPKb.num_agpr, 0
	.set _ZN12_GLOBAL__N_121softmax_warp_backwardIdddLi0ELb0ELb0ELi32EEEvPT0_PKT_S5_iiiPKb.numbered_sgpr, 12
	.set _ZN12_GLOBAL__N_121softmax_warp_backwardIdddLi0ELb0ELb0ELi32EEEvPT0_PKT_S5_iiiPKb.num_named_barrier, 0
	.set _ZN12_GLOBAL__N_121softmax_warp_backwardIdddLi0ELb0ELb0ELi32EEEvPT0_PKT_S5_iiiPKb.private_seg_size, 0
	.set _ZN12_GLOBAL__N_121softmax_warp_backwardIdddLi0ELb0ELb0ELi32EEEvPT0_PKT_S5_iiiPKb.uses_vcc, 1
	.set _ZN12_GLOBAL__N_121softmax_warp_backwardIdddLi0ELb0ELb0ELi32EEEvPT0_PKT_S5_iiiPKb.uses_flat_scratch, 0
	.set _ZN12_GLOBAL__N_121softmax_warp_backwardIdddLi0ELb0ELb0ELi32EEEvPT0_PKT_S5_iiiPKb.has_dyn_sized_stack, 0
	.set _ZN12_GLOBAL__N_121softmax_warp_backwardIdddLi0ELb0ELb0ELi32EEEvPT0_PKT_S5_iiiPKb.has_recursion, 0
	.set _ZN12_GLOBAL__N_121softmax_warp_backwardIdddLi0ELb0ELb0ELi32EEEvPT0_PKT_S5_iiiPKb.has_indirect_call, 0
	.section	.AMDGPU.csdata,"",@progbits
; Kernel info:
; codeLenInByte = 432
; TotalNumSgprs: 14
; NumVgprs: 15
; ScratchSize: 0
; MemoryBound: 1
; FloatMode: 240
; IeeeMode: 1
; LDSByteSize: 0 bytes/workgroup (compile time only)
; SGPRBlocks: 0
; VGPRBlocks: 1
; NumSGPRsForWavesPerEU: 14
; NumVGPRsForWavesPerEU: 15
; Occupancy: 16
; WaveLimiterHint : 0
; COMPUTE_PGM_RSRC2:SCRATCH_EN: 0
; COMPUTE_PGM_RSRC2:USER_SGPR: 6
; COMPUTE_PGM_RSRC2:TRAP_HANDLER: 0
; COMPUTE_PGM_RSRC2:TGID_X_EN: 1
; COMPUTE_PGM_RSRC2:TGID_Y_EN: 0
; COMPUTE_PGM_RSRC2:TGID_Z_EN: 0
; COMPUTE_PGM_RSRC2:TIDIG_COMP_CNT: 1
	.section	.text._ZN12_GLOBAL__N_121softmax_warp_backwardIdddLi1ELb0ELb0ELi64EEEvPT0_PKT_S5_iiiPKb,"axG",@progbits,_ZN12_GLOBAL__N_121softmax_warp_backwardIdddLi1ELb0ELb0ELi64EEEvPT0_PKT_S5_iiiPKb,comdat
	.globl	_ZN12_GLOBAL__N_121softmax_warp_backwardIdddLi1ELb0ELb0ELi64EEEvPT0_PKT_S5_iiiPKb ; -- Begin function _ZN12_GLOBAL__N_121softmax_warp_backwardIdddLi1ELb0ELb0ELi64EEEvPT0_PKT_S5_iiiPKb
	.p2align	8
	.type	_ZN12_GLOBAL__N_121softmax_warp_backwardIdddLi1ELb0ELb0ELi64EEEvPT0_PKT_S5_iiiPKb,@function
_ZN12_GLOBAL__N_121softmax_warp_backwardIdddLi1ELb0ELb0ELi64EEEvPT0_PKT_S5_iiiPKb: ; @_ZN12_GLOBAL__N_121softmax_warp_backwardIdddLi1ELb0ELb0ELi64EEEvPT0_PKT_S5_iiiPKb
; %bb.0:
	s_clause 0x1
	s_load_dword s7, s[4:5], 0x3c
	s_load_dwordx4 s[0:3], s[4:5], 0x18
	v_and_b32_e32 v6, 1, v0
	s_clause 0x1
	s_load_dwordx4 s[8:11], s[4:5], 0x0
	s_load_dwordx2 s[4:5], s[4:5], 0x10
	v_mov_b32_e32 v4, 0
	v_mov_b32_e32 v5, 0
	s_waitcnt lgkmcnt(0)
	s_lshr_b32 s3, s7, 16
	v_cmp_gt_i32_e32 vcc_lo, s2, v6
	s_and_b32 s3, s3, 0xffff
	s_mul_i32 s6, s6, s3
	v_add_lshl_u32 v2, s6, v1, 1
	v_mul_lo_u32 v1, v2, s1
	v_sub_nc_u32_e32 v18, s0, v2
	v_mov_b32_e32 v2, 0
	v_mov_b32_e32 v3, 0
	v_cmp_lt_i32_e64 s0, 0, v18
	v_or_b32_e32 v0, v1, v6
	s_and_b32 s3, vcc_lo, s0
	v_ashrrev_i32_e32 v1, 31, v0
	v_lshlrev_b64 v[0:1], 3, v[0:1]
	v_add_co_u32 v12, s1, s10, v0
	v_add_co_ci_u32_e64 v13, null, s11, v1, s1
	v_add_co_u32 v10, s1, s4, v0
	v_add_co_ci_u32_e64 v11, null, s5, v1, s1
	s_and_saveexec_b32 s1, s3
	s_cbranch_execz .LBB524_2
; %bb.1:
	global_load_dwordx2 v[4:5], v[12:13], off
	global_load_dwordx2 v[2:3], v[10:11], off
.LBB524_2:
	s_or_b32 exec_lo, exec_lo, s1
	v_cmp_gt_i32_e64 s1, 2, v18
	s_xor_b32 s3, vcc_lo, -1
	s_or_b32 s1, s3, s1
	s_and_saveexec_b32 s3, s1
	s_xor_b32 s1, exec_lo, s3
                                        ; implicit-def: $vgpr6_vgpr7
; %bb.3:
	s_mov_b32 s3, 0
                                        ; implicit-def: $vgpr10
                                        ; implicit-def: $vgpr12
	v_mov_b32_e32 v6, s3
	v_mov_b32_e32 v7, s3
; %bb.4:
	s_or_saveexec_b32 s4, s1
	v_mov_b32_e32 v8, 0
	v_mov_b32_e32 v9, 0
	s_xor_b32 exec_lo, exec_lo, s4
	s_cbranch_execz .LBB524_6
; %bb.5:
	s_mov_b32 s3, 0
	s_lshl_b64 s[6:7], s[2:3], 3
	v_add_co_u32 v6, s1, v12, s6
	v_add_co_ci_u32_e64 v7, null, s7, v13, s1
	v_add_co_u32 v8, s1, v10, s6
	v_add_co_ci_u32_e64 v9, null, s7, v11, s1
	global_load_dwordx2 v[6:7], v[6:7], off
	global_load_dwordx2 v[8:9], v[8:9], off
.LBB524_6:
	s_or_b32 exec_lo, exec_lo, s4
	v_mbcnt_lo_u32_b32 v12, -1, 0
	s_waitcnt vmcnt(1)
	v_add_f64 v[14:15], v[4:5], 0
	v_add_f64 v[10:11], v[6:7], 0
	v_and_b32_e32 v13, 30, v12
	v_xor_b32_e32 v16, 1, v12
	v_add_nc_u32_e32 v13, 2, v13
	v_cmp_lt_i32_e64 s1, v16, v13
	v_cndmask_b32_e64 v12, v12, v16, s1
	v_lshlrev_b32_e32 v13, 2, v12
	ds_bpermute_b32 v16, v13, v14
	ds_bpermute_b32 v17, v13, v15
	;; [unrolled: 1-line block ×4, first 2 shown]
	s_and_saveexec_b32 s1, s0
	s_cbranch_execz .LBB524_11
; %bb.7:
	v_add_co_u32 v0, s0, s8, v0
	v_add_co_ci_u32_e64 v1, null, s9, v1, s0
	s_and_saveexec_b32 s0, vcc_lo
	s_cbranch_execz .LBB524_9
; %bb.8:
	s_waitcnt lgkmcnt(2)
	v_add_f64 v[14:15], v[14:15], v[16:17]
	s_waitcnt vmcnt(0)
	v_fma_f64 v[2:3], -v[2:3], v[14:15], v[4:5]
	global_store_dwordx2 v[0:1], v[2:3], off
.LBB524_9:
	s_or_b32 exec_lo, exec_lo, s0
	v_cmp_ne_u32_e64 s0, 1, v18
	s_and_b32 s0, s0, vcc_lo
	s_and_b32 exec_lo, exec_lo, s0
	s_cbranch_execz .LBB524_11
; %bb.10:
	s_waitcnt vmcnt(0) lgkmcnt(0)
	v_add_f64 v[2:3], v[10:11], v[12:13]
	s_mov_b32 s3, 0
	s_lshl_b64 s[0:1], s[2:3], 3
	v_add_co_u32 v0, vcc_lo, v0, s0
	v_add_co_ci_u32_e64 v1, null, s1, v1, vcc_lo
	v_fma_f64 v[2:3], -v[8:9], v[2:3], v[6:7]
	global_store_dwordx2 v[0:1], v[2:3], off
.LBB524_11:
	s_endpgm
	.section	.rodata,"a",@progbits
	.p2align	6, 0x0
	.amdhsa_kernel _ZN12_GLOBAL__N_121softmax_warp_backwardIdddLi1ELb0ELb0ELi64EEEvPT0_PKT_S5_iiiPKb
		.amdhsa_group_segment_fixed_size 0
		.amdhsa_private_segment_fixed_size 0
		.amdhsa_kernarg_size 304
		.amdhsa_user_sgpr_count 6
		.amdhsa_user_sgpr_private_segment_buffer 1
		.amdhsa_user_sgpr_dispatch_ptr 0
		.amdhsa_user_sgpr_queue_ptr 0
		.amdhsa_user_sgpr_kernarg_segment_ptr 1
		.amdhsa_user_sgpr_dispatch_id 0
		.amdhsa_user_sgpr_flat_scratch_init 0
		.amdhsa_user_sgpr_private_segment_size 0
		.amdhsa_wavefront_size32 1
		.amdhsa_uses_dynamic_stack 0
		.amdhsa_system_sgpr_private_segment_wavefront_offset 0
		.amdhsa_system_sgpr_workgroup_id_x 1
		.amdhsa_system_sgpr_workgroup_id_y 0
		.amdhsa_system_sgpr_workgroup_id_z 0
		.amdhsa_system_sgpr_workgroup_info 0
		.amdhsa_system_vgpr_workitem_id 1
		.amdhsa_next_free_vgpr 19
		.amdhsa_next_free_sgpr 12
		.amdhsa_reserve_vcc 1
		.amdhsa_reserve_flat_scratch 0
		.amdhsa_float_round_mode_32 0
		.amdhsa_float_round_mode_16_64 0
		.amdhsa_float_denorm_mode_32 3
		.amdhsa_float_denorm_mode_16_64 3
		.amdhsa_dx10_clamp 1
		.amdhsa_ieee_mode 1
		.amdhsa_fp16_overflow 0
		.amdhsa_workgroup_processor_mode 1
		.amdhsa_memory_ordered 1
		.amdhsa_forward_progress 1
		.amdhsa_shared_vgpr_count 0
		.amdhsa_exception_fp_ieee_invalid_op 0
		.amdhsa_exception_fp_denorm_src 0
		.amdhsa_exception_fp_ieee_div_zero 0
		.amdhsa_exception_fp_ieee_overflow 0
		.amdhsa_exception_fp_ieee_underflow 0
		.amdhsa_exception_fp_ieee_inexact 0
		.amdhsa_exception_int_div_zero 0
	.end_amdhsa_kernel
	.section	.text._ZN12_GLOBAL__N_121softmax_warp_backwardIdddLi1ELb0ELb0ELi64EEEvPT0_PKT_S5_iiiPKb,"axG",@progbits,_ZN12_GLOBAL__N_121softmax_warp_backwardIdddLi1ELb0ELb0ELi64EEEvPT0_PKT_S5_iiiPKb,comdat
.Lfunc_end524:
	.size	_ZN12_GLOBAL__N_121softmax_warp_backwardIdddLi1ELb0ELb0ELi64EEEvPT0_PKT_S5_iiiPKb, .Lfunc_end524-_ZN12_GLOBAL__N_121softmax_warp_backwardIdddLi1ELb0ELb0ELi64EEEvPT0_PKT_S5_iiiPKb
                                        ; -- End function
	.set _ZN12_GLOBAL__N_121softmax_warp_backwardIdddLi1ELb0ELb0ELi64EEEvPT0_PKT_S5_iiiPKb.num_vgpr, 19
	.set _ZN12_GLOBAL__N_121softmax_warp_backwardIdddLi1ELb0ELb0ELi64EEEvPT0_PKT_S5_iiiPKb.num_agpr, 0
	.set _ZN12_GLOBAL__N_121softmax_warp_backwardIdddLi1ELb0ELb0ELi64EEEvPT0_PKT_S5_iiiPKb.numbered_sgpr, 12
	.set _ZN12_GLOBAL__N_121softmax_warp_backwardIdddLi1ELb0ELb0ELi64EEEvPT0_PKT_S5_iiiPKb.num_named_barrier, 0
	.set _ZN12_GLOBAL__N_121softmax_warp_backwardIdddLi1ELb0ELb0ELi64EEEvPT0_PKT_S5_iiiPKb.private_seg_size, 0
	.set _ZN12_GLOBAL__N_121softmax_warp_backwardIdddLi1ELb0ELb0ELi64EEEvPT0_PKT_S5_iiiPKb.uses_vcc, 1
	.set _ZN12_GLOBAL__N_121softmax_warp_backwardIdddLi1ELb0ELb0ELi64EEEvPT0_PKT_S5_iiiPKb.uses_flat_scratch, 0
	.set _ZN12_GLOBAL__N_121softmax_warp_backwardIdddLi1ELb0ELb0ELi64EEEvPT0_PKT_S5_iiiPKb.has_dyn_sized_stack, 0
	.set _ZN12_GLOBAL__N_121softmax_warp_backwardIdddLi1ELb0ELb0ELi64EEEvPT0_PKT_S5_iiiPKb.has_recursion, 0
	.set _ZN12_GLOBAL__N_121softmax_warp_backwardIdddLi1ELb0ELb0ELi64EEEvPT0_PKT_S5_iiiPKb.has_indirect_call, 0
	.section	.AMDGPU.csdata,"",@progbits
; Kernel info:
; codeLenInByte = 544
; TotalNumSgprs: 14
; NumVgprs: 19
; ScratchSize: 0
; MemoryBound: 1
; FloatMode: 240
; IeeeMode: 1
; LDSByteSize: 0 bytes/workgroup (compile time only)
; SGPRBlocks: 0
; VGPRBlocks: 2
; NumSGPRsForWavesPerEU: 14
; NumVGPRsForWavesPerEU: 19
; Occupancy: 16
; WaveLimiterHint : 0
; COMPUTE_PGM_RSRC2:SCRATCH_EN: 0
; COMPUTE_PGM_RSRC2:USER_SGPR: 6
; COMPUTE_PGM_RSRC2:TRAP_HANDLER: 0
; COMPUTE_PGM_RSRC2:TGID_X_EN: 1
; COMPUTE_PGM_RSRC2:TGID_Y_EN: 0
; COMPUTE_PGM_RSRC2:TGID_Z_EN: 0
; COMPUTE_PGM_RSRC2:TIDIG_COMP_CNT: 1
	.section	.text._ZN12_GLOBAL__N_121softmax_warp_backwardIdddLi1ELb0ELb0ELi32EEEvPT0_PKT_S5_iiiPKb,"axG",@progbits,_ZN12_GLOBAL__N_121softmax_warp_backwardIdddLi1ELb0ELb0ELi32EEEvPT0_PKT_S5_iiiPKb,comdat
	.globl	_ZN12_GLOBAL__N_121softmax_warp_backwardIdddLi1ELb0ELb0ELi32EEEvPT0_PKT_S5_iiiPKb ; -- Begin function _ZN12_GLOBAL__N_121softmax_warp_backwardIdddLi1ELb0ELb0ELi32EEEvPT0_PKT_S5_iiiPKb
	.p2align	8
	.type	_ZN12_GLOBAL__N_121softmax_warp_backwardIdddLi1ELb0ELb0ELi32EEEvPT0_PKT_S5_iiiPKb,@function
_ZN12_GLOBAL__N_121softmax_warp_backwardIdddLi1ELb0ELb0ELi32EEEvPT0_PKT_S5_iiiPKb: ; @_ZN12_GLOBAL__N_121softmax_warp_backwardIdddLi1ELb0ELb0ELi32EEEvPT0_PKT_S5_iiiPKb
; %bb.0:
	s_clause 0x1
	s_load_dword s7, s[4:5], 0x3c
	s_load_dwordx4 s[0:3], s[4:5], 0x18
	v_and_b32_e32 v6, 1, v0
	s_clause 0x1
	s_load_dwordx4 s[8:11], s[4:5], 0x0
	s_load_dwordx2 s[4:5], s[4:5], 0x10
	v_mov_b32_e32 v4, 0
	v_mov_b32_e32 v5, 0
	s_waitcnt lgkmcnt(0)
	s_lshr_b32 s3, s7, 16
	v_cmp_gt_i32_e32 vcc_lo, s2, v6
	s_and_b32 s3, s3, 0xffff
	s_mul_i32 s6, s6, s3
	v_add_lshl_u32 v2, s6, v1, 1
	v_mul_lo_u32 v1, v2, s1
	v_sub_nc_u32_e32 v18, s0, v2
	v_mov_b32_e32 v2, 0
	v_mov_b32_e32 v3, 0
	v_cmp_lt_i32_e64 s0, 0, v18
	v_or_b32_e32 v0, v1, v6
	s_and_b32 s3, vcc_lo, s0
	v_ashrrev_i32_e32 v1, 31, v0
	v_lshlrev_b64 v[0:1], 3, v[0:1]
	v_add_co_u32 v12, s1, s10, v0
	v_add_co_ci_u32_e64 v13, null, s11, v1, s1
	v_add_co_u32 v10, s1, s4, v0
	v_add_co_ci_u32_e64 v11, null, s5, v1, s1
	s_and_saveexec_b32 s1, s3
	s_cbranch_execz .LBB525_2
; %bb.1:
	global_load_dwordx2 v[4:5], v[12:13], off
	global_load_dwordx2 v[2:3], v[10:11], off
.LBB525_2:
	s_or_b32 exec_lo, exec_lo, s1
	v_cmp_gt_i32_e64 s1, 2, v18
	s_xor_b32 s3, vcc_lo, -1
	s_or_b32 s1, s3, s1
	s_and_saveexec_b32 s3, s1
	s_xor_b32 s1, exec_lo, s3
                                        ; implicit-def: $vgpr6_vgpr7
; %bb.3:
	s_mov_b32 s3, 0
                                        ; implicit-def: $vgpr10
                                        ; implicit-def: $vgpr12
	v_mov_b32_e32 v6, s3
	v_mov_b32_e32 v7, s3
; %bb.4:
	s_or_saveexec_b32 s4, s1
	v_mov_b32_e32 v8, 0
	v_mov_b32_e32 v9, 0
	s_xor_b32 exec_lo, exec_lo, s4
	s_cbranch_execz .LBB525_6
; %bb.5:
	s_mov_b32 s3, 0
	s_lshl_b64 s[6:7], s[2:3], 3
	v_add_co_u32 v6, s1, v12, s6
	v_add_co_ci_u32_e64 v7, null, s7, v13, s1
	v_add_co_u32 v8, s1, v10, s6
	v_add_co_ci_u32_e64 v9, null, s7, v11, s1
	global_load_dwordx2 v[6:7], v[6:7], off
	global_load_dwordx2 v[8:9], v[8:9], off
.LBB525_6:
	s_or_b32 exec_lo, exec_lo, s4
	v_mbcnt_lo_u32_b32 v12, -1, 0
	s_waitcnt vmcnt(1)
	v_add_f64 v[14:15], v[4:5], 0
	v_add_f64 v[10:11], v[6:7], 0
	v_and_b32_e32 v13, 30, v12
	v_xor_b32_e32 v16, 1, v12
	v_add_nc_u32_e32 v13, 2, v13
	v_cmp_lt_i32_e64 s1, v16, v13
	v_cndmask_b32_e64 v12, v12, v16, s1
	v_lshlrev_b32_e32 v13, 2, v12
	ds_bpermute_b32 v16, v13, v14
	ds_bpermute_b32 v17, v13, v15
	;; [unrolled: 1-line block ×4, first 2 shown]
	s_and_saveexec_b32 s1, s0
	s_cbranch_execz .LBB525_11
; %bb.7:
	v_add_co_u32 v0, s0, s8, v0
	v_add_co_ci_u32_e64 v1, null, s9, v1, s0
	s_and_saveexec_b32 s0, vcc_lo
	s_cbranch_execz .LBB525_9
; %bb.8:
	s_waitcnt lgkmcnt(2)
	v_add_f64 v[14:15], v[14:15], v[16:17]
	s_waitcnt vmcnt(0)
	v_fma_f64 v[2:3], -v[2:3], v[14:15], v[4:5]
	global_store_dwordx2 v[0:1], v[2:3], off
.LBB525_9:
	s_or_b32 exec_lo, exec_lo, s0
	v_cmp_ne_u32_e64 s0, 1, v18
	s_and_b32 s0, s0, vcc_lo
	s_and_b32 exec_lo, exec_lo, s0
	s_cbranch_execz .LBB525_11
; %bb.10:
	s_waitcnt vmcnt(0) lgkmcnt(0)
	v_add_f64 v[2:3], v[10:11], v[12:13]
	s_mov_b32 s3, 0
	s_lshl_b64 s[0:1], s[2:3], 3
	v_add_co_u32 v0, vcc_lo, v0, s0
	v_add_co_ci_u32_e64 v1, null, s1, v1, vcc_lo
	v_fma_f64 v[2:3], -v[8:9], v[2:3], v[6:7]
	global_store_dwordx2 v[0:1], v[2:3], off
.LBB525_11:
	s_endpgm
	.section	.rodata,"a",@progbits
	.p2align	6, 0x0
	.amdhsa_kernel _ZN12_GLOBAL__N_121softmax_warp_backwardIdddLi1ELb0ELb0ELi32EEEvPT0_PKT_S5_iiiPKb
		.amdhsa_group_segment_fixed_size 0
		.amdhsa_private_segment_fixed_size 0
		.amdhsa_kernarg_size 304
		.amdhsa_user_sgpr_count 6
		.amdhsa_user_sgpr_private_segment_buffer 1
		.amdhsa_user_sgpr_dispatch_ptr 0
		.amdhsa_user_sgpr_queue_ptr 0
		.amdhsa_user_sgpr_kernarg_segment_ptr 1
		.amdhsa_user_sgpr_dispatch_id 0
		.amdhsa_user_sgpr_flat_scratch_init 0
		.amdhsa_user_sgpr_private_segment_size 0
		.amdhsa_wavefront_size32 1
		.amdhsa_uses_dynamic_stack 0
		.amdhsa_system_sgpr_private_segment_wavefront_offset 0
		.amdhsa_system_sgpr_workgroup_id_x 1
		.amdhsa_system_sgpr_workgroup_id_y 0
		.amdhsa_system_sgpr_workgroup_id_z 0
		.amdhsa_system_sgpr_workgroup_info 0
		.amdhsa_system_vgpr_workitem_id 1
		.amdhsa_next_free_vgpr 19
		.amdhsa_next_free_sgpr 12
		.amdhsa_reserve_vcc 1
		.amdhsa_reserve_flat_scratch 0
		.amdhsa_float_round_mode_32 0
		.amdhsa_float_round_mode_16_64 0
		.amdhsa_float_denorm_mode_32 3
		.amdhsa_float_denorm_mode_16_64 3
		.amdhsa_dx10_clamp 1
		.amdhsa_ieee_mode 1
		.amdhsa_fp16_overflow 0
		.amdhsa_workgroup_processor_mode 1
		.amdhsa_memory_ordered 1
		.amdhsa_forward_progress 1
		.amdhsa_shared_vgpr_count 0
		.amdhsa_exception_fp_ieee_invalid_op 0
		.amdhsa_exception_fp_denorm_src 0
		.amdhsa_exception_fp_ieee_div_zero 0
		.amdhsa_exception_fp_ieee_overflow 0
		.amdhsa_exception_fp_ieee_underflow 0
		.amdhsa_exception_fp_ieee_inexact 0
		.amdhsa_exception_int_div_zero 0
	.end_amdhsa_kernel
	.section	.text._ZN12_GLOBAL__N_121softmax_warp_backwardIdddLi1ELb0ELb0ELi32EEEvPT0_PKT_S5_iiiPKb,"axG",@progbits,_ZN12_GLOBAL__N_121softmax_warp_backwardIdddLi1ELb0ELb0ELi32EEEvPT0_PKT_S5_iiiPKb,comdat
.Lfunc_end525:
	.size	_ZN12_GLOBAL__N_121softmax_warp_backwardIdddLi1ELb0ELb0ELi32EEEvPT0_PKT_S5_iiiPKb, .Lfunc_end525-_ZN12_GLOBAL__N_121softmax_warp_backwardIdddLi1ELb0ELb0ELi32EEEvPT0_PKT_S5_iiiPKb
                                        ; -- End function
	.set _ZN12_GLOBAL__N_121softmax_warp_backwardIdddLi1ELb0ELb0ELi32EEEvPT0_PKT_S5_iiiPKb.num_vgpr, 19
	.set _ZN12_GLOBAL__N_121softmax_warp_backwardIdddLi1ELb0ELb0ELi32EEEvPT0_PKT_S5_iiiPKb.num_agpr, 0
	.set _ZN12_GLOBAL__N_121softmax_warp_backwardIdddLi1ELb0ELb0ELi32EEEvPT0_PKT_S5_iiiPKb.numbered_sgpr, 12
	.set _ZN12_GLOBAL__N_121softmax_warp_backwardIdddLi1ELb0ELb0ELi32EEEvPT0_PKT_S5_iiiPKb.num_named_barrier, 0
	.set _ZN12_GLOBAL__N_121softmax_warp_backwardIdddLi1ELb0ELb0ELi32EEEvPT0_PKT_S5_iiiPKb.private_seg_size, 0
	.set _ZN12_GLOBAL__N_121softmax_warp_backwardIdddLi1ELb0ELb0ELi32EEEvPT0_PKT_S5_iiiPKb.uses_vcc, 1
	.set _ZN12_GLOBAL__N_121softmax_warp_backwardIdddLi1ELb0ELb0ELi32EEEvPT0_PKT_S5_iiiPKb.uses_flat_scratch, 0
	.set _ZN12_GLOBAL__N_121softmax_warp_backwardIdddLi1ELb0ELb0ELi32EEEvPT0_PKT_S5_iiiPKb.has_dyn_sized_stack, 0
	.set _ZN12_GLOBAL__N_121softmax_warp_backwardIdddLi1ELb0ELb0ELi32EEEvPT0_PKT_S5_iiiPKb.has_recursion, 0
	.set _ZN12_GLOBAL__N_121softmax_warp_backwardIdddLi1ELb0ELb0ELi32EEEvPT0_PKT_S5_iiiPKb.has_indirect_call, 0
	.section	.AMDGPU.csdata,"",@progbits
; Kernel info:
; codeLenInByte = 544
; TotalNumSgprs: 14
; NumVgprs: 19
; ScratchSize: 0
; MemoryBound: 1
; FloatMode: 240
; IeeeMode: 1
; LDSByteSize: 0 bytes/workgroup (compile time only)
; SGPRBlocks: 0
; VGPRBlocks: 2
; NumSGPRsForWavesPerEU: 14
; NumVGPRsForWavesPerEU: 19
; Occupancy: 16
; WaveLimiterHint : 0
; COMPUTE_PGM_RSRC2:SCRATCH_EN: 0
; COMPUTE_PGM_RSRC2:USER_SGPR: 6
; COMPUTE_PGM_RSRC2:TRAP_HANDLER: 0
; COMPUTE_PGM_RSRC2:TGID_X_EN: 1
; COMPUTE_PGM_RSRC2:TGID_Y_EN: 0
; COMPUTE_PGM_RSRC2:TGID_Z_EN: 0
; COMPUTE_PGM_RSRC2:TIDIG_COMP_CNT: 1
	.section	.text._ZN12_GLOBAL__N_121softmax_warp_backwardIdddLi2ELb0ELb0ELi64EEEvPT0_PKT_S5_iiiPKb,"axG",@progbits,_ZN12_GLOBAL__N_121softmax_warp_backwardIdddLi2ELb0ELb0ELi64EEEvPT0_PKT_S5_iiiPKb,comdat
	.globl	_ZN12_GLOBAL__N_121softmax_warp_backwardIdddLi2ELb0ELb0ELi64EEEvPT0_PKT_S5_iiiPKb ; -- Begin function _ZN12_GLOBAL__N_121softmax_warp_backwardIdddLi2ELb0ELb0ELi64EEEvPT0_PKT_S5_iiiPKb
	.p2align	8
	.type	_ZN12_GLOBAL__N_121softmax_warp_backwardIdddLi2ELb0ELb0ELi64EEEvPT0_PKT_S5_iiiPKb,@function
_ZN12_GLOBAL__N_121softmax_warp_backwardIdddLi2ELb0ELb0ELi64EEEvPT0_PKT_S5_iiiPKb: ; @_ZN12_GLOBAL__N_121softmax_warp_backwardIdddLi2ELb0ELb0ELi64EEEvPT0_PKT_S5_iiiPKb
; %bb.0:
	s_clause 0x1
	s_load_dword s7, s[4:5], 0x3c
	s_load_dwordx4 s[0:3], s[4:5], 0x18
	v_and_b32_e32 v6, 3, v0
	s_clause 0x1
	s_load_dwordx4 s[8:11], s[4:5], 0x0
	s_load_dwordx2 s[4:5], s[4:5], 0x10
	v_mov_b32_e32 v4, 0
	v_mov_b32_e32 v5, 0
	s_waitcnt lgkmcnt(0)
	s_lshr_b32 s3, s7, 16
	v_cmp_gt_i32_e32 vcc_lo, s2, v6
	s_and_b32 s3, s3, 0xffff
	s_mul_i32 s6, s6, s3
	v_add_lshl_u32 v2, s6, v1, 1
	v_mad_u64_u32 v[0:1], null, v2, s1, v[6:7]
	v_sub_nc_u32_e32 v18, s0, v2
	v_mov_b32_e32 v2, 0
	v_mov_b32_e32 v3, 0
	v_cmp_lt_i32_e64 s0, 0, v18
	v_ashrrev_i32_e32 v1, 31, v0
	s_and_b32 s3, vcc_lo, s0
	v_lshlrev_b64 v[0:1], 3, v[0:1]
	v_add_co_u32 v12, s1, s10, v0
	v_add_co_ci_u32_e64 v13, null, s11, v1, s1
	v_add_co_u32 v10, s1, s4, v0
	v_add_co_ci_u32_e64 v11, null, s5, v1, s1
	s_and_saveexec_b32 s1, s3
	s_cbranch_execz .LBB526_2
; %bb.1:
	global_load_dwordx2 v[4:5], v[12:13], off
	global_load_dwordx2 v[2:3], v[10:11], off
.LBB526_2:
	s_or_b32 exec_lo, exec_lo, s1
	v_cmp_gt_i32_e64 s1, 2, v18
	s_xor_b32 s3, vcc_lo, -1
	s_or_b32 s1, s3, s1
	s_and_saveexec_b32 s3, s1
	s_xor_b32 s1, exec_lo, s3
                                        ; implicit-def: $vgpr6_vgpr7
; %bb.3:
	s_mov_b32 s3, 0
                                        ; implicit-def: $vgpr10
                                        ; implicit-def: $vgpr12
	v_mov_b32_e32 v6, s3
	v_mov_b32_e32 v7, s3
; %bb.4:
	s_or_saveexec_b32 s4, s1
	v_mov_b32_e32 v8, 0
	v_mov_b32_e32 v9, 0
	s_xor_b32 exec_lo, exec_lo, s4
	s_cbranch_execz .LBB526_6
; %bb.5:
	s_mov_b32 s3, 0
	s_lshl_b64 s[6:7], s[2:3], 3
	v_add_co_u32 v6, s1, v12, s6
	v_add_co_ci_u32_e64 v7, null, s7, v13, s1
	v_add_co_u32 v8, s1, v10, s6
	v_add_co_ci_u32_e64 v9, null, s7, v11, s1
	global_load_dwordx2 v[6:7], v[6:7], off
	global_load_dwordx2 v[8:9], v[8:9], off
.LBB526_6:
	s_or_b32 exec_lo, exec_lo, s4
	v_mbcnt_lo_u32_b32 v19, -1, 0
	s_waitcnt vmcnt(1)
	v_add_f64 v[10:11], v[4:5], 0
	v_add_f64 v[12:13], v[6:7], 0
	v_and_b32_e32 v14, 28, v19
	v_xor_b32_e32 v15, 2, v19
	v_add_nc_u32_e32 v20, 4, v14
	v_cmp_lt_i32_e64 s1, v15, v20
	v_cndmask_b32_e64 v14, v19, v15, s1
	v_lshlrev_b32_e32 v17, 2, v14
	ds_bpermute_b32 v14, v17, v10
	ds_bpermute_b32 v15, v17, v11
	;; [unrolled: 1-line block ×4, first 2 shown]
	s_waitcnt lgkmcnt(2)
	v_add_f64 v[14:15], v[10:11], v[14:15]
	s_waitcnt lgkmcnt(0)
	v_add_f64 v[10:11], v[12:13], v[16:17]
	v_xor_b32_e32 v12, 1, v19
	v_cmp_lt_i32_e64 s1, v12, v20
	v_cndmask_b32_e64 v12, v19, v12, s1
	v_lshlrev_b32_e32 v13, 2, v12
	ds_bpermute_b32 v16, v13, v14
	ds_bpermute_b32 v17, v13, v15
	;; [unrolled: 1-line block ×4, first 2 shown]
	s_and_saveexec_b32 s1, s0
	s_cbranch_execz .LBB526_11
; %bb.7:
	v_add_co_u32 v0, s0, s8, v0
	v_add_co_ci_u32_e64 v1, null, s9, v1, s0
	s_and_saveexec_b32 s0, vcc_lo
	s_cbranch_execz .LBB526_9
; %bb.8:
	s_waitcnt lgkmcnt(2)
	v_add_f64 v[14:15], v[14:15], v[16:17]
	s_waitcnt vmcnt(0)
	v_fma_f64 v[2:3], -v[2:3], v[14:15], v[4:5]
	global_store_dwordx2 v[0:1], v[2:3], off
.LBB526_9:
	s_or_b32 exec_lo, exec_lo, s0
	v_cmp_ne_u32_e64 s0, 1, v18
	s_and_b32 s0, s0, vcc_lo
	s_and_b32 exec_lo, exec_lo, s0
	s_cbranch_execz .LBB526_11
; %bb.10:
	s_waitcnt vmcnt(0) lgkmcnt(0)
	v_add_f64 v[2:3], v[10:11], v[12:13]
	s_mov_b32 s3, 0
	s_lshl_b64 s[0:1], s[2:3], 3
	v_add_co_u32 v0, vcc_lo, v0, s0
	v_add_co_ci_u32_e64 v1, null, s1, v1, vcc_lo
	v_fma_f64 v[2:3], -v[8:9], v[2:3], v[6:7]
	global_store_dwordx2 v[0:1], v[2:3], off
.LBB526_11:
	s_endpgm
	.section	.rodata,"a",@progbits
	.p2align	6, 0x0
	.amdhsa_kernel _ZN12_GLOBAL__N_121softmax_warp_backwardIdddLi2ELb0ELb0ELi64EEEvPT0_PKT_S5_iiiPKb
		.amdhsa_group_segment_fixed_size 0
		.amdhsa_private_segment_fixed_size 0
		.amdhsa_kernarg_size 304
		.amdhsa_user_sgpr_count 6
		.amdhsa_user_sgpr_private_segment_buffer 1
		.amdhsa_user_sgpr_dispatch_ptr 0
		.amdhsa_user_sgpr_queue_ptr 0
		.amdhsa_user_sgpr_kernarg_segment_ptr 1
		.amdhsa_user_sgpr_dispatch_id 0
		.amdhsa_user_sgpr_flat_scratch_init 0
		.amdhsa_user_sgpr_private_segment_size 0
		.amdhsa_wavefront_size32 1
		.amdhsa_uses_dynamic_stack 0
		.amdhsa_system_sgpr_private_segment_wavefront_offset 0
		.amdhsa_system_sgpr_workgroup_id_x 1
		.amdhsa_system_sgpr_workgroup_id_y 0
		.amdhsa_system_sgpr_workgroup_id_z 0
		.amdhsa_system_sgpr_workgroup_info 0
		.amdhsa_system_vgpr_workitem_id 1
		.amdhsa_next_free_vgpr 21
		.amdhsa_next_free_sgpr 12
		.amdhsa_reserve_vcc 1
		.amdhsa_reserve_flat_scratch 0
		.amdhsa_float_round_mode_32 0
		.amdhsa_float_round_mode_16_64 0
		.amdhsa_float_denorm_mode_32 3
		.amdhsa_float_denorm_mode_16_64 3
		.amdhsa_dx10_clamp 1
		.amdhsa_ieee_mode 1
		.amdhsa_fp16_overflow 0
		.amdhsa_workgroup_processor_mode 1
		.amdhsa_memory_ordered 1
		.amdhsa_forward_progress 1
		.amdhsa_shared_vgpr_count 0
		.amdhsa_exception_fp_ieee_invalid_op 0
		.amdhsa_exception_fp_denorm_src 0
		.amdhsa_exception_fp_ieee_div_zero 0
		.amdhsa_exception_fp_ieee_overflow 0
		.amdhsa_exception_fp_ieee_underflow 0
		.amdhsa_exception_fp_ieee_inexact 0
		.amdhsa_exception_int_div_zero 0
	.end_amdhsa_kernel
	.section	.text._ZN12_GLOBAL__N_121softmax_warp_backwardIdddLi2ELb0ELb0ELi64EEEvPT0_PKT_S5_iiiPKb,"axG",@progbits,_ZN12_GLOBAL__N_121softmax_warp_backwardIdddLi2ELb0ELb0ELi64EEEvPT0_PKT_S5_iiiPKb,comdat
.Lfunc_end526:
	.size	_ZN12_GLOBAL__N_121softmax_warp_backwardIdddLi2ELb0ELb0ELi64EEEvPT0_PKT_S5_iiiPKb, .Lfunc_end526-_ZN12_GLOBAL__N_121softmax_warp_backwardIdddLi2ELb0ELb0ELi64EEEvPT0_PKT_S5_iiiPKb
                                        ; -- End function
	.set _ZN12_GLOBAL__N_121softmax_warp_backwardIdddLi2ELb0ELb0ELi64EEEvPT0_PKT_S5_iiiPKb.num_vgpr, 21
	.set _ZN12_GLOBAL__N_121softmax_warp_backwardIdddLi2ELb0ELb0ELi64EEEvPT0_PKT_S5_iiiPKb.num_agpr, 0
	.set _ZN12_GLOBAL__N_121softmax_warp_backwardIdddLi2ELb0ELb0ELi64EEEvPT0_PKT_S5_iiiPKb.numbered_sgpr, 12
	.set _ZN12_GLOBAL__N_121softmax_warp_backwardIdddLi2ELb0ELb0ELi64EEEvPT0_PKT_S5_iiiPKb.num_named_barrier, 0
	.set _ZN12_GLOBAL__N_121softmax_warp_backwardIdddLi2ELb0ELb0ELi64EEEvPT0_PKT_S5_iiiPKb.private_seg_size, 0
	.set _ZN12_GLOBAL__N_121softmax_warp_backwardIdddLi2ELb0ELb0ELi64EEEvPT0_PKT_S5_iiiPKb.uses_vcc, 1
	.set _ZN12_GLOBAL__N_121softmax_warp_backwardIdddLi2ELb0ELb0ELi64EEEvPT0_PKT_S5_iiiPKb.uses_flat_scratch, 0
	.set _ZN12_GLOBAL__N_121softmax_warp_backwardIdddLi2ELb0ELb0ELi64EEEvPT0_PKT_S5_iiiPKb.has_dyn_sized_stack, 0
	.set _ZN12_GLOBAL__N_121softmax_warp_backwardIdddLi2ELb0ELb0ELi64EEEvPT0_PKT_S5_iiiPKb.has_recursion, 0
	.set _ZN12_GLOBAL__N_121softmax_warp_backwardIdddLi2ELb0ELb0ELi64EEEvPT0_PKT_S5_iiiPKb.has_indirect_call, 0
	.section	.AMDGPU.csdata,"",@progbits
; Kernel info:
; codeLenInByte = 620
; TotalNumSgprs: 14
; NumVgprs: 21
; ScratchSize: 0
; MemoryBound: 1
; FloatMode: 240
; IeeeMode: 1
; LDSByteSize: 0 bytes/workgroup (compile time only)
; SGPRBlocks: 0
; VGPRBlocks: 2
; NumSGPRsForWavesPerEU: 14
; NumVGPRsForWavesPerEU: 21
; Occupancy: 16
; WaveLimiterHint : 0
; COMPUTE_PGM_RSRC2:SCRATCH_EN: 0
; COMPUTE_PGM_RSRC2:USER_SGPR: 6
; COMPUTE_PGM_RSRC2:TRAP_HANDLER: 0
; COMPUTE_PGM_RSRC2:TGID_X_EN: 1
; COMPUTE_PGM_RSRC2:TGID_Y_EN: 0
; COMPUTE_PGM_RSRC2:TGID_Z_EN: 0
; COMPUTE_PGM_RSRC2:TIDIG_COMP_CNT: 1
	.section	.text._ZN12_GLOBAL__N_121softmax_warp_backwardIdddLi2ELb0ELb0ELi32EEEvPT0_PKT_S5_iiiPKb,"axG",@progbits,_ZN12_GLOBAL__N_121softmax_warp_backwardIdddLi2ELb0ELb0ELi32EEEvPT0_PKT_S5_iiiPKb,comdat
	.globl	_ZN12_GLOBAL__N_121softmax_warp_backwardIdddLi2ELb0ELb0ELi32EEEvPT0_PKT_S5_iiiPKb ; -- Begin function _ZN12_GLOBAL__N_121softmax_warp_backwardIdddLi2ELb0ELb0ELi32EEEvPT0_PKT_S5_iiiPKb
	.p2align	8
	.type	_ZN12_GLOBAL__N_121softmax_warp_backwardIdddLi2ELb0ELb0ELi32EEEvPT0_PKT_S5_iiiPKb,@function
_ZN12_GLOBAL__N_121softmax_warp_backwardIdddLi2ELb0ELb0ELi32EEEvPT0_PKT_S5_iiiPKb: ; @_ZN12_GLOBAL__N_121softmax_warp_backwardIdddLi2ELb0ELb0ELi32EEEvPT0_PKT_S5_iiiPKb
; %bb.0:
	s_clause 0x1
	s_load_dword s7, s[4:5], 0x3c
	s_load_dwordx4 s[0:3], s[4:5], 0x18
	v_and_b32_e32 v6, 3, v0
	s_clause 0x1
	s_load_dwordx4 s[8:11], s[4:5], 0x0
	s_load_dwordx2 s[4:5], s[4:5], 0x10
	v_mov_b32_e32 v4, 0
	v_mov_b32_e32 v5, 0
	s_waitcnt lgkmcnt(0)
	s_lshr_b32 s3, s7, 16
	v_cmp_gt_i32_e32 vcc_lo, s2, v6
	s_and_b32 s3, s3, 0xffff
	s_mul_i32 s6, s6, s3
	v_add_lshl_u32 v2, s6, v1, 1
	v_mad_u64_u32 v[0:1], null, v2, s1, v[6:7]
	v_sub_nc_u32_e32 v18, s0, v2
	v_mov_b32_e32 v2, 0
	v_mov_b32_e32 v3, 0
	v_cmp_lt_i32_e64 s0, 0, v18
	v_ashrrev_i32_e32 v1, 31, v0
	s_and_b32 s3, vcc_lo, s0
	v_lshlrev_b64 v[0:1], 3, v[0:1]
	v_add_co_u32 v12, s1, s10, v0
	v_add_co_ci_u32_e64 v13, null, s11, v1, s1
	v_add_co_u32 v10, s1, s4, v0
	v_add_co_ci_u32_e64 v11, null, s5, v1, s1
	s_and_saveexec_b32 s1, s3
	s_cbranch_execz .LBB527_2
; %bb.1:
	global_load_dwordx2 v[4:5], v[12:13], off
	global_load_dwordx2 v[2:3], v[10:11], off
.LBB527_2:
	s_or_b32 exec_lo, exec_lo, s1
	v_cmp_gt_i32_e64 s1, 2, v18
	s_xor_b32 s3, vcc_lo, -1
	s_or_b32 s1, s3, s1
	s_and_saveexec_b32 s3, s1
	s_xor_b32 s1, exec_lo, s3
                                        ; implicit-def: $vgpr6_vgpr7
; %bb.3:
	s_mov_b32 s3, 0
                                        ; implicit-def: $vgpr10
                                        ; implicit-def: $vgpr12
	v_mov_b32_e32 v6, s3
	v_mov_b32_e32 v7, s3
; %bb.4:
	s_or_saveexec_b32 s4, s1
	v_mov_b32_e32 v8, 0
	v_mov_b32_e32 v9, 0
	s_xor_b32 exec_lo, exec_lo, s4
	s_cbranch_execz .LBB527_6
; %bb.5:
	s_mov_b32 s3, 0
	s_lshl_b64 s[6:7], s[2:3], 3
	v_add_co_u32 v6, s1, v12, s6
	v_add_co_ci_u32_e64 v7, null, s7, v13, s1
	v_add_co_u32 v8, s1, v10, s6
	v_add_co_ci_u32_e64 v9, null, s7, v11, s1
	global_load_dwordx2 v[6:7], v[6:7], off
	global_load_dwordx2 v[8:9], v[8:9], off
.LBB527_6:
	s_or_b32 exec_lo, exec_lo, s4
	v_mbcnt_lo_u32_b32 v19, -1, 0
	s_waitcnt vmcnt(1)
	v_add_f64 v[10:11], v[4:5], 0
	v_add_f64 v[12:13], v[6:7], 0
	v_and_b32_e32 v14, 28, v19
	v_xor_b32_e32 v15, 2, v19
	v_add_nc_u32_e32 v20, 4, v14
	v_cmp_lt_i32_e64 s1, v15, v20
	v_cndmask_b32_e64 v14, v19, v15, s1
	v_lshlrev_b32_e32 v17, 2, v14
	ds_bpermute_b32 v14, v17, v10
	ds_bpermute_b32 v15, v17, v11
	;; [unrolled: 1-line block ×4, first 2 shown]
	s_waitcnt lgkmcnt(2)
	v_add_f64 v[14:15], v[10:11], v[14:15]
	s_waitcnt lgkmcnt(0)
	v_add_f64 v[10:11], v[12:13], v[16:17]
	v_xor_b32_e32 v12, 1, v19
	v_cmp_lt_i32_e64 s1, v12, v20
	v_cndmask_b32_e64 v12, v19, v12, s1
	v_lshlrev_b32_e32 v13, 2, v12
	ds_bpermute_b32 v16, v13, v14
	ds_bpermute_b32 v17, v13, v15
	;; [unrolled: 1-line block ×4, first 2 shown]
	s_and_saveexec_b32 s1, s0
	s_cbranch_execz .LBB527_11
; %bb.7:
	v_add_co_u32 v0, s0, s8, v0
	v_add_co_ci_u32_e64 v1, null, s9, v1, s0
	s_and_saveexec_b32 s0, vcc_lo
	s_cbranch_execz .LBB527_9
; %bb.8:
	s_waitcnt lgkmcnt(2)
	v_add_f64 v[14:15], v[14:15], v[16:17]
	s_waitcnt vmcnt(0)
	v_fma_f64 v[2:3], -v[2:3], v[14:15], v[4:5]
	global_store_dwordx2 v[0:1], v[2:3], off
.LBB527_9:
	s_or_b32 exec_lo, exec_lo, s0
	v_cmp_ne_u32_e64 s0, 1, v18
	s_and_b32 s0, s0, vcc_lo
	s_and_b32 exec_lo, exec_lo, s0
	s_cbranch_execz .LBB527_11
; %bb.10:
	s_waitcnt vmcnt(0) lgkmcnt(0)
	v_add_f64 v[2:3], v[10:11], v[12:13]
	s_mov_b32 s3, 0
	s_lshl_b64 s[0:1], s[2:3], 3
	v_add_co_u32 v0, vcc_lo, v0, s0
	v_add_co_ci_u32_e64 v1, null, s1, v1, vcc_lo
	v_fma_f64 v[2:3], -v[8:9], v[2:3], v[6:7]
	global_store_dwordx2 v[0:1], v[2:3], off
.LBB527_11:
	s_endpgm
	.section	.rodata,"a",@progbits
	.p2align	6, 0x0
	.amdhsa_kernel _ZN12_GLOBAL__N_121softmax_warp_backwardIdddLi2ELb0ELb0ELi32EEEvPT0_PKT_S5_iiiPKb
		.amdhsa_group_segment_fixed_size 0
		.amdhsa_private_segment_fixed_size 0
		.amdhsa_kernarg_size 304
		.amdhsa_user_sgpr_count 6
		.amdhsa_user_sgpr_private_segment_buffer 1
		.amdhsa_user_sgpr_dispatch_ptr 0
		.amdhsa_user_sgpr_queue_ptr 0
		.amdhsa_user_sgpr_kernarg_segment_ptr 1
		.amdhsa_user_sgpr_dispatch_id 0
		.amdhsa_user_sgpr_flat_scratch_init 0
		.amdhsa_user_sgpr_private_segment_size 0
		.amdhsa_wavefront_size32 1
		.amdhsa_uses_dynamic_stack 0
		.amdhsa_system_sgpr_private_segment_wavefront_offset 0
		.amdhsa_system_sgpr_workgroup_id_x 1
		.amdhsa_system_sgpr_workgroup_id_y 0
		.amdhsa_system_sgpr_workgroup_id_z 0
		.amdhsa_system_sgpr_workgroup_info 0
		.amdhsa_system_vgpr_workitem_id 1
		.amdhsa_next_free_vgpr 21
		.amdhsa_next_free_sgpr 12
		.amdhsa_reserve_vcc 1
		.amdhsa_reserve_flat_scratch 0
		.amdhsa_float_round_mode_32 0
		.amdhsa_float_round_mode_16_64 0
		.amdhsa_float_denorm_mode_32 3
		.amdhsa_float_denorm_mode_16_64 3
		.amdhsa_dx10_clamp 1
		.amdhsa_ieee_mode 1
		.amdhsa_fp16_overflow 0
		.amdhsa_workgroup_processor_mode 1
		.amdhsa_memory_ordered 1
		.amdhsa_forward_progress 1
		.amdhsa_shared_vgpr_count 0
		.amdhsa_exception_fp_ieee_invalid_op 0
		.amdhsa_exception_fp_denorm_src 0
		.amdhsa_exception_fp_ieee_div_zero 0
		.amdhsa_exception_fp_ieee_overflow 0
		.amdhsa_exception_fp_ieee_underflow 0
		.amdhsa_exception_fp_ieee_inexact 0
		.amdhsa_exception_int_div_zero 0
	.end_amdhsa_kernel
	.section	.text._ZN12_GLOBAL__N_121softmax_warp_backwardIdddLi2ELb0ELb0ELi32EEEvPT0_PKT_S5_iiiPKb,"axG",@progbits,_ZN12_GLOBAL__N_121softmax_warp_backwardIdddLi2ELb0ELb0ELi32EEEvPT0_PKT_S5_iiiPKb,comdat
.Lfunc_end527:
	.size	_ZN12_GLOBAL__N_121softmax_warp_backwardIdddLi2ELb0ELb0ELi32EEEvPT0_PKT_S5_iiiPKb, .Lfunc_end527-_ZN12_GLOBAL__N_121softmax_warp_backwardIdddLi2ELb0ELb0ELi32EEEvPT0_PKT_S5_iiiPKb
                                        ; -- End function
	.set _ZN12_GLOBAL__N_121softmax_warp_backwardIdddLi2ELb0ELb0ELi32EEEvPT0_PKT_S5_iiiPKb.num_vgpr, 21
	.set _ZN12_GLOBAL__N_121softmax_warp_backwardIdddLi2ELb0ELb0ELi32EEEvPT0_PKT_S5_iiiPKb.num_agpr, 0
	.set _ZN12_GLOBAL__N_121softmax_warp_backwardIdddLi2ELb0ELb0ELi32EEEvPT0_PKT_S5_iiiPKb.numbered_sgpr, 12
	.set _ZN12_GLOBAL__N_121softmax_warp_backwardIdddLi2ELb0ELb0ELi32EEEvPT0_PKT_S5_iiiPKb.num_named_barrier, 0
	.set _ZN12_GLOBAL__N_121softmax_warp_backwardIdddLi2ELb0ELb0ELi32EEEvPT0_PKT_S5_iiiPKb.private_seg_size, 0
	.set _ZN12_GLOBAL__N_121softmax_warp_backwardIdddLi2ELb0ELb0ELi32EEEvPT0_PKT_S5_iiiPKb.uses_vcc, 1
	.set _ZN12_GLOBAL__N_121softmax_warp_backwardIdddLi2ELb0ELb0ELi32EEEvPT0_PKT_S5_iiiPKb.uses_flat_scratch, 0
	.set _ZN12_GLOBAL__N_121softmax_warp_backwardIdddLi2ELb0ELb0ELi32EEEvPT0_PKT_S5_iiiPKb.has_dyn_sized_stack, 0
	.set _ZN12_GLOBAL__N_121softmax_warp_backwardIdddLi2ELb0ELb0ELi32EEEvPT0_PKT_S5_iiiPKb.has_recursion, 0
	.set _ZN12_GLOBAL__N_121softmax_warp_backwardIdddLi2ELb0ELb0ELi32EEEvPT0_PKT_S5_iiiPKb.has_indirect_call, 0
	.section	.AMDGPU.csdata,"",@progbits
; Kernel info:
; codeLenInByte = 620
; TotalNumSgprs: 14
; NumVgprs: 21
; ScratchSize: 0
; MemoryBound: 1
; FloatMode: 240
; IeeeMode: 1
; LDSByteSize: 0 bytes/workgroup (compile time only)
; SGPRBlocks: 0
; VGPRBlocks: 2
; NumSGPRsForWavesPerEU: 14
; NumVGPRsForWavesPerEU: 21
; Occupancy: 16
; WaveLimiterHint : 0
; COMPUTE_PGM_RSRC2:SCRATCH_EN: 0
; COMPUTE_PGM_RSRC2:USER_SGPR: 6
; COMPUTE_PGM_RSRC2:TRAP_HANDLER: 0
; COMPUTE_PGM_RSRC2:TGID_X_EN: 1
; COMPUTE_PGM_RSRC2:TGID_Y_EN: 0
; COMPUTE_PGM_RSRC2:TGID_Z_EN: 0
; COMPUTE_PGM_RSRC2:TIDIG_COMP_CNT: 1
	.section	.text._ZN12_GLOBAL__N_121softmax_warp_backwardIdddLi3ELb0ELb0ELi64EEEvPT0_PKT_S5_iiiPKb,"axG",@progbits,_ZN12_GLOBAL__N_121softmax_warp_backwardIdddLi3ELb0ELb0ELi64EEEvPT0_PKT_S5_iiiPKb,comdat
	.globl	_ZN12_GLOBAL__N_121softmax_warp_backwardIdddLi3ELb0ELb0ELi64EEEvPT0_PKT_S5_iiiPKb ; -- Begin function _ZN12_GLOBAL__N_121softmax_warp_backwardIdddLi3ELb0ELb0ELi64EEEvPT0_PKT_S5_iiiPKb
	.p2align	8
	.type	_ZN12_GLOBAL__N_121softmax_warp_backwardIdddLi3ELb0ELb0ELi64EEEvPT0_PKT_S5_iiiPKb,@function
_ZN12_GLOBAL__N_121softmax_warp_backwardIdddLi3ELb0ELb0ELi64EEEvPT0_PKT_S5_iiiPKb: ; @_ZN12_GLOBAL__N_121softmax_warp_backwardIdddLi3ELb0ELb0ELi64EEEvPT0_PKT_S5_iiiPKb
; %bb.0:
	s_clause 0x1
	s_load_dword s7, s[4:5], 0x3c
	s_load_dwordx4 s[0:3], s[4:5], 0x18
	v_and_b32_e32 v6, 7, v0
	s_clause 0x1
	s_load_dwordx4 s[8:11], s[4:5], 0x0
	s_load_dwordx2 s[4:5], s[4:5], 0x10
	v_mov_b32_e32 v4, 0
	v_mov_b32_e32 v5, 0
	s_waitcnt lgkmcnt(0)
	s_lshr_b32 s3, s7, 16
	v_cmp_gt_i32_e32 vcc_lo, s2, v6
	s_and_b32 s3, s3, 0xffff
	s_mul_i32 s6, s6, s3
	v_add_lshl_u32 v2, s6, v1, 1
	v_mad_u64_u32 v[0:1], null, v2, s1, v[6:7]
	v_sub_nc_u32_e32 v18, s0, v2
	v_mov_b32_e32 v2, 0
	v_mov_b32_e32 v3, 0
	v_cmp_lt_i32_e64 s0, 0, v18
	v_ashrrev_i32_e32 v1, 31, v0
	s_and_b32 s3, vcc_lo, s0
	v_lshlrev_b64 v[0:1], 3, v[0:1]
	v_add_co_u32 v12, s1, s10, v0
	v_add_co_ci_u32_e64 v13, null, s11, v1, s1
	v_add_co_u32 v10, s1, s4, v0
	v_add_co_ci_u32_e64 v11, null, s5, v1, s1
	s_and_saveexec_b32 s1, s3
	s_cbranch_execz .LBB528_2
; %bb.1:
	global_load_dwordx2 v[4:5], v[12:13], off
	global_load_dwordx2 v[2:3], v[10:11], off
.LBB528_2:
	s_or_b32 exec_lo, exec_lo, s1
	v_cmp_gt_i32_e64 s1, 2, v18
	s_xor_b32 s3, vcc_lo, -1
	s_or_b32 s1, s3, s1
	s_and_saveexec_b32 s3, s1
	s_xor_b32 s1, exec_lo, s3
                                        ; implicit-def: $vgpr6_vgpr7
; %bb.3:
	s_mov_b32 s3, 0
                                        ; implicit-def: $vgpr10
                                        ; implicit-def: $vgpr12
	v_mov_b32_e32 v6, s3
	v_mov_b32_e32 v7, s3
; %bb.4:
	s_or_saveexec_b32 s4, s1
	v_mov_b32_e32 v8, 0
	v_mov_b32_e32 v9, 0
	s_xor_b32 exec_lo, exec_lo, s4
	s_cbranch_execz .LBB528_6
; %bb.5:
	s_mov_b32 s3, 0
	s_lshl_b64 s[6:7], s[2:3], 3
	v_add_co_u32 v6, s1, v12, s6
	v_add_co_ci_u32_e64 v7, null, s7, v13, s1
	v_add_co_u32 v8, s1, v10, s6
	v_add_co_ci_u32_e64 v9, null, s7, v11, s1
	global_load_dwordx2 v[6:7], v[6:7], off
	global_load_dwordx2 v[8:9], v[8:9], off
.LBB528_6:
	s_or_b32 exec_lo, exec_lo, s4
	v_mbcnt_lo_u32_b32 v19, -1, 0
	s_waitcnt vmcnt(1)
	v_add_f64 v[10:11], v[4:5], 0
	v_add_f64 v[12:13], v[6:7], 0
	v_and_b32_e32 v14, 24, v19
	v_xor_b32_e32 v15, 4, v19
	v_add_nc_u32_e32 v20, 8, v14
	v_cmp_lt_i32_e64 s1, v15, v20
	v_cndmask_b32_e64 v14, v19, v15, s1
	v_lshlrev_b32_e32 v17, 2, v14
	ds_bpermute_b32 v14, v17, v10
	ds_bpermute_b32 v15, v17, v11
	;; [unrolled: 1-line block ×4, first 2 shown]
	s_waitcnt lgkmcnt(2)
	v_add_f64 v[10:11], v[10:11], v[14:15]
	v_xor_b32_e32 v14, 2, v19
	s_waitcnt lgkmcnt(0)
	v_add_f64 v[12:13], v[12:13], v[16:17]
	v_cmp_lt_i32_e64 s1, v14, v20
	v_cndmask_b32_e64 v14, v19, v14, s1
	v_lshlrev_b32_e32 v17, 2, v14
	ds_bpermute_b32 v14, v17, v10
	ds_bpermute_b32 v15, v17, v11
	;; [unrolled: 1-line block ×4, first 2 shown]
	s_waitcnt lgkmcnt(2)
	v_add_f64 v[14:15], v[10:11], v[14:15]
	s_waitcnt lgkmcnt(0)
	v_add_f64 v[10:11], v[12:13], v[16:17]
	v_xor_b32_e32 v12, 1, v19
	v_cmp_lt_i32_e64 s1, v12, v20
	v_cndmask_b32_e64 v12, v19, v12, s1
	v_lshlrev_b32_e32 v13, 2, v12
	ds_bpermute_b32 v16, v13, v14
	ds_bpermute_b32 v17, v13, v15
	;; [unrolled: 1-line block ×4, first 2 shown]
	s_and_saveexec_b32 s1, s0
	s_cbranch_execz .LBB528_11
; %bb.7:
	v_add_co_u32 v0, s0, s8, v0
	v_add_co_ci_u32_e64 v1, null, s9, v1, s0
	s_and_saveexec_b32 s0, vcc_lo
	s_cbranch_execz .LBB528_9
; %bb.8:
	s_waitcnt lgkmcnt(2)
	v_add_f64 v[14:15], v[14:15], v[16:17]
	s_waitcnt vmcnt(0)
	v_fma_f64 v[2:3], -v[2:3], v[14:15], v[4:5]
	global_store_dwordx2 v[0:1], v[2:3], off
.LBB528_9:
	s_or_b32 exec_lo, exec_lo, s0
	v_cmp_ne_u32_e64 s0, 1, v18
	s_and_b32 s0, s0, vcc_lo
	s_and_b32 exec_lo, exec_lo, s0
	s_cbranch_execz .LBB528_11
; %bb.10:
	s_waitcnt vmcnt(0) lgkmcnt(0)
	v_add_f64 v[2:3], v[10:11], v[12:13]
	s_mov_b32 s3, 0
	s_lshl_b64 s[0:1], s[2:3], 3
	v_add_co_u32 v0, vcc_lo, v0, s0
	v_add_co_ci_u32_e64 v1, null, s1, v1, vcc_lo
	v_fma_f64 v[2:3], -v[8:9], v[2:3], v[6:7]
	global_store_dwordx2 v[0:1], v[2:3], off
.LBB528_11:
	s_endpgm
	.section	.rodata,"a",@progbits
	.p2align	6, 0x0
	.amdhsa_kernel _ZN12_GLOBAL__N_121softmax_warp_backwardIdddLi3ELb0ELb0ELi64EEEvPT0_PKT_S5_iiiPKb
		.amdhsa_group_segment_fixed_size 0
		.amdhsa_private_segment_fixed_size 0
		.amdhsa_kernarg_size 304
		.amdhsa_user_sgpr_count 6
		.amdhsa_user_sgpr_private_segment_buffer 1
		.amdhsa_user_sgpr_dispatch_ptr 0
		.amdhsa_user_sgpr_queue_ptr 0
		.amdhsa_user_sgpr_kernarg_segment_ptr 1
		.amdhsa_user_sgpr_dispatch_id 0
		.amdhsa_user_sgpr_flat_scratch_init 0
		.amdhsa_user_sgpr_private_segment_size 0
		.amdhsa_wavefront_size32 1
		.amdhsa_uses_dynamic_stack 0
		.amdhsa_system_sgpr_private_segment_wavefront_offset 0
		.amdhsa_system_sgpr_workgroup_id_x 1
		.amdhsa_system_sgpr_workgroup_id_y 0
		.amdhsa_system_sgpr_workgroup_id_z 0
		.amdhsa_system_sgpr_workgroup_info 0
		.amdhsa_system_vgpr_workitem_id 1
		.amdhsa_next_free_vgpr 21
		.amdhsa_next_free_sgpr 12
		.amdhsa_reserve_vcc 1
		.amdhsa_reserve_flat_scratch 0
		.amdhsa_float_round_mode_32 0
		.amdhsa_float_round_mode_16_64 0
		.amdhsa_float_denorm_mode_32 3
		.amdhsa_float_denorm_mode_16_64 3
		.amdhsa_dx10_clamp 1
		.amdhsa_ieee_mode 1
		.amdhsa_fp16_overflow 0
		.amdhsa_workgroup_processor_mode 1
		.amdhsa_memory_ordered 1
		.amdhsa_forward_progress 1
		.amdhsa_shared_vgpr_count 0
		.amdhsa_exception_fp_ieee_invalid_op 0
		.amdhsa_exception_fp_denorm_src 0
		.amdhsa_exception_fp_ieee_div_zero 0
		.amdhsa_exception_fp_ieee_overflow 0
		.amdhsa_exception_fp_ieee_underflow 0
		.amdhsa_exception_fp_ieee_inexact 0
		.amdhsa_exception_int_div_zero 0
	.end_amdhsa_kernel
	.section	.text._ZN12_GLOBAL__N_121softmax_warp_backwardIdddLi3ELb0ELb0ELi64EEEvPT0_PKT_S5_iiiPKb,"axG",@progbits,_ZN12_GLOBAL__N_121softmax_warp_backwardIdddLi3ELb0ELb0ELi64EEEvPT0_PKT_S5_iiiPKb,comdat
.Lfunc_end528:
	.size	_ZN12_GLOBAL__N_121softmax_warp_backwardIdddLi3ELb0ELb0ELi64EEEvPT0_PKT_S5_iiiPKb, .Lfunc_end528-_ZN12_GLOBAL__N_121softmax_warp_backwardIdddLi3ELb0ELb0ELi64EEEvPT0_PKT_S5_iiiPKb
                                        ; -- End function
	.set _ZN12_GLOBAL__N_121softmax_warp_backwardIdddLi3ELb0ELb0ELi64EEEvPT0_PKT_S5_iiiPKb.num_vgpr, 21
	.set _ZN12_GLOBAL__N_121softmax_warp_backwardIdddLi3ELb0ELb0ELi64EEEvPT0_PKT_S5_iiiPKb.num_agpr, 0
	.set _ZN12_GLOBAL__N_121softmax_warp_backwardIdddLi3ELb0ELb0ELi64EEEvPT0_PKT_S5_iiiPKb.numbered_sgpr, 12
	.set _ZN12_GLOBAL__N_121softmax_warp_backwardIdddLi3ELb0ELb0ELi64EEEvPT0_PKT_S5_iiiPKb.num_named_barrier, 0
	.set _ZN12_GLOBAL__N_121softmax_warp_backwardIdddLi3ELb0ELb0ELi64EEEvPT0_PKT_S5_iiiPKb.private_seg_size, 0
	.set _ZN12_GLOBAL__N_121softmax_warp_backwardIdddLi3ELb0ELb0ELi64EEEvPT0_PKT_S5_iiiPKb.uses_vcc, 1
	.set _ZN12_GLOBAL__N_121softmax_warp_backwardIdddLi3ELb0ELb0ELi64EEEvPT0_PKT_S5_iiiPKb.uses_flat_scratch, 0
	.set _ZN12_GLOBAL__N_121softmax_warp_backwardIdddLi3ELb0ELb0ELi64EEEvPT0_PKT_S5_iiiPKb.has_dyn_sized_stack, 0
	.set _ZN12_GLOBAL__N_121softmax_warp_backwardIdddLi3ELb0ELb0ELi64EEEvPT0_PKT_S5_iiiPKb.has_recursion, 0
	.set _ZN12_GLOBAL__N_121softmax_warp_backwardIdddLi3ELb0ELb0ELi64EEEvPT0_PKT_S5_iiiPKb.has_indirect_call, 0
	.section	.AMDGPU.csdata,"",@progbits
; Kernel info:
; codeLenInByte = 700
; TotalNumSgprs: 14
; NumVgprs: 21
; ScratchSize: 0
; MemoryBound: 1
; FloatMode: 240
; IeeeMode: 1
; LDSByteSize: 0 bytes/workgroup (compile time only)
; SGPRBlocks: 0
; VGPRBlocks: 2
; NumSGPRsForWavesPerEU: 14
; NumVGPRsForWavesPerEU: 21
; Occupancy: 16
; WaveLimiterHint : 0
; COMPUTE_PGM_RSRC2:SCRATCH_EN: 0
; COMPUTE_PGM_RSRC2:USER_SGPR: 6
; COMPUTE_PGM_RSRC2:TRAP_HANDLER: 0
; COMPUTE_PGM_RSRC2:TGID_X_EN: 1
; COMPUTE_PGM_RSRC2:TGID_Y_EN: 0
; COMPUTE_PGM_RSRC2:TGID_Z_EN: 0
; COMPUTE_PGM_RSRC2:TIDIG_COMP_CNT: 1
	.section	.text._ZN12_GLOBAL__N_121softmax_warp_backwardIdddLi3ELb0ELb0ELi32EEEvPT0_PKT_S5_iiiPKb,"axG",@progbits,_ZN12_GLOBAL__N_121softmax_warp_backwardIdddLi3ELb0ELb0ELi32EEEvPT0_PKT_S5_iiiPKb,comdat
	.globl	_ZN12_GLOBAL__N_121softmax_warp_backwardIdddLi3ELb0ELb0ELi32EEEvPT0_PKT_S5_iiiPKb ; -- Begin function _ZN12_GLOBAL__N_121softmax_warp_backwardIdddLi3ELb0ELb0ELi32EEEvPT0_PKT_S5_iiiPKb
	.p2align	8
	.type	_ZN12_GLOBAL__N_121softmax_warp_backwardIdddLi3ELb0ELb0ELi32EEEvPT0_PKT_S5_iiiPKb,@function
_ZN12_GLOBAL__N_121softmax_warp_backwardIdddLi3ELb0ELb0ELi32EEEvPT0_PKT_S5_iiiPKb: ; @_ZN12_GLOBAL__N_121softmax_warp_backwardIdddLi3ELb0ELb0ELi32EEEvPT0_PKT_S5_iiiPKb
; %bb.0:
	s_clause 0x1
	s_load_dword s7, s[4:5], 0x3c
	s_load_dwordx4 s[0:3], s[4:5], 0x18
	v_and_b32_e32 v6, 7, v0
	s_clause 0x1
	s_load_dwordx4 s[8:11], s[4:5], 0x0
	s_load_dwordx2 s[4:5], s[4:5], 0x10
	v_mov_b32_e32 v4, 0
	v_mov_b32_e32 v5, 0
	s_waitcnt lgkmcnt(0)
	s_lshr_b32 s3, s7, 16
	v_cmp_gt_i32_e32 vcc_lo, s2, v6
	s_and_b32 s3, s3, 0xffff
	s_mul_i32 s6, s6, s3
	v_add_lshl_u32 v2, s6, v1, 1
	v_mad_u64_u32 v[0:1], null, v2, s1, v[6:7]
	v_sub_nc_u32_e32 v18, s0, v2
	v_mov_b32_e32 v2, 0
	v_mov_b32_e32 v3, 0
	v_cmp_lt_i32_e64 s0, 0, v18
	v_ashrrev_i32_e32 v1, 31, v0
	s_and_b32 s3, vcc_lo, s0
	v_lshlrev_b64 v[0:1], 3, v[0:1]
	v_add_co_u32 v12, s1, s10, v0
	v_add_co_ci_u32_e64 v13, null, s11, v1, s1
	v_add_co_u32 v10, s1, s4, v0
	v_add_co_ci_u32_e64 v11, null, s5, v1, s1
	s_and_saveexec_b32 s1, s3
	s_cbranch_execz .LBB529_2
; %bb.1:
	global_load_dwordx2 v[4:5], v[12:13], off
	global_load_dwordx2 v[2:3], v[10:11], off
.LBB529_2:
	s_or_b32 exec_lo, exec_lo, s1
	v_cmp_gt_i32_e64 s1, 2, v18
	s_xor_b32 s3, vcc_lo, -1
	s_or_b32 s1, s3, s1
	s_and_saveexec_b32 s3, s1
	s_xor_b32 s1, exec_lo, s3
                                        ; implicit-def: $vgpr6_vgpr7
; %bb.3:
	s_mov_b32 s3, 0
                                        ; implicit-def: $vgpr10
                                        ; implicit-def: $vgpr12
	v_mov_b32_e32 v6, s3
	v_mov_b32_e32 v7, s3
; %bb.4:
	s_or_saveexec_b32 s4, s1
	v_mov_b32_e32 v8, 0
	v_mov_b32_e32 v9, 0
	s_xor_b32 exec_lo, exec_lo, s4
	s_cbranch_execz .LBB529_6
; %bb.5:
	s_mov_b32 s3, 0
	s_lshl_b64 s[6:7], s[2:3], 3
	v_add_co_u32 v6, s1, v12, s6
	v_add_co_ci_u32_e64 v7, null, s7, v13, s1
	v_add_co_u32 v8, s1, v10, s6
	v_add_co_ci_u32_e64 v9, null, s7, v11, s1
	global_load_dwordx2 v[6:7], v[6:7], off
	global_load_dwordx2 v[8:9], v[8:9], off
.LBB529_6:
	s_or_b32 exec_lo, exec_lo, s4
	v_mbcnt_lo_u32_b32 v19, -1, 0
	s_waitcnt vmcnt(1)
	v_add_f64 v[10:11], v[4:5], 0
	v_add_f64 v[12:13], v[6:7], 0
	v_and_b32_e32 v14, 24, v19
	v_xor_b32_e32 v15, 4, v19
	v_add_nc_u32_e32 v20, 8, v14
	v_cmp_lt_i32_e64 s1, v15, v20
	v_cndmask_b32_e64 v14, v19, v15, s1
	v_lshlrev_b32_e32 v17, 2, v14
	ds_bpermute_b32 v14, v17, v10
	ds_bpermute_b32 v15, v17, v11
	;; [unrolled: 1-line block ×4, first 2 shown]
	s_waitcnt lgkmcnt(2)
	v_add_f64 v[10:11], v[10:11], v[14:15]
	v_xor_b32_e32 v14, 2, v19
	s_waitcnt lgkmcnt(0)
	v_add_f64 v[12:13], v[12:13], v[16:17]
	v_cmp_lt_i32_e64 s1, v14, v20
	v_cndmask_b32_e64 v14, v19, v14, s1
	v_lshlrev_b32_e32 v17, 2, v14
	ds_bpermute_b32 v14, v17, v10
	ds_bpermute_b32 v15, v17, v11
	;; [unrolled: 1-line block ×4, first 2 shown]
	s_waitcnt lgkmcnt(2)
	v_add_f64 v[14:15], v[10:11], v[14:15]
	s_waitcnt lgkmcnt(0)
	v_add_f64 v[10:11], v[12:13], v[16:17]
	v_xor_b32_e32 v12, 1, v19
	v_cmp_lt_i32_e64 s1, v12, v20
	v_cndmask_b32_e64 v12, v19, v12, s1
	v_lshlrev_b32_e32 v13, 2, v12
	ds_bpermute_b32 v16, v13, v14
	ds_bpermute_b32 v17, v13, v15
	;; [unrolled: 1-line block ×4, first 2 shown]
	s_and_saveexec_b32 s1, s0
	s_cbranch_execz .LBB529_11
; %bb.7:
	v_add_co_u32 v0, s0, s8, v0
	v_add_co_ci_u32_e64 v1, null, s9, v1, s0
	s_and_saveexec_b32 s0, vcc_lo
	s_cbranch_execz .LBB529_9
; %bb.8:
	s_waitcnt lgkmcnt(2)
	v_add_f64 v[14:15], v[14:15], v[16:17]
	s_waitcnt vmcnt(0)
	v_fma_f64 v[2:3], -v[2:3], v[14:15], v[4:5]
	global_store_dwordx2 v[0:1], v[2:3], off
.LBB529_9:
	s_or_b32 exec_lo, exec_lo, s0
	v_cmp_ne_u32_e64 s0, 1, v18
	s_and_b32 s0, s0, vcc_lo
	s_and_b32 exec_lo, exec_lo, s0
	s_cbranch_execz .LBB529_11
; %bb.10:
	s_waitcnt vmcnt(0) lgkmcnt(0)
	v_add_f64 v[2:3], v[10:11], v[12:13]
	s_mov_b32 s3, 0
	s_lshl_b64 s[0:1], s[2:3], 3
	v_add_co_u32 v0, vcc_lo, v0, s0
	v_add_co_ci_u32_e64 v1, null, s1, v1, vcc_lo
	v_fma_f64 v[2:3], -v[8:9], v[2:3], v[6:7]
	global_store_dwordx2 v[0:1], v[2:3], off
.LBB529_11:
	s_endpgm
	.section	.rodata,"a",@progbits
	.p2align	6, 0x0
	.amdhsa_kernel _ZN12_GLOBAL__N_121softmax_warp_backwardIdddLi3ELb0ELb0ELi32EEEvPT0_PKT_S5_iiiPKb
		.amdhsa_group_segment_fixed_size 0
		.amdhsa_private_segment_fixed_size 0
		.amdhsa_kernarg_size 304
		.amdhsa_user_sgpr_count 6
		.amdhsa_user_sgpr_private_segment_buffer 1
		.amdhsa_user_sgpr_dispatch_ptr 0
		.amdhsa_user_sgpr_queue_ptr 0
		.amdhsa_user_sgpr_kernarg_segment_ptr 1
		.amdhsa_user_sgpr_dispatch_id 0
		.amdhsa_user_sgpr_flat_scratch_init 0
		.amdhsa_user_sgpr_private_segment_size 0
		.amdhsa_wavefront_size32 1
		.amdhsa_uses_dynamic_stack 0
		.amdhsa_system_sgpr_private_segment_wavefront_offset 0
		.amdhsa_system_sgpr_workgroup_id_x 1
		.amdhsa_system_sgpr_workgroup_id_y 0
		.amdhsa_system_sgpr_workgroup_id_z 0
		.amdhsa_system_sgpr_workgroup_info 0
		.amdhsa_system_vgpr_workitem_id 1
		.amdhsa_next_free_vgpr 21
		.amdhsa_next_free_sgpr 12
		.amdhsa_reserve_vcc 1
		.amdhsa_reserve_flat_scratch 0
		.amdhsa_float_round_mode_32 0
		.amdhsa_float_round_mode_16_64 0
		.amdhsa_float_denorm_mode_32 3
		.amdhsa_float_denorm_mode_16_64 3
		.amdhsa_dx10_clamp 1
		.amdhsa_ieee_mode 1
		.amdhsa_fp16_overflow 0
		.amdhsa_workgroup_processor_mode 1
		.amdhsa_memory_ordered 1
		.amdhsa_forward_progress 1
		.amdhsa_shared_vgpr_count 0
		.amdhsa_exception_fp_ieee_invalid_op 0
		.amdhsa_exception_fp_denorm_src 0
		.amdhsa_exception_fp_ieee_div_zero 0
		.amdhsa_exception_fp_ieee_overflow 0
		.amdhsa_exception_fp_ieee_underflow 0
		.amdhsa_exception_fp_ieee_inexact 0
		.amdhsa_exception_int_div_zero 0
	.end_amdhsa_kernel
	.section	.text._ZN12_GLOBAL__N_121softmax_warp_backwardIdddLi3ELb0ELb0ELi32EEEvPT0_PKT_S5_iiiPKb,"axG",@progbits,_ZN12_GLOBAL__N_121softmax_warp_backwardIdddLi3ELb0ELb0ELi32EEEvPT0_PKT_S5_iiiPKb,comdat
.Lfunc_end529:
	.size	_ZN12_GLOBAL__N_121softmax_warp_backwardIdddLi3ELb0ELb0ELi32EEEvPT0_PKT_S5_iiiPKb, .Lfunc_end529-_ZN12_GLOBAL__N_121softmax_warp_backwardIdddLi3ELb0ELb0ELi32EEEvPT0_PKT_S5_iiiPKb
                                        ; -- End function
	.set _ZN12_GLOBAL__N_121softmax_warp_backwardIdddLi3ELb0ELb0ELi32EEEvPT0_PKT_S5_iiiPKb.num_vgpr, 21
	.set _ZN12_GLOBAL__N_121softmax_warp_backwardIdddLi3ELb0ELb0ELi32EEEvPT0_PKT_S5_iiiPKb.num_agpr, 0
	.set _ZN12_GLOBAL__N_121softmax_warp_backwardIdddLi3ELb0ELb0ELi32EEEvPT0_PKT_S5_iiiPKb.numbered_sgpr, 12
	.set _ZN12_GLOBAL__N_121softmax_warp_backwardIdddLi3ELb0ELb0ELi32EEEvPT0_PKT_S5_iiiPKb.num_named_barrier, 0
	.set _ZN12_GLOBAL__N_121softmax_warp_backwardIdddLi3ELb0ELb0ELi32EEEvPT0_PKT_S5_iiiPKb.private_seg_size, 0
	.set _ZN12_GLOBAL__N_121softmax_warp_backwardIdddLi3ELb0ELb0ELi32EEEvPT0_PKT_S5_iiiPKb.uses_vcc, 1
	.set _ZN12_GLOBAL__N_121softmax_warp_backwardIdddLi3ELb0ELb0ELi32EEEvPT0_PKT_S5_iiiPKb.uses_flat_scratch, 0
	.set _ZN12_GLOBAL__N_121softmax_warp_backwardIdddLi3ELb0ELb0ELi32EEEvPT0_PKT_S5_iiiPKb.has_dyn_sized_stack, 0
	.set _ZN12_GLOBAL__N_121softmax_warp_backwardIdddLi3ELb0ELb0ELi32EEEvPT0_PKT_S5_iiiPKb.has_recursion, 0
	.set _ZN12_GLOBAL__N_121softmax_warp_backwardIdddLi3ELb0ELb0ELi32EEEvPT0_PKT_S5_iiiPKb.has_indirect_call, 0
	.section	.AMDGPU.csdata,"",@progbits
; Kernel info:
; codeLenInByte = 700
; TotalNumSgprs: 14
; NumVgprs: 21
; ScratchSize: 0
; MemoryBound: 1
; FloatMode: 240
; IeeeMode: 1
; LDSByteSize: 0 bytes/workgroup (compile time only)
; SGPRBlocks: 0
; VGPRBlocks: 2
; NumSGPRsForWavesPerEU: 14
; NumVGPRsForWavesPerEU: 21
; Occupancy: 16
; WaveLimiterHint : 0
; COMPUTE_PGM_RSRC2:SCRATCH_EN: 0
; COMPUTE_PGM_RSRC2:USER_SGPR: 6
; COMPUTE_PGM_RSRC2:TRAP_HANDLER: 0
; COMPUTE_PGM_RSRC2:TGID_X_EN: 1
; COMPUTE_PGM_RSRC2:TGID_Y_EN: 0
; COMPUTE_PGM_RSRC2:TGID_Z_EN: 0
; COMPUTE_PGM_RSRC2:TIDIG_COMP_CNT: 1
	.section	.text._ZN12_GLOBAL__N_121softmax_warp_backwardIdddLi4ELb0ELb0ELi64EEEvPT0_PKT_S5_iiiPKb,"axG",@progbits,_ZN12_GLOBAL__N_121softmax_warp_backwardIdddLi4ELb0ELb0ELi64EEEvPT0_PKT_S5_iiiPKb,comdat
	.globl	_ZN12_GLOBAL__N_121softmax_warp_backwardIdddLi4ELb0ELb0ELi64EEEvPT0_PKT_S5_iiiPKb ; -- Begin function _ZN12_GLOBAL__N_121softmax_warp_backwardIdddLi4ELb0ELb0ELi64EEEvPT0_PKT_S5_iiiPKb
	.p2align	8
	.type	_ZN12_GLOBAL__N_121softmax_warp_backwardIdddLi4ELb0ELb0ELi64EEEvPT0_PKT_S5_iiiPKb,@function
_ZN12_GLOBAL__N_121softmax_warp_backwardIdddLi4ELb0ELb0ELi64EEEvPT0_PKT_S5_iiiPKb: ; @_ZN12_GLOBAL__N_121softmax_warp_backwardIdddLi4ELb0ELb0ELi64EEEvPT0_PKT_S5_iiiPKb
; %bb.0:
	s_clause 0x1
	s_load_dword s7, s[4:5], 0x3c
	s_load_dwordx4 s[0:3], s[4:5], 0x18
	v_and_b32_e32 v6, 15, v0
	s_clause 0x1
	s_load_dwordx4 s[8:11], s[4:5], 0x0
	s_load_dwordx2 s[4:5], s[4:5], 0x10
	v_mov_b32_e32 v4, 0
	v_mov_b32_e32 v5, 0
	s_waitcnt lgkmcnt(0)
	s_lshr_b32 s3, s7, 16
	v_cmp_gt_i32_e32 vcc_lo, s2, v6
	s_and_b32 s3, s3, 0xffff
	s_mul_i32 s6, s6, s3
	v_add_lshl_u32 v2, s6, v1, 1
	v_mad_u64_u32 v[0:1], null, v2, s1, v[6:7]
	v_sub_nc_u32_e32 v18, s0, v2
	v_mov_b32_e32 v2, 0
	v_mov_b32_e32 v3, 0
	v_cmp_lt_i32_e64 s0, 0, v18
	v_ashrrev_i32_e32 v1, 31, v0
	s_and_b32 s3, vcc_lo, s0
	v_lshlrev_b64 v[0:1], 3, v[0:1]
	v_add_co_u32 v12, s1, s10, v0
	v_add_co_ci_u32_e64 v13, null, s11, v1, s1
	v_add_co_u32 v10, s1, s4, v0
	v_add_co_ci_u32_e64 v11, null, s5, v1, s1
	s_and_saveexec_b32 s1, s3
	s_cbranch_execz .LBB530_2
; %bb.1:
	global_load_dwordx2 v[4:5], v[12:13], off
	global_load_dwordx2 v[2:3], v[10:11], off
.LBB530_2:
	s_or_b32 exec_lo, exec_lo, s1
	v_cmp_gt_i32_e64 s1, 2, v18
	s_xor_b32 s3, vcc_lo, -1
	s_or_b32 s1, s3, s1
	s_and_saveexec_b32 s3, s1
	s_xor_b32 s1, exec_lo, s3
                                        ; implicit-def: $vgpr6_vgpr7
; %bb.3:
	s_mov_b32 s3, 0
                                        ; implicit-def: $vgpr10
                                        ; implicit-def: $vgpr12
	v_mov_b32_e32 v6, s3
	v_mov_b32_e32 v7, s3
; %bb.4:
	s_or_saveexec_b32 s4, s1
	v_mov_b32_e32 v8, 0
	v_mov_b32_e32 v9, 0
	s_xor_b32 exec_lo, exec_lo, s4
	s_cbranch_execz .LBB530_6
; %bb.5:
	s_mov_b32 s3, 0
	s_lshl_b64 s[6:7], s[2:3], 3
	v_add_co_u32 v6, s1, v12, s6
	v_add_co_ci_u32_e64 v7, null, s7, v13, s1
	v_add_co_u32 v8, s1, v10, s6
	v_add_co_ci_u32_e64 v9, null, s7, v11, s1
	global_load_dwordx2 v[6:7], v[6:7], off
	global_load_dwordx2 v[8:9], v[8:9], off
.LBB530_6:
	s_or_b32 exec_lo, exec_lo, s4
	v_mbcnt_lo_u32_b32 v19, -1, 0
	s_waitcnt vmcnt(1)
	v_add_f64 v[10:11], v[4:5], 0
	v_add_f64 v[12:13], v[6:7], 0
	v_and_b32_e32 v14, 16, v19
	v_xor_b32_e32 v15, 8, v19
	v_add_nc_u32_e32 v20, 16, v14
	v_cmp_lt_i32_e64 s1, v15, v20
	v_cndmask_b32_e64 v14, v19, v15, s1
	v_lshlrev_b32_e32 v17, 2, v14
	ds_bpermute_b32 v14, v17, v10
	ds_bpermute_b32 v15, v17, v11
	;; [unrolled: 1-line block ×4, first 2 shown]
	s_waitcnt lgkmcnt(2)
	v_add_f64 v[10:11], v[10:11], v[14:15]
	v_xor_b32_e32 v14, 4, v19
	s_waitcnt lgkmcnt(0)
	v_add_f64 v[12:13], v[12:13], v[16:17]
	v_cmp_lt_i32_e64 s1, v14, v20
	v_cndmask_b32_e64 v14, v19, v14, s1
	v_lshlrev_b32_e32 v17, 2, v14
	ds_bpermute_b32 v14, v17, v10
	ds_bpermute_b32 v15, v17, v11
	;; [unrolled: 1-line block ×4, first 2 shown]
	s_waitcnt lgkmcnt(2)
	v_add_f64 v[10:11], v[10:11], v[14:15]
	v_xor_b32_e32 v14, 2, v19
	s_waitcnt lgkmcnt(0)
	v_add_f64 v[12:13], v[12:13], v[16:17]
	v_cmp_lt_i32_e64 s1, v14, v20
	v_cndmask_b32_e64 v14, v19, v14, s1
	v_lshlrev_b32_e32 v17, 2, v14
	ds_bpermute_b32 v14, v17, v10
	ds_bpermute_b32 v15, v17, v11
	;; [unrolled: 1-line block ×4, first 2 shown]
	s_waitcnt lgkmcnt(2)
	v_add_f64 v[14:15], v[10:11], v[14:15]
	s_waitcnt lgkmcnt(0)
	v_add_f64 v[10:11], v[12:13], v[16:17]
	v_xor_b32_e32 v12, 1, v19
	v_cmp_lt_i32_e64 s1, v12, v20
	v_cndmask_b32_e64 v12, v19, v12, s1
	v_lshlrev_b32_e32 v13, 2, v12
	ds_bpermute_b32 v16, v13, v14
	ds_bpermute_b32 v17, v13, v15
	;; [unrolled: 1-line block ×4, first 2 shown]
	s_and_saveexec_b32 s1, s0
	s_cbranch_execz .LBB530_11
; %bb.7:
	v_add_co_u32 v0, s0, s8, v0
	v_add_co_ci_u32_e64 v1, null, s9, v1, s0
	s_and_saveexec_b32 s0, vcc_lo
	s_cbranch_execz .LBB530_9
; %bb.8:
	s_waitcnt lgkmcnt(2)
	v_add_f64 v[14:15], v[14:15], v[16:17]
	s_waitcnt vmcnt(0)
	v_fma_f64 v[2:3], -v[2:3], v[14:15], v[4:5]
	global_store_dwordx2 v[0:1], v[2:3], off
.LBB530_9:
	s_or_b32 exec_lo, exec_lo, s0
	v_cmp_ne_u32_e64 s0, 1, v18
	s_and_b32 s0, s0, vcc_lo
	s_and_b32 exec_lo, exec_lo, s0
	s_cbranch_execz .LBB530_11
; %bb.10:
	s_waitcnt vmcnt(0) lgkmcnt(0)
	v_add_f64 v[2:3], v[10:11], v[12:13]
	s_mov_b32 s3, 0
	s_lshl_b64 s[0:1], s[2:3], 3
	v_add_co_u32 v0, vcc_lo, v0, s0
	v_add_co_ci_u32_e64 v1, null, s1, v1, vcc_lo
	v_fma_f64 v[2:3], -v[8:9], v[2:3], v[6:7]
	global_store_dwordx2 v[0:1], v[2:3], off
.LBB530_11:
	s_endpgm
	.section	.rodata,"a",@progbits
	.p2align	6, 0x0
	.amdhsa_kernel _ZN12_GLOBAL__N_121softmax_warp_backwardIdddLi4ELb0ELb0ELi64EEEvPT0_PKT_S5_iiiPKb
		.amdhsa_group_segment_fixed_size 0
		.amdhsa_private_segment_fixed_size 0
		.amdhsa_kernarg_size 304
		.amdhsa_user_sgpr_count 6
		.amdhsa_user_sgpr_private_segment_buffer 1
		.amdhsa_user_sgpr_dispatch_ptr 0
		.amdhsa_user_sgpr_queue_ptr 0
		.amdhsa_user_sgpr_kernarg_segment_ptr 1
		.amdhsa_user_sgpr_dispatch_id 0
		.amdhsa_user_sgpr_flat_scratch_init 0
		.amdhsa_user_sgpr_private_segment_size 0
		.amdhsa_wavefront_size32 1
		.amdhsa_uses_dynamic_stack 0
		.amdhsa_system_sgpr_private_segment_wavefront_offset 0
		.amdhsa_system_sgpr_workgroup_id_x 1
		.amdhsa_system_sgpr_workgroup_id_y 0
		.amdhsa_system_sgpr_workgroup_id_z 0
		.amdhsa_system_sgpr_workgroup_info 0
		.amdhsa_system_vgpr_workitem_id 1
		.amdhsa_next_free_vgpr 21
		.amdhsa_next_free_sgpr 12
		.amdhsa_reserve_vcc 1
		.amdhsa_reserve_flat_scratch 0
		.amdhsa_float_round_mode_32 0
		.amdhsa_float_round_mode_16_64 0
		.amdhsa_float_denorm_mode_32 3
		.amdhsa_float_denorm_mode_16_64 3
		.amdhsa_dx10_clamp 1
		.amdhsa_ieee_mode 1
		.amdhsa_fp16_overflow 0
		.amdhsa_workgroup_processor_mode 1
		.amdhsa_memory_ordered 1
		.amdhsa_forward_progress 1
		.amdhsa_shared_vgpr_count 0
		.amdhsa_exception_fp_ieee_invalid_op 0
		.amdhsa_exception_fp_denorm_src 0
		.amdhsa_exception_fp_ieee_div_zero 0
		.amdhsa_exception_fp_ieee_overflow 0
		.amdhsa_exception_fp_ieee_underflow 0
		.amdhsa_exception_fp_ieee_inexact 0
		.amdhsa_exception_int_div_zero 0
	.end_amdhsa_kernel
	.section	.text._ZN12_GLOBAL__N_121softmax_warp_backwardIdddLi4ELb0ELb0ELi64EEEvPT0_PKT_S5_iiiPKb,"axG",@progbits,_ZN12_GLOBAL__N_121softmax_warp_backwardIdddLi4ELb0ELb0ELi64EEEvPT0_PKT_S5_iiiPKb,comdat
.Lfunc_end530:
	.size	_ZN12_GLOBAL__N_121softmax_warp_backwardIdddLi4ELb0ELb0ELi64EEEvPT0_PKT_S5_iiiPKb, .Lfunc_end530-_ZN12_GLOBAL__N_121softmax_warp_backwardIdddLi4ELb0ELb0ELi64EEEvPT0_PKT_S5_iiiPKb
                                        ; -- End function
	.set _ZN12_GLOBAL__N_121softmax_warp_backwardIdddLi4ELb0ELb0ELi64EEEvPT0_PKT_S5_iiiPKb.num_vgpr, 21
	.set _ZN12_GLOBAL__N_121softmax_warp_backwardIdddLi4ELb0ELb0ELi64EEEvPT0_PKT_S5_iiiPKb.num_agpr, 0
	.set _ZN12_GLOBAL__N_121softmax_warp_backwardIdddLi4ELb0ELb0ELi64EEEvPT0_PKT_S5_iiiPKb.numbered_sgpr, 12
	.set _ZN12_GLOBAL__N_121softmax_warp_backwardIdddLi4ELb0ELb0ELi64EEEvPT0_PKT_S5_iiiPKb.num_named_barrier, 0
	.set _ZN12_GLOBAL__N_121softmax_warp_backwardIdddLi4ELb0ELb0ELi64EEEvPT0_PKT_S5_iiiPKb.private_seg_size, 0
	.set _ZN12_GLOBAL__N_121softmax_warp_backwardIdddLi4ELb0ELb0ELi64EEEvPT0_PKT_S5_iiiPKb.uses_vcc, 1
	.set _ZN12_GLOBAL__N_121softmax_warp_backwardIdddLi4ELb0ELb0ELi64EEEvPT0_PKT_S5_iiiPKb.uses_flat_scratch, 0
	.set _ZN12_GLOBAL__N_121softmax_warp_backwardIdddLi4ELb0ELb0ELi64EEEvPT0_PKT_S5_iiiPKb.has_dyn_sized_stack, 0
	.set _ZN12_GLOBAL__N_121softmax_warp_backwardIdddLi4ELb0ELb0ELi64EEEvPT0_PKT_S5_iiiPKb.has_recursion, 0
	.set _ZN12_GLOBAL__N_121softmax_warp_backwardIdddLi4ELb0ELb0ELi64EEEvPT0_PKT_S5_iiiPKb.has_indirect_call, 0
	.section	.AMDGPU.csdata,"",@progbits
; Kernel info:
; codeLenInByte = 780
; TotalNumSgprs: 14
; NumVgprs: 21
; ScratchSize: 0
; MemoryBound: 1
; FloatMode: 240
; IeeeMode: 1
; LDSByteSize: 0 bytes/workgroup (compile time only)
; SGPRBlocks: 0
; VGPRBlocks: 2
; NumSGPRsForWavesPerEU: 14
; NumVGPRsForWavesPerEU: 21
; Occupancy: 16
; WaveLimiterHint : 0
; COMPUTE_PGM_RSRC2:SCRATCH_EN: 0
; COMPUTE_PGM_RSRC2:USER_SGPR: 6
; COMPUTE_PGM_RSRC2:TRAP_HANDLER: 0
; COMPUTE_PGM_RSRC2:TGID_X_EN: 1
; COMPUTE_PGM_RSRC2:TGID_Y_EN: 0
; COMPUTE_PGM_RSRC2:TGID_Z_EN: 0
; COMPUTE_PGM_RSRC2:TIDIG_COMP_CNT: 1
	.section	.text._ZN12_GLOBAL__N_121softmax_warp_backwardIdddLi4ELb0ELb0ELi32EEEvPT0_PKT_S5_iiiPKb,"axG",@progbits,_ZN12_GLOBAL__N_121softmax_warp_backwardIdddLi4ELb0ELb0ELi32EEEvPT0_PKT_S5_iiiPKb,comdat
	.globl	_ZN12_GLOBAL__N_121softmax_warp_backwardIdddLi4ELb0ELb0ELi32EEEvPT0_PKT_S5_iiiPKb ; -- Begin function _ZN12_GLOBAL__N_121softmax_warp_backwardIdddLi4ELb0ELb0ELi32EEEvPT0_PKT_S5_iiiPKb
	.p2align	8
	.type	_ZN12_GLOBAL__N_121softmax_warp_backwardIdddLi4ELb0ELb0ELi32EEEvPT0_PKT_S5_iiiPKb,@function
_ZN12_GLOBAL__N_121softmax_warp_backwardIdddLi4ELb0ELb0ELi32EEEvPT0_PKT_S5_iiiPKb: ; @_ZN12_GLOBAL__N_121softmax_warp_backwardIdddLi4ELb0ELb0ELi32EEEvPT0_PKT_S5_iiiPKb
; %bb.0:
	s_clause 0x1
	s_load_dword s7, s[4:5], 0x3c
	s_load_dwordx4 s[0:3], s[4:5], 0x18
	v_and_b32_e32 v6, 15, v0
	s_clause 0x1
	s_load_dwordx4 s[8:11], s[4:5], 0x0
	s_load_dwordx2 s[4:5], s[4:5], 0x10
	v_mov_b32_e32 v4, 0
	v_mov_b32_e32 v5, 0
	s_waitcnt lgkmcnt(0)
	s_lshr_b32 s3, s7, 16
	v_cmp_gt_i32_e32 vcc_lo, s2, v6
	s_and_b32 s3, s3, 0xffff
	s_mul_i32 s6, s6, s3
	v_add_lshl_u32 v2, s6, v1, 1
	v_mad_u64_u32 v[0:1], null, v2, s1, v[6:7]
	v_sub_nc_u32_e32 v18, s0, v2
	v_mov_b32_e32 v2, 0
	v_mov_b32_e32 v3, 0
	v_cmp_lt_i32_e64 s0, 0, v18
	v_ashrrev_i32_e32 v1, 31, v0
	s_and_b32 s3, vcc_lo, s0
	v_lshlrev_b64 v[0:1], 3, v[0:1]
	v_add_co_u32 v12, s1, s10, v0
	v_add_co_ci_u32_e64 v13, null, s11, v1, s1
	v_add_co_u32 v10, s1, s4, v0
	v_add_co_ci_u32_e64 v11, null, s5, v1, s1
	s_and_saveexec_b32 s1, s3
	s_cbranch_execz .LBB531_2
; %bb.1:
	global_load_dwordx2 v[4:5], v[12:13], off
	global_load_dwordx2 v[2:3], v[10:11], off
.LBB531_2:
	s_or_b32 exec_lo, exec_lo, s1
	v_cmp_gt_i32_e64 s1, 2, v18
	s_xor_b32 s3, vcc_lo, -1
	s_or_b32 s1, s3, s1
	s_and_saveexec_b32 s3, s1
	s_xor_b32 s1, exec_lo, s3
                                        ; implicit-def: $vgpr6_vgpr7
; %bb.3:
	s_mov_b32 s3, 0
                                        ; implicit-def: $vgpr10
                                        ; implicit-def: $vgpr12
	v_mov_b32_e32 v6, s3
	v_mov_b32_e32 v7, s3
; %bb.4:
	s_or_saveexec_b32 s4, s1
	v_mov_b32_e32 v8, 0
	v_mov_b32_e32 v9, 0
	s_xor_b32 exec_lo, exec_lo, s4
	s_cbranch_execz .LBB531_6
; %bb.5:
	s_mov_b32 s3, 0
	s_lshl_b64 s[6:7], s[2:3], 3
	v_add_co_u32 v6, s1, v12, s6
	v_add_co_ci_u32_e64 v7, null, s7, v13, s1
	v_add_co_u32 v8, s1, v10, s6
	v_add_co_ci_u32_e64 v9, null, s7, v11, s1
	global_load_dwordx2 v[6:7], v[6:7], off
	global_load_dwordx2 v[8:9], v[8:9], off
.LBB531_6:
	s_or_b32 exec_lo, exec_lo, s4
	v_mbcnt_lo_u32_b32 v19, -1, 0
	s_waitcnt vmcnt(1)
	v_add_f64 v[10:11], v[4:5], 0
	v_add_f64 v[12:13], v[6:7], 0
	v_and_b32_e32 v14, 16, v19
	v_xor_b32_e32 v15, 8, v19
	v_add_nc_u32_e32 v20, 16, v14
	v_cmp_lt_i32_e64 s1, v15, v20
	v_cndmask_b32_e64 v14, v19, v15, s1
	v_lshlrev_b32_e32 v17, 2, v14
	ds_bpermute_b32 v14, v17, v10
	ds_bpermute_b32 v15, v17, v11
	;; [unrolled: 1-line block ×4, first 2 shown]
	s_waitcnt lgkmcnt(2)
	v_add_f64 v[10:11], v[10:11], v[14:15]
	v_xor_b32_e32 v14, 4, v19
	s_waitcnt lgkmcnt(0)
	v_add_f64 v[12:13], v[12:13], v[16:17]
	v_cmp_lt_i32_e64 s1, v14, v20
	v_cndmask_b32_e64 v14, v19, v14, s1
	v_lshlrev_b32_e32 v17, 2, v14
	ds_bpermute_b32 v14, v17, v10
	ds_bpermute_b32 v15, v17, v11
	ds_bpermute_b32 v16, v17, v12
	ds_bpermute_b32 v17, v17, v13
	s_waitcnt lgkmcnt(2)
	v_add_f64 v[10:11], v[10:11], v[14:15]
	v_xor_b32_e32 v14, 2, v19
	s_waitcnt lgkmcnt(0)
	v_add_f64 v[12:13], v[12:13], v[16:17]
	v_cmp_lt_i32_e64 s1, v14, v20
	v_cndmask_b32_e64 v14, v19, v14, s1
	v_lshlrev_b32_e32 v17, 2, v14
	ds_bpermute_b32 v14, v17, v10
	ds_bpermute_b32 v15, v17, v11
	;; [unrolled: 1-line block ×4, first 2 shown]
	s_waitcnt lgkmcnt(2)
	v_add_f64 v[14:15], v[10:11], v[14:15]
	s_waitcnt lgkmcnt(0)
	v_add_f64 v[10:11], v[12:13], v[16:17]
	v_xor_b32_e32 v12, 1, v19
	v_cmp_lt_i32_e64 s1, v12, v20
	v_cndmask_b32_e64 v12, v19, v12, s1
	v_lshlrev_b32_e32 v13, 2, v12
	ds_bpermute_b32 v16, v13, v14
	ds_bpermute_b32 v17, v13, v15
	;; [unrolled: 1-line block ×4, first 2 shown]
	s_and_saveexec_b32 s1, s0
	s_cbranch_execz .LBB531_11
; %bb.7:
	v_add_co_u32 v0, s0, s8, v0
	v_add_co_ci_u32_e64 v1, null, s9, v1, s0
	s_and_saveexec_b32 s0, vcc_lo
	s_cbranch_execz .LBB531_9
; %bb.8:
	s_waitcnt lgkmcnt(2)
	v_add_f64 v[14:15], v[14:15], v[16:17]
	s_waitcnt vmcnt(0)
	v_fma_f64 v[2:3], -v[2:3], v[14:15], v[4:5]
	global_store_dwordx2 v[0:1], v[2:3], off
.LBB531_9:
	s_or_b32 exec_lo, exec_lo, s0
	v_cmp_ne_u32_e64 s0, 1, v18
	s_and_b32 s0, s0, vcc_lo
	s_and_b32 exec_lo, exec_lo, s0
	s_cbranch_execz .LBB531_11
; %bb.10:
	s_waitcnt vmcnt(0) lgkmcnt(0)
	v_add_f64 v[2:3], v[10:11], v[12:13]
	s_mov_b32 s3, 0
	s_lshl_b64 s[0:1], s[2:3], 3
	v_add_co_u32 v0, vcc_lo, v0, s0
	v_add_co_ci_u32_e64 v1, null, s1, v1, vcc_lo
	v_fma_f64 v[2:3], -v[8:9], v[2:3], v[6:7]
	global_store_dwordx2 v[0:1], v[2:3], off
.LBB531_11:
	s_endpgm
	.section	.rodata,"a",@progbits
	.p2align	6, 0x0
	.amdhsa_kernel _ZN12_GLOBAL__N_121softmax_warp_backwardIdddLi4ELb0ELb0ELi32EEEvPT0_PKT_S5_iiiPKb
		.amdhsa_group_segment_fixed_size 0
		.amdhsa_private_segment_fixed_size 0
		.amdhsa_kernarg_size 304
		.amdhsa_user_sgpr_count 6
		.amdhsa_user_sgpr_private_segment_buffer 1
		.amdhsa_user_sgpr_dispatch_ptr 0
		.amdhsa_user_sgpr_queue_ptr 0
		.amdhsa_user_sgpr_kernarg_segment_ptr 1
		.amdhsa_user_sgpr_dispatch_id 0
		.amdhsa_user_sgpr_flat_scratch_init 0
		.amdhsa_user_sgpr_private_segment_size 0
		.amdhsa_wavefront_size32 1
		.amdhsa_uses_dynamic_stack 0
		.amdhsa_system_sgpr_private_segment_wavefront_offset 0
		.amdhsa_system_sgpr_workgroup_id_x 1
		.amdhsa_system_sgpr_workgroup_id_y 0
		.amdhsa_system_sgpr_workgroup_id_z 0
		.amdhsa_system_sgpr_workgroup_info 0
		.amdhsa_system_vgpr_workitem_id 1
		.amdhsa_next_free_vgpr 21
		.amdhsa_next_free_sgpr 12
		.amdhsa_reserve_vcc 1
		.amdhsa_reserve_flat_scratch 0
		.amdhsa_float_round_mode_32 0
		.amdhsa_float_round_mode_16_64 0
		.amdhsa_float_denorm_mode_32 3
		.amdhsa_float_denorm_mode_16_64 3
		.amdhsa_dx10_clamp 1
		.amdhsa_ieee_mode 1
		.amdhsa_fp16_overflow 0
		.amdhsa_workgroup_processor_mode 1
		.amdhsa_memory_ordered 1
		.amdhsa_forward_progress 1
		.amdhsa_shared_vgpr_count 0
		.amdhsa_exception_fp_ieee_invalid_op 0
		.amdhsa_exception_fp_denorm_src 0
		.amdhsa_exception_fp_ieee_div_zero 0
		.amdhsa_exception_fp_ieee_overflow 0
		.amdhsa_exception_fp_ieee_underflow 0
		.amdhsa_exception_fp_ieee_inexact 0
		.amdhsa_exception_int_div_zero 0
	.end_amdhsa_kernel
	.section	.text._ZN12_GLOBAL__N_121softmax_warp_backwardIdddLi4ELb0ELb0ELi32EEEvPT0_PKT_S5_iiiPKb,"axG",@progbits,_ZN12_GLOBAL__N_121softmax_warp_backwardIdddLi4ELb0ELb0ELi32EEEvPT0_PKT_S5_iiiPKb,comdat
.Lfunc_end531:
	.size	_ZN12_GLOBAL__N_121softmax_warp_backwardIdddLi4ELb0ELb0ELi32EEEvPT0_PKT_S5_iiiPKb, .Lfunc_end531-_ZN12_GLOBAL__N_121softmax_warp_backwardIdddLi4ELb0ELb0ELi32EEEvPT0_PKT_S5_iiiPKb
                                        ; -- End function
	.set _ZN12_GLOBAL__N_121softmax_warp_backwardIdddLi4ELb0ELb0ELi32EEEvPT0_PKT_S5_iiiPKb.num_vgpr, 21
	.set _ZN12_GLOBAL__N_121softmax_warp_backwardIdddLi4ELb0ELb0ELi32EEEvPT0_PKT_S5_iiiPKb.num_agpr, 0
	.set _ZN12_GLOBAL__N_121softmax_warp_backwardIdddLi4ELb0ELb0ELi32EEEvPT0_PKT_S5_iiiPKb.numbered_sgpr, 12
	.set _ZN12_GLOBAL__N_121softmax_warp_backwardIdddLi4ELb0ELb0ELi32EEEvPT0_PKT_S5_iiiPKb.num_named_barrier, 0
	.set _ZN12_GLOBAL__N_121softmax_warp_backwardIdddLi4ELb0ELb0ELi32EEEvPT0_PKT_S5_iiiPKb.private_seg_size, 0
	.set _ZN12_GLOBAL__N_121softmax_warp_backwardIdddLi4ELb0ELb0ELi32EEEvPT0_PKT_S5_iiiPKb.uses_vcc, 1
	.set _ZN12_GLOBAL__N_121softmax_warp_backwardIdddLi4ELb0ELb0ELi32EEEvPT0_PKT_S5_iiiPKb.uses_flat_scratch, 0
	.set _ZN12_GLOBAL__N_121softmax_warp_backwardIdddLi4ELb0ELb0ELi32EEEvPT0_PKT_S5_iiiPKb.has_dyn_sized_stack, 0
	.set _ZN12_GLOBAL__N_121softmax_warp_backwardIdddLi4ELb0ELb0ELi32EEEvPT0_PKT_S5_iiiPKb.has_recursion, 0
	.set _ZN12_GLOBAL__N_121softmax_warp_backwardIdddLi4ELb0ELb0ELi32EEEvPT0_PKT_S5_iiiPKb.has_indirect_call, 0
	.section	.AMDGPU.csdata,"",@progbits
; Kernel info:
; codeLenInByte = 780
; TotalNumSgprs: 14
; NumVgprs: 21
; ScratchSize: 0
; MemoryBound: 1
; FloatMode: 240
; IeeeMode: 1
; LDSByteSize: 0 bytes/workgroup (compile time only)
; SGPRBlocks: 0
; VGPRBlocks: 2
; NumSGPRsForWavesPerEU: 14
; NumVGPRsForWavesPerEU: 21
; Occupancy: 16
; WaveLimiterHint : 0
; COMPUTE_PGM_RSRC2:SCRATCH_EN: 0
; COMPUTE_PGM_RSRC2:USER_SGPR: 6
; COMPUTE_PGM_RSRC2:TRAP_HANDLER: 0
; COMPUTE_PGM_RSRC2:TGID_X_EN: 1
; COMPUTE_PGM_RSRC2:TGID_Y_EN: 0
; COMPUTE_PGM_RSRC2:TGID_Z_EN: 0
; COMPUTE_PGM_RSRC2:TIDIG_COMP_CNT: 1
	.section	.text._ZN12_GLOBAL__N_121softmax_warp_backwardIdddLi5ELb0ELb0ELi64EEEvPT0_PKT_S5_iiiPKb,"axG",@progbits,_ZN12_GLOBAL__N_121softmax_warp_backwardIdddLi5ELb0ELb0ELi64EEEvPT0_PKT_S5_iiiPKb,comdat
	.globl	_ZN12_GLOBAL__N_121softmax_warp_backwardIdddLi5ELb0ELb0ELi64EEEvPT0_PKT_S5_iiiPKb ; -- Begin function _ZN12_GLOBAL__N_121softmax_warp_backwardIdddLi5ELb0ELb0ELi64EEEvPT0_PKT_S5_iiiPKb
	.p2align	8
	.type	_ZN12_GLOBAL__N_121softmax_warp_backwardIdddLi5ELb0ELb0ELi64EEEvPT0_PKT_S5_iiiPKb,@function
_ZN12_GLOBAL__N_121softmax_warp_backwardIdddLi5ELb0ELb0ELi64EEEvPT0_PKT_S5_iiiPKb: ; @_ZN12_GLOBAL__N_121softmax_warp_backwardIdddLi5ELb0ELb0ELi64EEEvPT0_PKT_S5_iiiPKb
; %bb.0:
	s_clause 0x1
	s_load_dword s7, s[4:5], 0x3c
	s_load_dwordx4 s[0:3], s[4:5], 0x18
	v_and_b32_e32 v6, 31, v0
	s_clause 0x1
	s_load_dwordx4 s[8:11], s[4:5], 0x0
	s_load_dwordx2 s[4:5], s[4:5], 0x10
	v_mov_b32_e32 v4, 0
	v_mov_b32_e32 v5, 0
	s_waitcnt lgkmcnt(0)
	s_lshr_b32 s3, s7, 16
	v_cmp_gt_i32_e32 vcc_lo, s2, v6
	s_and_b32 s3, s3, 0xffff
	s_mul_i32 s6, s6, s3
	v_add_lshl_u32 v2, s6, v1, 1
	v_mad_u64_u32 v[0:1], null, v2, s1, v[6:7]
	v_sub_nc_u32_e32 v18, s0, v2
	v_mov_b32_e32 v2, 0
	v_mov_b32_e32 v3, 0
	v_cmp_lt_i32_e64 s0, 0, v18
	v_ashrrev_i32_e32 v1, 31, v0
	s_and_b32 s3, vcc_lo, s0
	v_lshlrev_b64 v[0:1], 3, v[0:1]
	v_add_co_u32 v12, s1, s10, v0
	v_add_co_ci_u32_e64 v13, null, s11, v1, s1
	v_add_co_u32 v10, s1, s4, v0
	v_add_co_ci_u32_e64 v11, null, s5, v1, s1
	s_and_saveexec_b32 s1, s3
	s_cbranch_execz .LBB532_2
; %bb.1:
	global_load_dwordx2 v[4:5], v[12:13], off
	global_load_dwordx2 v[2:3], v[10:11], off
.LBB532_2:
	s_or_b32 exec_lo, exec_lo, s1
	v_cmp_gt_i32_e64 s1, 2, v18
	s_xor_b32 s3, vcc_lo, -1
	s_or_b32 s1, s3, s1
	s_and_saveexec_b32 s3, s1
	s_xor_b32 s1, exec_lo, s3
                                        ; implicit-def: $vgpr6_vgpr7
; %bb.3:
	s_mov_b32 s3, 0
                                        ; implicit-def: $vgpr10
                                        ; implicit-def: $vgpr12
	v_mov_b32_e32 v6, s3
	v_mov_b32_e32 v7, s3
; %bb.4:
	s_or_saveexec_b32 s4, s1
	v_mov_b32_e32 v8, 0
	v_mov_b32_e32 v9, 0
	s_xor_b32 exec_lo, exec_lo, s4
	s_cbranch_execz .LBB532_6
; %bb.5:
	s_mov_b32 s3, 0
	s_lshl_b64 s[6:7], s[2:3], 3
	v_add_co_u32 v6, s1, v12, s6
	v_add_co_ci_u32_e64 v7, null, s7, v13, s1
	v_add_co_u32 v8, s1, v10, s6
	v_add_co_ci_u32_e64 v9, null, s7, v11, s1
	global_load_dwordx2 v[6:7], v[6:7], off
	global_load_dwordx2 v[8:9], v[8:9], off
.LBB532_6:
	s_or_b32 exec_lo, exec_lo, s4
	v_mbcnt_lo_u32_b32 v19, -1, 0
	s_waitcnt vmcnt(1)
	v_add_f64 v[10:11], v[4:5], 0
	v_add_f64 v[12:13], v[6:7], 0
	v_xor_b32_e32 v14, 16, v19
	v_cmp_gt_i32_e64 s1, 32, v14
	v_cndmask_b32_e64 v14, v19, v14, s1
	v_lshlrev_b32_e32 v17, 2, v14
	ds_bpermute_b32 v14, v17, v10
	ds_bpermute_b32 v15, v17, v11
	ds_bpermute_b32 v16, v17, v12
	ds_bpermute_b32 v17, v17, v13
	s_waitcnt lgkmcnt(2)
	v_add_f64 v[10:11], v[10:11], v[14:15]
	v_xor_b32_e32 v14, 8, v19
	s_waitcnt lgkmcnt(0)
	v_add_f64 v[12:13], v[12:13], v[16:17]
	v_cmp_gt_i32_e64 s1, 32, v14
	v_cndmask_b32_e64 v14, v19, v14, s1
	v_lshlrev_b32_e32 v17, 2, v14
	ds_bpermute_b32 v14, v17, v10
	ds_bpermute_b32 v15, v17, v11
	ds_bpermute_b32 v16, v17, v12
	ds_bpermute_b32 v17, v17, v13
	s_waitcnt lgkmcnt(2)
	v_add_f64 v[10:11], v[10:11], v[14:15]
	v_xor_b32_e32 v14, 4, v19
	s_waitcnt lgkmcnt(0)
	v_add_f64 v[12:13], v[12:13], v[16:17]
	;; [unrolled: 12-line block ×3, first 2 shown]
	v_cmp_gt_i32_e64 s1, 32, v14
	v_cndmask_b32_e64 v14, v19, v14, s1
	v_lshlrev_b32_e32 v17, 2, v14
	ds_bpermute_b32 v14, v17, v10
	ds_bpermute_b32 v15, v17, v11
	;; [unrolled: 1-line block ×4, first 2 shown]
	s_waitcnt lgkmcnt(2)
	v_add_f64 v[14:15], v[10:11], v[14:15]
	s_waitcnt lgkmcnt(0)
	v_add_f64 v[10:11], v[12:13], v[16:17]
	v_xor_b32_e32 v12, 1, v19
	v_cmp_gt_i32_e64 s1, 32, v12
	v_cndmask_b32_e64 v12, v19, v12, s1
	v_lshlrev_b32_e32 v13, 2, v12
	ds_bpermute_b32 v16, v13, v14
	ds_bpermute_b32 v17, v13, v15
	;; [unrolled: 1-line block ×4, first 2 shown]
	s_and_saveexec_b32 s1, s0
	s_cbranch_execz .LBB532_11
; %bb.7:
	v_add_co_u32 v0, s0, s8, v0
	v_add_co_ci_u32_e64 v1, null, s9, v1, s0
	s_and_saveexec_b32 s0, vcc_lo
	s_cbranch_execz .LBB532_9
; %bb.8:
	s_waitcnt lgkmcnt(2)
	v_add_f64 v[14:15], v[14:15], v[16:17]
	s_waitcnt vmcnt(0)
	v_fma_f64 v[2:3], -v[2:3], v[14:15], v[4:5]
	global_store_dwordx2 v[0:1], v[2:3], off
.LBB532_9:
	s_or_b32 exec_lo, exec_lo, s0
	v_cmp_ne_u32_e64 s0, 1, v18
	s_and_b32 s0, s0, vcc_lo
	s_and_b32 exec_lo, exec_lo, s0
	s_cbranch_execz .LBB532_11
; %bb.10:
	s_waitcnt vmcnt(0) lgkmcnt(0)
	v_add_f64 v[2:3], v[10:11], v[12:13]
	s_mov_b32 s3, 0
	s_lshl_b64 s[0:1], s[2:3], 3
	v_add_co_u32 v0, vcc_lo, v0, s0
	v_add_co_ci_u32_e64 v1, null, s1, v1, vcc_lo
	v_fma_f64 v[2:3], -v[8:9], v[2:3], v[6:7]
	global_store_dwordx2 v[0:1], v[2:3], off
.LBB532_11:
	s_endpgm
	.section	.rodata,"a",@progbits
	.p2align	6, 0x0
	.amdhsa_kernel _ZN12_GLOBAL__N_121softmax_warp_backwardIdddLi5ELb0ELb0ELi64EEEvPT0_PKT_S5_iiiPKb
		.amdhsa_group_segment_fixed_size 0
		.amdhsa_private_segment_fixed_size 0
		.amdhsa_kernarg_size 304
		.amdhsa_user_sgpr_count 6
		.amdhsa_user_sgpr_private_segment_buffer 1
		.amdhsa_user_sgpr_dispatch_ptr 0
		.amdhsa_user_sgpr_queue_ptr 0
		.amdhsa_user_sgpr_kernarg_segment_ptr 1
		.amdhsa_user_sgpr_dispatch_id 0
		.amdhsa_user_sgpr_flat_scratch_init 0
		.amdhsa_user_sgpr_private_segment_size 0
		.amdhsa_wavefront_size32 1
		.amdhsa_uses_dynamic_stack 0
		.amdhsa_system_sgpr_private_segment_wavefront_offset 0
		.amdhsa_system_sgpr_workgroup_id_x 1
		.amdhsa_system_sgpr_workgroup_id_y 0
		.amdhsa_system_sgpr_workgroup_id_z 0
		.amdhsa_system_sgpr_workgroup_info 0
		.amdhsa_system_vgpr_workitem_id 1
		.amdhsa_next_free_vgpr 20
		.amdhsa_next_free_sgpr 12
		.amdhsa_reserve_vcc 1
		.amdhsa_reserve_flat_scratch 0
		.amdhsa_float_round_mode_32 0
		.amdhsa_float_round_mode_16_64 0
		.amdhsa_float_denorm_mode_32 3
		.amdhsa_float_denorm_mode_16_64 3
		.amdhsa_dx10_clamp 1
		.amdhsa_ieee_mode 1
		.amdhsa_fp16_overflow 0
		.amdhsa_workgroup_processor_mode 1
		.amdhsa_memory_ordered 1
		.amdhsa_forward_progress 1
		.amdhsa_shared_vgpr_count 0
		.amdhsa_exception_fp_ieee_invalid_op 0
		.amdhsa_exception_fp_denorm_src 0
		.amdhsa_exception_fp_ieee_div_zero 0
		.amdhsa_exception_fp_ieee_overflow 0
		.amdhsa_exception_fp_ieee_underflow 0
		.amdhsa_exception_fp_ieee_inexact 0
		.amdhsa_exception_int_div_zero 0
	.end_amdhsa_kernel
	.section	.text._ZN12_GLOBAL__N_121softmax_warp_backwardIdddLi5ELb0ELb0ELi64EEEvPT0_PKT_S5_iiiPKb,"axG",@progbits,_ZN12_GLOBAL__N_121softmax_warp_backwardIdddLi5ELb0ELb0ELi64EEEvPT0_PKT_S5_iiiPKb,comdat
.Lfunc_end532:
	.size	_ZN12_GLOBAL__N_121softmax_warp_backwardIdddLi5ELb0ELb0ELi64EEEvPT0_PKT_S5_iiiPKb, .Lfunc_end532-_ZN12_GLOBAL__N_121softmax_warp_backwardIdddLi5ELb0ELb0ELi64EEEvPT0_PKT_S5_iiiPKb
                                        ; -- End function
	.set _ZN12_GLOBAL__N_121softmax_warp_backwardIdddLi5ELb0ELb0ELi64EEEvPT0_PKT_S5_iiiPKb.num_vgpr, 20
	.set _ZN12_GLOBAL__N_121softmax_warp_backwardIdddLi5ELb0ELb0ELi64EEEvPT0_PKT_S5_iiiPKb.num_agpr, 0
	.set _ZN12_GLOBAL__N_121softmax_warp_backwardIdddLi5ELb0ELb0ELi64EEEvPT0_PKT_S5_iiiPKb.numbered_sgpr, 12
	.set _ZN12_GLOBAL__N_121softmax_warp_backwardIdddLi5ELb0ELb0ELi64EEEvPT0_PKT_S5_iiiPKb.num_named_barrier, 0
	.set _ZN12_GLOBAL__N_121softmax_warp_backwardIdddLi5ELb0ELb0ELi64EEEvPT0_PKT_S5_iiiPKb.private_seg_size, 0
	.set _ZN12_GLOBAL__N_121softmax_warp_backwardIdddLi5ELb0ELb0ELi64EEEvPT0_PKT_S5_iiiPKb.uses_vcc, 1
	.set _ZN12_GLOBAL__N_121softmax_warp_backwardIdddLi5ELb0ELb0ELi64EEEvPT0_PKT_S5_iiiPKb.uses_flat_scratch, 0
	.set _ZN12_GLOBAL__N_121softmax_warp_backwardIdddLi5ELb0ELb0ELi64EEEvPT0_PKT_S5_iiiPKb.has_dyn_sized_stack, 0
	.set _ZN12_GLOBAL__N_121softmax_warp_backwardIdddLi5ELb0ELb0ELi64EEEvPT0_PKT_S5_iiiPKb.has_recursion, 0
	.set _ZN12_GLOBAL__N_121softmax_warp_backwardIdddLi5ELb0ELb0ELi64EEEvPT0_PKT_S5_iiiPKb.has_indirect_call, 0
	.section	.AMDGPU.csdata,"",@progbits
; Kernel info:
; codeLenInByte = 852
; TotalNumSgprs: 14
; NumVgprs: 20
; ScratchSize: 0
; MemoryBound: 1
; FloatMode: 240
; IeeeMode: 1
; LDSByteSize: 0 bytes/workgroup (compile time only)
; SGPRBlocks: 0
; VGPRBlocks: 2
; NumSGPRsForWavesPerEU: 14
; NumVGPRsForWavesPerEU: 20
; Occupancy: 16
; WaveLimiterHint : 0
; COMPUTE_PGM_RSRC2:SCRATCH_EN: 0
; COMPUTE_PGM_RSRC2:USER_SGPR: 6
; COMPUTE_PGM_RSRC2:TRAP_HANDLER: 0
; COMPUTE_PGM_RSRC2:TGID_X_EN: 1
; COMPUTE_PGM_RSRC2:TGID_Y_EN: 0
; COMPUTE_PGM_RSRC2:TGID_Z_EN: 0
; COMPUTE_PGM_RSRC2:TIDIG_COMP_CNT: 1
	.section	.text._ZN12_GLOBAL__N_121softmax_warp_backwardIdddLi5ELb0ELb0ELi32EEEvPT0_PKT_S5_iiiPKb,"axG",@progbits,_ZN12_GLOBAL__N_121softmax_warp_backwardIdddLi5ELb0ELb0ELi32EEEvPT0_PKT_S5_iiiPKb,comdat
	.globl	_ZN12_GLOBAL__N_121softmax_warp_backwardIdddLi5ELb0ELb0ELi32EEEvPT0_PKT_S5_iiiPKb ; -- Begin function _ZN12_GLOBAL__N_121softmax_warp_backwardIdddLi5ELb0ELb0ELi32EEEvPT0_PKT_S5_iiiPKb
	.p2align	8
	.type	_ZN12_GLOBAL__N_121softmax_warp_backwardIdddLi5ELb0ELb0ELi32EEEvPT0_PKT_S5_iiiPKb,@function
_ZN12_GLOBAL__N_121softmax_warp_backwardIdddLi5ELb0ELb0ELi32EEEvPT0_PKT_S5_iiiPKb: ; @_ZN12_GLOBAL__N_121softmax_warp_backwardIdddLi5ELb0ELb0ELi32EEEvPT0_PKT_S5_iiiPKb
; %bb.0:
	s_clause 0x1
	s_load_dword s7, s[4:5], 0x3c
	s_load_dwordx4 s[0:3], s[4:5], 0x18
	v_and_b32_e32 v6, 31, v0
	s_clause 0x1
	s_load_dwordx4 s[8:11], s[4:5], 0x0
	s_load_dwordx2 s[4:5], s[4:5], 0x10
	v_mov_b32_e32 v4, 0
	v_mov_b32_e32 v5, 0
	s_waitcnt lgkmcnt(0)
	s_lshr_b32 s3, s7, 16
	v_cmp_gt_i32_e32 vcc_lo, s2, v6
	s_and_b32 s3, s3, 0xffff
	s_mul_i32 s6, s6, s3
	v_add_lshl_u32 v2, s6, v1, 1
	v_mad_u64_u32 v[0:1], null, v2, s1, v[6:7]
	v_sub_nc_u32_e32 v18, s0, v2
	v_mov_b32_e32 v2, 0
	v_mov_b32_e32 v3, 0
	v_cmp_lt_i32_e64 s0, 0, v18
	v_ashrrev_i32_e32 v1, 31, v0
	s_and_b32 s3, vcc_lo, s0
	v_lshlrev_b64 v[0:1], 3, v[0:1]
	v_add_co_u32 v12, s1, s10, v0
	v_add_co_ci_u32_e64 v13, null, s11, v1, s1
	v_add_co_u32 v10, s1, s4, v0
	v_add_co_ci_u32_e64 v11, null, s5, v1, s1
	s_and_saveexec_b32 s1, s3
	s_cbranch_execz .LBB533_2
; %bb.1:
	global_load_dwordx2 v[4:5], v[12:13], off
	global_load_dwordx2 v[2:3], v[10:11], off
.LBB533_2:
	s_or_b32 exec_lo, exec_lo, s1
	v_cmp_gt_i32_e64 s1, 2, v18
	s_xor_b32 s3, vcc_lo, -1
	s_or_b32 s1, s3, s1
	s_and_saveexec_b32 s3, s1
	s_xor_b32 s1, exec_lo, s3
                                        ; implicit-def: $vgpr6_vgpr7
; %bb.3:
	s_mov_b32 s3, 0
                                        ; implicit-def: $vgpr10
                                        ; implicit-def: $vgpr12
	v_mov_b32_e32 v6, s3
	v_mov_b32_e32 v7, s3
; %bb.4:
	s_or_saveexec_b32 s4, s1
	v_mov_b32_e32 v8, 0
	v_mov_b32_e32 v9, 0
	s_xor_b32 exec_lo, exec_lo, s4
	s_cbranch_execz .LBB533_6
; %bb.5:
	s_mov_b32 s3, 0
	s_lshl_b64 s[6:7], s[2:3], 3
	v_add_co_u32 v6, s1, v12, s6
	v_add_co_ci_u32_e64 v7, null, s7, v13, s1
	v_add_co_u32 v8, s1, v10, s6
	v_add_co_ci_u32_e64 v9, null, s7, v11, s1
	global_load_dwordx2 v[6:7], v[6:7], off
	global_load_dwordx2 v[8:9], v[8:9], off
.LBB533_6:
	s_or_b32 exec_lo, exec_lo, s4
	v_mbcnt_lo_u32_b32 v19, -1, 0
	s_waitcnt vmcnt(1)
	v_add_f64 v[10:11], v[4:5], 0
	v_add_f64 v[12:13], v[6:7], 0
	v_xor_b32_e32 v14, 16, v19
	v_cmp_gt_i32_e64 s1, 32, v14
	v_cndmask_b32_e64 v14, v19, v14, s1
	v_lshlrev_b32_e32 v17, 2, v14
	ds_bpermute_b32 v14, v17, v10
	ds_bpermute_b32 v15, v17, v11
	ds_bpermute_b32 v16, v17, v12
	ds_bpermute_b32 v17, v17, v13
	s_waitcnt lgkmcnt(2)
	v_add_f64 v[10:11], v[10:11], v[14:15]
	v_xor_b32_e32 v14, 8, v19
	s_waitcnt lgkmcnt(0)
	v_add_f64 v[12:13], v[12:13], v[16:17]
	v_cmp_gt_i32_e64 s1, 32, v14
	v_cndmask_b32_e64 v14, v19, v14, s1
	v_lshlrev_b32_e32 v17, 2, v14
	ds_bpermute_b32 v14, v17, v10
	ds_bpermute_b32 v15, v17, v11
	ds_bpermute_b32 v16, v17, v12
	ds_bpermute_b32 v17, v17, v13
	s_waitcnt lgkmcnt(2)
	v_add_f64 v[10:11], v[10:11], v[14:15]
	v_xor_b32_e32 v14, 4, v19
	s_waitcnt lgkmcnt(0)
	v_add_f64 v[12:13], v[12:13], v[16:17]
	;; [unrolled: 12-line block ×3, first 2 shown]
	v_cmp_gt_i32_e64 s1, 32, v14
	v_cndmask_b32_e64 v14, v19, v14, s1
	v_lshlrev_b32_e32 v17, 2, v14
	ds_bpermute_b32 v14, v17, v10
	ds_bpermute_b32 v15, v17, v11
	;; [unrolled: 1-line block ×4, first 2 shown]
	s_waitcnt lgkmcnt(2)
	v_add_f64 v[14:15], v[10:11], v[14:15]
	s_waitcnt lgkmcnt(0)
	v_add_f64 v[10:11], v[12:13], v[16:17]
	v_xor_b32_e32 v12, 1, v19
	v_cmp_gt_i32_e64 s1, 32, v12
	v_cndmask_b32_e64 v12, v19, v12, s1
	v_lshlrev_b32_e32 v13, 2, v12
	ds_bpermute_b32 v16, v13, v14
	ds_bpermute_b32 v17, v13, v15
	;; [unrolled: 1-line block ×4, first 2 shown]
	s_and_saveexec_b32 s1, s0
	s_cbranch_execz .LBB533_11
; %bb.7:
	v_add_co_u32 v0, s0, s8, v0
	v_add_co_ci_u32_e64 v1, null, s9, v1, s0
	s_and_saveexec_b32 s0, vcc_lo
	s_cbranch_execz .LBB533_9
; %bb.8:
	s_waitcnt lgkmcnt(2)
	v_add_f64 v[14:15], v[14:15], v[16:17]
	s_waitcnt vmcnt(0)
	v_fma_f64 v[2:3], -v[2:3], v[14:15], v[4:5]
	global_store_dwordx2 v[0:1], v[2:3], off
.LBB533_9:
	s_or_b32 exec_lo, exec_lo, s0
	v_cmp_ne_u32_e64 s0, 1, v18
	s_and_b32 s0, s0, vcc_lo
	s_and_b32 exec_lo, exec_lo, s0
	s_cbranch_execz .LBB533_11
; %bb.10:
	s_waitcnt vmcnt(0) lgkmcnt(0)
	v_add_f64 v[2:3], v[10:11], v[12:13]
	s_mov_b32 s3, 0
	s_lshl_b64 s[0:1], s[2:3], 3
	v_add_co_u32 v0, vcc_lo, v0, s0
	v_add_co_ci_u32_e64 v1, null, s1, v1, vcc_lo
	v_fma_f64 v[2:3], -v[8:9], v[2:3], v[6:7]
	global_store_dwordx2 v[0:1], v[2:3], off
.LBB533_11:
	s_endpgm
	.section	.rodata,"a",@progbits
	.p2align	6, 0x0
	.amdhsa_kernel _ZN12_GLOBAL__N_121softmax_warp_backwardIdddLi5ELb0ELb0ELi32EEEvPT0_PKT_S5_iiiPKb
		.amdhsa_group_segment_fixed_size 0
		.amdhsa_private_segment_fixed_size 0
		.amdhsa_kernarg_size 304
		.amdhsa_user_sgpr_count 6
		.amdhsa_user_sgpr_private_segment_buffer 1
		.amdhsa_user_sgpr_dispatch_ptr 0
		.amdhsa_user_sgpr_queue_ptr 0
		.amdhsa_user_sgpr_kernarg_segment_ptr 1
		.amdhsa_user_sgpr_dispatch_id 0
		.amdhsa_user_sgpr_flat_scratch_init 0
		.amdhsa_user_sgpr_private_segment_size 0
		.amdhsa_wavefront_size32 1
		.amdhsa_uses_dynamic_stack 0
		.amdhsa_system_sgpr_private_segment_wavefront_offset 0
		.amdhsa_system_sgpr_workgroup_id_x 1
		.amdhsa_system_sgpr_workgroup_id_y 0
		.amdhsa_system_sgpr_workgroup_id_z 0
		.amdhsa_system_sgpr_workgroup_info 0
		.amdhsa_system_vgpr_workitem_id 1
		.amdhsa_next_free_vgpr 20
		.amdhsa_next_free_sgpr 12
		.amdhsa_reserve_vcc 1
		.amdhsa_reserve_flat_scratch 0
		.amdhsa_float_round_mode_32 0
		.amdhsa_float_round_mode_16_64 0
		.amdhsa_float_denorm_mode_32 3
		.amdhsa_float_denorm_mode_16_64 3
		.amdhsa_dx10_clamp 1
		.amdhsa_ieee_mode 1
		.amdhsa_fp16_overflow 0
		.amdhsa_workgroup_processor_mode 1
		.amdhsa_memory_ordered 1
		.amdhsa_forward_progress 1
		.amdhsa_shared_vgpr_count 0
		.amdhsa_exception_fp_ieee_invalid_op 0
		.amdhsa_exception_fp_denorm_src 0
		.amdhsa_exception_fp_ieee_div_zero 0
		.amdhsa_exception_fp_ieee_overflow 0
		.amdhsa_exception_fp_ieee_underflow 0
		.amdhsa_exception_fp_ieee_inexact 0
		.amdhsa_exception_int_div_zero 0
	.end_amdhsa_kernel
	.section	.text._ZN12_GLOBAL__N_121softmax_warp_backwardIdddLi5ELb0ELb0ELi32EEEvPT0_PKT_S5_iiiPKb,"axG",@progbits,_ZN12_GLOBAL__N_121softmax_warp_backwardIdddLi5ELb0ELb0ELi32EEEvPT0_PKT_S5_iiiPKb,comdat
.Lfunc_end533:
	.size	_ZN12_GLOBAL__N_121softmax_warp_backwardIdddLi5ELb0ELb0ELi32EEEvPT0_PKT_S5_iiiPKb, .Lfunc_end533-_ZN12_GLOBAL__N_121softmax_warp_backwardIdddLi5ELb0ELb0ELi32EEEvPT0_PKT_S5_iiiPKb
                                        ; -- End function
	.set _ZN12_GLOBAL__N_121softmax_warp_backwardIdddLi5ELb0ELb0ELi32EEEvPT0_PKT_S5_iiiPKb.num_vgpr, 20
	.set _ZN12_GLOBAL__N_121softmax_warp_backwardIdddLi5ELb0ELb0ELi32EEEvPT0_PKT_S5_iiiPKb.num_agpr, 0
	.set _ZN12_GLOBAL__N_121softmax_warp_backwardIdddLi5ELb0ELb0ELi32EEEvPT0_PKT_S5_iiiPKb.numbered_sgpr, 12
	.set _ZN12_GLOBAL__N_121softmax_warp_backwardIdddLi5ELb0ELb0ELi32EEEvPT0_PKT_S5_iiiPKb.num_named_barrier, 0
	.set _ZN12_GLOBAL__N_121softmax_warp_backwardIdddLi5ELb0ELb0ELi32EEEvPT0_PKT_S5_iiiPKb.private_seg_size, 0
	.set _ZN12_GLOBAL__N_121softmax_warp_backwardIdddLi5ELb0ELb0ELi32EEEvPT0_PKT_S5_iiiPKb.uses_vcc, 1
	.set _ZN12_GLOBAL__N_121softmax_warp_backwardIdddLi5ELb0ELb0ELi32EEEvPT0_PKT_S5_iiiPKb.uses_flat_scratch, 0
	.set _ZN12_GLOBAL__N_121softmax_warp_backwardIdddLi5ELb0ELb0ELi32EEEvPT0_PKT_S5_iiiPKb.has_dyn_sized_stack, 0
	.set _ZN12_GLOBAL__N_121softmax_warp_backwardIdddLi5ELb0ELb0ELi32EEEvPT0_PKT_S5_iiiPKb.has_recursion, 0
	.set _ZN12_GLOBAL__N_121softmax_warp_backwardIdddLi5ELb0ELb0ELi32EEEvPT0_PKT_S5_iiiPKb.has_indirect_call, 0
	.section	.AMDGPU.csdata,"",@progbits
; Kernel info:
; codeLenInByte = 852
; TotalNumSgprs: 14
; NumVgprs: 20
; ScratchSize: 0
; MemoryBound: 1
; FloatMode: 240
; IeeeMode: 1
; LDSByteSize: 0 bytes/workgroup (compile time only)
; SGPRBlocks: 0
; VGPRBlocks: 2
; NumSGPRsForWavesPerEU: 14
; NumVGPRsForWavesPerEU: 20
; Occupancy: 16
; WaveLimiterHint : 0
; COMPUTE_PGM_RSRC2:SCRATCH_EN: 0
; COMPUTE_PGM_RSRC2:USER_SGPR: 6
; COMPUTE_PGM_RSRC2:TRAP_HANDLER: 0
; COMPUTE_PGM_RSRC2:TGID_X_EN: 1
; COMPUTE_PGM_RSRC2:TGID_Y_EN: 0
; COMPUTE_PGM_RSRC2:TGID_Z_EN: 0
; COMPUTE_PGM_RSRC2:TIDIG_COMP_CNT: 1
	.section	.text._ZN12_GLOBAL__N_121softmax_warp_backwardIdddLi6ELb0ELb0ELi64EEEvPT0_PKT_S5_iiiPKb,"axG",@progbits,_ZN12_GLOBAL__N_121softmax_warp_backwardIdddLi6ELb0ELb0ELi64EEEvPT0_PKT_S5_iiiPKb,comdat
	.globl	_ZN12_GLOBAL__N_121softmax_warp_backwardIdddLi6ELb0ELb0ELi64EEEvPT0_PKT_S5_iiiPKb ; -- Begin function _ZN12_GLOBAL__N_121softmax_warp_backwardIdddLi6ELb0ELb0ELi64EEEvPT0_PKT_S5_iiiPKb
	.p2align	8
	.type	_ZN12_GLOBAL__N_121softmax_warp_backwardIdddLi6ELb0ELb0ELi64EEEvPT0_PKT_S5_iiiPKb,@function
_ZN12_GLOBAL__N_121softmax_warp_backwardIdddLi6ELb0ELb0ELi64EEEvPT0_PKT_S5_iiiPKb: ; @_ZN12_GLOBAL__N_121softmax_warp_backwardIdddLi6ELb0ELb0ELi64EEEvPT0_PKT_S5_iiiPKb
; %bb.0:
	s_clause 0x1
	s_load_dword s7, s[4:5], 0x3c
	s_load_dwordx4 s[0:3], s[4:5], 0x18
	v_and_b32_e32 v6, 63, v0
	s_clause 0x1
	s_load_dwordx4 s[8:11], s[4:5], 0x0
	s_load_dwordx2 s[4:5], s[4:5], 0x10
	v_mov_b32_e32 v4, 0
	v_mov_b32_e32 v5, 0
	s_waitcnt lgkmcnt(0)
	s_lshr_b32 s3, s7, 16
	v_cmp_gt_i32_e32 vcc_lo, s2, v6
	s_and_b32 s3, s3, 0xffff
	s_mul_i32 s6, s6, s3
	v_add_lshl_u32 v2, s6, v1, 1
	v_mad_u64_u32 v[0:1], null, v2, s1, v[6:7]
	v_sub_nc_u32_e32 v18, s0, v2
	v_mov_b32_e32 v2, 0
	v_mov_b32_e32 v3, 0
	v_cmp_lt_i32_e64 s0, 0, v18
	v_ashrrev_i32_e32 v1, 31, v0
	s_and_b32 s3, vcc_lo, s0
	v_lshlrev_b64 v[0:1], 3, v[0:1]
	v_add_co_u32 v12, s1, s10, v0
	v_add_co_ci_u32_e64 v13, null, s11, v1, s1
	v_add_co_u32 v10, s1, s4, v0
	v_add_co_ci_u32_e64 v11, null, s5, v1, s1
	s_and_saveexec_b32 s1, s3
	s_cbranch_execz .LBB534_2
; %bb.1:
	global_load_dwordx2 v[4:5], v[12:13], off
	global_load_dwordx2 v[2:3], v[10:11], off
.LBB534_2:
	s_or_b32 exec_lo, exec_lo, s1
	v_cmp_gt_i32_e64 s1, 2, v18
	s_xor_b32 s3, vcc_lo, -1
	s_or_b32 s1, s3, s1
	s_and_saveexec_b32 s3, s1
	s_xor_b32 s1, exec_lo, s3
                                        ; implicit-def: $vgpr6_vgpr7
; %bb.3:
	s_mov_b32 s3, 0
                                        ; implicit-def: $vgpr10
                                        ; implicit-def: $vgpr12
	v_mov_b32_e32 v6, s3
	v_mov_b32_e32 v7, s3
; %bb.4:
	s_or_saveexec_b32 s4, s1
	v_mov_b32_e32 v8, 0
	v_mov_b32_e32 v9, 0
	s_xor_b32 exec_lo, exec_lo, s4
	s_cbranch_execz .LBB534_6
; %bb.5:
	s_mov_b32 s3, 0
	s_lshl_b64 s[6:7], s[2:3], 3
	v_add_co_u32 v6, s1, v12, s6
	v_add_co_ci_u32_e64 v7, null, s7, v13, s1
	v_add_co_u32 v8, s1, v10, s6
	v_add_co_ci_u32_e64 v9, null, s7, v11, s1
	global_load_dwordx2 v[6:7], v[6:7], off
	global_load_dwordx2 v[8:9], v[8:9], off
.LBB534_6:
	s_or_b32 exec_lo, exec_lo, s4
	v_mbcnt_lo_u32_b32 v19, -1, 0
	s_waitcnt vmcnt(1)
	v_add_f64 v[10:11], v[4:5], 0
	v_add_f64 v[12:13], v[6:7], 0
	v_or_b32_e32 v14, 32, v19
	v_cmp_gt_i32_e64 s1, 64, v14
	v_cndmask_b32_e64 v14, v19, v14, s1
	v_lshlrev_b32_e32 v17, 2, v14
	ds_bpermute_b32 v14, v17, v10
	ds_bpermute_b32 v15, v17, v11
	ds_bpermute_b32 v16, v17, v12
	ds_bpermute_b32 v17, v17, v13
	s_waitcnt lgkmcnt(2)
	v_add_f64 v[10:11], v[10:11], v[14:15]
	v_xor_b32_e32 v14, 16, v19
	s_waitcnt lgkmcnt(0)
	v_add_f64 v[12:13], v[12:13], v[16:17]
	v_cmp_gt_i32_e64 s1, 64, v14
	v_cndmask_b32_e64 v14, v19, v14, s1
	v_lshlrev_b32_e32 v17, 2, v14
	ds_bpermute_b32 v14, v17, v10
	ds_bpermute_b32 v15, v17, v11
	ds_bpermute_b32 v16, v17, v12
	ds_bpermute_b32 v17, v17, v13
	s_waitcnt lgkmcnt(2)
	v_add_f64 v[10:11], v[10:11], v[14:15]
	v_xor_b32_e32 v14, 8, v19
	s_waitcnt lgkmcnt(0)
	v_add_f64 v[12:13], v[12:13], v[16:17]
	;; [unrolled: 12-line block ×4, first 2 shown]
	v_cmp_gt_i32_e64 s1, 64, v14
	v_cndmask_b32_e64 v14, v19, v14, s1
	v_lshlrev_b32_e32 v17, 2, v14
	ds_bpermute_b32 v14, v17, v10
	ds_bpermute_b32 v15, v17, v11
	;; [unrolled: 1-line block ×4, first 2 shown]
	s_waitcnt lgkmcnt(2)
	v_add_f64 v[14:15], v[10:11], v[14:15]
	s_waitcnt lgkmcnt(0)
	v_add_f64 v[10:11], v[12:13], v[16:17]
	v_xor_b32_e32 v12, 1, v19
	v_cmp_gt_i32_e64 s1, 64, v12
	v_cndmask_b32_e64 v12, v19, v12, s1
	v_lshlrev_b32_e32 v13, 2, v12
	ds_bpermute_b32 v16, v13, v14
	ds_bpermute_b32 v17, v13, v15
	;; [unrolled: 1-line block ×4, first 2 shown]
	s_and_saveexec_b32 s1, s0
	s_cbranch_execz .LBB534_11
; %bb.7:
	v_add_co_u32 v0, s0, s8, v0
	v_add_co_ci_u32_e64 v1, null, s9, v1, s0
	s_and_saveexec_b32 s0, vcc_lo
	s_cbranch_execz .LBB534_9
; %bb.8:
	s_waitcnt lgkmcnt(2)
	v_add_f64 v[14:15], v[14:15], v[16:17]
	s_waitcnt vmcnt(0)
	v_fma_f64 v[2:3], -v[2:3], v[14:15], v[4:5]
	global_store_dwordx2 v[0:1], v[2:3], off
.LBB534_9:
	s_or_b32 exec_lo, exec_lo, s0
	v_cmp_ne_u32_e64 s0, 1, v18
	s_and_b32 s0, s0, vcc_lo
	s_and_b32 exec_lo, exec_lo, s0
	s_cbranch_execz .LBB534_11
; %bb.10:
	s_waitcnt vmcnt(0) lgkmcnt(0)
	v_add_f64 v[2:3], v[10:11], v[12:13]
	s_mov_b32 s3, 0
	s_lshl_b64 s[0:1], s[2:3], 3
	v_add_co_u32 v0, vcc_lo, v0, s0
	v_add_co_ci_u32_e64 v1, null, s1, v1, vcc_lo
	v_fma_f64 v[2:3], -v[8:9], v[2:3], v[6:7]
	global_store_dwordx2 v[0:1], v[2:3], off
.LBB534_11:
	s_endpgm
	.section	.rodata,"a",@progbits
	.p2align	6, 0x0
	.amdhsa_kernel _ZN12_GLOBAL__N_121softmax_warp_backwardIdddLi6ELb0ELb0ELi64EEEvPT0_PKT_S5_iiiPKb
		.amdhsa_group_segment_fixed_size 0
		.amdhsa_private_segment_fixed_size 0
		.amdhsa_kernarg_size 304
		.amdhsa_user_sgpr_count 6
		.amdhsa_user_sgpr_private_segment_buffer 1
		.amdhsa_user_sgpr_dispatch_ptr 0
		.amdhsa_user_sgpr_queue_ptr 0
		.amdhsa_user_sgpr_kernarg_segment_ptr 1
		.amdhsa_user_sgpr_dispatch_id 0
		.amdhsa_user_sgpr_flat_scratch_init 0
		.amdhsa_user_sgpr_private_segment_size 0
		.amdhsa_wavefront_size32 1
		.amdhsa_uses_dynamic_stack 0
		.amdhsa_system_sgpr_private_segment_wavefront_offset 0
		.amdhsa_system_sgpr_workgroup_id_x 1
		.amdhsa_system_sgpr_workgroup_id_y 0
		.amdhsa_system_sgpr_workgroup_id_z 0
		.amdhsa_system_sgpr_workgroup_info 0
		.amdhsa_system_vgpr_workitem_id 1
		.amdhsa_next_free_vgpr 20
		.amdhsa_next_free_sgpr 12
		.amdhsa_reserve_vcc 1
		.amdhsa_reserve_flat_scratch 0
		.amdhsa_float_round_mode_32 0
		.amdhsa_float_round_mode_16_64 0
		.amdhsa_float_denorm_mode_32 3
		.amdhsa_float_denorm_mode_16_64 3
		.amdhsa_dx10_clamp 1
		.amdhsa_ieee_mode 1
		.amdhsa_fp16_overflow 0
		.amdhsa_workgroup_processor_mode 1
		.amdhsa_memory_ordered 1
		.amdhsa_forward_progress 1
		.amdhsa_shared_vgpr_count 0
		.amdhsa_exception_fp_ieee_invalid_op 0
		.amdhsa_exception_fp_denorm_src 0
		.amdhsa_exception_fp_ieee_div_zero 0
		.amdhsa_exception_fp_ieee_overflow 0
		.amdhsa_exception_fp_ieee_underflow 0
		.amdhsa_exception_fp_ieee_inexact 0
		.amdhsa_exception_int_div_zero 0
	.end_amdhsa_kernel
	.section	.text._ZN12_GLOBAL__N_121softmax_warp_backwardIdddLi6ELb0ELb0ELi64EEEvPT0_PKT_S5_iiiPKb,"axG",@progbits,_ZN12_GLOBAL__N_121softmax_warp_backwardIdddLi6ELb0ELb0ELi64EEEvPT0_PKT_S5_iiiPKb,comdat
.Lfunc_end534:
	.size	_ZN12_GLOBAL__N_121softmax_warp_backwardIdddLi6ELb0ELb0ELi64EEEvPT0_PKT_S5_iiiPKb, .Lfunc_end534-_ZN12_GLOBAL__N_121softmax_warp_backwardIdddLi6ELb0ELb0ELi64EEEvPT0_PKT_S5_iiiPKb
                                        ; -- End function
	.set _ZN12_GLOBAL__N_121softmax_warp_backwardIdddLi6ELb0ELb0ELi64EEEvPT0_PKT_S5_iiiPKb.num_vgpr, 20
	.set _ZN12_GLOBAL__N_121softmax_warp_backwardIdddLi6ELb0ELb0ELi64EEEvPT0_PKT_S5_iiiPKb.num_agpr, 0
	.set _ZN12_GLOBAL__N_121softmax_warp_backwardIdddLi6ELb0ELb0ELi64EEEvPT0_PKT_S5_iiiPKb.numbered_sgpr, 12
	.set _ZN12_GLOBAL__N_121softmax_warp_backwardIdddLi6ELb0ELb0ELi64EEEvPT0_PKT_S5_iiiPKb.num_named_barrier, 0
	.set _ZN12_GLOBAL__N_121softmax_warp_backwardIdddLi6ELb0ELb0ELi64EEEvPT0_PKT_S5_iiiPKb.private_seg_size, 0
	.set _ZN12_GLOBAL__N_121softmax_warp_backwardIdddLi6ELb0ELb0ELi64EEEvPT0_PKT_S5_iiiPKb.uses_vcc, 1
	.set _ZN12_GLOBAL__N_121softmax_warp_backwardIdddLi6ELb0ELb0ELi64EEEvPT0_PKT_S5_iiiPKb.uses_flat_scratch, 0
	.set _ZN12_GLOBAL__N_121softmax_warp_backwardIdddLi6ELb0ELb0ELi64EEEvPT0_PKT_S5_iiiPKb.has_dyn_sized_stack, 0
	.set _ZN12_GLOBAL__N_121softmax_warp_backwardIdddLi6ELb0ELb0ELi64EEEvPT0_PKT_S5_iiiPKb.has_recursion, 0
	.set _ZN12_GLOBAL__N_121softmax_warp_backwardIdddLi6ELb0ELb0ELi64EEEvPT0_PKT_S5_iiiPKb.has_indirect_call, 0
	.section	.AMDGPU.csdata,"",@progbits
; Kernel info:
; codeLenInByte = 932
; TotalNumSgprs: 14
; NumVgprs: 20
; ScratchSize: 0
; MemoryBound: 1
; FloatMode: 240
; IeeeMode: 1
; LDSByteSize: 0 bytes/workgroup (compile time only)
; SGPRBlocks: 0
; VGPRBlocks: 2
; NumSGPRsForWavesPerEU: 14
; NumVGPRsForWavesPerEU: 20
; Occupancy: 16
; WaveLimiterHint : 0
; COMPUTE_PGM_RSRC2:SCRATCH_EN: 0
; COMPUTE_PGM_RSRC2:USER_SGPR: 6
; COMPUTE_PGM_RSRC2:TRAP_HANDLER: 0
; COMPUTE_PGM_RSRC2:TGID_X_EN: 1
; COMPUTE_PGM_RSRC2:TGID_Y_EN: 0
; COMPUTE_PGM_RSRC2:TGID_Z_EN: 0
; COMPUTE_PGM_RSRC2:TIDIG_COMP_CNT: 1
	.section	.text._ZN12_GLOBAL__N_121softmax_warp_backwardIdddLi6ELb0ELb0ELi32EEEvPT0_PKT_S5_iiiPKb,"axG",@progbits,_ZN12_GLOBAL__N_121softmax_warp_backwardIdddLi6ELb0ELb0ELi32EEEvPT0_PKT_S5_iiiPKb,comdat
	.globl	_ZN12_GLOBAL__N_121softmax_warp_backwardIdddLi6ELb0ELb0ELi32EEEvPT0_PKT_S5_iiiPKb ; -- Begin function _ZN12_GLOBAL__N_121softmax_warp_backwardIdddLi6ELb0ELb0ELi32EEEvPT0_PKT_S5_iiiPKb
	.p2align	8
	.type	_ZN12_GLOBAL__N_121softmax_warp_backwardIdddLi6ELb0ELb0ELi32EEEvPT0_PKT_S5_iiiPKb,@function
_ZN12_GLOBAL__N_121softmax_warp_backwardIdddLi6ELb0ELb0ELi32EEEvPT0_PKT_S5_iiiPKb: ; @_ZN12_GLOBAL__N_121softmax_warp_backwardIdddLi6ELb0ELb0ELi32EEEvPT0_PKT_S5_iiiPKb
; %bb.0:
	s_clause 0x1
	s_load_dword s0, s[4:5], 0x3c
	s_load_dwordx4 s[8:11], s[4:5], 0x18
	v_and_b32_e32 v8, 31, v0
	s_clause 0x1
	s_load_dwordx4 s[12:15], s[4:5], 0x0
	s_load_dwordx2 s[2:3], s[4:5], 0x10
	s_waitcnt lgkmcnt(0)
	s_lshr_b32 s0, s0, 16
	v_cmp_gt_i32_e32 vcc_lo, s10, v8
	s_and_b32 s0, s0, 0xffff
	s_mul_i32 s6, s6, s0
	v_add_lshl_u32 v4, s6, v1, 1
	v_mov_b32_e32 v0, 0
	v_mov_b32_e32 v1, 0
	v_mad_u64_u32 v[2:3], null, v4, s9, v[8:9]
	v_sub_nc_u32_e32 v26, s8, v4
	v_mov_b32_e32 v4, 0
	v_mov_b32_e32 v5, 0
	v_cmp_lt_i32_e64 s1, 0, v26
	v_ashrrev_i32_e32 v3, 31, v2
	v_lshlrev_b64 v[6:7], 3, v[2:3]
	v_mov_b32_e32 v2, 0
	v_mov_b32_e32 v3, 0
	v_add_co_u32 v20, s0, s14, v6
	v_add_co_ci_u32_e64 v21, null, s15, v7, s0
	v_add_co_u32 v18, s0, s2, v6
	v_add_co_ci_u32_e64 v19, null, s3, v7, s0
	s_and_b32 s2, s1, vcc_lo
	s_and_saveexec_b32 s0, s2
	s_cbranch_execz .LBB535_2
; %bb.1:
	global_load_dwordx2 v[2:3], v[20:21], off
	global_load_dwordx2 v[4:5], v[18:19], off
.LBB535_2:
	s_or_b32 exec_lo, exec_lo, s0
	v_or_b32_e32 v8, 32, v8
	v_mov_b32_e32 v10, 0
	v_mov_b32_e32 v11, 0
	v_cmp_gt_i32_e64 s0, s10, v8
	s_and_b32 s3, s1, s0
	s_and_saveexec_b32 s2, s3
	s_cbranch_execz .LBB535_4
; %bb.3:
	global_load_dwordx2 v[0:1], v[20:21], off offset:256
	global_load_dwordx2 v[10:11], v[18:19], off offset:256
.LBB535_4:
	s_or_b32 exec_lo, exec_lo, s2
	v_cmp_lt_i32_e64 s2, 1, v26
	v_mov_b32_e32 v8, 0
	v_mov_b32_e32 v12, 0
	;; [unrolled: 1-line block ×6, first 2 shown]
	s_and_b32 s3, s2, vcc_lo
	s_and_saveexec_b32 s4, s3
	s_cbranch_execz .LBB535_6
; %bb.5:
	s_mov_b32 s11, 0
	s_lshl_b64 s[6:7], s[10:11], 3
	v_add_co_u32 v12, s3, v20, s6
	v_add_co_ci_u32_e64 v13, null, s7, v21, s3
	v_add_co_u32 v14, s3, v18, s6
	v_add_co_ci_u32_e64 v15, null, s7, v19, s3
	global_load_dwordx2 v[12:13], v[12:13], off
	global_load_dwordx2 v[14:15], v[14:15], off
.LBB535_6:
	s_or_b32 exec_lo, exec_lo, s4
	v_mov_b32_e32 v16, 0
	v_mov_b32_e32 v17, 0
	s_and_b32 s2, s2, s0
	s_and_saveexec_b32 s3, s2
	s_cbranch_execz .LBB535_8
; %bb.7:
	s_mov_b32 s11, 0
	s_lshl_b64 s[4:5], s[10:11], 3
	v_add_co_u32 v8, s2, v20, s4
	v_add_co_ci_u32_e64 v9, null, s5, v21, s2
	v_add_co_u32 v16, s2, v18, s4
	v_add_co_ci_u32_e64 v17, null, s5, v19, s2
	global_load_dwordx2 v[8:9], v[8:9], off offset:256
	global_load_dwordx2 v[16:17], v[16:17], off offset:256
.LBB535_8:
	s_or_b32 exec_lo, exec_lo, s3
	s_waitcnt vmcnt(1)
	v_add_f64 v[18:19], v[2:3], 0
	v_add_f64 v[20:21], v[12:13], 0
	v_mbcnt_lo_u32_b32 v27, -1, 0
	v_xor_b32_e32 v22, 16, v27
	v_cmp_gt_i32_e64 s2, 32, v22
	v_cndmask_b32_e64 v22, v27, v22, s2
	v_lshlrev_b32_e32 v25, 2, v22
	v_add_f64 v[18:19], v[18:19], v[0:1]
	v_add_f64 v[20:21], v[20:21], v[8:9]
	ds_bpermute_b32 v22, v25, v18
	ds_bpermute_b32 v23, v25, v19
	ds_bpermute_b32 v24, v25, v20
	ds_bpermute_b32 v25, v25, v21
	s_waitcnt lgkmcnt(2)
	v_add_f64 v[18:19], v[18:19], v[22:23]
	v_xor_b32_e32 v22, 8, v27
	s_waitcnt lgkmcnt(0)
	v_add_f64 v[20:21], v[20:21], v[24:25]
	v_cmp_gt_i32_e64 s2, 32, v22
	v_cndmask_b32_e64 v22, v27, v22, s2
	v_lshlrev_b32_e32 v25, 2, v22
	ds_bpermute_b32 v22, v25, v18
	ds_bpermute_b32 v23, v25, v19
	ds_bpermute_b32 v24, v25, v20
	ds_bpermute_b32 v25, v25, v21
	s_waitcnt lgkmcnt(2)
	v_add_f64 v[18:19], v[18:19], v[22:23]
	v_xor_b32_e32 v22, 4, v27
	s_waitcnt lgkmcnt(0)
	v_add_f64 v[20:21], v[20:21], v[24:25]
	v_cmp_gt_i32_e64 s2, 32, v22
	v_cndmask_b32_e64 v22, v27, v22, s2
	v_lshlrev_b32_e32 v25, 2, v22
	;; [unrolled: 12-line block ×3, first 2 shown]
	ds_bpermute_b32 v22, v25, v18
	ds_bpermute_b32 v23, v25, v19
	;; [unrolled: 1-line block ×4, first 2 shown]
	s_waitcnt lgkmcnt(2)
	v_add_f64 v[22:23], v[18:19], v[22:23]
	s_waitcnt lgkmcnt(0)
	v_add_f64 v[18:19], v[20:21], v[24:25]
	v_xor_b32_e32 v20, 1, v27
	v_cmp_gt_i32_e64 s2, 32, v20
	v_cndmask_b32_e64 v20, v27, v20, s2
	v_lshlrev_b32_e32 v21, 2, v20
	ds_bpermute_b32 v24, v21, v22
	ds_bpermute_b32 v25, v21, v23
	;; [unrolled: 1-line block ×4, first 2 shown]
	s_and_saveexec_b32 s2, s1
	s_cbranch_execz .LBB535_12
; %bb.9:
	s_waitcnt lgkmcnt(2)
	v_add_f64 v[22:23], v[22:23], v[24:25]
	v_add_co_u32 v6, s1, s12, v6
	v_add_co_ci_u32_e64 v7, null, s13, v7, s1
	s_and_saveexec_b32 s1, vcc_lo
	s_cbranch_execnz .LBB535_13
; %bb.10:
	s_or_b32 exec_lo, exec_lo, s1
	s_and_saveexec_b32 s1, s0
	s_cbranch_execnz .LBB535_14
.LBB535_11:
	s_or_b32 exec_lo, exec_lo, s1
	v_cmp_ne_u32_e64 s1, 1, v26
	s_and_b32 exec_lo, exec_lo, s1
	s_cbranch_execnz .LBB535_15
.LBB535_12:
	s_endpgm
.LBB535_13:
	s_waitcnt vmcnt(0)
	v_fma_f64 v[2:3], -v[22:23], v[4:5], v[2:3]
	global_store_dwordx2 v[6:7], v[2:3], off
	s_or_b32 exec_lo, exec_lo, s1
	s_and_saveexec_b32 s1, s0
	s_cbranch_execz .LBB535_11
.LBB535_14:
	s_waitcnt vmcnt(0)
	v_fma_f64 v[0:1], -v[22:23], v[10:11], v[0:1]
	global_store_dwordx2 v[6:7], v[0:1], off offset:256
	s_or_b32 exec_lo, exec_lo, s1
	v_cmp_ne_u32_e64 s1, 1, v26
	s_and_b32 exec_lo, exec_lo, s1
	s_cbranch_execz .LBB535_12
.LBB535_15:
	s_waitcnt lgkmcnt(0)
	v_add_f64 v[0:1], v[18:19], v[20:21]
	s_and_saveexec_b32 s1, vcc_lo
	s_cbranch_execz .LBB535_17
; %bb.16:
	s_waitcnt vmcnt(0)
	v_fma_f64 v[2:3], -v[0:1], v[14:15], v[12:13]
	s_mov_b32 s11, 0
	s_lshl_b64 s[2:3], s[10:11], 3
	v_add_co_u32 v4, vcc_lo, v6, s2
	v_add_co_ci_u32_e64 v5, null, s3, v7, vcc_lo
	global_store_dwordx2 v[4:5], v[2:3], off
.LBB535_17:
	s_or_b32 exec_lo, exec_lo, s1
	s_and_b32 exec_lo, exec_lo, s0
	s_cbranch_execz .LBB535_12
; %bb.18:
	s_waitcnt vmcnt(0)
	v_fma_f64 v[0:1], -v[0:1], v[16:17], v[8:9]
	s_mov_b32 s11, 0
	s_lshl_b64 s[0:1], s[10:11], 3
	v_add_co_u32 v2, vcc_lo, v6, s0
	v_add_co_ci_u32_e64 v3, null, s1, v7, vcc_lo
	global_store_dwordx2 v[2:3], v[0:1], off offset:256
	s_endpgm
	.section	.rodata,"a",@progbits
	.p2align	6, 0x0
	.amdhsa_kernel _ZN12_GLOBAL__N_121softmax_warp_backwardIdddLi6ELb0ELb0ELi32EEEvPT0_PKT_S5_iiiPKb
		.amdhsa_group_segment_fixed_size 0
		.amdhsa_private_segment_fixed_size 0
		.amdhsa_kernarg_size 304
		.amdhsa_user_sgpr_count 6
		.amdhsa_user_sgpr_private_segment_buffer 1
		.amdhsa_user_sgpr_dispatch_ptr 0
		.amdhsa_user_sgpr_queue_ptr 0
		.amdhsa_user_sgpr_kernarg_segment_ptr 1
		.amdhsa_user_sgpr_dispatch_id 0
		.amdhsa_user_sgpr_flat_scratch_init 0
		.amdhsa_user_sgpr_private_segment_size 0
		.amdhsa_wavefront_size32 1
		.amdhsa_uses_dynamic_stack 0
		.amdhsa_system_sgpr_private_segment_wavefront_offset 0
		.amdhsa_system_sgpr_workgroup_id_x 1
		.amdhsa_system_sgpr_workgroup_id_y 0
		.amdhsa_system_sgpr_workgroup_id_z 0
		.amdhsa_system_sgpr_workgroup_info 0
		.amdhsa_system_vgpr_workitem_id 1
		.amdhsa_next_free_vgpr 28
		.amdhsa_next_free_sgpr 16
		.amdhsa_reserve_vcc 1
		.amdhsa_reserve_flat_scratch 0
		.amdhsa_float_round_mode_32 0
		.amdhsa_float_round_mode_16_64 0
		.amdhsa_float_denorm_mode_32 3
		.amdhsa_float_denorm_mode_16_64 3
		.amdhsa_dx10_clamp 1
		.amdhsa_ieee_mode 1
		.amdhsa_fp16_overflow 0
		.amdhsa_workgroup_processor_mode 1
		.amdhsa_memory_ordered 1
		.amdhsa_forward_progress 1
		.amdhsa_shared_vgpr_count 0
		.amdhsa_exception_fp_ieee_invalid_op 0
		.amdhsa_exception_fp_denorm_src 0
		.amdhsa_exception_fp_ieee_div_zero 0
		.amdhsa_exception_fp_ieee_overflow 0
		.amdhsa_exception_fp_ieee_underflow 0
		.amdhsa_exception_fp_ieee_inexact 0
		.amdhsa_exception_int_div_zero 0
	.end_amdhsa_kernel
	.section	.text._ZN12_GLOBAL__N_121softmax_warp_backwardIdddLi6ELb0ELb0ELi32EEEvPT0_PKT_S5_iiiPKb,"axG",@progbits,_ZN12_GLOBAL__N_121softmax_warp_backwardIdddLi6ELb0ELb0ELi32EEEvPT0_PKT_S5_iiiPKb,comdat
.Lfunc_end535:
	.size	_ZN12_GLOBAL__N_121softmax_warp_backwardIdddLi6ELb0ELb0ELi32EEEvPT0_PKT_S5_iiiPKb, .Lfunc_end535-_ZN12_GLOBAL__N_121softmax_warp_backwardIdddLi6ELb0ELb0ELi32EEEvPT0_PKT_S5_iiiPKb
                                        ; -- End function
	.set _ZN12_GLOBAL__N_121softmax_warp_backwardIdddLi6ELb0ELb0ELi32EEEvPT0_PKT_S5_iiiPKb.num_vgpr, 28
	.set _ZN12_GLOBAL__N_121softmax_warp_backwardIdddLi6ELb0ELb0ELi32EEEvPT0_PKT_S5_iiiPKb.num_agpr, 0
	.set _ZN12_GLOBAL__N_121softmax_warp_backwardIdddLi6ELb0ELb0ELi32EEEvPT0_PKT_S5_iiiPKb.numbered_sgpr, 16
	.set _ZN12_GLOBAL__N_121softmax_warp_backwardIdddLi6ELb0ELb0ELi32EEEvPT0_PKT_S5_iiiPKb.num_named_barrier, 0
	.set _ZN12_GLOBAL__N_121softmax_warp_backwardIdddLi6ELb0ELb0ELi32EEEvPT0_PKT_S5_iiiPKb.private_seg_size, 0
	.set _ZN12_GLOBAL__N_121softmax_warp_backwardIdddLi6ELb0ELb0ELi32EEEvPT0_PKT_S5_iiiPKb.uses_vcc, 1
	.set _ZN12_GLOBAL__N_121softmax_warp_backwardIdddLi6ELb0ELb0ELi32EEEvPT0_PKT_S5_iiiPKb.uses_flat_scratch, 0
	.set _ZN12_GLOBAL__N_121softmax_warp_backwardIdddLi6ELb0ELb0ELi32EEEvPT0_PKT_S5_iiiPKb.has_dyn_sized_stack, 0
	.set _ZN12_GLOBAL__N_121softmax_warp_backwardIdddLi6ELb0ELb0ELi32EEEvPT0_PKT_S5_iiiPKb.has_recursion, 0
	.set _ZN12_GLOBAL__N_121softmax_warp_backwardIdddLi6ELb0ELb0ELi32EEEvPT0_PKT_S5_iiiPKb.has_indirect_call, 0
	.section	.AMDGPU.csdata,"",@progbits
; Kernel info:
; codeLenInByte = 1128
; TotalNumSgprs: 18
; NumVgprs: 28
; ScratchSize: 0
; MemoryBound: 0
; FloatMode: 240
; IeeeMode: 1
; LDSByteSize: 0 bytes/workgroup (compile time only)
; SGPRBlocks: 0
; VGPRBlocks: 3
; NumSGPRsForWavesPerEU: 18
; NumVGPRsForWavesPerEU: 28
; Occupancy: 16
; WaveLimiterHint : 0
; COMPUTE_PGM_RSRC2:SCRATCH_EN: 0
; COMPUTE_PGM_RSRC2:USER_SGPR: 6
; COMPUTE_PGM_RSRC2:TRAP_HANDLER: 0
; COMPUTE_PGM_RSRC2:TGID_X_EN: 1
; COMPUTE_PGM_RSRC2:TGID_Y_EN: 0
; COMPUTE_PGM_RSRC2:TGID_Z_EN: 0
; COMPUTE_PGM_RSRC2:TIDIG_COMP_CNT: 1
	.section	.text._ZN12_GLOBAL__N_121softmax_warp_backwardIdddLi7ELb0ELb0ELi64EEEvPT0_PKT_S5_iiiPKb,"axG",@progbits,_ZN12_GLOBAL__N_121softmax_warp_backwardIdddLi7ELb0ELb0ELi64EEEvPT0_PKT_S5_iiiPKb,comdat
	.globl	_ZN12_GLOBAL__N_121softmax_warp_backwardIdddLi7ELb0ELb0ELi64EEEvPT0_PKT_S5_iiiPKb ; -- Begin function _ZN12_GLOBAL__N_121softmax_warp_backwardIdddLi7ELb0ELb0ELi64EEEvPT0_PKT_S5_iiiPKb
	.p2align	8
	.type	_ZN12_GLOBAL__N_121softmax_warp_backwardIdddLi7ELb0ELb0ELi64EEEvPT0_PKT_S5_iiiPKb,@function
_ZN12_GLOBAL__N_121softmax_warp_backwardIdddLi7ELb0ELb0ELi64EEEvPT0_PKT_S5_iiiPKb: ; @_ZN12_GLOBAL__N_121softmax_warp_backwardIdddLi7ELb0ELb0ELi64EEEvPT0_PKT_S5_iiiPKb
; %bb.0:
	s_clause 0x1
	s_load_dword s0, s[4:5], 0x3c
	s_load_dwordx4 s[8:11], s[4:5], 0x18
	v_and_b32_e32 v8, 63, v0
	s_clause 0x1
	s_load_dwordx4 s[12:15], s[4:5], 0x0
	s_load_dwordx2 s[2:3], s[4:5], 0x10
	s_waitcnt lgkmcnt(0)
	s_lshr_b32 s0, s0, 16
	v_cmp_gt_i32_e32 vcc_lo, s10, v8
	s_and_b32 s0, s0, 0xffff
	s_mul_i32 s6, s6, s0
	v_add_lshl_u32 v4, s6, v1, 1
	v_mov_b32_e32 v0, 0
	v_mov_b32_e32 v1, 0
	v_mad_u64_u32 v[2:3], null, v4, s9, v[8:9]
	v_sub_nc_u32_e32 v26, s8, v4
	v_mov_b32_e32 v4, 0
	v_mov_b32_e32 v5, 0
	v_cmp_lt_i32_e64 s1, 0, v26
	v_ashrrev_i32_e32 v3, 31, v2
	v_lshlrev_b64 v[6:7], 3, v[2:3]
	v_mov_b32_e32 v2, 0
	v_mov_b32_e32 v3, 0
	v_add_co_u32 v20, s0, s14, v6
	v_add_co_ci_u32_e64 v21, null, s15, v7, s0
	v_add_co_u32 v18, s0, s2, v6
	v_add_co_ci_u32_e64 v19, null, s3, v7, s0
	s_and_b32 s2, s1, vcc_lo
	s_and_saveexec_b32 s0, s2
	s_cbranch_execz .LBB536_2
; %bb.1:
	global_load_dwordx2 v[2:3], v[20:21], off
	global_load_dwordx2 v[4:5], v[18:19], off
.LBB536_2:
	s_or_b32 exec_lo, exec_lo, s0
	v_or_b32_e32 v8, 64, v8
	v_mov_b32_e32 v10, 0
	v_mov_b32_e32 v11, 0
	v_cmp_gt_i32_e64 s0, s10, v8
	s_and_b32 s3, s1, s0
	s_and_saveexec_b32 s2, s3
	s_cbranch_execz .LBB536_4
; %bb.3:
	global_load_dwordx2 v[0:1], v[20:21], off offset:512
	global_load_dwordx2 v[10:11], v[18:19], off offset:512
.LBB536_4:
	s_or_b32 exec_lo, exec_lo, s2
	v_cmp_lt_i32_e64 s2, 1, v26
	v_mov_b32_e32 v8, 0
	v_mov_b32_e32 v12, 0
	;; [unrolled: 1-line block ×6, first 2 shown]
	s_and_b32 s3, s2, vcc_lo
	s_and_saveexec_b32 s4, s3
	s_cbranch_execz .LBB536_6
; %bb.5:
	s_mov_b32 s11, 0
	s_lshl_b64 s[6:7], s[10:11], 3
	v_add_co_u32 v12, s3, v20, s6
	v_add_co_ci_u32_e64 v13, null, s7, v21, s3
	v_add_co_u32 v14, s3, v18, s6
	v_add_co_ci_u32_e64 v15, null, s7, v19, s3
	global_load_dwordx2 v[12:13], v[12:13], off
	global_load_dwordx2 v[14:15], v[14:15], off
.LBB536_6:
	s_or_b32 exec_lo, exec_lo, s4
	v_mov_b32_e32 v16, 0
	v_mov_b32_e32 v17, 0
	s_and_b32 s2, s2, s0
	s_and_saveexec_b32 s3, s2
	s_cbranch_execz .LBB536_8
; %bb.7:
	s_mov_b32 s11, 0
	s_lshl_b64 s[4:5], s[10:11], 3
	v_add_co_u32 v8, s2, v20, s4
	v_add_co_ci_u32_e64 v9, null, s5, v21, s2
	v_add_co_u32 v16, s2, v18, s4
	v_add_co_ci_u32_e64 v17, null, s5, v19, s2
	global_load_dwordx2 v[8:9], v[8:9], off offset:512
	global_load_dwordx2 v[16:17], v[16:17], off offset:512
.LBB536_8:
	s_or_b32 exec_lo, exec_lo, s3
	s_waitcnt vmcnt(1)
	v_add_f64 v[18:19], v[2:3], 0
	v_add_f64 v[20:21], v[12:13], 0
	v_mbcnt_lo_u32_b32 v27, -1, 0
	v_or_b32_e32 v22, 32, v27
	v_cmp_gt_i32_e64 s2, 64, v22
	v_cndmask_b32_e64 v22, v27, v22, s2
	v_lshlrev_b32_e32 v25, 2, v22
	v_add_f64 v[18:19], v[18:19], v[0:1]
	v_add_f64 v[20:21], v[20:21], v[8:9]
	ds_bpermute_b32 v22, v25, v18
	ds_bpermute_b32 v23, v25, v19
	ds_bpermute_b32 v24, v25, v20
	ds_bpermute_b32 v25, v25, v21
	s_waitcnt lgkmcnt(2)
	v_add_f64 v[18:19], v[18:19], v[22:23]
	v_xor_b32_e32 v22, 16, v27
	s_waitcnt lgkmcnt(0)
	v_add_f64 v[20:21], v[20:21], v[24:25]
	v_cmp_gt_i32_e64 s2, 64, v22
	v_cndmask_b32_e64 v22, v27, v22, s2
	v_lshlrev_b32_e32 v25, 2, v22
	ds_bpermute_b32 v22, v25, v18
	ds_bpermute_b32 v23, v25, v19
	ds_bpermute_b32 v24, v25, v20
	ds_bpermute_b32 v25, v25, v21
	s_waitcnt lgkmcnt(2)
	v_add_f64 v[18:19], v[18:19], v[22:23]
	v_xor_b32_e32 v22, 8, v27
	s_waitcnt lgkmcnt(0)
	v_add_f64 v[20:21], v[20:21], v[24:25]
	v_cmp_gt_i32_e64 s2, 64, v22
	v_cndmask_b32_e64 v22, v27, v22, s2
	v_lshlrev_b32_e32 v25, 2, v22
	;; [unrolled: 12-line block ×4, first 2 shown]
	ds_bpermute_b32 v22, v25, v18
	ds_bpermute_b32 v23, v25, v19
	;; [unrolled: 1-line block ×4, first 2 shown]
	s_waitcnt lgkmcnt(2)
	v_add_f64 v[22:23], v[18:19], v[22:23]
	s_waitcnt lgkmcnt(0)
	v_add_f64 v[18:19], v[20:21], v[24:25]
	v_xor_b32_e32 v20, 1, v27
	v_cmp_gt_i32_e64 s2, 64, v20
	v_cndmask_b32_e64 v20, v27, v20, s2
	v_lshlrev_b32_e32 v21, 2, v20
	ds_bpermute_b32 v24, v21, v22
	ds_bpermute_b32 v25, v21, v23
	ds_bpermute_b32 v20, v21, v18
	ds_bpermute_b32 v21, v21, v19
	s_and_saveexec_b32 s2, s1
	s_cbranch_execz .LBB536_12
; %bb.9:
	s_waitcnt lgkmcnt(2)
	v_add_f64 v[22:23], v[22:23], v[24:25]
	v_add_co_u32 v6, s1, s12, v6
	v_add_co_ci_u32_e64 v7, null, s13, v7, s1
	s_and_saveexec_b32 s1, vcc_lo
	s_cbranch_execnz .LBB536_13
; %bb.10:
	s_or_b32 exec_lo, exec_lo, s1
	s_and_saveexec_b32 s1, s0
	s_cbranch_execnz .LBB536_14
.LBB536_11:
	s_or_b32 exec_lo, exec_lo, s1
	v_cmp_ne_u32_e64 s1, 1, v26
	s_and_b32 exec_lo, exec_lo, s1
	s_cbranch_execnz .LBB536_15
.LBB536_12:
	s_endpgm
.LBB536_13:
	s_waitcnt vmcnt(0)
	v_fma_f64 v[2:3], -v[22:23], v[4:5], v[2:3]
	global_store_dwordx2 v[6:7], v[2:3], off
	s_or_b32 exec_lo, exec_lo, s1
	s_and_saveexec_b32 s1, s0
	s_cbranch_execz .LBB536_11
.LBB536_14:
	s_waitcnt vmcnt(0)
	v_fma_f64 v[0:1], -v[22:23], v[10:11], v[0:1]
	global_store_dwordx2 v[6:7], v[0:1], off offset:512
	s_or_b32 exec_lo, exec_lo, s1
	v_cmp_ne_u32_e64 s1, 1, v26
	s_and_b32 exec_lo, exec_lo, s1
	s_cbranch_execz .LBB536_12
.LBB536_15:
	s_waitcnt lgkmcnt(0)
	v_add_f64 v[0:1], v[18:19], v[20:21]
	s_and_saveexec_b32 s1, vcc_lo
	s_cbranch_execz .LBB536_17
; %bb.16:
	s_waitcnt vmcnt(0)
	v_fma_f64 v[2:3], -v[0:1], v[14:15], v[12:13]
	s_mov_b32 s11, 0
	s_lshl_b64 s[2:3], s[10:11], 3
	v_add_co_u32 v4, vcc_lo, v6, s2
	v_add_co_ci_u32_e64 v5, null, s3, v7, vcc_lo
	global_store_dwordx2 v[4:5], v[2:3], off
.LBB536_17:
	s_or_b32 exec_lo, exec_lo, s1
	s_and_b32 exec_lo, exec_lo, s0
	s_cbranch_execz .LBB536_12
; %bb.18:
	s_waitcnt vmcnt(0)
	v_fma_f64 v[0:1], -v[0:1], v[16:17], v[8:9]
	s_mov_b32 s11, 0
	s_lshl_b64 s[0:1], s[10:11], 3
	v_add_co_u32 v2, vcc_lo, v6, s0
	v_add_co_ci_u32_e64 v3, null, s1, v7, vcc_lo
	global_store_dwordx2 v[2:3], v[0:1], off offset:512
	s_endpgm
	.section	.rodata,"a",@progbits
	.p2align	6, 0x0
	.amdhsa_kernel _ZN12_GLOBAL__N_121softmax_warp_backwardIdddLi7ELb0ELb0ELi64EEEvPT0_PKT_S5_iiiPKb
		.amdhsa_group_segment_fixed_size 0
		.amdhsa_private_segment_fixed_size 0
		.amdhsa_kernarg_size 304
		.amdhsa_user_sgpr_count 6
		.amdhsa_user_sgpr_private_segment_buffer 1
		.amdhsa_user_sgpr_dispatch_ptr 0
		.amdhsa_user_sgpr_queue_ptr 0
		.amdhsa_user_sgpr_kernarg_segment_ptr 1
		.amdhsa_user_sgpr_dispatch_id 0
		.amdhsa_user_sgpr_flat_scratch_init 0
		.amdhsa_user_sgpr_private_segment_size 0
		.amdhsa_wavefront_size32 1
		.amdhsa_uses_dynamic_stack 0
		.amdhsa_system_sgpr_private_segment_wavefront_offset 0
		.amdhsa_system_sgpr_workgroup_id_x 1
		.amdhsa_system_sgpr_workgroup_id_y 0
		.amdhsa_system_sgpr_workgroup_id_z 0
		.amdhsa_system_sgpr_workgroup_info 0
		.amdhsa_system_vgpr_workitem_id 1
		.amdhsa_next_free_vgpr 28
		.amdhsa_next_free_sgpr 16
		.amdhsa_reserve_vcc 1
		.amdhsa_reserve_flat_scratch 0
		.amdhsa_float_round_mode_32 0
		.amdhsa_float_round_mode_16_64 0
		.amdhsa_float_denorm_mode_32 3
		.amdhsa_float_denorm_mode_16_64 3
		.amdhsa_dx10_clamp 1
		.amdhsa_ieee_mode 1
		.amdhsa_fp16_overflow 0
		.amdhsa_workgroup_processor_mode 1
		.amdhsa_memory_ordered 1
		.amdhsa_forward_progress 1
		.amdhsa_shared_vgpr_count 0
		.amdhsa_exception_fp_ieee_invalid_op 0
		.amdhsa_exception_fp_denorm_src 0
		.amdhsa_exception_fp_ieee_div_zero 0
		.amdhsa_exception_fp_ieee_overflow 0
		.amdhsa_exception_fp_ieee_underflow 0
		.amdhsa_exception_fp_ieee_inexact 0
		.amdhsa_exception_int_div_zero 0
	.end_amdhsa_kernel
	.section	.text._ZN12_GLOBAL__N_121softmax_warp_backwardIdddLi7ELb0ELb0ELi64EEEvPT0_PKT_S5_iiiPKb,"axG",@progbits,_ZN12_GLOBAL__N_121softmax_warp_backwardIdddLi7ELb0ELb0ELi64EEEvPT0_PKT_S5_iiiPKb,comdat
.Lfunc_end536:
	.size	_ZN12_GLOBAL__N_121softmax_warp_backwardIdddLi7ELb0ELb0ELi64EEEvPT0_PKT_S5_iiiPKb, .Lfunc_end536-_ZN12_GLOBAL__N_121softmax_warp_backwardIdddLi7ELb0ELb0ELi64EEEvPT0_PKT_S5_iiiPKb
                                        ; -- End function
	.set _ZN12_GLOBAL__N_121softmax_warp_backwardIdddLi7ELb0ELb0ELi64EEEvPT0_PKT_S5_iiiPKb.num_vgpr, 28
	.set _ZN12_GLOBAL__N_121softmax_warp_backwardIdddLi7ELb0ELb0ELi64EEEvPT0_PKT_S5_iiiPKb.num_agpr, 0
	.set _ZN12_GLOBAL__N_121softmax_warp_backwardIdddLi7ELb0ELb0ELi64EEEvPT0_PKT_S5_iiiPKb.numbered_sgpr, 16
	.set _ZN12_GLOBAL__N_121softmax_warp_backwardIdddLi7ELb0ELb0ELi64EEEvPT0_PKT_S5_iiiPKb.num_named_barrier, 0
	.set _ZN12_GLOBAL__N_121softmax_warp_backwardIdddLi7ELb0ELb0ELi64EEEvPT0_PKT_S5_iiiPKb.private_seg_size, 0
	.set _ZN12_GLOBAL__N_121softmax_warp_backwardIdddLi7ELb0ELb0ELi64EEEvPT0_PKT_S5_iiiPKb.uses_vcc, 1
	.set _ZN12_GLOBAL__N_121softmax_warp_backwardIdddLi7ELb0ELb0ELi64EEEvPT0_PKT_S5_iiiPKb.uses_flat_scratch, 0
	.set _ZN12_GLOBAL__N_121softmax_warp_backwardIdddLi7ELb0ELb0ELi64EEEvPT0_PKT_S5_iiiPKb.has_dyn_sized_stack, 0
	.set _ZN12_GLOBAL__N_121softmax_warp_backwardIdddLi7ELb0ELb0ELi64EEEvPT0_PKT_S5_iiiPKb.has_recursion, 0
	.set _ZN12_GLOBAL__N_121softmax_warp_backwardIdddLi7ELb0ELb0ELi64EEEvPT0_PKT_S5_iiiPKb.has_indirect_call, 0
	.section	.AMDGPU.csdata,"",@progbits
; Kernel info:
; codeLenInByte = 1208
; TotalNumSgprs: 18
; NumVgprs: 28
; ScratchSize: 0
; MemoryBound: 0
; FloatMode: 240
; IeeeMode: 1
; LDSByteSize: 0 bytes/workgroup (compile time only)
; SGPRBlocks: 0
; VGPRBlocks: 3
; NumSGPRsForWavesPerEU: 18
; NumVGPRsForWavesPerEU: 28
; Occupancy: 16
; WaveLimiterHint : 0
; COMPUTE_PGM_RSRC2:SCRATCH_EN: 0
; COMPUTE_PGM_RSRC2:USER_SGPR: 6
; COMPUTE_PGM_RSRC2:TRAP_HANDLER: 0
; COMPUTE_PGM_RSRC2:TGID_X_EN: 1
; COMPUTE_PGM_RSRC2:TGID_Y_EN: 0
; COMPUTE_PGM_RSRC2:TGID_Z_EN: 0
; COMPUTE_PGM_RSRC2:TIDIG_COMP_CNT: 1
	.section	.text._ZN12_GLOBAL__N_121softmax_warp_backwardIdddLi7ELb0ELb0ELi32EEEvPT0_PKT_S5_iiiPKb,"axG",@progbits,_ZN12_GLOBAL__N_121softmax_warp_backwardIdddLi7ELb0ELb0ELi32EEEvPT0_PKT_S5_iiiPKb,comdat
	.globl	_ZN12_GLOBAL__N_121softmax_warp_backwardIdddLi7ELb0ELb0ELi32EEEvPT0_PKT_S5_iiiPKb ; -- Begin function _ZN12_GLOBAL__N_121softmax_warp_backwardIdddLi7ELb0ELb0ELi32EEEvPT0_PKT_S5_iiiPKb
	.p2align	8
	.type	_ZN12_GLOBAL__N_121softmax_warp_backwardIdddLi7ELb0ELb0ELi32EEEvPT0_PKT_S5_iiiPKb,@function
_ZN12_GLOBAL__N_121softmax_warp_backwardIdddLi7ELb0ELb0ELi32EEEvPT0_PKT_S5_iiiPKb: ; @_ZN12_GLOBAL__N_121softmax_warp_backwardIdddLi7ELb0ELb0ELi32EEEvPT0_PKT_S5_iiiPKb
; %bb.0:
	s_clause 0x1
	s_load_dword s0, s[4:5], 0x3c
	s_load_dwordx4 s[8:11], s[4:5], 0x18
	v_and_b32_e32 v14, 31, v0
	s_clause 0x1
	s_load_dwordx4 s[12:15], s[4:5], 0x0
	s_load_dwordx2 s[4:5], s[4:5], 0x10
	s_waitcnt lgkmcnt(0)
	s_lshr_b32 s0, s0, 16
	v_cmp_gt_i32_e32 vcc_lo, s10, v14
	s_and_b32 s0, s0, 0xffff
	s_mul_i32 s6, s6, s0
	v_add_lshl_u32 v4, s6, v1, 1
	v_mov_b32_e32 v0, 0
	v_mov_b32_e32 v1, 0
	v_mad_u64_u32 v[2:3], null, v4, s9, v[14:15]
	v_sub_nc_u32_e32 v42, s8, v4
	v_mov_b32_e32 v4, 0
	v_mov_b32_e32 v5, 0
	v_cmp_lt_i32_e64 s3, 0, v42
	v_ashrrev_i32_e32 v3, 31, v2
	s_and_b32 s1, s3, vcc_lo
	v_lshlrev_b64 v[6:7], 3, v[2:3]
	v_mov_b32_e32 v2, 0
	v_mov_b32_e32 v3, 0
	v_add_co_u32 v36, s0, s14, v6
	v_add_co_ci_u32_e64 v37, null, s15, v7, s0
	v_add_co_u32 v34, s0, s4, v6
	v_add_co_ci_u32_e64 v35, null, s5, v7, s0
	s_and_saveexec_b32 s0, s1
	s_cbranch_execz .LBB537_2
; %bb.1:
	global_load_dwordx2 v[2:3], v[36:37], off
	global_load_dwordx2 v[4:5], v[34:35], off
.LBB537_2:
	s_or_b32 exec_lo, exec_lo, s0
	v_or_b32_e32 v8, 32, v14
	v_mov_b32_e32 v10, 0
	v_mov_b32_e32 v11, 0
	v_cmp_gt_i32_e64 s0, s10, v8
	s_and_b32 s2, s3, s0
	s_and_saveexec_b32 s1, s2
	s_cbranch_execz .LBB537_4
; %bb.3:
	global_load_dwordx2 v[0:1], v[36:37], off offset:256
	global_load_dwordx2 v[10:11], v[34:35], off offset:256
.LBB537_4:
	s_or_b32 exec_lo, exec_lo, s1
	v_or_b32_e32 v12, 64, v14
	v_mov_b32_e32 v8, 0
	v_mov_b32_e32 v16, 0
	;; [unrolled: 1-line block ×4, first 2 shown]
	v_cmp_gt_i32_e64 s1, s10, v12
	v_mov_b32_e32 v12, 0
	v_mov_b32_e32 v13, 0
	s_and_b32 s4, s3, s1
	s_and_saveexec_b32 s2, s4
	s_cbranch_execz .LBB537_6
; %bb.5:
	global_load_dwordx2 v[12:13], v[36:37], off offset:512
	global_load_dwordx2 v[16:17], v[34:35], off offset:512
.LBB537_6:
	s_or_b32 exec_lo, exec_lo, s2
	v_or_b32_e32 v14, 0x60, v14
	v_mov_b32_e32 v18, 0
	v_mov_b32_e32 v19, 0
	v_cmp_gt_i32_e64 s2, s10, v14
	s_and_b32 s5, s3, s2
	s_and_saveexec_b32 s4, s5
	s_cbranch_execz .LBB537_8
; %bb.7:
	global_load_dwordx2 v[8:9], v[36:37], off offset:768
	global_load_dwordx2 v[18:19], v[34:35], off offset:768
.LBB537_8:
	s_or_b32 exec_lo, exec_lo, s4
	v_cmp_lt_i32_e64 s4, 1, v42
	v_mov_b32_e32 v14, 0
	v_mov_b32_e32 v20, 0
	;; [unrolled: 1-line block ×6, first 2 shown]
	s_and_b32 s5, s4, vcc_lo
	s_and_saveexec_b32 s6, s5
	s_cbranch_execz .LBB537_10
; %bb.9:
	s_mov_b32 s11, 0
	s_lshl_b64 s[8:9], s[10:11], 3
	v_add_co_u32 v20, s5, v36, s8
	v_add_co_ci_u32_e64 v21, null, s9, v37, s5
	v_add_co_u32 v22, s5, v34, s8
	v_add_co_ci_u32_e64 v23, null, s9, v35, s5
	global_load_dwordx2 v[20:21], v[20:21], off
	global_load_dwordx2 v[22:23], v[22:23], off
.LBB537_10:
	s_or_b32 exec_lo, exec_lo, s6
	v_mov_b32_e32 v26, 0
	v_mov_b32_e32 v27, 0
	s_and_b32 s5, s4, s0
	s_and_saveexec_b32 s6, s5
	s_cbranch_execz .LBB537_12
; %bb.11:
	s_mov_b32 s11, 0
	s_lshl_b64 s[8:9], s[10:11], 3
	v_add_co_u32 v14, s5, v36, s8
	v_add_co_ci_u32_e64 v15, null, s9, v37, s5
	v_add_co_u32 v24, s5, v34, s8
	v_add_co_ci_u32_e64 v25, null, s9, v35, s5
	global_load_dwordx2 v[14:15], v[14:15], off offset:256
	global_load_dwordx2 v[26:27], v[24:25], off offset:256
.LBB537_12:
	s_or_b32 exec_lo, exec_lo, s6
	v_mov_b32_e32 v24, 0
	v_mov_b32_e32 v28, 0
	;; [unrolled: 1-line block ×6, first 2 shown]
	s_and_b32 s5, s4, s1
	s_and_saveexec_b32 s6, s5
	s_cbranch_execz .LBB537_14
; %bb.13:
	s_mov_b32 s11, 0
	s_lshl_b64 s[8:9], s[10:11], 3
	v_add_co_u32 v28, s5, v36, s8
	v_add_co_ci_u32_e64 v29, null, s9, v37, s5
	v_add_co_u32 v30, s5, v34, s8
	v_add_co_ci_u32_e64 v31, null, s9, v35, s5
	global_load_dwordx2 v[28:29], v[28:29], off offset:512
	global_load_dwordx2 v[30:31], v[30:31], off offset:512
.LBB537_14:
	s_or_b32 exec_lo, exec_lo, s6
	v_mov_b32_e32 v32, 0
	v_mov_b32_e32 v33, 0
	s_and_b32 s4, s4, s2
	s_and_saveexec_b32 s5, s4
	s_cbranch_execz .LBB537_16
; %bb.15:
	s_mov_b32 s11, 0
	s_lshl_b64 s[6:7], s[10:11], 3
	v_add_co_u32 v24, s4, v36, s6
	v_add_co_ci_u32_e64 v25, null, s7, v37, s4
	v_add_co_u32 v32, s4, v34, s6
	v_add_co_ci_u32_e64 v33, null, s7, v35, s4
	global_load_dwordx2 v[24:25], v[24:25], off offset:768
	global_load_dwordx2 v[32:33], v[32:33], off offset:768
.LBB537_16:
	s_or_b32 exec_lo, exec_lo, s5
	s_waitcnt vmcnt(1)
	v_add_f64 v[34:35], v[2:3], 0
	v_add_f64 v[36:37], v[20:21], 0
	v_mbcnt_lo_u32_b32 v43, -1, 0
	v_xor_b32_e32 v38, 16, v43
	v_cmp_gt_i32_e64 s4, 32, v38
	v_cndmask_b32_e64 v38, v43, v38, s4
	v_lshlrev_b32_e32 v41, 2, v38
	v_add_f64 v[34:35], v[34:35], v[0:1]
	v_add_f64 v[36:37], v[36:37], v[14:15]
	v_add_f64 v[34:35], v[34:35], v[12:13]
	v_add_f64 v[36:37], v[36:37], v[28:29]
	v_add_f64 v[34:35], v[34:35], v[8:9]
	v_add_f64 v[36:37], v[36:37], v[24:25]
	ds_bpermute_b32 v38, v41, v34
	ds_bpermute_b32 v39, v41, v35
	ds_bpermute_b32 v40, v41, v36
	ds_bpermute_b32 v41, v41, v37
	s_waitcnt lgkmcnt(2)
	v_add_f64 v[34:35], v[34:35], v[38:39]
	v_xor_b32_e32 v38, 8, v43
	s_waitcnt lgkmcnt(0)
	v_add_f64 v[36:37], v[36:37], v[40:41]
	v_cmp_gt_i32_e64 s4, 32, v38
	v_cndmask_b32_e64 v38, v43, v38, s4
	v_lshlrev_b32_e32 v41, 2, v38
	ds_bpermute_b32 v38, v41, v34
	ds_bpermute_b32 v39, v41, v35
	ds_bpermute_b32 v40, v41, v36
	ds_bpermute_b32 v41, v41, v37
	s_waitcnt lgkmcnt(2)
	v_add_f64 v[34:35], v[34:35], v[38:39]
	v_xor_b32_e32 v38, 4, v43
	s_waitcnt lgkmcnt(0)
	v_add_f64 v[36:37], v[36:37], v[40:41]
	v_cmp_gt_i32_e64 s4, 32, v38
	v_cndmask_b32_e64 v38, v43, v38, s4
	v_lshlrev_b32_e32 v41, 2, v38
	ds_bpermute_b32 v38, v41, v34
	ds_bpermute_b32 v39, v41, v35
	ds_bpermute_b32 v40, v41, v36
	ds_bpermute_b32 v41, v41, v37
	s_waitcnt lgkmcnt(2)
	v_add_f64 v[34:35], v[34:35], v[38:39]
	v_xor_b32_e32 v38, 2, v43
	s_waitcnt lgkmcnt(0)
	v_add_f64 v[36:37], v[36:37], v[40:41]
	v_cmp_gt_i32_e64 s4, 32, v38
	v_cndmask_b32_e64 v38, v43, v38, s4
	v_lshlrev_b32_e32 v41, 2, v38
	ds_bpermute_b32 v38, v41, v34
	ds_bpermute_b32 v39, v41, v35
	;; [unrolled: 1-line block ×4, first 2 shown]
	s_waitcnt lgkmcnt(2)
	v_add_f64 v[38:39], v[34:35], v[38:39]
	s_waitcnt lgkmcnt(0)
	v_add_f64 v[34:35], v[36:37], v[40:41]
	v_xor_b32_e32 v36, 1, v43
	v_cmp_gt_i32_e64 s4, 32, v36
	v_cndmask_b32_e64 v36, v43, v36, s4
	v_lshlrev_b32_e32 v37, 2, v36
	ds_bpermute_b32 v40, v37, v38
	ds_bpermute_b32 v41, v37, v39
	;; [unrolled: 1-line block ×4, first 2 shown]
	s_and_saveexec_b32 s4, s3
	s_cbranch_execz .LBB537_22
; %bb.17:
	s_waitcnt lgkmcnt(2)
	v_add_f64 v[38:39], v[38:39], v[40:41]
	v_add_co_u32 v6, s3, s12, v6
	v_add_co_ci_u32_e64 v7, null, s13, v7, s3
	s_and_saveexec_b32 s3, vcc_lo
	s_cbranch_execnz .LBB537_23
; %bb.18:
	s_or_b32 exec_lo, exec_lo, s3
	s_and_saveexec_b32 s3, s0
	s_cbranch_execnz .LBB537_24
.LBB537_19:
	s_or_b32 exec_lo, exec_lo, s3
	s_and_saveexec_b32 s3, s1
	s_cbranch_execnz .LBB537_25
.LBB537_20:
	s_or_b32 exec_lo, exec_lo, s3
	s_and_saveexec_b32 s3, s2
	s_cbranch_execnz .LBB537_26
.LBB537_21:
	s_or_b32 exec_lo, exec_lo, s3
	v_cmp_ne_u32_e64 s3, 1, v42
	s_and_b32 exec_lo, exec_lo, s3
	s_cbranch_execnz .LBB537_27
.LBB537_22:
	s_endpgm
.LBB537_23:
	s_waitcnt vmcnt(0)
	v_fma_f64 v[2:3], -v[38:39], v[4:5], v[2:3]
	global_store_dwordx2 v[6:7], v[2:3], off
	s_or_b32 exec_lo, exec_lo, s3
	s_and_saveexec_b32 s3, s0
	s_cbranch_execz .LBB537_19
.LBB537_24:
	s_waitcnt vmcnt(0)
	v_fma_f64 v[0:1], -v[38:39], v[10:11], v[0:1]
	global_store_dwordx2 v[6:7], v[0:1], off offset:256
	s_or_b32 exec_lo, exec_lo, s3
	s_and_saveexec_b32 s3, s1
	s_cbranch_execz .LBB537_20
.LBB537_25:
	s_waitcnt vmcnt(0)
	v_fma_f64 v[0:1], -v[38:39], v[16:17], v[12:13]
	global_store_dwordx2 v[6:7], v[0:1], off offset:512
	s_or_b32 exec_lo, exec_lo, s3
	s_and_saveexec_b32 s3, s2
	s_cbranch_execz .LBB537_21
.LBB537_26:
	s_waitcnt vmcnt(0)
	v_fma_f64 v[0:1], -v[38:39], v[18:19], v[8:9]
	global_store_dwordx2 v[6:7], v[0:1], off offset:768
	s_or_b32 exec_lo, exec_lo, s3
	v_cmp_ne_u32_e64 s3, 1, v42
	s_and_b32 exec_lo, exec_lo, s3
	s_cbranch_execz .LBB537_22
.LBB537_27:
	s_waitcnt lgkmcnt(0)
	v_add_f64 v[0:1], v[34:35], v[36:37]
	s_and_saveexec_b32 s3, vcc_lo
	s_cbranch_execnz .LBB537_31
; %bb.28:
	s_or_b32 exec_lo, exec_lo, s3
	s_and_saveexec_b32 s3, s0
	s_cbranch_execnz .LBB537_32
.LBB537_29:
	s_or_b32 exec_lo, exec_lo, s3
	s_and_saveexec_b32 s0, s1
	s_cbranch_execnz .LBB537_33
.LBB537_30:
	s_or_b32 exec_lo, exec_lo, s0
	s_and_b32 exec_lo, exec_lo, s2
	s_cbranch_execz .LBB537_22
	s_branch .LBB537_34
.LBB537_31:
	s_waitcnt vmcnt(0)
	v_fma_f64 v[2:3], -v[0:1], v[22:23], v[20:21]
	s_mov_b32 s11, 0
	s_lshl_b64 s[4:5], s[10:11], 3
	v_add_co_u32 v4, vcc_lo, v6, s4
	v_add_co_ci_u32_e64 v5, null, s5, v7, vcc_lo
	global_store_dwordx2 v[4:5], v[2:3], off
	s_or_b32 exec_lo, exec_lo, s3
	s_and_saveexec_b32 s3, s0
	s_cbranch_execz .LBB537_29
.LBB537_32:
	s_waitcnt vmcnt(0)
	v_fma_f64 v[2:3], -v[0:1], v[26:27], v[14:15]
	s_mov_b32 s11, 0
	s_lshl_b64 s[4:5], s[10:11], 3
	v_add_co_u32 v4, vcc_lo, v6, s4
	v_add_co_ci_u32_e64 v5, null, s5, v7, vcc_lo
	global_store_dwordx2 v[4:5], v[2:3], off offset:256
	s_or_b32 exec_lo, exec_lo, s3
	s_and_saveexec_b32 s0, s1
	s_cbranch_execz .LBB537_30
.LBB537_33:
	s_waitcnt vmcnt(0)
	v_fma_f64 v[2:3], -v[0:1], v[30:31], v[28:29]
	s_mov_b32 s11, 0
	s_lshl_b64 s[4:5], s[10:11], 3
	v_add_co_u32 v4, vcc_lo, v6, s4
	v_add_co_ci_u32_e64 v5, null, s5, v7, vcc_lo
	global_store_dwordx2 v[4:5], v[2:3], off offset:512
	s_or_b32 exec_lo, exec_lo, s0
	s_and_b32 exec_lo, exec_lo, s2
	s_cbranch_execz .LBB537_22
.LBB537_34:
	s_waitcnt vmcnt(0)
	v_fma_f64 v[0:1], -v[0:1], v[32:33], v[24:25]
	s_mov_b32 s11, 0
	s_lshl_b64 s[0:1], s[10:11], 3
	v_add_co_u32 v2, vcc_lo, v6, s0
	v_add_co_ci_u32_e64 v3, null, s1, v7, vcc_lo
	global_store_dwordx2 v[2:3], v[0:1], off offset:768
	s_endpgm
	.section	.rodata,"a",@progbits
	.p2align	6, 0x0
	.amdhsa_kernel _ZN12_GLOBAL__N_121softmax_warp_backwardIdddLi7ELb0ELb0ELi32EEEvPT0_PKT_S5_iiiPKb
		.amdhsa_group_segment_fixed_size 0
		.amdhsa_private_segment_fixed_size 0
		.amdhsa_kernarg_size 304
		.amdhsa_user_sgpr_count 6
		.amdhsa_user_sgpr_private_segment_buffer 1
		.amdhsa_user_sgpr_dispatch_ptr 0
		.amdhsa_user_sgpr_queue_ptr 0
		.amdhsa_user_sgpr_kernarg_segment_ptr 1
		.amdhsa_user_sgpr_dispatch_id 0
		.amdhsa_user_sgpr_flat_scratch_init 0
		.amdhsa_user_sgpr_private_segment_size 0
		.amdhsa_wavefront_size32 1
		.amdhsa_uses_dynamic_stack 0
		.amdhsa_system_sgpr_private_segment_wavefront_offset 0
		.amdhsa_system_sgpr_workgroup_id_x 1
		.amdhsa_system_sgpr_workgroup_id_y 0
		.amdhsa_system_sgpr_workgroup_id_z 0
		.amdhsa_system_sgpr_workgroup_info 0
		.amdhsa_system_vgpr_workitem_id 1
		.amdhsa_next_free_vgpr 44
		.amdhsa_next_free_sgpr 16
		.amdhsa_reserve_vcc 1
		.amdhsa_reserve_flat_scratch 0
		.amdhsa_float_round_mode_32 0
		.amdhsa_float_round_mode_16_64 0
		.amdhsa_float_denorm_mode_32 3
		.amdhsa_float_denorm_mode_16_64 3
		.amdhsa_dx10_clamp 1
		.amdhsa_ieee_mode 1
		.amdhsa_fp16_overflow 0
		.amdhsa_workgroup_processor_mode 1
		.amdhsa_memory_ordered 1
		.amdhsa_forward_progress 1
		.amdhsa_shared_vgpr_count 0
		.amdhsa_exception_fp_ieee_invalid_op 0
		.amdhsa_exception_fp_denorm_src 0
		.amdhsa_exception_fp_ieee_div_zero 0
		.amdhsa_exception_fp_ieee_overflow 0
		.amdhsa_exception_fp_ieee_underflow 0
		.amdhsa_exception_fp_ieee_inexact 0
		.amdhsa_exception_int_div_zero 0
	.end_amdhsa_kernel
	.section	.text._ZN12_GLOBAL__N_121softmax_warp_backwardIdddLi7ELb0ELb0ELi32EEEvPT0_PKT_S5_iiiPKb,"axG",@progbits,_ZN12_GLOBAL__N_121softmax_warp_backwardIdddLi7ELb0ELb0ELi32EEEvPT0_PKT_S5_iiiPKb,comdat
.Lfunc_end537:
	.size	_ZN12_GLOBAL__N_121softmax_warp_backwardIdddLi7ELb0ELb0ELi32EEEvPT0_PKT_S5_iiiPKb, .Lfunc_end537-_ZN12_GLOBAL__N_121softmax_warp_backwardIdddLi7ELb0ELb0ELi32EEEvPT0_PKT_S5_iiiPKb
                                        ; -- End function
	.set _ZN12_GLOBAL__N_121softmax_warp_backwardIdddLi7ELb0ELb0ELi32EEEvPT0_PKT_S5_iiiPKb.num_vgpr, 44
	.set _ZN12_GLOBAL__N_121softmax_warp_backwardIdddLi7ELb0ELb0ELi32EEEvPT0_PKT_S5_iiiPKb.num_agpr, 0
	.set _ZN12_GLOBAL__N_121softmax_warp_backwardIdddLi7ELb0ELb0ELi32EEEvPT0_PKT_S5_iiiPKb.numbered_sgpr, 16
	.set _ZN12_GLOBAL__N_121softmax_warp_backwardIdddLi7ELb0ELb0ELi32EEEvPT0_PKT_S5_iiiPKb.num_named_barrier, 0
	.set _ZN12_GLOBAL__N_121softmax_warp_backwardIdddLi7ELb0ELb0ELi32EEEvPT0_PKT_S5_iiiPKb.private_seg_size, 0
	.set _ZN12_GLOBAL__N_121softmax_warp_backwardIdddLi7ELb0ELb0ELi32EEEvPT0_PKT_S5_iiiPKb.uses_vcc, 1
	.set _ZN12_GLOBAL__N_121softmax_warp_backwardIdddLi7ELb0ELb0ELi32EEEvPT0_PKT_S5_iiiPKb.uses_flat_scratch, 0
	.set _ZN12_GLOBAL__N_121softmax_warp_backwardIdddLi7ELb0ELb0ELi32EEEvPT0_PKT_S5_iiiPKb.has_dyn_sized_stack, 0
	.set _ZN12_GLOBAL__N_121softmax_warp_backwardIdddLi7ELb0ELb0ELi32EEEvPT0_PKT_S5_iiiPKb.has_recursion, 0
	.set _ZN12_GLOBAL__N_121softmax_warp_backwardIdddLi7ELb0ELb0ELi32EEEvPT0_PKT_S5_iiiPKb.has_indirect_call, 0
	.section	.AMDGPU.csdata,"",@progbits
; Kernel info:
; codeLenInByte = 1700
; TotalNumSgprs: 18
; NumVgprs: 44
; ScratchSize: 0
; MemoryBound: 0
; FloatMode: 240
; IeeeMode: 1
; LDSByteSize: 0 bytes/workgroup (compile time only)
; SGPRBlocks: 0
; VGPRBlocks: 5
; NumSGPRsForWavesPerEU: 18
; NumVGPRsForWavesPerEU: 44
; Occupancy: 16
; WaveLimiterHint : 0
; COMPUTE_PGM_RSRC2:SCRATCH_EN: 0
; COMPUTE_PGM_RSRC2:USER_SGPR: 6
; COMPUTE_PGM_RSRC2:TRAP_HANDLER: 0
; COMPUTE_PGM_RSRC2:TGID_X_EN: 1
; COMPUTE_PGM_RSRC2:TGID_Y_EN: 0
; COMPUTE_PGM_RSRC2:TGID_Z_EN: 0
; COMPUTE_PGM_RSRC2:TIDIG_COMP_CNT: 1
	.section	.text._ZN12_GLOBAL__N_121softmax_warp_backwardIdddLi8ELb0ELb0ELi64EEEvPT0_PKT_S5_iiiPKb,"axG",@progbits,_ZN12_GLOBAL__N_121softmax_warp_backwardIdddLi8ELb0ELb0ELi64EEEvPT0_PKT_S5_iiiPKb,comdat
	.globl	_ZN12_GLOBAL__N_121softmax_warp_backwardIdddLi8ELb0ELb0ELi64EEEvPT0_PKT_S5_iiiPKb ; -- Begin function _ZN12_GLOBAL__N_121softmax_warp_backwardIdddLi8ELb0ELb0ELi64EEEvPT0_PKT_S5_iiiPKb
	.p2align	8
	.type	_ZN12_GLOBAL__N_121softmax_warp_backwardIdddLi8ELb0ELb0ELi64EEEvPT0_PKT_S5_iiiPKb,@function
_ZN12_GLOBAL__N_121softmax_warp_backwardIdddLi8ELb0ELb0ELi64EEEvPT0_PKT_S5_iiiPKb: ; @_ZN12_GLOBAL__N_121softmax_warp_backwardIdddLi8ELb0ELb0ELi64EEEvPT0_PKT_S5_iiiPKb
; %bb.0:
	s_clause 0x1
	s_load_dword s7, s[4:5], 0x3c
	s_load_dwordx4 s[0:3], s[4:5], 0x18
	v_and_b32_e32 v20, 63, v0
	s_clause 0x1
	s_load_dwordx4 s[8:11], s[4:5], 0x0
	s_load_dwordx2 s[4:5], s[4:5], 0x10
	v_mov_b32_e32 v4, 0
	v_mov_b32_e32 v5, 0
	s_waitcnt lgkmcnt(0)
	s_lshr_b32 s3, s7, 16
	v_cmp_gt_i32_e32 vcc_lo, s2, v20
	v_mad_u64_u32 v[1:2], null, s6, s3, v[1:2]
	v_mad_u64_u32 v[2:3], null, v1, s1, v[20:21]
	v_sub_nc_u32_e32 v22, s0, v1
	v_cmp_lt_i32_e64 s3, 0, v22
	v_ashrrev_i32_e32 v3, 31, v2
	s_and_b32 s1, s3, vcc_lo
	v_lshlrev_b64 v[0:1], 3, v[2:3]
	v_mov_b32_e32 v2, 0
	v_mov_b32_e32 v3, 0
	v_add_co_u32 v18, s0, s10, v0
	v_add_co_ci_u32_e64 v19, null, s11, v1, s0
	v_add_co_u32 v16, s0, s4, v0
	v_add_co_ci_u32_e64 v17, null, s5, v1, s0
	s_and_saveexec_b32 s0, s1
	s_cbranch_execz .LBB538_2
; %bb.1:
	global_load_dwordx2 v[4:5], v[18:19], off
	global_load_dwordx2 v[2:3], v[16:17], off
.LBB538_2:
	s_or_b32 exec_lo, exec_lo, s0
	v_or_b32_e32 v6, 64, v20
	v_cmp_gt_i32_e64 s0, s2, v6
	s_and_b32 s1, s3, s0
	s_xor_b32 s1, s1, -1
	s_and_saveexec_b32 s4, s1
	s_xor_b32 s1, exec_lo, s4
                                        ; implicit-def: $vgpr6_vgpr7
                                        ; implicit-def: $vgpr8_vgpr9
                                        ; implicit-def: $vgpr10_vgpr11
; %bb.3:
	s_mov_b32 s4, 0
                                        ; implicit-def: $vgpr6_vgpr7
                                        ; implicit-def: $vgpr8_vgpr9
	v_mov_b32_e32 v10, s4
	v_mov_b32_e32 v11, s4
; %bb.4:
	s_or_saveexec_b32 s1, s1
	v_mov_b32_e32 v12, 0
	v_mov_b32_e32 v13, 0
	s_xor_b32 exec_lo, exec_lo, s1
	s_cbranch_execz .LBB538_6
; %bb.5:
	global_load_dwordx2 v[10:11], v[18:19], off offset:512
	global_load_dwordx2 v[12:13], v[16:17], off offset:512
.LBB538_6:
	s_or_b32 exec_lo, exec_lo, s1
	v_or_b32_e32 v14, 0x80, v20
	v_cmp_gt_i32_e64 s1, s2, v14
	s_and_b32 s4, s3, s1
	s_xor_b32 s4, s4, -1
	s_and_saveexec_b32 s5, s4
	s_xor_b32 s4, exec_lo, s5
; %bb.7:
	s_mov_b32 s5, 0
	v_mov_b32_e32 v8, s5
	v_mov_b32_e32 v9, s5
; %bb.8:
	s_or_saveexec_b32 s4, s4
	v_mov_b32_e32 v14, 0
	v_mov_b32_e32 v15, 0
	s_xor_b32 exec_lo, exec_lo, s4
	s_cbranch_execz .LBB538_10
; %bb.9:
	global_load_dwordx2 v[8:9], v[18:19], off offset:1024
	global_load_dwordx2 v[14:15], v[16:17], off offset:1024
.LBB538_10:
	s_or_b32 exec_lo, exec_lo, s4
	v_or_b32_e32 v20, 0xc0, v20
	v_cmp_gt_i32_e64 s2, s2, v20
	s_and_b32 s3, s3, s2
	s_xor_b32 s3, s3, -1
	s_and_saveexec_b32 s4, s3
	s_xor_b32 s3, exec_lo, s4
; %bb.11:
	s_mov_b32 s4, 0
                                        ; implicit-def: $vgpr18_vgpr19
                                        ; implicit-def: $vgpr16_vgpr17
	v_mov_b32_e32 v6, s4
	v_mov_b32_e32 v7, s4
; %bb.12:
	s_or_saveexec_b32 s3, s3
	v_mov_b32_e32 v20, 0
	v_mov_b32_e32 v21, 0
	s_xor_b32 exec_lo, exec_lo, s3
	s_cbranch_execz .LBB538_14
; %bb.13:
	global_load_dwordx2 v[6:7], v[18:19], off offset:1536
	global_load_dwordx2 v[20:21], v[16:17], off offset:1536
.LBB538_14:
	s_or_b32 exec_lo, exec_lo, s3
	s_waitcnt vmcnt(1)
	v_add_f64 v[16:17], v[4:5], 0
	v_mbcnt_lo_u32_b32 v23, -1, 0
	s_mov_b32 s4, exec_lo
	v_or_b32_e32 v18, 32, v23
	v_cmp_gt_i32_e64 s3, 64, v18
	v_cndmask_b32_e64 v18, v23, v18, s3
	v_lshlrev_b32_e32 v19, 2, v18
	v_add_f64 v[16:17], v[16:17], v[10:11]
	v_add_f64 v[16:17], v[16:17], v[8:9]
	;; [unrolled: 1-line block ×3, first 2 shown]
	ds_bpermute_b32 v18, v19, v16
	ds_bpermute_b32 v19, v19, v17
	s_waitcnt lgkmcnt(0)
	v_add_f64 v[16:17], v[16:17], v[18:19]
	v_xor_b32_e32 v18, 16, v23
	v_cmp_gt_i32_e64 s3, 64, v18
	v_cndmask_b32_e64 v18, v23, v18, s3
	v_lshlrev_b32_e32 v19, 2, v18
	ds_bpermute_b32 v18, v19, v16
	ds_bpermute_b32 v19, v19, v17
	s_waitcnt lgkmcnt(0)
	v_add_f64 v[16:17], v[16:17], v[18:19]
	v_xor_b32_e32 v18, 8, v23
	v_cmp_gt_i32_e64 s3, 64, v18
	v_cndmask_b32_e64 v18, v23, v18, s3
	v_lshlrev_b32_e32 v19, 2, v18
	ds_bpermute_b32 v18, v19, v16
	ds_bpermute_b32 v19, v19, v17
	s_waitcnt lgkmcnt(0)
	v_add_f64 v[16:17], v[16:17], v[18:19]
	v_xor_b32_e32 v18, 4, v23
	v_cmp_gt_i32_e64 s3, 64, v18
	v_cndmask_b32_e64 v18, v23, v18, s3
	v_lshlrev_b32_e32 v19, 2, v18
	ds_bpermute_b32 v18, v19, v16
	ds_bpermute_b32 v19, v19, v17
	s_waitcnt lgkmcnt(0)
	v_add_f64 v[16:17], v[16:17], v[18:19]
	v_xor_b32_e32 v18, 2, v23
	v_cmp_gt_i32_e64 s3, 64, v18
	v_cndmask_b32_e64 v18, v23, v18, s3
	v_lshlrev_b32_e32 v19, 2, v18
	ds_bpermute_b32 v18, v19, v16
	ds_bpermute_b32 v19, v19, v17
	s_waitcnt lgkmcnt(0)
	v_add_f64 v[16:17], v[16:17], v[18:19]
	v_xor_b32_e32 v18, 1, v23
	v_cmp_gt_i32_e64 s3, 64, v18
	v_cndmask_b32_e64 v18, v23, v18, s3
	v_lshlrev_b32_e32 v19, 2, v18
	ds_bpermute_b32 v18, v19, v16
	ds_bpermute_b32 v19, v19, v17
	v_cmpx_lt_i32_e32 0, v22
	s_cbranch_execz .LBB538_20
; %bb.15:
	s_waitcnt lgkmcnt(0)
	v_add_f64 v[16:17], v[16:17], v[18:19]
	v_add_co_u32 v0, s3, s8, v0
	v_add_co_ci_u32_e64 v1, null, s9, v1, s3
	s_and_saveexec_b32 s3, vcc_lo
	s_cbranch_execnz .LBB538_21
; %bb.16:
	s_or_b32 exec_lo, exec_lo, s3
	s_and_saveexec_b32 s3, s0
	s_cbranch_execnz .LBB538_22
.LBB538_17:
	s_or_b32 exec_lo, exec_lo, s3
	s_and_saveexec_b32 s0, s1
	s_cbranch_execnz .LBB538_23
.LBB538_18:
	s_or_b32 exec_lo, exec_lo, s0
	s_and_b32 exec_lo, exec_lo, s2
	s_cbranch_execz .LBB538_20
.LBB538_19:
	s_waitcnt vmcnt(0)
	v_fma_f64 v[2:3], -v[16:17], v[20:21], v[6:7]
	global_store_dwordx2 v[0:1], v[2:3], off offset:1536
.LBB538_20:
	s_endpgm
.LBB538_21:
	s_waitcnt vmcnt(0)
	v_fma_f64 v[2:3], -v[16:17], v[2:3], v[4:5]
	global_store_dwordx2 v[0:1], v[2:3], off
	s_or_b32 exec_lo, exec_lo, s3
	s_and_saveexec_b32 s3, s0
	s_cbranch_execz .LBB538_17
.LBB538_22:
	s_waitcnt vmcnt(0)
	v_fma_f64 v[2:3], -v[16:17], v[12:13], v[10:11]
	global_store_dwordx2 v[0:1], v[2:3], off offset:512
	s_or_b32 exec_lo, exec_lo, s3
	s_and_saveexec_b32 s0, s1
	s_cbranch_execz .LBB538_18
.LBB538_23:
	s_waitcnt vmcnt(0)
	v_fma_f64 v[2:3], -v[16:17], v[14:15], v[8:9]
	global_store_dwordx2 v[0:1], v[2:3], off offset:1024
	s_or_b32 exec_lo, exec_lo, s0
	s_and_b32 exec_lo, exec_lo, s2
	s_cbranch_execnz .LBB538_19
	s_branch .LBB538_20
	.section	.rodata,"a",@progbits
	.p2align	6, 0x0
	.amdhsa_kernel _ZN12_GLOBAL__N_121softmax_warp_backwardIdddLi8ELb0ELb0ELi64EEEvPT0_PKT_S5_iiiPKb
		.amdhsa_group_segment_fixed_size 0
		.amdhsa_private_segment_fixed_size 0
		.amdhsa_kernarg_size 304
		.amdhsa_user_sgpr_count 6
		.amdhsa_user_sgpr_private_segment_buffer 1
		.amdhsa_user_sgpr_dispatch_ptr 0
		.amdhsa_user_sgpr_queue_ptr 0
		.amdhsa_user_sgpr_kernarg_segment_ptr 1
		.amdhsa_user_sgpr_dispatch_id 0
		.amdhsa_user_sgpr_flat_scratch_init 0
		.amdhsa_user_sgpr_private_segment_size 0
		.amdhsa_wavefront_size32 1
		.amdhsa_uses_dynamic_stack 0
		.amdhsa_system_sgpr_private_segment_wavefront_offset 0
		.amdhsa_system_sgpr_workgroup_id_x 1
		.amdhsa_system_sgpr_workgroup_id_y 0
		.amdhsa_system_sgpr_workgroup_id_z 0
		.amdhsa_system_sgpr_workgroup_info 0
		.amdhsa_system_vgpr_workitem_id 1
		.amdhsa_next_free_vgpr 24
		.amdhsa_next_free_sgpr 12
		.amdhsa_reserve_vcc 1
		.amdhsa_reserve_flat_scratch 0
		.amdhsa_float_round_mode_32 0
		.amdhsa_float_round_mode_16_64 0
		.amdhsa_float_denorm_mode_32 3
		.amdhsa_float_denorm_mode_16_64 3
		.amdhsa_dx10_clamp 1
		.amdhsa_ieee_mode 1
		.amdhsa_fp16_overflow 0
		.amdhsa_workgroup_processor_mode 1
		.amdhsa_memory_ordered 1
		.amdhsa_forward_progress 1
		.amdhsa_shared_vgpr_count 0
		.amdhsa_exception_fp_ieee_invalid_op 0
		.amdhsa_exception_fp_denorm_src 0
		.amdhsa_exception_fp_ieee_div_zero 0
		.amdhsa_exception_fp_ieee_overflow 0
		.amdhsa_exception_fp_ieee_underflow 0
		.amdhsa_exception_fp_ieee_inexact 0
		.amdhsa_exception_int_div_zero 0
	.end_amdhsa_kernel
	.section	.text._ZN12_GLOBAL__N_121softmax_warp_backwardIdddLi8ELb0ELb0ELi64EEEvPT0_PKT_S5_iiiPKb,"axG",@progbits,_ZN12_GLOBAL__N_121softmax_warp_backwardIdddLi8ELb0ELb0ELi64EEEvPT0_PKT_S5_iiiPKb,comdat
.Lfunc_end538:
	.size	_ZN12_GLOBAL__N_121softmax_warp_backwardIdddLi8ELb0ELb0ELi64EEEvPT0_PKT_S5_iiiPKb, .Lfunc_end538-_ZN12_GLOBAL__N_121softmax_warp_backwardIdddLi8ELb0ELb0ELi64EEEvPT0_PKT_S5_iiiPKb
                                        ; -- End function
	.set _ZN12_GLOBAL__N_121softmax_warp_backwardIdddLi8ELb0ELb0ELi64EEEvPT0_PKT_S5_iiiPKb.num_vgpr, 24
	.set _ZN12_GLOBAL__N_121softmax_warp_backwardIdddLi8ELb0ELb0ELi64EEEvPT0_PKT_S5_iiiPKb.num_agpr, 0
	.set _ZN12_GLOBAL__N_121softmax_warp_backwardIdddLi8ELb0ELb0ELi64EEEvPT0_PKT_S5_iiiPKb.numbered_sgpr, 12
	.set _ZN12_GLOBAL__N_121softmax_warp_backwardIdddLi8ELb0ELb0ELi64EEEvPT0_PKT_S5_iiiPKb.num_named_barrier, 0
	.set _ZN12_GLOBAL__N_121softmax_warp_backwardIdddLi8ELb0ELb0ELi64EEEvPT0_PKT_S5_iiiPKb.private_seg_size, 0
	.set _ZN12_GLOBAL__N_121softmax_warp_backwardIdddLi8ELb0ELb0ELi64EEEvPT0_PKT_S5_iiiPKb.uses_vcc, 1
	.set _ZN12_GLOBAL__N_121softmax_warp_backwardIdddLi8ELb0ELb0ELi64EEEvPT0_PKT_S5_iiiPKb.uses_flat_scratch, 0
	.set _ZN12_GLOBAL__N_121softmax_warp_backwardIdddLi8ELb0ELb0ELi64EEEvPT0_PKT_S5_iiiPKb.has_dyn_sized_stack, 0
	.set _ZN12_GLOBAL__N_121softmax_warp_backwardIdddLi8ELb0ELb0ELi64EEEvPT0_PKT_S5_iiiPKb.has_recursion, 0
	.set _ZN12_GLOBAL__N_121softmax_warp_backwardIdddLi8ELb0ELb0ELi64EEEvPT0_PKT_S5_iiiPKb.has_indirect_call, 0
	.section	.AMDGPU.csdata,"",@progbits
; Kernel info:
; codeLenInByte = 976
; TotalNumSgprs: 14
; NumVgprs: 24
; ScratchSize: 0
; MemoryBound: 1
; FloatMode: 240
; IeeeMode: 1
; LDSByteSize: 0 bytes/workgroup (compile time only)
; SGPRBlocks: 0
; VGPRBlocks: 2
; NumSGPRsForWavesPerEU: 14
; NumVGPRsForWavesPerEU: 24
; Occupancy: 16
; WaveLimiterHint : 0
; COMPUTE_PGM_RSRC2:SCRATCH_EN: 0
; COMPUTE_PGM_RSRC2:USER_SGPR: 6
; COMPUTE_PGM_RSRC2:TRAP_HANDLER: 0
; COMPUTE_PGM_RSRC2:TGID_X_EN: 1
; COMPUTE_PGM_RSRC2:TGID_Y_EN: 0
; COMPUTE_PGM_RSRC2:TGID_Z_EN: 0
; COMPUTE_PGM_RSRC2:TIDIG_COMP_CNT: 1
	.section	.text._ZN12_GLOBAL__N_121softmax_warp_backwardIdddLi8ELb0ELb0ELi32EEEvPT0_PKT_S5_iiiPKb,"axG",@progbits,_ZN12_GLOBAL__N_121softmax_warp_backwardIdddLi8ELb0ELb0ELi32EEEvPT0_PKT_S5_iiiPKb,comdat
	.globl	_ZN12_GLOBAL__N_121softmax_warp_backwardIdddLi8ELb0ELb0ELi32EEEvPT0_PKT_S5_iiiPKb ; -- Begin function _ZN12_GLOBAL__N_121softmax_warp_backwardIdddLi8ELb0ELb0ELi32EEEvPT0_PKT_S5_iiiPKb
	.p2align	8
	.type	_ZN12_GLOBAL__N_121softmax_warp_backwardIdddLi8ELb0ELb0ELi32EEEvPT0_PKT_S5_iiiPKb,@function
_ZN12_GLOBAL__N_121softmax_warp_backwardIdddLi8ELb0ELb0ELi32EEEvPT0_PKT_S5_iiiPKb: ; @_ZN12_GLOBAL__N_121softmax_warp_backwardIdddLi8ELb0ELb0ELi32EEEvPT0_PKT_S5_iiiPKb
; %bb.0:
	s_clause 0x1
	s_load_dword s0, s[4:5], 0x3c
	s_load_dwordx4 s[12:15], s[4:5], 0x18
	v_and_b32_e32 v28, 31, v0
	s_clause 0x1
	s_load_dwordx4 s[8:11], s[4:5], 0x0
	s_load_dwordx2 s[2:3], s[4:5], 0x10
	v_mov_b32_e32 v8, 0
	v_mov_b32_e32 v10, 0
	;; [unrolled: 1-line block ×4, first 2 shown]
	s_waitcnt lgkmcnt(0)
	s_lshr_b32 s0, s0, 16
	v_cmp_gt_i32_e32 vcc_lo, s14, v28
	v_mad_u64_u32 v[1:2], null, s6, s0, v[1:2]
	v_mad_u64_u32 v[2:3], null, v1, s13, v[28:29]
	v_sub_nc_u32_e32 v39, s12, v1
	v_cmp_lt_i32_e64 s4, 0, v39
	v_ashrrev_i32_e32 v3, 31, v2
	s_and_b32 s1, s4, vcc_lo
	v_lshlrev_b64 v[4:5], 3, v[2:3]
	v_add_co_u32 v26, s0, s10, v4
	v_add_co_ci_u32_e64 v27, null, s11, v5, s0
	v_add_co_u32 v24, s0, s2, v4
	v_add_co_ci_u32_e64 v25, null, s3, v5, s0
	s_and_saveexec_b32 s0, s1
	s_cbranch_execz .LBB539_2
; %bb.1:
	global_load_dwordx2 v[10:11], v[26:27], off
	global_load_dwordx2 v[8:9], v[24:25], off
.LBB539_2:
	s_or_b32 exec_lo, exec_lo, s0
	v_or_b32_e32 v0, 32, v28
	v_cmp_gt_i32_e64 s0, s14, v0
	s_and_b32 s1, s4, s0
	s_xor_b32 s1, s1, -1
	s_and_saveexec_b32 s2, s1
	s_xor_b32 s1, exec_lo, s2
                                        ; implicit-def: $vgpr0_vgpr1
                                        ; implicit-def: $vgpr2_vgpr3
                                        ; implicit-def: $vgpr6_vgpr7
                                        ; implicit-def: $vgpr12_vgpr13
                                        ; implicit-def: $vgpr14_vgpr15
                                        ; implicit-def: $vgpr18_vgpr19
                                        ; implicit-def: $vgpr16_vgpr17
; %bb.3:
	s_mov_b32 s2, 0
                                        ; implicit-def: $vgpr0_vgpr1
                                        ; implicit-def: $vgpr2_vgpr3
                                        ; implicit-def: $vgpr6_vgpr7
                                        ; implicit-def: $vgpr12_vgpr13
                                        ; implicit-def: $vgpr14_vgpr15
                                        ; implicit-def: $vgpr18_vgpr19
	v_mov_b32_e32 v16, s2
	v_mov_b32_e32 v17, s2
; %bb.4:
	s_or_saveexec_b32 s1, s1
	v_mov_b32_e32 v20, 0
	v_mov_b32_e32 v21, 0
	s_xor_b32 exec_lo, exec_lo, s1
	s_cbranch_execz .LBB539_6
; %bb.5:
	global_load_dwordx2 v[16:17], v[26:27], off offset:256
	global_load_dwordx2 v[20:21], v[24:25], off offset:256
.LBB539_6:
	s_or_b32 exec_lo, exec_lo, s1
	v_or_b32_e32 v22, 64, v28
	v_cmp_gt_i32_e64 s1, s14, v22
	s_and_b32 s2, s4, s1
	s_xor_b32 s2, s2, -1
	s_and_saveexec_b32 s3, s2
	s_xor_b32 s2, exec_lo, s3
; %bb.7:
	s_mov_b32 s3, 0
	v_mov_b32_e32 v18, s3
	v_mov_b32_e32 v19, s3
; %bb.8:
	s_or_saveexec_b32 s2, s2
	v_mov_b32_e32 v22, 0
	v_mov_b32_e32 v23, 0
	s_xor_b32 exec_lo, exec_lo, s2
	s_cbranch_execz .LBB539_10
; %bb.9:
	global_load_dwordx2 v[18:19], v[26:27], off offset:512
	global_load_dwordx2 v[22:23], v[24:25], off offset:512
.LBB539_10:
	s_or_b32 exec_lo, exec_lo, s2
	v_or_b32_e32 v29, 0x60, v28
	v_cmp_gt_i32_e64 s2, s14, v29
	s_and_b32 s3, s4, s2
	s_xor_b32 s3, s3, -1
	s_and_saveexec_b32 s5, s3
	s_xor_b32 s3, exec_lo, s5
; %bb.11:
	s_mov_b32 s5, 0
	;; [unrolled: 21-line block ×6, first 2 shown]
                                        ; implicit-def: $vgpr26_vgpr27
                                        ; implicit-def: $vgpr24_vgpr25
	v_mov_b32_e32 v0, s10
	v_mov_b32_e32 v1, s10
; %bb.28:
	s_or_saveexec_b32 s4, s4
	v_mov_b32_e32 v37, 0
	v_mov_b32_e32 v38, 0
	s_xor_b32 exec_lo, exec_lo, s4
	s_cbranch_execz .LBB539_30
; %bb.29:
	global_load_dwordx2 v[0:1], v[26:27], off offset:1792
	global_load_dwordx2 v[37:38], v[24:25], off offset:1792
.LBB539_30:
	s_or_b32 exec_lo, exec_lo, s4
	s_waitcnt vmcnt(1)
	v_add_f64 v[24:25], v[10:11], 0
	v_mbcnt_lo_u32_b32 v28, -1, 0
	s_mov_b32 s10, exec_lo
	v_xor_b32_e32 v26, 16, v28
	v_cmp_gt_i32_e64 s4, 32, v26
	v_cndmask_b32_e64 v26, v28, v26, s4
	v_lshlrev_b32_e32 v27, 2, v26
	v_add_f64 v[24:25], v[24:25], v[16:17]
	v_add_f64 v[24:25], v[24:25], v[18:19]
	;; [unrolled: 1-line block ×7, first 2 shown]
	ds_bpermute_b32 v26, v27, v24
	ds_bpermute_b32 v27, v27, v25
	s_waitcnt lgkmcnt(0)
	v_add_f64 v[24:25], v[24:25], v[26:27]
	v_xor_b32_e32 v26, 8, v28
	v_cmp_gt_i32_e64 s4, 32, v26
	v_cndmask_b32_e64 v26, v28, v26, s4
	v_lshlrev_b32_e32 v27, 2, v26
	ds_bpermute_b32 v26, v27, v24
	ds_bpermute_b32 v27, v27, v25
	s_waitcnt lgkmcnt(0)
	v_add_f64 v[24:25], v[24:25], v[26:27]
	v_xor_b32_e32 v26, 4, v28
	v_cmp_gt_i32_e64 s4, 32, v26
	v_cndmask_b32_e64 v26, v28, v26, s4
	v_lshlrev_b32_e32 v27, 2, v26
	;; [unrolled: 8-line block ×4, first 2 shown]
	ds_bpermute_b32 v26, v27, v24
	ds_bpermute_b32 v27, v27, v25
	v_cmpx_lt_i32_e32 0, v39
	s_cbranch_execz .LBB539_40
; %bb.31:
	s_waitcnt lgkmcnt(0)
	v_add_f64 v[24:25], v[24:25], v[26:27]
	v_add_co_u32 v4, s4, s8, v4
	v_add_co_ci_u32_e64 v5, null, s9, v5, s4
	s_and_saveexec_b32 s4, vcc_lo
	s_cbranch_execnz .LBB539_41
; %bb.32:
	s_or_b32 exec_lo, exec_lo, s4
	s_and_saveexec_b32 s4, s0
	s_cbranch_execnz .LBB539_42
.LBB539_33:
	s_or_b32 exec_lo, exec_lo, s4
	s_and_saveexec_b32 s0, s1
	s_cbranch_execnz .LBB539_43
.LBB539_34:
	s_or_b32 exec_lo, exec_lo, s0
	s_and_saveexec_b32 s0, s2
	s_cbranch_execnz .LBB539_44
.LBB539_35:
	s_or_b32 exec_lo, exec_lo, s0
	s_and_saveexec_b32 s0, s3
	s_cbranch_execnz .LBB539_45
.LBB539_36:
	s_or_b32 exec_lo, exec_lo, s0
	s_and_saveexec_b32 s0, s5
	s_cbranch_execnz .LBB539_46
.LBB539_37:
	s_or_b32 exec_lo, exec_lo, s0
	s_and_saveexec_b32 s0, s6
	s_cbranch_execnz .LBB539_47
.LBB539_38:
	s_or_b32 exec_lo, exec_lo, s0
	s_and_b32 exec_lo, exec_lo, s7
	s_cbranch_execz .LBB539_40
.LBB539_39:
	s_waitcnt vmcnt(0)
	v_fma_f64 v[0:1], -v[24:25], v[37:38], v[0:1]
	global_store_dwordx2 v[4:5], v[0:1], off offset:1792
.LBB539_40:
	s_endpgm
.LBB539_41:
	s_waitcnt vmcnt(0)
	v_fma_f64 v[8:9], -v[24:25], v[8:9], v[10:11]
	global_store_dwordx2 v[4:5], v[8:9], off
	s_or_b32 exec_lo, exec_lo, s4
	s_and_saveexec_b32 s4, s0
	s_cbranch_execz .LBB539_33
.LBB539_42:
	s_waitcnt vmcnt(0)
	v_fma_f64 v[8:9], -v[24:25], v[20:21], v[16:17]
	global_store_dwordx2 v[4:5], v[8:9], off offset:256
	s_or_b32 exec_lo, exec_lo, s4
	s_and_saveexec_b32 s0, s1
	s_cbranch_execz .LBB539_34
.LBB539_43:
	s_waitcnt vmcnt(0)
	v_fma_f64 v[8:9], -v[24:25], v[22:23], v[18:19]
	global_store_dwordx2 v[4:5], v[8:9], off offset:512
	s_or_b32 exec_lo, exec_lo, s0
	s_and_saveexec_b32 s0, s2
	s_cbranch_execz .LBB539_35
.LBB539_44:
	s_waitcnt vmcnt(0)
	v_fma_f64 v[8:9], -v[24:25], v[29:30], v[14:15]
	global_store_dwordx2 v[4:5], v[8:9], off offset:768
	s_or_b32 exec_lo, exec_lo, s0
	s_and_saveexec_b32 s0, s3
	s_cbranch_execz .LBB539_36
.LBB539_45:
	s_waitcnt vmcnt(0)
	v_fma_f64 v[8:9], -v[24:25], v[31:32], v[12:13]
	global_store_dwordx2 v[4:5], v[8:9], off offset:1024
	s_or_b32 exec_lo, exec_lo, s0
	s_and_saveexec_b32 s0, s5
	s_cbranch_execz .LBB539_37
.LBB539_46:
	s_waitcnt vmcnt(0)
	v_fma_f64 v[6:7], -v[24:25], v[33:34], v[6:7]
	global_store_dwordx2 v[4:5], v[6:7], off offset:1280
	s_or_b32 exec_lo, exec_lo, s0
	s_and_saveexec_b32 s0, s6
	s_cbranch_execz .LBB539_38
.LBB539_47:
	s_waitcnt vmcnt(0)
	v_fma_f64 v[2:3], -v[24:25], v[35:36], v[2:3]
	global_store_dwordx2 v[4:5], v[2:3], off offset:1536
	s_or_b32 exec_lo, exec_lo, s0
	s_and_b32 exec_lo, exec_lo, s7
	s_cbranch_execnz .LBB539_39
	s_branch .LBB539_40
	.section	.rodata,"a",@progbits
	.p2align	6, 0x0
	.amdhsa_kernel _ZN12_GLOBAL__N_121softmax_warp_backwardIdddLi8ELb0ELb0ELi32EEEvPT0_PKT_S5_iiiPKb
		.amdhsa_group_segment_fixed_size 0
		.amdhsa_private_segment_fixed_size 0
		.amdhsa_kernarg_size 304
		.amdhsa_user_sgpr_count 6
		.amdhsa_user_sgpr_private_segment_buffer 1
		.amdhsa_user_sgpr_dispatch_ptr 0
		.amdhsa_user_sgpr_queue_ptr 0
		.amdhsa_user_sgpr_kernarg_segment_ptr 1
		.amdhsa_user_sgpr_dispatch_id 0
		.amdhsa_user_sgpr_flat_scratch_init 0
		.amdhsa_user_sgpr_private_segment_size 0
		.amdhsa_wavefront_size32 1
		.amdhsa_uses_dynamic_stack 0
		.amdhsa_system_sgpr_private_segment_wavefront_offset 0
		.amdhsa_system_sgpr_workgroup_id_x 1
		.amdhsa_system_sgpr_workgroup_id_y 0
		.amdhsa_system_sgpr_workgroup_id_z 0
		.amdhsa_system_sgpr_workgroup_info 0
		.amdhsa_system_vgpr_workitem_id 1
		.amdhsa_next_free_vgpr 40
		.amdhsa_next_free_sgpr 16
		.amdhsa_reserve_vcc 1
		.amdhsa_reserve_flat_scratch 0
		.amdhsa_float_round_mode_32 0
		.amdhsa_float_round_mode_16_64 0
		.amdhsa_float_denorm_mode_32 3
		.amdhsa_float_denorm_mode_16_64 3
		.amdhsa_dx10_clamp 1
		.amdhsa_ieee_mode 1
		.amdhsa_fp16_overflow 0
		.amdhsa_workgroup_processor_mode 1
		.amdhsa_memory_ordered 1
		.amdhsa_forward_progress 1
		.amdhsa_shared_vgpr_count 0
		.amdhsa_exception_fp_ieee_invalid_op 0
		.amdhsa_exception_fp_denorm_src 0
		.amdhsa_exception_fp_ieee_div_zero 0
		.amdhsa_exception_fp_ieee_overflow 0
		.amdhsa_exception_fp_ieee_underflow 0
		.amdhsa_exception_fp_ieee_inexact 0
		.amdhsa_exception_int_div_zero 0
	.end_amdhsa_kernel
	.section	.text._ZN12_GLOBAL__N_121softmax_warp_backwardIdddLi8ELb0ELb0ELi32EEEvPT0_PKT_S5_iiiPKb,"axG",@progbits,_ZN12_GLOBAL__N_121softmax_warp_backwardIdddLi8ELb0ELb0ELi32EEEvPT0_PKT_S5_iiiPKb,comdat
.Lfunc_end539:
	.size	_ZN12_GLOBAL__N_121softmax_warp_backwardIdddLi8ELb0ELb0ELi32EEEvPT0_PKT_S5_iiiPKb, .Lfunc_end539-_ZN12_GLOBAL__N_121softmax_warp_backwardIdddLi8ELb0ELb0ELi32EEEvPT0_PKT_S5_iiiPKb
                                        ; -- End function
	.set _ZN12_GLOBAL__N_121softmax_warp_backwardIdddLi8ELb0ELb0ELi32EEEvPT0_PKT_S5_iiiPKb.num_vgpr, 40
	.set _ZN12_GLOBAL__N_121softmax_warp_backwardIdddLi8ELb0ELb0ELi32EEEvPT0_PKT_S5_iiiPKb.num_agpr, 0
	.set _ZN12_GLOBAL__N_121softmax_warp_backwardIdddLi8ELb0ELb0ELi32EEEvPT0_PKT_S5_iiiPKb.numbered_sgpr, 16
	.set _ZN12_GLOBAL__N_121softmax_warp_backwardIdddLi8ELb0ELb0ELi32EEEvPT0_PKT_S5_iiiPKb.num_named_barrier, 0
	.set _ZN12_GLOBAL__N_121softmax_warp_backwardIdddLi8ELb0ELb0ELi32EEEvPT0_PKT_S5_iiiPKb.private_seg_size, 0
	.set _ZN12_GLOBAL__N_121softmax_warp_backwardIdddLi8ELb0ELb0ELi32EEEvPT0_PKT_S5_iiiPKb.uses_vcc, 1
	.set _ZN12_GLOBAL__N_121softmax_warp_backwardIdddLi8ELb0ELb0ELi32EEEvPT0_PKT_S5_iiiPKb.uses_flat_scratch, 0
	.set _ZN12_GLOBAL__N_121softmax_warp_backwardIdddLi8ELb0ELb0ELi32EEEvPT0_PKT_S5_iiiPKb.has_dyn_sized_stack, 0
	.set _ZN12_GLOBAL__N_121softmax_warp_backwardIdddLi8ELb0ELb0ELi32EEEvPT0_PKT_S5_iiiPKb.has_recursion, 0
	.set _ZN12_GLOBAL__N_121softmax_warp_backwardIdddLi8ELb0ELb0ELi32EEEvPT0_PKT_S5_iiiPKb.has_indirect_call, 0
	.section	.AMDGPU.csdata,"",@progbits
; Kernel info:
; codeLenInByte = 1464
; TotalNumSgprs: 18
; NumVgprs: 40
; ScratchSize: 0
; MemoryBound: 1
; FloatMode: 240
; IeeeMode: 1
; LDSByteSize: 0 bytes/workgroup (compile time only)
; SGPRBlocks: 0
; VGPRBlocks: 4
; NumSGPRsForWavesPerEU: 18
; NumVGPRsForWavesPerEU: 40
; Occupancy: 16
; WaveLimiterHint : 0
; COMPUTE_PGM_RSRC2:SCRATCH_EN: 0
; COMPUTE_PGM_RSRC2:USER_SGPR: 6
; COMPUTE_PGM_RSRC2:TRAP_HANDLER: 0
; COMPUTE_PGM_RSRC2:TGID_X_EN: 1
; COMPUTE_PGM_RSRC2:TGID_Y_EN: 0
; COMPUTE_PGM_RSRC2:TGID_Z_EN: 0
; COMPUTE_PGM_RSRC2:TIDIG_COMP_CNT: 1
	.section	.text._ZN12_GLOBAL__N_121softmax_warp_backwardIdddLi9ELb0ELb0ELi64EEEvPT0_PKT_S5_iiiPKb,"axG",@progbits,_ZN12_GLOBAL__N_121softmax_warp_backwardIdddLi9ELb0ELb0ELi64EEEvPT0_PKT_S5_iiiPKb,comdat
	.globl	_ZN12_GLOBAL__N_121softmax_warp_backwardIdddLi9ELb0ELb0ELi64EEEvPT0_PKT_S5_iiiPKb ; -- Begin function _ZN12_GLOBAL__N_121softmax_warp_backwardIdddLi9ELb0ELb0ELi64EEEvPT0_PKT_S5_iiiPKb
	.p2align	8
	.type	_ZN12_GLOBAL__N_121softmax_warp_backwardIdddLi9ELb0ELb0ELi64EEEvPT0_PKT_S5_iiiPKb,@function
_ZN12_GLOBAL__N_121softmax_warp_backwardIdddLi9ELb0ELb0ELi64EEEvPT0_PKT_S5_iiiPKb: ; @_ZN12_GLOBAL__N_121softmax_warp_backwardIdddLi9ELb0ELb0ELi64EEEvPT0_PKT_S5_iiiPKb
; %bb.0:
	s_clause 0x1
	s_load_dword s0, s[4:5], 0x3c
	s_load_dwordx4 s[12:15], s[4:5], 0x18
	v_and_b32_e32 v30, 63, v0
	s_clause 0x1
	s_load_dwordx4 s[8:11], s[4:5], 0x0
	s_load_dwordx2 s[2:3], s[4:5], 0x10
	v_mov_b32_e32 v6, 0
	v_mov_b32_e32 v8, 0
	;; [unrolled: 1-line block ×4, first 2 shown]
	s_waitcnt lgkmcnt(0)
	s_lshr_b32 s0, s0, 16
	v_cmp_gt_i32_e32 vcc_lo, s14, v30
	v_mad_u64_u32 v[1:2], null, s6, s0, v[1:2]
	v_mad_u64_u32 v[2:3], null, v1, s13, v[30:31]
	v_sub_nc_u32_e32 v39, s12, v1
	v_cmp_lt_i32_e64 s4, 0, v39
	v_ashrrev_i32_e32 v3, 31, v2
	s_and_b32 s1, s4, vcc_lo
	v_lshlrev_b64 v[4:5], 3, v[2:3]
	v_add_co_u32 v26, s0, s10, v4
	v_add_co_ci_u32_e64 v27, null, s11, v5, s0
	v_add_co_u32 v24, s0, s2, v4
	v_add_co_ci_u32_e64 v25, null, s3, v5, s0
	s_and_saveexec_b32 s0, s1
	s_cbranch_execz .LBB540_2
; %bb.1:
	global_load_dwordx2 v[8:9], v[26:27], off
	global_load_dwordx2 v[6:7], v[24:25], off
.LBB540_2:
	s_or_b32 exec_lo, exec_lo, s0
	v_or_b32_e32 v0, 64, v30
	v_cmp_gt_i32_e64 s0, s14, v0
	s_and_b32 s1, s4, s0
	s_xor_b32 s1, s1, -1
	s_and_saveexec_b32 s2, s1
	s_xor_b32 s1, exec_lo, s2
                                        ; implicit-def: $vgpr0_vgpr1
                                        ; implicit-def: $vgpr2_vgpr3
                                        ; implicit-def: $vgpr10_vgpr11
                                        ; implicit-def: $vgpr12_vgpr13
                                        ; implicit-def: $vgpr14_vgpr15
                                        ; implicit-def: $vgpr18_vgpr19
                                        ; implicit-def: $vgpr16_vgpr17
; %bb.3:
	s_mov_b32 s2, 0
                                        ; implicit-def: $vgpr0_vgpr1
                                        ; implicit-def: $vgpr2_vgpr3
                                        ; implicit-def: $vgpr10_vgpr11
                                        ; implicit-def: $vgpr12_vgpr13
                                        ; implicit-def: $vgpr14_vgpr15
                                        ; implicit-def: $vgpr18_vgpr19
	v_mov_b32_e32 v16, s2
	v_mov_b32_e32 v17, s2
; %bb.4:
	s_or_saveexec_b32 s1, s1
	v_mov_b32_e32 v20, 0
	v_mov_b32_e32 v21, 0
	s_xor_b32 exec_lo, exec_lo, s1
	s_cbranch_execz .LBB540_6
; %bb.5:
	global_load_dwordx2 v[16:17], v[26:27], off offset:512
	global_load_dwordx2 v[20:21], v[24:25], off offset:512
.LBB540_6:
	s_or_b32 exec_lo, exec_lo, s1
	v_or_b32_e32 v22, 0x80, v30
	v_cmp_gt_i32_e64 s1, s14, v22
	s_and_b32 s2, s4, s1
	s_xor_b32 s2, s2, -1
	s_and_saveexec_b32 s3, s2
	s_xor_b32 s2, exec_lo, s3
; %bb.7:
	s_mov_b32 s3, 0
	v_mov_b32_e32 v18, s3
	v_mov_b32_e32 v19, s3
; %bb.8:
	s_or_saveexec_b32 s2, s2
	v_mov_b32_e32 v22, 0
	v_mov_b32_e32 v23, 0
	s_xor_b32 exec_lo, exec_lo, s2
	s_cbranch_execz .LBB540_10
; %bb.9:
	global_load_dwordx2 v[18:19], v[26:27], off offset:1024
	global_load_dwordx2 v[22:23], v[24:25], off offset:1024
.LBB540_10:
	s_or_b32 exec_lo, exec_lo, s2
	v_or_b32_e32 v28, 0xc0, v30
	v_cmp_gt_i32_e64 s2, s14, v28
	s_and_b32 s3, s4, s2
	s_xor_b32 s3, s3, -1
	s_and_saveexec_b32 s5, s3
	s_xor_b32 s3, exec_lo, s5
; %bb.11:
	s_mov_b32 s5, 0
	;; [unrolled: 21-line block ×3, first 2 shown]
	v_mov_b32_e32 v12, s6
	v_mov_b32_e32 v13, s6
; %bb.16:
	s_or_saveexec_b32 s6, s5
	v_mov_b32_e32 v31, 0
	v_mov_b32_e32 v32, 0
	s_xor_b32 exec_lo, exec_lo, s6
	s_cbranch_execz .LBB540_18
; %bb.17:
	v_add_co_u32 v12, s5, 0x800, v26
	v_add_co_ci_u32_e64 v13, null, 0, v27, s5
	v_add_co_u32 v31, s5, 0x800, v24
	v_add_co_ci_u32_e64 v32, null, 0, v25, s5
	global_load_dwordx2 v[12:13], v[12:13], off
	global_load_dwordx2 v[31:32], v[31:32], off
.LBB540_18:
	s_or_b32 exec_lo, exec_lo, s6
	v_or_b32_e32 v33, 0x140, v30
	v_cmp_gt_i32_e64 s5, s14, v33
	s_and_b32 s6, s4, s5
	s_xor_b32 s6, s6, -1
	s_and_saveexec_b32 s7, s6
	s_xor_b32 s6, exec_lo, s7
; %bb.19:
	s_mov_b32 s7, 0
	v_mov_b32_e32 v10, s7
	v_mov_b32_e32 v11, s7
; %bb.20:
	s_or_saveexec_b32 s7, s6
	v_mov_b32_e32 v33, 0
	v_mov_b32_e32 v34, 0
	s_xor_b32 exec_lo, exec_lo, s7
	s_cbranch_execz .LBB540_22
; %bb.21:
	v_add_co_u32 v10, s6, 0x800, v26
	v_add_co_ci_u32_e64 v11, null, 0, v27, s6
	v_add_co_u32 v33, s6, 0x800, v24
	v_add_co_ci_u32_e64 v34, null, 0, v25, s6
	global_load_dwordx2 v[10:11], v[10:11], off offset:512
	global_load_dwordx2 v[33:34], v[33:34], off offset:512
.LBB540_22:
	s_or_b32 exec_lo, exec_lo, s7
	v_or_b32_e32 v35, 0x180, v30
	v_cmp_gt_i32_e64 s6, s14, v35
	s_and_b32 s7, s4, s6
	s_xor_b32 s7, s7, -1
	s_and_saveexec_b32 s10, s7
	s_xor_b32 s7, exec_lo, s10
; %bb.23:
	s_mov_b32 s10, 0
	v_mov_b32_e32 v2, s10
	v_mov_b32_e32 v3, s10
; %bb.24:
	s_or_saveexec_b32 s10, s7
	v_mov_b32_e32 v35, 0
	v_mov_b32_e32 v36, 0
	s_xor_b32 exec_lo, exec_lo, s10
	s_cbranch_execz .LBB540_26
; %bb.25:
	v_add_co_u32 v2, s7, 0x800, v26
	v_add_co_ci_u32_e64 v3, null, 0, v27, s7
	v_add_co_u32 v35, s7, 0x800, v24
	v_add_co_ci_u32_e64 v36, null, 0, v25, s7
	global_load_dwordx2 v[2:3], v[2:3], off offset:1024
	global_load_dwordx2 v[35:36], v[35:36], off offset:1024
.LBB540_26:
	s_or_b32 exec_lo, exec_lo, s10
	v_or_b32_e32 v30, 0x1c0, v30
	v_cmp_gt_i32_e64 s7, s14, v30
	s_and_b32 s4, s4, s7
	s_xor_b32 s4, s4, -1
	s_and_saveexec_b32 s10, s4
	s_xor_b32 s4, exec_lo, s10
; %bb.27:
	s_mov_b32 s10, 0
                                        ; implicit-def: $vgpr26
                                        ; implicit-def: $vgpr24
	v_mov_b32_e32 v0, s10
	v_mov_b32_e32 v1, s10
; %bb.28:
	s_or_saveexec_b32 s10, s4
	v_mov_b32_e32 v37, 0
	v_mov_b32_e32 v38, 0
	s_xor_b32 exec_lo, exec_lo, s10
	s_cbranch_execz .LBB540_30
; %bb.29:
	v_add_co_u32 v0, s4, 0x800, v26
	v_add_co_ci_u32_e64 v1, null, 0, v27, s4
	v_add_co_u32 v24, s4, 0x800, v24
	v_add_co_ci_u32_e64 v25, null, 0, v25, s4
	global_load_dwordx2 v[0:1], v[0:1], off offset:1536
	global_load_dwordx2 v[37:38], v[24:25], off offset:1536
.LBB540_30:
	s_or_b32 exec_lo, exec_lo, s10
	s_waitcnt vmcnt(1)
	v_add_f64 v[24:25], v[8:9], 0
	v_mbcnt_lo_u32_b32 v30, -1, 0
	s_mov_b32 s10, exec_lo
	v_or_b32_e32 v26, 32, v30
	v_cmp_gt_i32_e64 s4, 64, v26
	v_cndmask_b32_e64 v26, v30, v26, s4
	v_lshlrev_b32_e32 v27, 2, v26
	v_add_f64 v[24:25], v[24:25], v[16:17]
	v_add_f64 v[24:25], v[24:25], v[18:19]
	;; [unrolled: 1-line block ×7, first 2 shown]
	ds_bpermute_b32 v26, v27, v24
	ds_bpermute_b32 v27, v27, v25
	s_waitcnt lgkmcnt(0)
	v_add_f64 v[24:25], v[24:25], v[26:27]
	v_xor_b32_e32 v26, 16, v30
	v_cmp_gt_i32_e64 s4, 64, v26
	v_cndmask_b32_e64 v26, v30, v26, s4
	v_lshlrev_b32_e32 v27, 2, v26
	ds_bpermute_b32 v26, v27, v24
	ds_bpermute_b32 v27, v27, v25
	s_waitcnt lgkmcnt(0)
	v_add_f64 v[24:25], v[24:25], v[26:27]
	v_xor_b32_e32 v26, 8, v30
	v_cmp_gt_i32_e64 s4, 64, v26
	v_cndmask_b32_e64 v26, v30, v26, s4
	v_lshlrev_b32_e32 v27, 2, v26
	;; [unrolled: 8-line block ×5, first 2 shown]
	ds_bpermute_b32 v26, v27, v24
	ds_bpermute_b32 v27, v27, v25
	v_cmpx_lt_i32_e32 0, v39
	s_cbranch_execz .LBB540_40
; %bb.31:
	s_waitcnt lgkmcnt(0)
	v_add_f64 v[24:25], v[24:25], v[26:27]
	v_add_co_u32 v4, s4, s8, v4
	v_add_co_ci_u32_e64 v5, null, s9, v5, s4
	s_and_saveexec_b32 s4, vcc_lo
	s_cbranch_execnz .LBB540_41
; %bb.32:
	s_or_b32 exec_lo, exec_lo, s4
	s_and_saveexec_b32 s4, s0
	s_cbranch_execnz .LBB540_42
.LBB540_33:
	s_or_b32 exec_lo, exec_lo, s4
	s_and_saveexec_b32 s0, s1
	s_cbranch_execnz .LBB540_43
.LBB540_34:
	s_or_b32 exec_lo, exec_lo, s0
	s_and_saveexec_b32 s0, s2
	s_cbranch_execnz .LBB540_44
.LBB540_35:
	s_or_b32 exec_lo, exec_lo, s0
	s_and_saveexec_b32 s0, s3
	s_cbranch_execnz .LBB540_45
.LBB540_36:
	s_or_b32 exec_lo, exec_lo, s0
	s_and_saveexec_b32 s0, s5
	s_cbranch_execnz .LBB540_46
.LBB540_37:
	s_or_b32 exec_lo, exec_lo, s0
	s_and_saveexec_b32 s0, s6
	s_cbranch_execnz .LBB540_47
.LBB540_38:
	s_or_b32 exec_lo, exec_lo, s0
	s_and_b32 exec_lo, exec_lo, s7
	s_cbranch_execz .LBB540_40
.LBB540_39:
	s_waitcnt vmcnt(0)
	v_fma_f64 v[0:1], -v[24:25], v[37:38], v[0:1]
	v_add_co_u32 v2, vcc_lo, 0x800, v4
	v_add_co_ci_u32_e64 v3, null, 0, v5, vcc_lo
	global_store_dwordx2 v[2:3], v[0:1], off offset:1536
.LBB540_40:
	s_endpgm
.LBB540_41:
	s_waitcnt vmcnt(0)
	v_fma_f64 v[6:7], -v[24:25], v[6:7], v[8:9]
	global_store_dwordx2 v[4:5], v[6:7], off
	s_or_b32 exec_lo, exec_lo, s4
	s_and_saveexec_b32 s4, s0
	s_cbranch_execz .LBB540_33
.LBB540_42:
	s_waitcnt vmcnt(0)
	v_fma_f64 v[6:7], -v[24:25], v[20:21], v[16:17]
	global_store_dwordx2 v[4:5], v[6:7], off offset:512
	s_or_b32 exec_lo, exec_lo, s4
	s_and_saveexec_b32 s0, s1
	s_cbranch_execz .LBB540_34
.LBB540_43:
	s_waitcnt vmcnt(0)
	v_fma_f64 v[6:7], -v[24:25], v[22:23], v[18:19]
	global_store_dwordx2 v[4:5], v[6:7], off offset:1024
	s_or_b32 exec_lo, exec_lo, s0
	s_and_saveexec_b32 s0, s2
	s_cbranch_execz .LBB540_35
.LBB540_44:
	s_waitcnt vmcnt(0)
	v_fma_f64 v[6:7], -v[24:25], v[28:29], v[14:15]
	global_store_dwordx2 v[4:5], v[6:7], off offset:1536
	s_or_b32 exec_lo, exec_lo, s0
	s_and_saveexec_b32 s0, s3
	s_cbranch_execz .LBB540_36
.LBB540_45:
	s_waitcnt vmcnt(0)
	v_fma_f64 v[6:7], -v[24:25], v[31:32], v[12:13]
	v_add_co_u32 v8, vcc_lo, 0x800, v4
	v_add_co_ci_u32_e64 v9, null, 0, v5, vcc_lo
	global_store_dwordx2 v[8:9], v[6:7], off
	s_or_b32 exec_lo, exec_lo, s0
	s_and_saveexec_b32 s0, s5
	s_cbranch_execz .LBB540_37
.LBB540_46:
	s_waitcnt vmcnt(0)
	v_fma_f64 v[6:7], -v[24:25], v[33:34], v[10:11]
	v_add_co_u32 v8, vcc_lo, 0x800, v4
	v_add_co_ci_u32_e64 v9, null, 0, v5, vcc_lo
	global_store_dwordx2 v[8:9], v[6:7], off offset:512
	s_or_b32 exec_lo, exec_lo, s0
	s_and_saveexec_b32 s0, s6
	s_cbranch_execz .LBB540_38
.LBB540_47:
	s_waitcnt vmcnt(0)
	v_fma_f64 v[2:3], -v[24:25], v[35:36], v[2:3]
	v_add_co_u32 v6, vcc_lo, 0x800, v4
	v_add_co_ci_u32_e64 v7, null, 0, v5, vcc_lo
	global_store_dwordx2 v[6:7], v[2:3], off offset:1024
	s_or_b32 exec_lo, exec_lo, s0
	s_and_b32 exec_lo, exec_lo, s7
	s_cbranch_execnz .LBB540_39
	s_branch .LBB540_40
	.section	.rodata,"a",@progbits
	.p2align	6, 0x0
	.amdhsa_kernel _ZN12_GLOBAL__N_121softmax_warp_backwardIdddLi9ELb0ELb0ELi64EEEvPT0_PKT_S5_iiiPKb
		.amdhsa_group_segment_fixed_size 0
		.amdhsa_private_segment_fixed_size 0
		.amdhsa_kernarg_size 304
		.amdhsa_user_sgpr_count 6
		.amdhsa_user_sgpr_private_segment_buffer 1
		.amdhsa_user_sgpr_dispatch_ptr 0
		.amdhsa_user_sgpr_queue_ptr 0
		.amdhsa_user_sgpr_kernarg_segment_ptr 1
		.amdhsa_user_sgpr_dispatch_id 0
		.amdhsa_user_sgpr_flat_scratch_init 0
		.amdhsa_user_sgpr_private_segment_size 0
		.amdhsa_wavefront_size32 1
		.amdhsa_uses_dynamic_stack 0
		.amdhsa_system_sgpr_private_segment_wavefront_offset 0
		.amdhsa_system_sgpr_workgroup_id_x 1
		.amdhsa_system_sgpr_workgroup_id_y 0
		.amdhsa_system_sgpr_workgroup_id_z 0
		.amdhsa_system_sgpr_workgroup_info 0
		.amdhsa_system_vgpr_workitem_id 1
		.amdhsa_next_free_vgpr 40
		.amdhsa_next_free_sgpr 16
		.amdhsa_reserve_vcc 1
		.amdhsa_reserve_flat_scratch 0
		.amdhsa_float_round_mode_32 0
		.amdhsa_float_round_mode_16_64 0
		.amdhsa_float_denorm_mode_32 3
		.amdhsa_float_denorm_mode_16_64 3
		.amdhsa_dx10_clamp 1
		.amdhsa_ieee_mode 1
		.amdhsa_fp16_overflow 0
		.amdhsa_workgroup_processor_mode 1
		.amdhsa_memory_ordered 1
		.amdhsa_forward_progress 1
		.amdhsa_shared_vgpr_count 0
		.amdhsa_exception_fp_ieee_invalid_op 0
		.amdhsa_exception_fp_denorm_src 0
		.amdhsa_exception_fp_ieee_div_zero 0
		.amdhsa_exception_fp_ieee_overflow 0
		.amdhsa_exception_fp_ieee_underflow 0
		.amdhsa_exception_fp_ieee_inexact 0
		.amdhsa_exception_int_div_zero 0
	.end_amdhsa_kernel
	.section	.text._ZN12_GLOBAL__N_121softmax_warp_backwardIdddLi9ELb0ELb0ELi64EEEvPT0_PKT_S5_iiiPKb,"axG",@progbits,_ZN12_GLOBAL__N_121softmax_warp_backwardIdddLi9ELb0ELb0ELi64EEEvPT0_PKT_S5_iiiPKb,comdat
.Lfunc_end540:
	.size	_ZN12_GLOBAL__N_121softmax_warp_backwardIdddLi9ELb0ELb0ELi64EEEvPT0_PKT_S5_iiiPKb, .Lfunc_end540-_ZN12_GLOBAL__N_121softmax_warp_backwardIdddLi9ELb0ELb0ELi64EEEvPT0_PKT_S5_iiiPKb
                                        ; -- End function
	.set _ZN12_GLOBAL__N_121softmax_warp_backwardIdddLi9ELb0ELb0ELi64EEEvPT0_PKT_S5_iiiPKb.num_vgpr, 40
	.set _ZN12_GLOBAL__N_121softmax_warp_backwardIdddLi9ELb0ELb0ELi64EEEvPT0_PKT_S5_iiiPKb.num_agpr, 0
	.set _ZN12_GLOBAL__N_121softmax_warp_backwardIdddLi9ELb0ELb0ELi64EEEvPT0_PKT_S5_iiiPKb.numbered_sgpr, 16
	.set _ZN12_GLOBAL__N_121softmax_warp_backwardIdddLi9ELb0ELb0ELi64EEEvPT0_PKT_S5_iiiPKb.num_named_barrier, 0
	.set _ZN12_GLOBAL__N_121softmax_warp_backwardIdddLi9ELb0ELb0ELi64EEEvPT0_PKT_S5_iiiPKb.private_seg_size, 0
	.set _ZN12_GLOBAL__N_121softmax_warp_backwardIdddLi9ELb0ELb0ELi64EEEvPT0_PKT_S5_iiiPKb.uses_vcc, 1
	.set _ZN12_GLOBAL__N_121softmax_warp_backwardIdddLi9ELb0ELb0ELi64EEEvPT0_PKT_S5_iiiPKb.uses_flat_scratch, 0
	.set _ZN12_GLOBAL__N_121softmax_warp_backwardIdddLi9ELb0ELb0ELi64EEEvPT0_PKT_S5_iiiPKb.has_dyn_sized_stack, 0
	.set _ZN12_GLOBAL__N_121softmax_warp_backwardIdddLi9ELb0ELb0ELi64EEEvPT0_PKT_S5_iiiPKb.has_recursion, 0
	.set _ZN12_GLOBAL__N_121softmax_warp_backwardIdddLi9ELb0ELb0ELi64EEEvPT0_PKT_S5_iiiPKb.has_indirect_call, 0
	.section	.AMDGPU.csdata,"",@progbits
; Kernel info:
; codeLenInByte = 1760
; TotalNumSgprs: 18
; NumVgprs: 40
; ScratchSize: 0
; MemoryBound: 1
; FloatMode: 240
; IeeeMode: 1
; LDSByteSize: 0 bytes/workgroup (compile time only)
; SGPRBlocks: 0
; VGPRBlocks: 4
; NumSGPRsForWavesPerEU: 18
; NumVGPRsForWavesPerEU: 40
; Occupancy: 16
; WaveLimiterHint : 0
; COMPUTE_PGM_RSRC2:SCRATCH_EN: 0
; COMPUTE_PGM_RSRC2:USER_SGPR: 6
; COMPUTE_PGM_RSRC2:TRAP_HANDLER: 0
; COMPUTE_PGM_RSRC2:TGID_X_EN: 1
; COMPUTE_PGM_RSRC2:TGID_Y_EN: 0
; COMPUTE_PGM_RSRC2:TGID_Z_EN: 0
; COMPUTE_PGM_RSRC2:TIDIG_COMP_CNT: 1
	.section	.text._ZN12_GLOBAL__N_121softmax_warp_backwardIdddLi9ELb0ELb0ELi32EEEvPT0_PKT_S5_iiiPKb,"axG",@progbits,_ZN12_GLOBAL__N_121softmax_warp_backwardIdddLi9ELb0ELb0ELi32EEEvPT0_PKT_S5_iiiPKb,comdat
	.globl	_ZN12_GLOBAL__N_121softmax_warp_backwardIdddLi9ELb0ELb0ELi32EEEvPT0_PKT_S5_iiiPKb ; -- Begin function _ZN12_GLOBAL__N_121softmax_warp_backwardIdddLi9ELb0ELb0ELi32EEEvPT0_PKT_S5_iiiPKb
	.p2align	8
	.type	_ZN12_GLOBAL__N_121softmax_warp_backwardIdddLi9ELb0ELb0ELi32EEEvPT0_PKT_S5_iiiPKb,@function
_ZN12_GLOBAL__N_121softmax_warp_backwardIdddLi9ELb0ELb0ELi32EEEvPT0_PKT_S5_iiiPKb: ; @_ZN12_GLOBAL__N_121softmax_warp_backwardIdddLi9ELb0ELb0ELi32EEEvPT0_PKT_S5_iiiPKb
; %bb.0:
	s_clause 0x1
	s_load_dword s0, s[4:5], 0x3c
	s_load_dwordx4 s[20:23], s[4:5], 0x18
	v_and_b32_e32 v46, 31, v0
	s_clause 0x1
	s_load_dwordx4 s[16:19], s[4:5], 0x0
	s_load_dwordx2 s[2:3], s[4:5], 0x10
	v_mov_b32_e32 v20, 0
	v_mov_b32_e32 v24, 0
	v_mov_b32_e32 v21, 0
	v_mov_b32_e32 v25, 0
	s_waitcnt lgkmcnt(0)
	s_lshr_b32 s0, s0, 16
	v_cmp_gt_i32_e32 vcc_lo, s22, v46
	v_mad_u64_u32 v[1:2], null, s6, s0, v[1:2]
	v_mad_u64_u32 v[2:3], null, v1, s21, v[46:47]
	v_sub_nc_u32_e32 v71, s20, v1
	v_cmp_lt_i32_e64 s4, 0, v71
	v_ashrrev_i32_e32 v3, 31, v2
	s_and_b32 s1, s4, vcc_lo
	v_lshlrev_b64 v[18:19], 3, v[2:3]
	v_add_co_u32 v44, s0, s18, v18
	v_add_co_ci_u32_e64 v45, null, s19, v19, s0
	v_add_co_u32 v40, s0, s2, v18
	v_add_co_ci_u32_e64 v41, null, s3, v19, s0
	s_and_saveexec_b32 s0, s1
	s_cbranch_execz .LBB541_2
; %bb.1:
	global_load_dwordx2 v[24:25], v[44:45], off
	global_load_dwordx2 v[20:21], v[40:41], off
.LBB541_2:
	s_or_b32 exec_lo, exec_lo, s0
	v_or_b32_e32 v0, 32, v46
	v_cmp_gt_i32_e64 s0, s22, v0
	s_and_b32 s1, s4, s0
	s_xor_b32 s1, s1, -1
	s_and_saveexec_b32 s2, s1
	s_xor_b32 s1, exec_lo, s2
                                        ; implicit-def: $vgpr0_vgpr1
                                        ; implicit-def: $vgpr2_vgpr3
                                        ; implicit-def: $vgpr4_vgpr5
                                        ; implicit-def: $vgpr6_vgpr7
                                        ; implicit-def: $vgpr8_vgpr9
                                        ; implicit-def: $vgpr10_vgpr11
                                        ; implicit-def: $vgpr12_vgpr13
                                        ; implicit-def: $vgpr14_vgpr15
                                        ; implicit-def: $vgpr16_vgpr17
                                        ; implicit-def: $vgpr22_vgpr23
                                        ; implicit-def: $vgpr26_vgpr27
                                        ; implicit-def: $vgpr28_vgpr29
                                        ; implicit-def: $vgpr30_vgpr31
                                        ; implicit-def: $vgpr34_vgpr35
                                        ; implicit-def: $vgpr32_vgpr33
; %bb.3:
	s_mov_b32 s2, 0
                                        ; implicit-def: $vgpr0_vgpr1
                                        ; implicit-def: $vgpr2_vgpr3
                                        ; implicit-def: $vgpr4_vgpr5
                                        ; implicit-def: $vgpr6_vgpr7
                                        ; implicit-def: $vgpr8_vgpr9
                                        ; implicit-def: $vgpr10_vgpr11
                                        ; implicit-def: $vgpr12_vgpr13
                                        ; implicit-def: $vgpr14_vgpr15
                                        ; implicit-def: $vgpr16_vgpr17
                                        ; implicit-def: $vgpr22_vgpr23
                                        ; implicit-def: $vgpr26_vgpr27
                                        ; implicit-def: $vgpr28_vgpr29
                                        ; implicit-def: $vgpr30_vgpr31
                                        ; implicit-def: $vgpr34_vgpr35
	v_mov_b32_e32 v32, s2
	v_mov_b32_e32 v33, s2
; %bb.4:
	s_or_saveexec_b32 s1, s1
	v_mov_b32_e32 v36, 0
	v_mov_b32_e32 v37, 0
	s_xor_b32 exec_lo, exec_lo, s1
	s_cbranch_execz .LBB541_6
; %bb.5:
	global_load_dwordx2 v[32:33], v[44:45], off offset:256
	global_load_dwordx2 v[36:37], v[40:41], off offset:256
.LBB541_6:
	s_or_b32 exec_lo, exec_lo, s1
	v_or_b32_e32 v38, 64, v46
	v_cmp_gt_i32_e64 s1, s22, v38
	s_and_b32 s2, s4, s1
	s_xor_b32 s2, s2, -1
	s_and_saveexec_b32 s3, s2
	s_xor_b32 s2, exec_lo, s3
; %bb.7:
	s_mov_b32 s3, 0
	v_mov_b32_e32 v34, s3
	v_mov_b32_e32 v35, s3
; %bb.8:
	s_or_saveexec_b32 s2, s2
	v_mov_b32_e32 v38, 0
	v_mov_b32_e32 v39, 0
	s_xor_b32 exec_lo, exec_lo, s2
	s_cbranch_execz .LBB541_10
; %bb.9:
	global_load_dwordx2 v[34:35], v[44:45], off offset:512
	global_load_dwordx2 v[38:39], v[40:41], off offset:512
.LBB541_10:
	s_or_b32 exec_lo, exec_lo, s2
	v_or_b32_e32 v42, 0x60, v46
	v_cmp_gt_i32_e64 s2, s22, v42
	s_and_b32 s3, s4, s2
	s_xor_b32 s3, s3, -1
	s_and_saveexec_b32 s5, s3
	s_xor_b32 s3, exec_lo, s5
; %bb.11:
	s_mov_b32 s5, 0
	v_mov_b32_e32 v30, s5
	v_mov_b32_e32 v31, s5
; %bb.12:
	s_or_saveexec_b32 s3, s3
	v_mov_b32_e32 v42, 0
	v_mov_b32_e32 v43, 0
	s_xor_b32 exec_lo, exec_lo, s3
	s_cbranch_execz .LBB541_14
; %bb.13:
	global_load_dwordx2 v[30:31], v[44:45], off offset:768
	global_load_dwordx2 v[42:43], v[40:41], off offset:768
.LBB541_14:
	s_or_b32 exec_lo, exec_lo, s3
	v_or_b32_e32 v47, 0x80, v46
	v_cmp_gt_i32_e64 s3, s22, v47
	s_and_b32 s5, s4, s3
	s_xor_b32 s5, s5, -1
	s_and_saveexec_b32 s6, s5
	s_xor_b32 s5, exec_lo, s6
; %bb.15:
	s_mov_b32 s6, 0
	v_mov_b32_e32 v28, s6
	v_mov_b32_e32 v29, s6
; %bb.16:
	s_or_saveexec_b32 s5, s5
	v_mov_b32_e32 v47, 0
	v_mov_b32_e32 v48, 0
	s_xor_b32 exec_lo, exec_lo, s5
	s_cbranch_execz .LBB541_18
; %bb.17:
	global_load_dwordx2 v[28:29], v[44:45], off offset:1024
	global_load_dwordx2 v[47:48], v[40:41], off offset:1024
.LBB541_18:
	s_or_b32 exec_lo, exec_lo, s5
	v_or_b32_e32 v49, 0xa0, v46
	v_cmp_gt_i32_e64 s5, s22, v49
	s_and_b32 s6, s4, s5
	s_xor_b32 s6, s6, -1
	s_and_saveexec_b32 s7, s6
	s_xor_b32 s6, exec_lo, s7
; %bb.19:
	s_mov_b32 s7, 0
	v_mov_b32_e32 v26, s7
	v_mov_b32_e32 v27, s7
; %bb.20:
	s_or_saveexec_b32 s6, s6
	v_mov_b32_e32 v49, 0
	v_mov_b32_e32 v50, 0
	s_xor_b32 exec_lo, exec_lo, s6
	s_cbranch_execz .LBB541_22
; %bb.21:
	global_load_dwordx2 v[26:27], v[44:45], off offset:1280
	global_load_dwordx2 v[49:50], v[40:41], off offset:1280
.LBB541_22:
	s_or_b32 exec_lo, exec_lo, s6
	v_or_b32_e32 v51, 0xc0, v46
	v_cmp_gt_i32_e64 s6, s22, v51
	s_and_b32 s7, s4, s6
	s_xor_b32 s7, s7, -1
	s_and_saveexec_b32 s8, s7
	s_xor_b32 s7, exec_lo, s8
; %bb.23:
	s_mov_b32 s8, 0
	v_mov_b32_e32 v22, s8
	v_mov_b32_e32 v23, s8
; %bb.24:
	s_or_saveexec_b32 s7, s7
	v_mov_b32_e32 v51, 0
	v_mov_b32_e32 v52, 0
	s_xor_b32 exec_lo, exec_lo, s7
	s_cbranch_execz .LBB541_26
; %bb.25:
	global_load_dwordx2 v[22:23], v[44:45], off offset:1536
	global_load_dwordx2 v[51:52], v[40:41], off offset:1536
.LBB541_26:
	s_or_b32 exec_lo, exec_lo, s7
	v_or_b32_e32 v53, 0xe0, v46
	v_cmp_gt_i32_e64 s7, s22, v53
	s_and_b32 s8, s4, s7
	s_xor_b32 s8, s8, -1
	s_and_saveexec_b32 s9, s8
	s_xor_b32 s8, exec_lo, s9
; %bb.27:
	s_mov_b32 s9, 0
	v_mov_b32_e32 v16, s9
	v_mov_b32_e32 v17, s9
; %bb.28:
	s_or_saveexec_b32 s8, s8
	v_mov_b32_e32 v53, 0
	v_mov_b32_e32 v54, 0
	s_xor_b32 exec_lo, exec_lo, s8
	s_cbranch_execz .LBB541_30
; %bb.29:
	global_load_dwordx2 v[16:17], v[44:45], off offset:1792
	global_load_dwordx2 v[53:54], v[40:41], off offset:1792
.LBB541_30:
	s_or_b32 exec_lo, exec_lo, s8
	v_or_b32_e32 v55, 0x100, v46
	v_cmp_gt_i32_e64 s8, s22, v55
	s_and_b32 s9, s4, s8
	s_xor_b32 s9, s9, -1
	s_and_saveexec_b32 s10, s9
	s_xor_b32 s9, exec_lo, s10
; %bb.31:
	s_mov_b32 s10, 0
	v_mov_b32_e32 v14, s10
	v_mov_b32_e32 v15, s10
; %bb.32:
	s_or_saveexec_b32 s10, s9
	v_mov_b32_e32 v55, 0
	v_mov_b32_e32 v56, 0
	s_xor_b32 exec_lo, exec_lo, s10
	s_cbranch_execz .LBB541_34
; %bb.33:
	v_add_co_u32 v14, s9, 0x800, v44
	v_add_co_ci_u32_e64 v15, null, 0, v45, s9
	v_add_co_u32 v55, s9, 0x800, v40
	v_add_co_ci_u32_e64 v56, null, 0, v41, s9
	global_load_dwordx2 v[14:15], v[14:15], off
	global_load_dwordx2 v[55:56], v[55:56], off
.LBB541_34:
	s_or_b32 exec_lo, exec_lo, s10
	v_or_b32_e32 v57, 0x120, v46
	v_cmp_gt_i32_e64 s9, s22, v57
	s_and_b32 s10, s4, s9
	s_xor_b32 s10, s10, -1
	s_and_saveexec_b32 s11, s10
	s_xor_b32 s10, exec_lo, s11
; %bb.35:
	s_mov_b32 s11, 0
	v_mov_b32_e32 v12, s11
	v_mov_b32_e32 v13, s11
; %bb.36:
	s_or_saveexec_b32 s11, s10
	v_mov_b32_e32 v57, 0
	v_mov_b32_e32 v58, 0
	s_xor_b32 exec_lo, exec_lo, s11
	s_cbranch_execz .LBB541_38
; %bb.37:
	v_add_co_u32 v12, s10, 0x800, v44
	v_add_co_ci_u32_e64 v13, null, 0, v45, s10
	v_add_co_u32 v57, s10, 0x800, v40
	v_add_co_ci_u32_e64 v58, null, 0, v41, s10
	global_load_dwordx2 v[12:13], v[12:13], off offset:256
	global_load_dwordx2 v[57:58], v[57:58], off offset:256
.LBB541_38:
	s_or_b32 exec_lo, exec_lo, s11
	v_or_b32_e32 v59, 0x140, v46
	v_cmp_gt_i32_e64 s10, s22, v59
	s_and_b32 s11, s4, s10
	s_xor_b32 s11, s11, -1
	s_and_saveexec_b32 s12, s11
	s_xor_b32 s11, exec_lo, s12
; %bb.39:
	s_mov_b32 s12, 0
	v_mov_b32_e32 v10, s12
	v_mov_b32_e32 v11, s12
; %bb.40:
	s_or_saveexec_b32 s12, s11
	v_mov_b32_e32 v59, 0
	v_mov_b32_e32 v60, 0
	s_xor_b32 exec_lo, exec_lo, s12
	s_cbranch_execz .LBB541_42
; %bb.41:
	v_add_co_u32 v10, s11, 0x800, v44
	v_add_co_ci_u32_e64 v11, null, 0, v45, s11
	v_add_co_u32 v59, s11, 0x800, v40
	v_add_co_ci_u32_e64 v60, null, 0, v41, s11
	global_load_dwordx2 v[10:11], v[10:11], off offset:512
	global_load_dwordx2 v[59:60], v[59:60], off offset:512
.LBB541_42:
	;; [unrolled: 25-line block ×6, first 2 shown]
	s_or_b32 exec_lo, exec_lo, s18
	v_or_b32_e32 v46, 0x1e0, v46
	v_cmp_gt_i32_e64 s15, s22, v46
	s_and_b32 s4, s4, s15
	s_xor_b32 s4, s4, -1
	s_and_saveexec_b32 s18, s4
	s_xor_b32 s4, exec_lo, s18
; %bb.59:
	s_mov_b32 s18, 0
                                        ; implicit-def: $vgpr44
                                        ; implicit-def: $vgpr40
	v_mov_b32_e32 v0, s18
	v_mov_b32_e32 v1, s18
; %bb.60:
	s_or_saveexec_b32 s18, s4
	v_mov_b32_e32 v69, 0
	v_mov_b32_e32 v70, 0
	s_xor_b32 exec_lo, exec_lo, s18
	s_cbranch_execz .LBB541_62
; %bb.61:
	v_add_co_u32 v0, s4, 0x800, v44
	v_add_co_ci_u32_e64 v1, null, 0, v45, s4
	v_add_co_u32 v40, s4, 0x800, v40
	v_add_co_ci_u32_e64 v41, null, 0, v41, s4
	global_load_dwordx2 v[0:1], v[0:1], off offset:1792
	global_load_dwordx2 v[69:70], v[40:41], off offset:1792
.LBB541_62:
	s_or_b32 exec_lo, exec_lo, s18
	s_waitcnt vmcnt(1)
	v_add_f64 v[40:41], v[24:25], 0
	v_mbcnt_lo_u32_b32 v46, -1, 0
	s_mov_b32 s18, exec_lo
	v_xor_b32_e32 v44, 16, v46
	v_cmp_gt_i32_e64 s4, 32, v44
	v_cndmask_b32_e64 v44, v46, v44, s4
	v_lshlrev_b32_e32 v45, 2, v44
	v_add_f64 v[40:41], v[40:41], v[32:33]
	v_add_f64 v[40:41], v[40:41], v[34:35]
	;; [unrolled: 1-line block ×15, first 2 shown]
	ds_bpermute_b32 v44, v45, v40
	ds_bpermute_b32 v45, v45, v41
	s_waitcnt lgkmcnt(0)
	v_add_f64 v[40:41], v[40:41], v[44:45]
	v_xor_b32_e32 v44, 8, v46
	v_cmp_gt_i32_e64 s4, 32, v44
	v_cndmask_b32_e64 v44, v46, v44, s4
	v_lshlrev_b32_e32 v45, 2, v44
	ds_bpermute_b32 v44, v45, v40
	ds_bpermute_b32 v45, v45, v41
	s_waitcnt lgkmcnt(0)
	v_add_f64 v[40:41], v[40:41], v[44:45]
	v_xor_b32_e32 v44, 4, v46
	v_cmp_gt_i32_e64 s4, 32, v44
	v_cndmask_b32_e64 v44, v46, v44, s4
	v_lshlrev_b32_e32 v45, 2, v44
	;; [unrolled: 8-line block ×4, first 2 shown]
	ds_bpermute_b32 v44, v45, v40
	ds_bpermute_b32 v45, v45, v41
	v_cmpx_lt_i32_e32 0, v71
	s_cbranch_execz .LBB541_80
; %bb.63:
	s_waitcnt lgkmcnt(0)
	v_add_f64 v[40:41], v[40:41], v[44:45]
	v_add_co_u32 v18, s4, s16, v18
	v_add_co_ci_u32_e64 v19, null, s17, v19, s4
	s_and_saveexec_b32 s4, vcc_lo
	s_cbranch_execnz .LBB541_81
; %bb.64:
	s_or_b32 exec_lo, exec_lo, s4
	s_and_saveexec_b32 s4, s0
	s_cbranch_execnz .LBB541_82
.LBB541_65:
	s_or_b32 exec_lo, exec_lo, s4
	s_and_saveexec_b32 s0, s1
	s_cbranch_execnz .LBB541_83
.LBB541_66:
	s_or_b32 exec_lo, exec_lo, s0
	s_and_saveexec_b32 s0, s2
	s_cbranch_execnz .LBB541_84
.LBB541_67:
	s_or_b32 exec_lo, exec_lo, s0
	s_and_saveexec_b32 s0, s3
	s_cbranch_execnz .LBB541_85
.LBB541_68:
	s_or_b32 exec_lo, exec_lo, s0
	s_and_saveexec_b32 s0, s5
	s_cbranch_execnz .LBB541_86
.LBB541_69:
	s_or_b32 exec_lo, exec_lo, s0
	s_and_saveexec_b32 s0, s6
	s_cbranch_execnz .LBB541_87
.LBB541_70:
	s_or_b32 exec_lo, exec_lo, s0
	s_and_saveexec_b32 s0, s7
	s_cbranch_execnz .LBB541_88
.LBB541_71:
	s_or_b32 exec_lo, exec_lo, s0
	s_and_saveexec_b32 s0, s8
	s_cbranch_execnz .LBB541_89
.LBB541_72:
	s_or_b32 exec_lo, exec_lo, s0
	s_and_saveexec_b32 s0, s9
	s_cbranch_execnz .LBB541_90
.LBB541_73:
	s_or_b32 exec_lo, exec_lo, s0
	s_and_saveexec_b32 s0, s10
	s_cbranch_execnz .LBB541_91
.LBB541_74:
	s_or_b32 exec_lo, exec_lo, s0
	s_and_saveexec_b32 s0, s11
	s_cbranch_execnz .LBB541_92
.LBB541_75:
	s_or_b32 exec_lo, exec_lo, s0
	s_and_saveexec_b32 s0, s12
	s_cbranch_execnz .LBB541_93
.LBB541_76:
	s_or_b32 exec_lo, exec_lo, s0
	s_and_saveexec_b32 s0, s13
	s_cbranch_execnz .LBB541_94
.LBB541_77:
	s_or_b32 exec_lo, exec_lo, s0
	s_and_saveexec_b32 s0, s14
	s_cbranch_execnz .LBB541_95
.LBB541_78:
	s_or_b32 exec_lo, exec_lo, s0
	s_and_b32 exec_lo, exec_lo, s15
	s_cbranch_execz .LBB541_80
.LBB541_79:
	s_waitcnt vmcnt(0)
	v_fma_f64 v[0:1], -v[40:41], v[69:70], v[0:1]
	v_add_co_u32 v2, vcc_lo, 0x800, v18
	v_add_co_ci_u32_e64 v3, null, 0, v19, vcc_lo
	global_store_dwordx2 v[2:3], v[0:1], off offset:1792
.LBB541_80:
	s_endpgm
.LBB541_81:
	s_waitcnt vmcnt(0)
	v_fma_f64 v[20:21], -v[40:41], v[20:21], v[24:25]
	global_store_dwordx2 v[18:19], v[20:21], off
	s_or_b32 exec_lo, exec_lo, s4
	s_and_saveexec_b32 s4, s0
	s_cbranch_execz .LBB541_65
.LBB541_82:
	s_waitcnt vmcnt(0)
	v_fma_f64 v[20:21], -v[40:41], v[36:37], v[32:33]
	global_store_dwordx2 v[18:19], v[20:21], off offset:256
	s_or_b32 exec_lo, exec_lo, s4
	s_and_saveexec_b32 s0, s1
	s_cbranch_execz .LBB541_66
.LBB541_83:
	s_waitcnt vmcnt(0)
	v_fma_f64 v[20:21], -v[40:41], v[38:39], v[34:35]
	global_store_dwordx2 v[18:19], v[20:21], off offset:512
	s_or_b32 exec_lo, exec_lo, s0
	s_and_saveexec_b32 s0, s2
	s_cbranch_execz .LBB541_67
.LBB541_84:
	s_waitcnt vmcnt(0)
	v_fma_f64 v[20:21], -v[40:41], v[42:43], v[30:31]
	global_store_dwordx2 v[18:19], v[20:21], off offset:768
	s_or_b32 exec_lo, exec_lo, s0
	s_and_saveexec_b32 s0, s3
	s_cbranch_execz .LBB541_68
.LBB541_85:
	s_waitcnt vmcnt(0)
	v_fma_f64 v[20:21], -v[40:41], v[47:48], v[28:29]
	global_store_dwordx2 v[18:19], v[20:21], off offset:1024
	s_or_b32 exec_lo, exec_lo, s0
	s_and_saveexec_b32 s0, s5
	s_cbranch_execz .LBB541_69
.LBB541_86:
	s_waitcnt vmcnt(0)
	v_fma_f64 v[20:21], -v[40:41], v[49:50], v[26:27]
	global_store_dwordx2 v[18:19], v[20:21], off offset:1280
	s_or_b32 exec_lo, exec_lo, s0
	s_and_saveexec_b32 s0, s6
	s_cbranch_execz .LBB541_70
.LBB541_87:
	s_waitcnt vmcnt(0)
	v_fma_f64 v[20:21], -v[40:41], v[51:52], v[22:23]
	global_store_dwordx2 v[18:19], v[20:21], off offset:1536
	s_or_b32 exec_lo, exec_lo, s0
	s_and_saveexec_b32 s0, s7
	s_cbranch_execz .LBB541_71
.LBB541_88:
	s_waitcnt vmcnt(0)
	v_fma_f64 v[16:17], -v[40:41], v[53:54], v[16:17]
	global_store_dwordx2 v[18:19], v[16:17], off offset:1792
	s_or_b32 exec_lo, exec_lo, s0
	s_and_saveexec_b32 s0, s8
	s_cbranch_execz .LBB541_72
.LBB541_89:
	s_waitcnt vmcnt(0)
	v_fma_f64 v[14:15], -v[40:41], v[55:56], v[14:15]
	v_add_co_u32 v16, vcc_lo, 0x800, v18
	v_add_co_ci_u32_e64 v17, null, 0, v19, vcc_lo
	global_store_dwordx2 v[16:17], v[14:15], off
	s_or_b32 exec_lo, exec_lo, s0
	s_and_saveexec_b32 s0, s9
	s_cbranch_execz .LBB541_73
.LBB541_90:
	s_waitcnt vmcnt(0)
	v_fma_f64 v[12:13], -v[40:41], v[57:58], v[12:13]
	v_add_co_u32 v14, vcc_lo, 0x800, v18
	v_add_co_ci_u32_e64 v15, null, 0, v19, vcc_lo
	global_store_dwordx2 v[14:15], v[12:13], off offset:256
	s_or_b32 exec_lo, exec_lo, s0
	s_and_saveexec_b32 s0, s10
	s_cbranch_execz .LBB541_74
.LBB541_91:
	s_waitcnt vmcnt(0)
	v_fma_f64 v[10:11], -v[40:41], v[59:60], v[10:11]
	v_add_co_u32 v12, vcc_lo, 0x800, v18
	v_add_co_ci_u32_e64 v13, null, 0, v19, vcc_lo
	global_store_dwordx2 v[12:13], v[10:11], off offset:512
	s_or_b32 exec_lo, exec_lo, s0
	s_and_saveexec_b32 s0, s11
	s_cbranch_execz .LBB541_75
.LBB541_92:
	s_waitcnt vmcnt(0)
	v_fma_f64 v[8:9], -v[40:41], v[61:62], v[8:9]
	v_add_co_u32 v10, vcc_lo, 0x800, v18
	v_add_co_ci_u32_e64 v11, null, 0, v19, vcc_lo
	global_store_dwordx2 v[10:11], v[8:9], off offset:768
	s_or_b32 exec_lo, exec_lo, s0
	s_and_saveexec_b32 s0, s12
	s_cbranch_execz .LBB541_76
.LBB541_93:
	s_waitcnt vmcnt(0)
	v_fma_f64 v[6:7], -v[40:41], v[63:64], v[6:7]
	v_add_co_u32 v8, vcc_lo, 0x800, v18
	v_add_co_ci_u32_e64 v9, null, 0, v19, vcc_lo
	global_store_dwordx2 v[8:9], v[6:7], off offset:1024
	s_or_b32 exec_lo, exec_lo, s0
	s_and_saveexec_b32 s0, s13
	s_cbranch_execz .LBB541_77
.LBB541_94:
	s_waitcnt vmcnt(0)
	v_fma_f64 v[4:5], -v[40:41], v[65:66], v[4:5]
	v_add_co_u32 v6, vcc_lo, 0x800, v18
	v_add_co_ci_u32_e64 v7, null, 0, v19, vcc_lo
	global_store_dwordx2 v[6:7], v[4:5], off offset:1280
	s_or_b32 exec_lo, exec_lo, s0
	s_and_saveexec_b32 s0, s14
	s_cbranch_execz .LBB541_78
.LBB541_95:
	s_waitcnt vmcnt(0)
	v_fma_f64 v[2:3], -v[40:41], v[67:68], v[2:3]
	v_add_co_u32 v4, vcc_lo, 0x800, v18
	v_add_co_ci_u32_e64 v5, null, 0, v19, vcc_lo
	global_store_dwordx2 v[4:5], v[2:3], off offset:1536
	s_or_b32 exec_lo, exec_lo, s0
	s_and_b32 exec_lo, exec_lo, s15
	s_cbranch_execnz .LBB541_79
	s_branch .LBB541_80
	.section	.rodata,"a",@progbits
	.p2align	6, 0x0
	.amdhsa_kernel _ZN12_GLOBAL__N_121softmax_warp_backwardIdddLi9ELb0ELb0ELi32EEEvPT0_PKT_S5_iiiPKb
		.amdhsa_group_segment_fixed_size 0
		.amdhsa_private_segment_fixed_size 0
		.amdhsa_kernarg_size 304
		.amdhsa_user_sgpr_count 6
		.amdhsa_user_sgpr_private_segment_buffer 1
		.amdhsa_user_sgpr_dispatch_ptr 0
		.amdhsa_user_sgpr_queue_ptr 0
		.amdhsa_user_sgpr_kernarg_segment_ptr 1
		.amdhsa_user_sgpr_dispatch_id 0
		.amdhsa_user_sgpr_flat_scratch_init 0
		.amdhsa_user_sgpr_private_segment_size 0
		.amdhsa_wavefront_size32 1
		.amdhsa_uses_dynamic_stack 0
		.amdhsa_system_sgpr_private_segment_wavefront_offset 0
		.amdhsa_system_sgpr_workgroup_id_x 1
		.amdhsa_system_sgpr_workgroup_id_y 0
		.amdhsa_system_sgpr_workgroup_id_z 0
		.amdhsa_system_sgpr_workgroup_info 0
		.amdhsa_system_vgpr_workitem_id 1
		.amdhsa_next_free_vgpr 72
		.amdhsa_next_free_sgpr 24
		.amdhsa_reserve_vcc 1
		.amdhsa_reserve_flat_scratch 0
		.amdhsa_float_round_mode_32 0
		.amdhsa_float_round_mode_16_64 0
		.amdhsa_float_denorm_mode_32 3
		.amdhsa_float_denorm_mode_16_64 3
		.amdhsa_dx10_clamp 1
		.amdhsa_ieee_mode 1
		.amdhsa_fp16_overflow 0
		.amdhsa_workgroup_processor_mode 1
		.amdhsa_memory_ordered 1
		.amdhsa_forward_progress 1
		.amdhsa_shared_vgpr_count 0
		.amdhsa_exception_fp_ieee_invalid_op 0
		.amdhsa_exception_fp_denorm_src 0
		.amdhsa_exception_fp_ieee_div_zero 0
		.amdhsa_exception_fp_ieee_overflow 0
		.amdhsa_exception_fp_ieee_underflow 0
		.amdhsa_exception_fp_ieee_inexact 0
		.amdhsa_exception_int_div_zero 0
	.end_amdhsa_kernel
	.section	.text._ZN12_GLOBAL__N_121softmax_warp_backwardIdddLi9ELb0ELb0ELi32EEEvPT0_PKT_S5_iiiPKb,"axG",@progbits,_ZN12_GLOBAL__N_121softmax_warp_backwardIdddLi9ELb0ELb0ELi32EEEvPT0_PKT_S5_iiiPKb,comdat
.Lfunc_end541:
	.size	_ZN12_GLOBAL__N_121softmax_warp_backwardIdddLi9ELb0ELb0ELi32EEEvPT0_PKT_S5_iiiPKb, .Lfunc_end541-_ZN12_GLOBAL__N_121softmax_warp_backwardIdddLi9ELb0ELb0ELi32EEEvPT0_PKT_S5_iiiPKb
                                        ; -- End function
	.set _ZN12_GLOBAL__N_121softmax_warp_backwardIdddLi9ELb0ELb0ELi32EEEvPT0_PKT_S5_iiiPKb.num_vgpr, 72
	.set _ZN12_GLOBAL__N_121softmax_warp_backwardIdddLi9ELb0ELb0ELi32EEEvPT0_PKT_S5_iiiPKb.num_agpr, 0
	.set _ZN12_GLOBAL__N_121softmax_warp_backwardIdddLi9ELb0ELb0ELi32EEEvPT0_PKT_S5_iiiPKb.numbered_sgpr, 24
	.set _ZN12_GLOBAL__N_121softmax_warp_backwardIdddLi9ELb0ELb0ELi32EEEvPT0_PKT_S5_iiiPKb.num_named_barrier, 0
	.set _ZN12_GLOBAL__N_121softmax_warp_backwardIdddLi9ELb0ELb0ELi32EEEvPT0_PKT_S5_iiiPKb.private_seg_size, 0
	.set _ZN12_GLOBAL__N_121softmax_warp_backwardIdddLi9ELb0ELb0ELi32EEEvPT0_PKT_S5_iiiPKb.uses_vcc, 1
	.set _ZN12_GLOBAL__N_121softmax_warp_backwardIdddLi9ELb0ELb0ELi32EEEvPT0_PKT_S5_iiiPKb.uses_flat_scratch, 0
	.set _ZN12_GLOBAL__N_121softmax_warp_backwardIdddLi9ELb0ELb0ELi32EEEvPT0_PKT_S5_iiiPKb.has_dyn_sized_stack, 0
	.set _ZN12_GLOBAL__N_121softmax_warp_backwardIdddLi9ELb0ELb0ELi32EEEvPT0_PKT_S5_iiiPKb.has_recursion, 0
	.set _ZN12_GLOBAL__N_121softmax_warp_backwardIdddLi9ELb0ELb0ELi32EEEvPT0_PKT_S5_iiiPKb.has_indirect_call, 0
	.section	.AMDGPU.csdata,"",@progbits
; Kernel info:
; codeLenInByte = 3032
; TotalNumSgprs: 26
; NumVgprs: 72
; ScratchSize: 0
; MemoryBound: 0
; FloatMode: 240
; IeeeMode: 1
; LDSByteSize: 0 bytes/workgroup (compile time only)
; SGPRBlocks: 0
; VGPRBlocks: 8
; NumSGPRsForWavesPerEU: 26
; NumVGPRsForWavesPerEU: 72
; Occupancy: 12
; WaveLimiterHint : 0
; COMPUTE_PGM_RSRC2:SCRATCH_EN: 0
; COMPUTE_PGM_RSRC2:USER_SGPR: 6
; COMPUTE_PGM_RSRC2:TRAP_HANDLER: 0
; COMPUTE_PGM_RSRC2:TGID_X_EN: 1
; COMPUTE_PGM_RSRC2:TGID_Y_EN: 0
; COMPUTE_PGM_RSRC2:TGID_Z_EN: 0
; COMPUTE_PGM_RSRC2:TIDIG_COMP_CNT: 1
	.section	.text._ZN12_GLOBAL__N_121softmax_warp_backwardIdddLi10ELb0ELb0ELi64EEEvPT0_PKT_S5_iiiPKb,"axG",@progbits,_ZN12_GLOBAL__N_121softmax_warp_backwardIdddLi10ELb0ELb0ELi64EEEvPT0_PKT_S5_iiiPKb,comdat
	.globl	_ZN12_GLOBAL__N_121softmax_warp_backwardIdddLi10ELb0ELb0ELi64EEEvPT0_PKT_S5_iiiPKb ; -- Begin function _ZN12_GLOBAL__N_121softmax_warp_backwardIdddLi10ELb0ELb0ELi64EEEvPT0_PKT_S5_iiiPKb
	.p2align	8
	.type	_ZN12_GLOBAL__N_121softmax_warp_backwardIdddLi10ELb0ELb0ELi64EEEvPT0_PKT_S5_iiiPKb,@function
_ZN12_GLOBAL__N_121softmax_warp_backwardIdddLi10ELb0ELb0ELi64EEEvPT0_PKT_S5_iiiPKb: ; @_ZN12_GLOBAL__N_121softmax_warp_backwardIdddLi10ELb0ELb0ELi64EEEvPT0_PKT_S5_iiiPKb
; %bb.0:
	s_clause 0x1
	s_load_dword s0, s[4:5], 0x3c
	s_load_dwordx4 s[20:23], s[4:5], 0x18
	v_and_b32_e32 v49, 63, v0
	s_clause 0x1
	s_load_dwordx4 s[16:19], s[4:5], 0x0
	s_load_dwordx2 s[2:3], s[4:5], 0x10
	v_mov_b32_e32 v21, 0
	v_mov_b32_e32 v23, 0
	;; [unrolled: 1-line block ×4, first 2 shown]
	s_waitcnt lgkmcnt(0)
	s_lshr_b32 s0, s0, 16
	v_cmp_gt_i32_e32 vcc_lo, s22, v49
	v_mad_u64_u32 v[1:2], null, s6, s0, v[1:2]
	v_mad_u64_u32 v[2:3], null, v1, s21, v[49:50]
	v_sub_nc_u32_e32 v72, s20, v1
	v_cmp_lt_i32_e64 s4, 0, v72
	v_ashrrev_i32_e32 v3, 31, v2
	s_and_b32 s1, s4, vcc_lo
	v_lshlrev_b64 v[19:20], 3, v[2:3]
	v_add_co_u32 v45, s0, s18, v19
	v_add_co_ci_u32_e64 v46, null, s19, v20, s0
	v_add_co_u32 v43, s0, s2, v19
	v_add_co_ci_u32_e64 v44, null, s3, v20, s0
	s_and_saveexec_b32 s0, s1
	s_cbranch_execz .LBB542_2
; %bb.1:
	global_load_dwordx2 v[23:24], v[45:46], off
	global_load_dwordx2 v[21:22], v[43:44], off
.LBB542_2:
	s_or_b32 exec_lo, exec_lo, s0
	v_or_b32_e32 v1, 64, v49
	v_cmp_gt_i32_e64 s0, s22, v1
	s_and_b32 s1, s4, s0
	s_xor_b32 s1, s1, -1
	s_and_saveexec_b32 s2, s1
	s_xor_b32 s1, exec_lo, s2
                                        ; implicit-def: $vgpr1_vgpr2
                                        ; implicit-def: $vgpr3_vgpr4
                                        ; implicit-def: $vgpr5_vgpr6
                                        ; implicit-def: $vgpr7_vgpr8
                                        ; implicit-def: $vgpr9_vgpr10
                                        ; implicit-def: $vgpr11_vgpr12
                                        ; implicit-def: $vgpr13_vgpr14
                                        ; implicit-def: $vgpr15_vgpr16
                                        ; implicit-def: $vgpr17_vgpr18
                                        ; implicit-def: $vgpr25_vgpr26
                                        ; implicit-def: $vgpr27_vgpr28
                                        ; implicit-def: $vgpr29_vgpr30
                                        ; implicit-def: $vgpr31_vgpr32
                                        ; implicit-def: $vgpr35_vgpr36
                                        ; implicit-def: $vgpr33_vgpr34
; %bb.3:
	s_mov_b32 s2, 0
                                        ; implicit-def: $vgpr1_vgpr2
                                        ; implicit-def: $vgpr3_vgpr4
                                        ; implicit-def: $vgpr5_vgpr6
                                        ; implicit-def: $vgpr7_vgpr8
                                        ; implicit-def: $vgpr9_vgpr10
                                        ; implicit-def: $vgpr11_vgpr12
                                        ; implicit-def: $vgpr13_vgpr14
                                        ; implicit-def: $vgpr15_vgpr16
                                        ; implicit-def: $vgpr17_vgpr18
                                        ; implicit-def: $vgpr25_vgpr26
                                        ; implicit-def: $vgpr27_vgpr28
                                        ; implicit-def: $vgpr29_vgpr30
                                        ; implicit-def: $vgpr31_vgpr32
                                        ; implicit-def: $vgpr35_vgpr36
	v_mov_b32_e32 v33, s2
	v_mov_b32_e32 v34, s2
; %bb.4:
	s_or_saveexec_b32 s1, s1
	v_mov_b32_e32 v37, 0
	v_mov_b32_e32 v38, 0
	s_xor_b32 exec_lo, exec_lo, s1
	s_cbranch_execz .LBB542_6
; %bb.5:
	global_load_dwordx2 v[33:34], v[45:46], off offset:512
	global_load_dwordx2 v[37:38], v[43:44], off offset:512
.LBB542_6:
	s_or_b32 exec_lo, exec_lo, s1
	v_or_b32_e32 v39, 0x80, v49
	v_cmp_gt_i32_e64 s1, s22, v39
	s_and_b32 s2, s4, s1
	s_xor_b32 s2, s2, -1
	s_and_saveexec_b32 s3, s2
	s_xor_b32 s2, exec_lo, s3
; %bb.7:
	s_mov_b32 s3, 0
	v_mov_b32_e32 v35, s3
	v_mov_b32_e32 v36, s3
; %bb.8:
	s_or_saveexec_b32 s2, s2
	v_mov_b32_e32 v39, 0
	v_mov_b32_e32 v40, 0
	s_xor_b32 exec_lo, exec_lo, s2
	s_cbranch_execz .LBB542_10
; %bb.9:
	global_load_dwordx2 v[35:36], v[45:46], off offset:1024
	global_load_dwordx2 v[39:40], v[43:44], off offset:1024
.LBB542_10:
	s_or_b32 exec_lo, exec_lo, s2
	v_or_b32_e32 v41, 0xc0, v49
	v_cmp_gt_i32_e64 s2, s22, v41
	s_and_b32 s3, s4, s2
	s_xor_b32 s3, s3, -1
	s_and_saveexec_b32 s5, s3
	s_xor_b32 s3, exec_lo, s5
; %bb.11:
	s_mov_b32 s5, 0
	;; [unrolled: 21-line block ×3, first 2 shown]
	v_mov_b32_e32 v29, s6
	v_mov_b32_e32 v30, s6
; %bb.16:
	s_or_saveexec_b32 s6, s5
	v_mov_b32_e32 v47, 0
	v_mov_b32_e32 v48, 0
	s_xor_b32 exec_lo, exec_lo, s6
	s_cbranch_execz .LBB542_18
; %bb.17:
	v_add_co_u32 v29, s5, 0x800, v45
	v_add_co_ci_u32_e64 v30, null, 0, v46, s5
	v_add_co_u32 v47, s5, 0x800, v43
	v_add_co_ci_u32_e64 v48, null, 0, v44, s5
	global_load_dwordx2 v[29:30], v[29:30], off
	global_load_dwordx2 v[47:48], v[47:48], off
.LBB542_18:
	s_or_b32 exec_lo, exec_lo, s6
	v_or_b32_e32 v50, 0x140, v49
	v_cmp_gt_i32_e64 s5, s22, v50
	s_and_b32 s6, s4, s5
	s_xor_b32 s6, s6, -1
	s_and_saveexec_b32 s7, s6
	s_xor_b32 s6, exec_lo, s7
; %bb.19:
	s_mov_b32 s7, 0
	v_mov_b32_e32 v27, s7
	v_mov_b32_e32 v28, s7
; %bb.20:
	s_or_saveexec_b32 s7, s6
	v_mov_b32_e32 v50, 0
	v_mov_b32_e32 v51, 0
	s_xor_b32 exec_lo, exec_lo, s7
	s_cbranch_execz .LBB542_22
; %bb.21:
	v_add_co_u32 v27, s6, 0x800, v45
	v_add_co_ci_u32_e64 v28, null, 0, v46, s6
	v_add_co_u32 v50, s6, 0x800, v43
	v_add_co_ci_u32_e64 v51, null, 0, v44, s6
	global_load_dwordx2 v[27:28], v[27:28], off offset:512
	global_load_dwordx2 v[50:51], v[50:51], off offset:512
.LBB542_22:
	s_or_b32 exec_lo, exec_lo, s7
	v_or_b32_e32 v52, 0x180, v49
	v_cmp_gt_i32_e64 s6, s22, v52
	s_and_b32 s7, s4, s6
	s_xor_b32 s7, s7, -1
	s_and_saveexec_b32 s8, s7
	s_xor_b32 s7, exec_lo, s8
; %bb.23:
	s_mov_b32 s8, 0
	v_mov_b32_e32 v25, s8
	v_mov_b32_e32 v26, s8
; %bb.24:
	s_or_saveexec_b32 s8, s7
	v_mov_b32_e32 v52, 0
	v_mov_b32_e32 v53, 0
	s_xor_b32 exec_lo, exec_lo, s8
	s_cbranch_execz .LBB542_26
; %bb.25:
	v_add_co_u32 v25, s7, 0x800, v45
	v_add_co_ci_u32_e64 v26, null, 0, v46, s7
	v_add_co_u32 v52, s7, 0x800, v43
	v_add_co_ci_u32_e64 v53, null, 0, v44, s7
	global_load_dwordx2 v[25:26], v[25:26], off offset:1024
	global_load_dwordx2 v[52:53], v[52:53], off offset:1024
.LBB542_26:
	s_or_b32 exec_lo, exec_lo, s8
	v_or_b32_e32 v54, 0x1c0, v49
	v_cmp_gt_i32_e64 s7, s22, v54
	s_and_b32 s8, s4, s7
	s_xor_b32 s8, s8, -1
	s_and_saveexec_b32 s9, s8
	s_xor_b32 s8, exec_lo, s9
; %bb.27:
	s_mov_b32 s9, 0
	v_mov_b32_e32 v17, s9
	v_mov_b32_e32 v18, s9
; %bb.28:
	s_or_saveexec_b32 s9, s8
	v_mov_b32_e32 v54, 0
	v_mov_b32_e32 v55, 0
	s_xor_b32 exec_lo, exec_lo, s9
	s_cbranch_execz .LBB542_30
; %bb.29:
	v_add_co_u32 v17, s8, 0x800, v45
	v_add_co_ci_u32_e64 v18, null, 0, v46, s8
	v_add_co_u32 v54, s8, 0x800, v43
	v_add_co_ci_u32_e64 v55, null, 0, v44, s8
	global_load_dwordx2 v[17:18], v[17:18], off offset:1536
	global_load_dwordx2 v[54:55], v[54:55], off offset:1536
.LBB542_30:
	s_or_b32 exec_lo, exec_lo, s9
	v_or_b32_e32 v56, 0x200, v49
	v_cmp_gt_i32_e64 s8, s22, v56
	s_and_b32 s9, s4, s8
	s_xor_b32 s9, s9, -1
	s_and_saveexec_b32 s10, s9
	s_xor_b32 s9, exec_lo, s10
; %bb.31:
	s_mov_b32 s10, 0
	v_mov_b32_e32 v15, s10
	v_mov_b32_e32 v16, s10
; %bb.32:
	s_or_saveexec_b32 s10, s9
	v_mov_b32_e32 v56, 0
	v_mov_b32_e32 v57, 0
	s_xor_b32 exec_lo, exec_lo, s10
	s_cbranch_execz .LBB542_34
; %bb.33:
	v_add_co_u32 v15, s9, 0x1000, v45
	v_add_co_ci_u32_e64 v16, null, 0, v46, s9
	v_add_co_u32 v56, s9, 0x1000, v43
	v_add_co_ci_u32_e64 v57, null, 0, v44, s9
	global_load_dwordx2 v[15:16], v[15:16], off
	global_load_dwordx2 v[56:57], v[56:57], off
.LBB542_34:
	s_or_b32 exec_lo, exec_lo, s10
	v_or_b32_e32 v58, 0x240, v49
	v_cmp_gt_i32_e64 s9, s22, v58
	s_and_b32 s10, s4, s9
	s_xor_b32 s10, s10, -1
	s_and_saveexec_b32 s11, s10
	s_xor_b32 s10, exec_lo, s11
; %bb.35:
	s_mov_b32 s11, 0
	v_mov_b32_e32 v13, s11
	v_mov_b32_e32 v14, s11
; %bb.36:
	s_or_saveexec_b32 s11, s10
	v_mov_b32_e32 v58, 0
	v_mov_b32_e32 v59, 0
	s_xor_b32 exec_lo, exec_lo, s11
	s_cbranch_execz .LBB542_38
; %bb.37:
	v_add_co_u32 v13, s10, 0x1000, v45
	v_add_co_ci_u32_e64 v14, null, 0, v46, s10
	v_add_co_u32 v58, s10, 0x1000, v43
	v_add_co_ci_u32_e64 v59, null, 0, v44, s10
	global_load_dwordx2 v[13:14], v[13:14], off offset:512
	global_load_dwordx2 v[58:59], v[58:59], off offset:512
.LBB542_38:
	s_or_b32 exec_lo, exec_lo, s11
	v_or_b32_e32 v60, 0x280, v49
	v_cmp_gt_i32_e64 s10, s22, v60
	s_and_b32 s11, s4, s10
	s_xor_b32 s11, s11, -1
	s_and_saveexec_b32 s12, s11
	s_xor_b32 s11, exec_lo, s12
; %bb.39:
	s_mov_b32 s12, 0
	v_mov_b32_e32 v11, s12
	v_mov_b32_e32 v12, s12
; %bb.40:
	s_or_saveexec_b32 s12, s11
	v_mov_b32_e32 v60, 0
	v_mov_b32_e32 v61, 0
	s_xor_b32 exec_lo, exec_lo, s12
	s_cbranch_execz .LBB542_42
; %bb.41:
	v_add_co_u32 v11, s11, 0x1000, v45
	v_add_co_ci_u32_e64 v12, null, 0, v46, s11
	v_add_co_u32 v60, s11, 0x1000, v43
	v_add_co_ci_u32_e64 v61, null, 0, v44, s11
	global_load_dwordx2 v[11:12], v[11:12], off offset:1024
	global_load_dwordx2 v[60:61], v[60:61], off offset:1024
.LBB542_42:
	;; [unrolled: 25-line block ×3, first 2 shown]
	s_or_b32 exec_lo, exec_lo, s13
	v_or_b32_e32 v64, 0x300, v49
	v_cmp_gt_i32_e64 s12, s22, v64
	s_and_b32 s13, s4, s12
	s_xor_b32 s13, s13, -1
	s_and_saveexec_b32 s14, s13
	s_xor_b32 s13, exec_lo, s14
; %bb.47:
	s_mov_b32 s14, 0
	v_mov_b32_e32 v7, s14
	v_mov_b32_e32 v8, s14
; %bb.48:
	s_or_saveexec_b32 s14, s13
	v_mov_b32_e32 v64, 0
	v_mov_b32_e32 v65, 0
	s_xor_b32 exec_lo, exec_lo, s14
	s_cbranch_execz .LBB542_50
; %bb.49:
	v_add_co_u32 v7, s13, 0x1800, v45
	v_add_co_ci_u32_e64 v8, null, 0, v46, s13
	v_add_co_u32 v64, s13, 0x1800, v43
	v_add_co_ci_u32_e64 v65, null, 0, v44, s13
	global_load_dwordx2 v[7:8], v[7:8], off
	global_load_dwordx2 v[64:65], v[64:65], off
.LBB542_50:
	s_or_b32 exec_lo, exec_lo, s14
	v_or_b32_e32 v66, 0x340, v49
	v_cmp_gt_i32_e64 s13, s22, v66
	s_and_b32 s14, s4, s13
	s_xor_b32 s14, s14, -1
	s_and_saveexec_b32 s15, s14
	s_xor_b32 s14, exec_lo, s15
; %bb.51:
	s_mov_b32 s15, 0
	v_mov_b32_e32 v5, s15
	v_mov_b32_e32 v6, s15
; %bb.52:
	s_or_saveexec_b32 s15, s14
	v_mov_b32_e32 v66, 0
	v_mov_b32_e32 v67, 0
	s_xor_b32 exec_lo, exec_lo, s15
	s_cbranch_execz .LBB542_54
; %bb.53:
	v_add_co_u32 v5, s14, 0x1800, v45
	v_add_co_ci_u32_e64 v6, null, 0, v46, s14
	v_add_co_u32 v66, s14, 0x1800, v43
	v_add_co_ci_u32_e64 v67, null, 0, v44, s14
	global_load_dwordx2 v[5:6], v[5:6], off offset:512
	global_load_dwordx2 v[66:67], v[66:67], off offset:512
.LBB542_54:
	s_or_b32 exec_lo, exec_lo, s15
	v_or_b32_e32 v49, 0x380, v49
	v_cmp_gt_i32_e64 s14, s22, v49
	s_and_b32 s15, s4, s14
	s_xor_b32 s15, s15, -1
	s_and_saveexec_b32 s18, s15
	s_xor_b32 s15, exec_lo, s18
; %bb.55:
	s_mov_b32 s18, 0
	v_mov_b32_e32 v3, s18
	v_mov_b32_e32 v4, s18
; %bb.56:
	s_or_saveexec_b32 s18, s15
	v_mov_b32_e32 v68, 0
	v_mov_b32_e32 v69, 0
	s_xor_b32 exec_lo, exec_lo, s18
	s_cbranch_execz .LBB542_58
; %bb.57:
	v_add_co_u32 v3, s15, 0x1800, v45
	v_add_co_ci_u32_e64 v4, null, 0, v46, s15
	v_add_co_u32 v68, s15, 0x1800, v43
	v_add_co_ci_u32_e64 v69, null, 0, v44, s15
	global_load_dwordx2 v[3:4], v[3:4], off offset:1024
	global_load_dwordx2 v[68:69], v[68:69], off offset:1024
.LBB542_58:
	s_or_b32 exec_lo, exec_lo, s18
	v_or_b32_e32 v0, 0x3c0, v0
	v_cmp_gt_i32_e64 s15, s22, v0
	s_and_b32 s4, s4, s15
	s_xor_b32 s4, s4, -1
	s_and_saveexec_b32 s18, s4
	s_xor_b32 s4, exec_lo, s18
; %bb.59:
	s_mov_b32 s18, 0
                                        ; implicit-def: $vgpr45
                                        ; implicit-def: $vgpr43
	v_mov_b32_e32 v1, s18
	v_mov_b32_e32 v2, s18
; %bb.60:
	s_or_saveexec_b32 s18, s4
	v_mov_b32_e32 v70, 0
	v_mov_b32_e32 v71, 0
	s_xor_b32 exec_lo, exec_lo, s18
	s_cbranch_execz .LBB542_62
; %bb.61:
	v_add_co_u32 v0, s4, 0x1800, v45
	v_add_co_ci_u32_e64 v1, null, 0, v46, s4
	v_add_co_u32 v43, s4, 0x1800, v43
	v_add_co_ci_u32_e64 v44, null, 0, v44, s4
	global_load_dwordx2 v[1:2], v[0:1], off offset:1536
	global_load_dwordx2 v[70:71], v[43:44], off offset:1536
.LBB542_62:
	s_or_b32 exec_lo, exec_lo, s18
	s_waitcnt vmcnt(1)
	v_add_f64 v[43:44], v[23:24], 0
	v_mbcnt_lo_u32_b32 v0, -1, 0
	s_mov_b32 s18, exec_lo
	v_or_b32_e32 v45, 32, v0
	v_cmp_gt_i32_e64 s4, 64, v45
	v_cndmask_b32_e64 v45, v0, v45, s4
	v_lshlrev_b32_e32 v46, 2, v45
	v_add_f64 v[43:44], v[43:44], v[33:34]
	v_add_f64 v[43:44], v[43:44], v[35:36]
	;; [unrolled: 1-line block ×15, first 2 shown]
	ds_bpermute_b32 v45, v46, v43
	ds_bpermute_b32 v46, v46, v44
	s_waitcnt lgkmcnt(0)
	v_add_f64 v[43:44], v[43:44], v[45:46]
	v_xor_b32_e32 v45, 16, v0
	v_cmp_gt_i32_e64 s4, 64, v45
	v_cndmask_b32_e64 v45, v0, v45, s4
	v_lshlrev_b32_e32 v46, 2, v45
	ds_bpermute_b32 v45, v46, v43
	ds_bpermute_b32 v46, v46, v44
	s_waitcnt lgkmcnt(0)
	v_add_f64 v[43:44], v[43:44], v[45:46]
	v_xor_b32_e32 v45, 8, v0
	v_cmp_gt_i32_e64 s4, 64, v45
	v_cndmask_b32_e64 v45, v0, v45, s4
	v_lshlrev_b32_e32 v46, 2, v45
	;; [unrolled: 8-line block ×5, first 2 shown]
	ds_bpermute_b32 v45, v0, v43
	ds_bpermute_b32 v46, v0, v44
	v_cmpx_lt_i32_e32 0, v72
	s_cbranch_execz .LBB542_80
; %bb.63:
	s_waitcnt lgkmcnt(0)
	v_add_f64 v[43:44], v[43:44], v[45:46]
	v_add_co_u32 v19, s4, s16, v19
	v_add_co_ci_u32_e64 v20, null, s17, v20, s4
	s_and_saveexec_b32 s4, vcc_lo
	s_cbranch_execnz .LBB542_81
; %bb.64:
	s_or_b32 exec_lo, exec_lo, s4
	s_and_saveexec_b32 s4, s0
	s_cbranch_execnz .LBB542_82
.LBB542_65:
	s_or_b32 exec_lo, exec_lo, s4
	s_and_saveexec_b32 s0, s1
	s_cbranch_execnz .LBB542_83
.LBB542_66:
	s_or_b32 exec_lo, exec_lo, s0
	s_and_saveexec_b32 s0, s2
	s_cbranch_execnz .LBB542_84
.LBB542_67:
	s_or_b32 exec_lo, exec_lo, s0
	s_and_saveexec_b32 s0, s3
	s_cbranch_execnz .LBB542_85
.LBB542_68:
	s_or_b32 exec_lo, exec_lo, s0
	s_and_saveexec_b32 s0, s5
	s_cbranch_execnz .LBB542_86
.LBB542_69:
	s_or_b32 exec_lo, exec_lo, s0
	s_and_saveexec_b32 s0, s6
	s_cbranch_execnz .LBB542_87
.LBB542_70:
	s_or_b32 exec_lo, exec_lo, s0
	s_and_saveexec_b32 s0, s7
	s_cbranch_execnz .LBB542_88
.LBB542_71:
	s_or_b32 exec_lo, exec_lo, s0
	s_and_saveexec_b32 s0, s8
	s_cbranch_execnz .LBB542_89
.LBB542_72:
	s_or_b32 exec_lo, exec_lo, s0
	s_and_saveexec_b32 s0, s9
	s_cbranch_execnz .LBB542_90
.LBB542_73:
	s_or_b32 exec_lo, exec_lo, s0
	s_and_saveexec_b32 s0, s10
	s_cbranch_execnz .LBB542_91
.LBB542_74:
	s_or_b32 exec_lo, exec_lo, s0
	s_and_saveexec_b32 s0, s11
	s_cbranch_execnz .LBB542_92
.LBB542_75:
	s_or_b32 exec_lo, exec_lo, s0
	s_and_saveexec_b32 s0, s12
	s_cbranch_execnz .LBB542_93
.LBB542_76:
	s_or_b32 exec_lo, exec_lo, s0
	s_and_saveexec_b32 s0, s13
	s_cbranch_execnz .LBB542_94
.LBB542_77:
	s_or_b32 exec_lo, exec_lo, s0
	s_and_saveexec_b32 s0, s14
	s_cbranch_execnz .LBB542_95
.LBB542_78:
	s_or_b32 exec_lo, exec_lo, s0
	s_and_b32 exec_lo, exec_lo, s15
	s_cbranch_execz .LBB542_80
.LBB542_79:
	s_waitcnt vmcnt(0)
	v_fma_f64 v[0:1], -v[43:44], v[70:71], v[1:2]
	v_add_co_u32 v2, vcc_lo, 0x1800, v19
	v_add_co_ci_u32_e64 v3, null, 0, v20, vcc_lo
	global_store_dwordx2 v[2:3], v[0:1], off offset:1536
.LBB542_80:
	s_endpgm
.LBB542_81:
	s_waitcnt vmcnt(0)
	v_fma_f64 v[21:22], -v[43:44], v[21:22], v[23:24]
	global_store_dwordx2 v[19:20], v[21:22], off
	s_or_b32 exec_lo, exec_lo, s4
	s_and_saveexec_b32 s4, s0
	s_cbranch_execz .LBB542_65
.LBB542_82:
	s_waitcnt vmcnt(0)
	v_fma_f64 v[21:22], -v[43:44], v[37:38], v[33:34]
	global_store_dwordx2 v[19:20], v[21:22], off offset:512
	s_or_b32 exec_lo, exec_lo, s4
	s_and_saveexec_b32 s0, s1
	s_cbranch_execz .LBB542_66
.LBB542_83:
	s_waitcnt vmcnt(0)
	v_fma_f64 v[21:22], -v[43:44], v[39:40], v[35:36]
	global_store_dwordx2 v[19:20], v[21:22], off offset:1024
	s_or_b32 exec_lo, exec_lo, s0
	s_and_saveexec_b32 s0, s2
	s_cbranch_execz .LBB542_67
.LBB542_84:
	s_waitcnt vmcnt(0)
	v_fma_f64 v[21:22], -v[43:44], v[41:42], v[31:32]
	global_store_dwordx2 v[19:20], v[21:22], off offset:1536
	s_or_b32 exec_lo, exec_lo, s0
	s_and_saveexec_b32 s0, s3
	s_cbranch_execz .LBB542_68
.LBB542_85:
	s_waitcnt vmcnt(0)
	v_fma_f64 v[21:22], -v[43:44], v[47:48], v[29:30]
	v_add_co_u32 v23, vcc_lo, 0x800, v19
	v_add_co_ci_u32_e64 v24, null, 0, v20, vcc_lo
	global_store_dwordx2 v[23:24], v[21:22], off
	s_or_b32 exec_lo, exec_lo, s0
	s_and_saveexec_b32 s0, s5
	s_cbranch_execz .LBB542_69
.LBB542_86:
	s_waitcnt vmcnt(0)
	v_fma_f64 v[21:22], -v[43:44], v[50:51], v[27:28]
	v_add_co_u32 v23, vcc_lo, 0x800, v19
	v_add_co_ci_u32_e64 v24, null, 0, v20, vcc_lo
	global_store_dwordx2 v[23:24], v[21:22], off offset:512
	s_or_b32 exec_lo, exec_lo, s0
	s_and_saveexec_b32 s0, s6
	s_cbranch_execz .LBB542_70
.LBB542_87:
	s_waitcnt vmcnt(0)
	v_fma_f64 v[21:22], -v[43:44], v[52:53], v[25:26]
	v_add_co_u32 v23, vcc_lo, 0x800, v19
	v_add_co_ci_u32_e64 v24, null, 0, v20, vcc_lo
	global_store_dwordx2 v[23:24], v[21:22], off offset:1024
	s_or_b32 exec_lo, exec_lo, s0
	s_and_saveexec_b32 s0, s7
	s_cbranch_execz .LBB542_71
.LBB542_88:
	s_waitcnt vmcnt(0)
	v_fma_f64 v[17:18], -v[43:44], v[54:55], v[17:18]
	v_add_co_u32 v21, vcc_lo, 0x800, v19
	v_add_co_ci_u32_e64 v22, null, 0, v20, vcc_lo
	global_store_dwordx2 v[21:22], v[17:18], off offset:1536
	s_or_b32 exec_lo, exec_lo, s0
	s_and_saveexec_b32 s0, s8
	s_cbranch_execz .LBB542_72
.LBB542_89:
	s_waitcnt vmcnt(0)
	v_fma_f64 v[15:16], -v[43:44], v[56:57], v[15:16]
	v_add_co_u32 v17, vcc_lo, 0x1000, v19
	v_add_co_ci_u32_e64 v18, null, 0, v20, vcc_lo
	global_store_dwordx2 v[17:18], v[15:16], off
	s_or_b32 exec_lo, exec_lo, s0
	s_and_saveexec_b32 s0, s9
	s_cbranch_execz .LBB542_73
.LBB542_90:
	s_waitcnt vmcnt(0)
	v_fma_f64 v[13:14], -v[43:44], v[58:59], v[13:14]
	v_add_co_u32 v15, vcc_lo, 0x1000, v19
	v_add_co_ci_u32_e64 v16, null, 0, v20, vcc_lo
	global_store_dwordx2 v[15:16], v[13:14], off offset:512
	s_or_b32 exec_lo, exec_lo, s0
	s_and_saveexec_b32 s0, s10
	s_cbranch_execz .LBB542_74
.LBB542_91:
	s_waitcnt vmcnt(0)
	v_fma_f64 v[11:12], -v[43:44], v[60:61], v[11:12]
	v_add_co_u32 v13, vcc_lo, 0x1000, v19
	v_add_co_ci_u32_e64 v14, null, 0, v20, vcc_lo
	global_store_dwordx2 v[13:14], v[11:12], off offset:1024
	s_or_b32 exec_lo, exec_lo, s0
	s_and_saveexec_b32 s0, s11
	s_cbranch_execz .LBB542_75
.LBB542_92:
	s_waitcnt vmcnt(0)
	v_fma_f64 v[9:10], -v[43:44], v[62:63], v[9:10]
	v_add_co_u32 v11, vcc_lo, 0x1000, v19
	v_add_co_ci_u32_e64 v12, null, 0, v20, vcc_lo
	global_store_dwordx2 v[11:12], v[9:10], off offset:1536
	s_or_b32 exec_lo, exec_lo, s0
	s_and_saveexec_b32 s0, s12
	s_cbranch_execz .LBB542_76
.LBB542_93:
	s_waitcnt vmcnt(0)
	v_fma_f64 v[7:8], -v[43:44], v[64:65], v[7:8]
	v_add_co_u32 v9, vcc_lo, 0x1800, v19
	v_add_co_ci_u32_e64 v10, null, 0, v20, vcc_lo
	global_store_dwordx2 v[9:10], v[7:8], off
	s_or_b32 exec_lo, exec_lo, s0
	s_and_saveexec_b32 s0, s13
	s_cbranch_execz .LBB542_77
.LBB542_94:
	s_waitcnt vmcnt(0)
	v_fma_f64 v[5:6], -v[43:44], v[66:67], v[5:6]
	v_add_co_u32 v7, vcc_lo, 0x1800, v19
	v_add_co_ci_u32_e64 v8, null, 0, v20, vcc_lo
	global_store_dwordx2 v[7:8], v[5:6], off offset:512
	s_or_b32 exec_lo, exec_lo, s0
	s_and_saveexec_b32 s0, s14
	s_cbranch_execz .LBB542_78
.LBB542_95:
	s_waitcnt vmcnt(0)
	v_fma_f64 v[3:4], -v[43:44], v[68:69], v[3:4]
	v_add_co_u32 v5, vcc_lo, 0x1800, v19
	v_add_co_ci_u32_e64 v6, null, 0, v20, vcc_lo
	global_store_dwordx2 v[5:6], v[3:4], off offset:1024
	s_or_b32 exec_lo, exec_lo, s0
	s_and_b32 exec_lo, exec_lo, s15
	s_cbranch_execnz .LBB542_79
	s_branch .LBB542_80
	.section	.rodata,"a",@progbits
	.p2align	6, 0x0
	.amdhsa_kernel _ZN12_GLOBAL__N_121softmax_warp_backwardIdddLi10ELb0ELb0ELi64EEEvPT0_PKT_S5_iiiPKb
		.amdhsa_group_segment_fixed_size 0
		.amdhsa_private_segment_fixed_size 0
		.amdhsa_kernarg_size 304
		.amdhsa_user_sgpr_count 6
		.amdhsa_user_sgpr_private_segment_buffer 1
		.amdhsa_user_sgpr_dispatch_ptr 0
		.amdhsa_user_sgpr_queue_ptr 0
		.amdhsa_user_sgpr_kernarg_segment_ptr 1
		.amdhsa_user_sgpr_dispatch_id 0
		.amdhsa_user_sgpr_flat_scratch_init 0
		.amdhsa_user_sgpr_private_segment_size 0
		.amdhsa_wavefront_size32 1
		.amdhsa_uses_dynamic_stack 0
		.amdhsa_system_sgpr_private_segment_wavefront_offset 0
		.amdhsa_system_sgpr_workgroup_id_x 1
		.amdhsa_system_sgpr_workgroup_id_y 0
		.amdhsa_system_sgpr_workgroup_id_z 0
		.amdhsa_system_sgpr_workgroup_info 0
		.amdhsa_system_vgpr_workitem_id 1
		.amdhsa_next_free_vgpr 73
		.amdhsa_next_free_sgpr 24
		.amdhsa_reserve_vcc 1
		.amdhsa_reserve_flat_scratch 0
		.amdhsa_float_round_mode_32 0
		.amdhsa_float_round_mode_16_64 0
		.amdhsa_float_denorm_mode_32 3
		.amdhsa_float_denorm_mode_16_64 3
		.amdhsa_dx10_clamp 1
		.amdhsa_ieee_mode 1
		.amdhsa_fp16_overflow 0
		.amdhsa_workgroup_processor_mode 1
		.amdhsa_memory_ordered 1
		.amdhsa_forward_progress 1
		.amdhsa_shared_vgpr_count 0
		.amdhsa_exception_fp_ieee_invalid_op 0
		.amdhsa_exception_fp_denorm_src 0
		.amdhsa_exception_fp_ieee_div_zero 0
		.amdhsa_exception_fp_ieee_overflow 0
		.amdhsa_exception_fp_ieee_underflow 0
		.amdhsa_exception_fp_ieee_inexact 0
		.amdhsa_exception_int_div_zero 0
	.end_amdhsa_kernel
	.section	.text._ZN12_GLOBAL__N_121softmax_warp_backwardIdddLi10ELb0ELb0ELi64EEEvPT0_PKT_S5_iiiPKb,"axG",@progbits,_ZN12_GLOBAL__N_121softmax_warp_backwardIdddLi10ELb0ELb0ELi64EEEvPT0_PKT_S5_iiiPKb,comdat
.Lfunc_end542:
	.size	_ZN12_GLOBAL__N_121softmax_warp_backwardIdddLi10ELb0ELb0ELi64EEEvPT0_PKT_S5_iiiPKb, .Lfunc_end542-_ZN12_GLOBAL__N_121softmax_warp_backwardIdddLi10ELb0ELb0ELi64EEEvPT0_PKT_S5_iiiPKb
                                        ; -- End function
	.set _ZN12_GLOBAL__N_121softmax_warp_backwardIdddLi10ELb0ELb0ELi64EEEvPT0_PKT_S5_iiiPKb.num_vgpr, 73
	.set _ZN12_GLOBAL__N_121softmax_warp_backwardIdddLi10ELb0ELb0ELi64EEEvPT0_PKT_S5_iiiPKb.num_agpr, 0
	.set _ZN12_GLOBAL__N_121softmax_warp_backwardIdddLi10ELb0ELb0ELi64EEEvPT0_PKT_S5_iiiPKb.numbered_sgpr, 24
	.set _ZN12_GLOBAL__N_121softmax_warp_backwardIdddLi10ELb0ELb0ELi64EEEvPT0_PKT_S5_iiiPKb.num_named_barrier, 0
	.set _ZN12_GLOBAL__N_121softmax_warp_backwardIdddLi10ELb0ELb0ELi64EEEvPT0_PKT_S5_iiiPKb.private_seg_size, 0
	.set _ZN12_GLOBAL__N_121softmax_warp_backwardIdddLi10ELb0ELb0ELi64EEEvPT0_PKT_S5_iiiPKb.uses_vcc, 1
	.set _ZN12_GLOBAL__N_121softmax_warp_backwardIdddLi10ELb0ELb0ELi64EEEvPT0_PKT_S5_iiiPKb.uses_flat_scratch, 0
	.set _ZN12_GLOBAL__N_121softmax_warp_backwardIdddLi10ELb0ELb0ELi64EEEvPT0_PKT_S5_iiiPKb.has_dyn_sized_stack, 0
	.set _ZN12_GLOBAL__N_121softmax_warp_backwardIdddLi10ELb0ELb0ELi64EEEvPT0_PKT_S5_iiiPKb.has_recursion, 0
	.set _ZN12_GLOBAL__N_121softmax_warp_backwardIdddLi10ELb0ELb0ELi64EEEvPT0_PKT_S5_iiiPKb.has_indirect_call, 0
	.section	.AMDGPU.csdata,"",@progbits
; Kernel info:
; codeLenInByte = 3328
; TotalNumSgprs: 26
; NumVgprs: 73
; ScratchSize: 0
; MemoryBound: 0
; FloatMode: 240
; IeeeMode: 1
; LDSByteSize: 0 bytes/workgroup (compile time only)
; SGPRBlocks: 0
; VGPRBlocks: 9
; NumSGPRsForWavesPerEU: 26
; NumVGPRsForWavesPerEU: 73
; Occupancy: 12
; WaveLimiterHint : 0
; COMPUTE_PGM_RSRC2:SCRATCH_EN: 0
; COMPUTE_PGM_RSRC2:USER_SGPR: 6
; COMPUTE_PGM_RSRC2:TRAP_HANDLER: 0
; COMPUTE_PGM_RSRC2:TGID_X_EN: 1
; COMPUTE_PGM_RSRC2:TGID_Y_EN: 0
; COMPUTE_PGM_RSRC2:TGID_Z_EN: 0
; COMPUTE_PGM_RSRC2:TIDIG_COMP_CNT: 1
	.section	.text._ZN12_GLOBAL__N_121softmax_warp_backwardIdddLi10ELb0ELb0ELi32EEEvPT0_PKT_S5_iiiPKb,"axG",@progbits,_ZN12_GLOBAL__N_121softmax_warp_backwardIdddLi10ELb0ELb0ELi32EEEvPT0_PKT_S5_iiiPKb,comdat
	.globl	_ZN12_GLOBAL__N_121softmax_warp_backwardIdddLi10ELb0ELb0ELi32EEEvPT0_PKT_S5_iiiPKb ; -- Begin function _ZN12_GLOBAL__N_121softmax_warp_backwardIdddLi10ELb0ELb0ELi32EEEvPT0_PKT_S5_iiiPKb
	.p2align	8
	.type	_ZN12_GLOBAL__N_121softmax_warp_backwardIdddLi10ELb0ELb0ELi32EEEvPT0_PKT_S5_iiiPKb,@function
_ZN12_GLOBAL__N_121softmax_warp_backwardIdddLi10ELb0ELb0ELi32EEEvPT0_PKT_S5_iiiPKb: ; @_ZN12_GLOBAL__N_121softmax_warp_backwardIdddLi10ELb0ELb0ELi32EEEvPT0_PKT_S5_iiiPKb
; %bb.0:
	s_mov_b64 s[46:47], s[2:3]
	s_mov_b64 s[44:45], s[0:1]
	s_clause 0x1
	s_load_dword s0, s[4:5], 0x3c
	s_load_dwordx4 s[40:43], s[4:5], 0x18
	s_add_u32 s44, s44, s7
	s_addc_u32 s45, s45, 0
	v_and_b32_e32 v51, 31, v0
	s_clause 0x1
	s_load_dwordx4 s[36:39], s[4:5], 0x0
	s_load_dwordx2 s[2:3], s[4:5], 0x10
	s_waitcnt lgkmcnt(0)
	s_lshr_b32 s0, s0, 16
	v_cmp_gt_i32_e32 vcc_lo, s42, v51
	v_mad_u64_u32 v[3:4], null, s6, s0, v[1:2]
	v_mov_b32_e32 v1, 0
	v_mov_b32_e32 v2, 0
	v_mad_u64_u32 v[4:5], null, v3, s41, v[51:52]
	v_sub_nc_u32_e32 v23, s40, v3
	v_cmp_lt_i32_e64 s9, 0, v23
	v_ashrrev_i32_e32 v5, 31, v4
	s_and_b32 s1, s9, vcc_lo
	v_lshlrev_b64 v[7:8], 3, v[4:5]
	v_mov_b32_e32 v3, 0
	v_mov_b32_e32 v5, 0
	v_mov_b32_e32 v4, 0
	v_mov_b32_e32 v6, 0
	buffer_store_dword v5, off, s[44:47], 0 ; 4-byte Folded Spill
	buffer_store_dword v6, off, s[44:47], 0 offset:4 ; 4-byte Folded Spill
	v_add_co_u32 v43, s0, s38, v7
	v_add_co_ci_u32_e64 v44, null, s39, v8, s0
	v_add_co_u32 v41, s0, s2, v7
	v_add_co_ci_u32_e64 v42, null, s3, v8, s0
	s_and_saveexec_b32 s0, s1
	s_cbranch_execz .LBB543_2
; %bb.1:
	global_load_dwordx2 v[3:4], v[43:44], off
	global_load_dwordx2 v[5:6], v[41:42], off
	s_waitcnt vmcnt(0)
	buffer_store_dword v5, off, s[44:47], 0 ; 4-byte Folded Spill
	buffer_store_dword v6, off, s[44:47], 0 offset:4 ; 4-byte Folded Spill
.LBB543_2:
	s_or_b32 exec_lo, exec_lo, s0
	v_or_b32_e32 v5, 32, v51
	v_cmp_gt_i32_e64 s0, s42, v5
	v_mov_b32_e32 v5, 0
	v_mov_b32_e32 v6, 0
	buffer_store_dword v5, off, s[44:47], 0 offset:8 ; 4-byte Folded Spill
	buffer_store_dword v6, off, s[44:47], 0 offset:12 ; 4-byte Folded Spill
	s_and_b32 s2, s9, s0
	s_and_saveexec_b32 s1, s2
	s_cbranch_execz .LBB543_4
; %bb.3:
	global_load_dwordx2 v[1:2], v[43:44], off offset:256
	global_load_dwordx2 v[5:6], v[41:42], off offset:256
	s_waitcnt vmcnt(0)
	buffer_store_dword v5, off, s[44:47], 0 offset:8 ; 4-byte Folded Spill
	buffer_store_dword v6, off, s[44:47], 0 offset:12 ; 4-byte Folded Spill
.LBB543_4:
	s_or_b32 exec_lo, exec_lo, s1
	v_or_b32_e32 v5, 64, v51
	v_mov_b32_e32 v9, 0
	v_mov_b32_e32 v13, 0
	;; [unrolled: 1-line block ×4, first 2 shown]
	v_cmp_gt_i32_e64 s1, s42, v5
	v_mov_b32_e32 v5, 0
	v_mov_b32_e32 v6, 0
	buffer_store_dword v5, off, s[44:47], 0 offset:16 ; 4-byte Folded Spill
	buffer_store_dword v6, off, s[44:47], 0 offset:20 ; 4-byte Folded Spill
	s_and_b32 s3, s9, s1
	s_and_saveexec_b32 s2, s3
	s_cbranch_execz .LBB543_6
; %bb.5:
	global_load_dwordx2 v[13:14], v[43:44], off offset:512
	global_load_dwordx2 v[5:6], v[41:42], off offset:512
	s_waitcnt vmcnt(0)
	buffer_store_dword v5, off, s[44:47], 0 offset:16 ; 4-byte Folded Spill
	buffer_store_dword v6, off, s[44:47], 0 offset:20 ; 4-byte Folded Spill
.LBB543_6:
	s_or_b32 exec_lo, exec_lo, s2
	v_or_b32_e32 v5, 0x60, v51
	v_cmp_gt_i32_e64 s2, s42, v5
	v_mov_b32_e32 v5, 0
	v_mov_b32_e32 v6, 0
	buffer_store_dword v5, off, s[44:47], 0 offset:24 ; 4-byte Folded Spill
	buffer_store_dword v6, off, s[44:47], 0 offset:28 ; 4-byte Folded Spill
	s_and_b32 s4, s9, s2
	s_and_saveexec_b32 s3, s4
	s_cbranch_execz .LBB543_8
; %bb.7:
	global_load_dwordx2 v[9:10], v[43:44], off offset:768
	global_load_dwordx2 v[5:6], v[41:42], off offset:768
	s_waitcnt vmcnt(0)
	buffer_store_dword v5, off, s[44:47], 0 offset:24 ; 4-byte Folded Spill
	buffer_store_dword v6, off, s[44:47], 0 offset:28 ; 4-byte Folded Spill
.LBB543_8:
	s_or_b32 exec_lo, exec_lo, s3
	v_or_b32_e32 v5, 0x80, v51
	v_mov_b32_e32 v17, 0
	v_mov_b32_e32 v21, 0
	;; [unrolled: 1-line block ×4, first 2 shown]
	v_cmp_gt_i32_e64 s3, s42, v5
	v_mov_b32_e32 v5, 0
	v_mov_b32_e32 v6, 0
	buffer_store_dword v5, off, s[44:47], 0 offset:32 ; 4-byte Folded Spill
	buffer_store_dword v6, off, s[44:47], 0 offset:36 ; 4-byte Folded Spill
	s_and_b32 s5, s9, s3
	s_and_saveexec_b32 s4, s5
	s_cbranch_execz .LBB543_10
; %bb.9:
	global_load_dwordx2 v[21:22], v[43:44], off offset:1024
	global_load_dwordx2 v[5:6], v[41:42], off offset:1024
	s_waitcnt vmcnt(0)
	buffer_store_dword v5, off, s[44:47], 0 offset:32 ; 4-byte Folded Spill
	buffer_store_dword v6, off, s[44:47], 0 offset:36 ; 4-byte Folded Spill
.LBB543_10:
	s_or_b32 exec_lo, exec_lo, s4
	v_or_b32_e32 v5, 0xa0, v51
	v_mov_b32_e32 v27, 0
	v_mov_b32_e32 v28, 0
	v_cmp_gt_i32_e64 s4, s42, v5
	s_and_b32 s6, s9, s4
	s_and_saveexec_b32 s5, s6
	s_cbranch_execz .LBB543_12
; %bb.11:
	global_load_dwordx2 v[17:18], v[43:44], off offset:1280
	global_load_dwordx2 v[27:28], v[41:42], off offset:1280
.LBB543_12:
	s_or_b32 exec_lo, exec_lo, s5
	v_or_b32_e32 v5, 0xc0, v51
	v_mov_b32_e32 v25, 0
	v_mov_b32_e32 v29, 0
	;; [unrolled: 1-line block ×4, first 2 shown]
	v_cmp_gt_i32_e64 s5, s42, v5
	v_mov_b32_e32 v30, 0
	v_mov_b32_e32 v32, 0
	s_and_b32 s7, s9, s5
	s_and_saveexec_b32 s6, s7
	s_cbranch_execz .LBB543_14
; %bb.13:
	global_load_dwordx2 v[29:30], v[43:44], off offset:1536
	global_load_dwordx2 v[31:32], v[41:42], off offset:1536
.LBB543_14:
	s_or_b32 exec_lo, exec_lo, s6
	v_or_b32_e32 v5, 0xe0, v51
	v_mov_b32_e32 v33, 0
	v_mov_b32_e32 v34, 0
	v_cmp_gt_i32_e64 s6, s42, v5
	s_and_b32 s8, s9, s6
	s_and_saveexec_b32 s7, s8
	s_cbranch_execz .LBB543_16
; %bb.15:
	global_load_dwordx2 v[25:26], v[43:44], off offset:1792
	global_load_dwordx2 v[33:34], v[41:42], off offset:1792
.LBB543_16:
	s_or_b32 exec_lo, exec_lo, s7
	v_or_b32_e32 v5, 0x100, v51
	v_mov_b32_e32 v35, 0
	v_mov_b32_e32 v37, 0
	;; [unrolled: 1-line block ×4, first 2 shown]
	v_cmp_gt_i32_e64 s7, s42, v5
	v_mov_b32_e32 v38, 0
	v_mov_b32_e32 v40, 0
	s_and_b32 s8, s9, s7
	s_and_saveexec_b32 s10, s8
	s_cbranch_execz .LBB543_18
; %bb.17:
	v_add_co_u32 v5, s8, 0x800, v43
	v_add_co_ci_u32_e64 v6, null, 0, v44, s8
	v_add_co_u32 v11, s8, 0x800, v41
	v_add_co_ci_u32_e64 v12, null, 0, v42, s8
	global_load_dwordx2 v[37:38], v[5:6], off
	global_load_dwordx2 v[39:40], v[11:12], off
.LBB543_18:
	s_or_b32 exec_lo, exec_lo, s10
	v_or_b32_e32 v5, 0x120, v51
	v_mov_b32_e32 v47, 0
	v_mov_b32_e32 v48, 0
	v_cmp_gt_i32_e64 s8, s42, v5
	s_and_b32 s10, s9, s8
	s_and_saveexec_b32 s11, s10
	s_cbranch_execz .LBB543_20
; %bb.19:
	v_add_co_u32 v5, s10, 0x800, v43
	v_add_co_ci_u32_e64 v6, null, 0, v44, s10
	v_add_co_u32 v11, s10, 0x800, v41
	v_add_co_ci_u32_e64 v12, null, 0, v42, s10
	global_load_dwordx2 v[35:36], v[5:6], off offset:256
	global_load_dwordx2 v[47:48], v[11:12], off offset:256
.LBB543_20:
	s_or_b32 exec_lo, exec_lo, s11
	v_or_b32_e32 v5, 0x140, v51
	v_mov_b32_e32 v45, 0
	v_mov_b32_e32 v49, 0
	v_mov_b32_e32 v52, 0
	v_mov_b32_e32 v46, 0
	v_cmp_gt_i32_e64 s10, s42, v5
	v_mov_b32_e32 v50, 0
	v_mov_b32_e32 v53, 0
	s_and_b32 s11, s9, s10
	s_and_saveexec_b32 s12, s11
	s_cbranch_execz .LBB543_22
; %bb.21:
	v_add_co_u32 v5, s11, 0x800, v43
	v_add_co_ci_u32_e64 v6, null, 0, v44, s11
	v_add_co_u32 v11, s11, 0x800, v41
	v_add_co_ci_u32_e64 v12, null, 0, v42, s11
	global_load_dwordx2 v[49:50], v[5:6], off offset:512
	global_load_dwordx2 v[52:53], v[11:12], off offset:512
.LBB543_22:
	s_or_b32 exec_lo, exec_lo, s12
	v_or_b32_e32 v5, 0x160, v51
	v_mov_b32_e32 v56, 0
	v_mov_b32_e32 v57, 0
	v_cmp_gt_i32_e64 s11, s42, v5
	s_and_b32 s12, s9, s11
	s_and_saveexec_b32 s13, s12
	s_cbranch_execz .LBB543_24
; %bb.23:
	v_add_co_u32 v5, s12, 0x800, v43
	v_add_co_ci_u32_e64 v6, null, 0, v44, s12
	v_add_co_u32 v11, s12, 0x800, v41
	v_add_co_ci_u32_e64 v12, null, 0, v42, s12
	global_load_dwordx2 v[45:46], v[5:6], off offset:768
	global_load_dwordx2 v[56:57], v[11:12], off offset:768
.LBB543_24:
	s_or_b32 exec_lo, exec_lo, s13
	v_or_b32_e32 v5, 0x180, v51
	v_mov_b32_e32 v54, 0
	v_mov_b32_e32 v58, 0
	v_mov_b32_e32 v60, 0
	v_mov_b32_e32 v55, 0
	v_cmp_gt_i32_e64 s12, s42, v5
	v_mov_b32_e32 v59, 0
	v_mov_b32_e32 v61, 0
	s_and_b32 s13, s9, s12
	s_and_saveexec_b32 s14, s13
	s_cbranch_execz .LBB543_26
; %bb.25:
	v_add_co_u32 v5, s13, 0x800, v43
	v_add_co_ci_u32_e64 v6, null, 0, v44, s13
	v_add_co_u32 v11, s13, 0x800, v41
	v_add_co_ci_u32_e64 v12, null, 0, v42, s13
	global_load_dwordx2 v[58:59], v[5:6], off offset:1024
	global_load_dwordx2 v[60:61], v[11:12], off offset:1024
.LBB543_26:
	;; [unrolled: 36-line block ×3, first 2 shown]
	s_or_b32 exec_lo, exec_lo, s16
	v_or_b32_e32 v5, 0x1e0, v51
	v_mov_b32_e32 v72, 0
	v_mov_b32_e32 v73, 0
	v_cmp_gt_i32_e64 s15, s42, v5
	s_and_b32 s16, s9, s15
	s_and_saveexec_b32 s17, s16
	s_cbranch_execz .LBB543_32
; %bb.31:
	v_add_co_u32 v5, s16, 0x800, v43
	v_add_co_ci_u32_e64 v6, null, 0, v44, s16
	v_add_co_u32 v11, s16, 0x800, v41
	v_add_co_ci_u32_e64 v12, null, 0, v42, s16
	global_load_dwordx2 v[62:63], v[5:6], off offset:1792
	global_load_dwordx2 v[72:73], v[11:12], off offset:1792
.LBB543_32:
	s_or_b32 exec_lo, exec_lo, s17
	v_or_b32_e32 v5, 0x200, v51
	v_mov_b32_e32 v70, 0
	v_mov_b32_e32 v74, 0
	;; [unrolled: 1-line block ×4, first 2 shown]
	v_cmp_gt_i32_e64 s16, s42, v5
	v_mov_b32_e32 v75, 0
	v_mov_b32_e32 v77, 0
	s_and_b32 s17, s9, s16
	s_and_saveexec_b32 s18, s17
	s_cbranch_execz .LBB543_34
; %bb.33:
	v_add_co_u32 v5, s17, 0x1000, v43
	v_add_co_ci_u32_e64 v6, null, 0, v44, s17
	v_add_co_u32 v11, s17, 0x1000, v41
	v_add_co_ci_u32_e64 v12, null, 0, v42, s17
	global_load_dwordx2 v[74:75], v[5:6], off
	global_load_dwordx2 v[76:77], v[11:12], off
.LBB543_34:
	s_or_b32 exec_lo, exec_lo, s18
	v_or_b32_e32 v5, 0x220, v51
	v_mov_b32_e32 v80, 0
	v_mov_b32_e32 v81, 0
	v_cmp_gt_i32_e64 s17, s42, v5
	s_and_b32 s18, s9, s17
	s_and_saveexec_b32 s19, s18
	s_cbranch_execz .LBB543_36
; %bb.35:
	v_add_co_u32 v5, s18, 0x1000, v43
	v_add_co_ci_u32_e64 v6, null, 0, v44, s18
	v_add_co_u32 v11, s18, 0x1000, v41
	v_add_co_ci_u32_e64 v12, null, 0, v42, s18
	global_load_dwordx2 v[70:71], v[5:6], off offset:256
	global_load_dwordx2 v[80:81], v[11:12], off offset:256
.LBB543_36:
	s_or_b32 exec_lo, exec_lo, s19
	v_or_b32_e32 v5, 0x240, v51
	v_mov_b32_e32 v78, 0
	v_mov_b32_e32 v82, 0
	v_mov_b32_e32 v84, 0
	v_mov_b32_e32 v79, 0
	v_cmp_gt_i32_e64 s18, s42, v5
	v_mov_b32_e32 v83, 0
	v_mov_b32_e32 v85, 0
	s_and_b32 s19, s9, s18
	s_and_saveexec_b32 s20, s19
	s_cbranch_execz .LBB543_38
; %bb.37:
	v_add_co_u32 v5, s19, 0x1000, v43
	v_add_co_ci_u32_e64 v6, null, 0, v44, s19
	v_add_co_u32 v11, s19, 0x1000, v41
	v_add_co_ci_u32_e64 v12, null, 0, v42, s19
	global_load_dwordx2 v[82:83], v[5:6], off offset:512
	global_load_dwordx2 v[84:85], v[11:12], off offset:512
.LBB543_38:
	s_or_b32 exec_lo, exec_lo, s20
	v_or_b32_e32 v5, 0x260, v51
	v_mov_b32_e32 v88, 0
	v_mov_b32_e32 v89, 0
	v_cmp_gt_i32_e64 s19, s42, v5
	s_and_b32 s20, s9, s19
	s_and_saveexec_b32 s21, s20
	s_cbranch_execz .LBB543_40
; %bb.39:
	v_add_co_u32 v5, s20, 0x1000, v43
	v_add_co_ci_u32_e64 v6, null, 0, v44, s20
	v_add_co_u32 v11, s20, 0x1000, v41
	v_add_co_ci_u32_e64 v12, null, 0, v42, s20
	global_load_dwordx2 v[78:79], v[5:6], off offset:768
	global_load_dwordx2 v[88:89], v[11:12], off offset:768
.LBB543_40:
	s_or_b32 exec_lo, exec_lo, s21
	v_or_b32_e32 v5, 0x280, v51
	v_mov_b32_e32 v86, 0
	v_mov_b32_e32 v90, 0
	v_mov_b32_e32 v92, 0
	v_mov_b32_e32 v87, 0
	v_cmp_gt_i32_e64 s20, s42, v5
	v_mov_b32_e32 v91, 0
	v_mov_b32_e32 v93, 0
	s_and_b32 s21, s9, s20
	s_and_saveexec_b32 s22, s21
	s_cbranch_execz .LBB543_42
; %bb.41:
	v_add_co_u32 v5, s21, 0x1000, v43
	v_add_co_ci_u32_e64 v6, null, 0, v44, s21
	v_add_co_u32 v11, s21, 0x1000, v41
	v_add_co_ci_u32_e64 v12, null, 0, v42, s21
	global_load_dwordx2 v[90:91], v[5:6], off offset:1024
	global_load_dwordx2 v[92:93], v[11:12], off offset:1024
.LBB543_42:
	;; [unrolled: 36-line block ×3, first 2 shown]
	s_or_b32 exec_lo, exec_lo, s24
	v_or_b32_e32 v5, 0x2e0, v51
	v_mov_b32_e32 v104, 0
	v_mov_b32_e32 v105, 0
	v_cmp_gt_i32_e64 s23, s42, v5
	s_and_b32 s24, s9, s23
	s_and_saveexec_b32 s25, s24
	s_cbranch_execz .LBB543_48
; %bb.47:
	v_add_co_u32 v5, s24, 0x1000, v43
	v_add_co_ci_u32_e64 v6, null, 0, v44, s24
	v_add_co_u32 v11, s24, 0x1000, v41
	v_add_co_ci_u32_e64 v12, null, 0, v42, s24
	global_load_dwordx2 v[94:95], v[5:6], off offset:1792
	global_load_dwordx2 v[104:105], v[11:12], off offset:1792
.LBB543_48:
	s_or_b32 exec_lo, exec_lo, s25
	v_or_b32_e32 v5, 0x300, v51
	v_mov_b32_e32 v102, 0
	v_mov_b32_e32 v106, 0
	v_mov_b32_e32 v108, 0
	v_mov_b32_e32 v103, 0
	v_cmp_gt_i32_e64 s24, s42, v5
	v_mov_b32_e32 v107, 0
	v_mov_b32_e32 v109, 0
	s_and_b32 s25, s9, s24
	s_and_saveexec_b32 s26, s25
	s_cbranch_execz .LBB543_50
; %bb.49:
	v_add_co_u32 v5, s25, 0x1800, v43
	v_add_co_ci_u32_e64 v6, null, 0, v44, s25
	v_add_co_u32 v11, s25, 0x1800, v41
	v_add_co_ci_u32_e64 v12, null, 0, v42, s25
	global_load_dwordx2 v[106:107], v[5:6], off
	global_load_dwordx2 v[108:109], v[11:12], off
.LBB543_50:
	s_or_b32 exec_lo, exec_lo, s26
	v_or_b32_e32 v5, 0x320, v51
	v_mov_b32_e32 v112, 0
	v_mov_b32_e32 v113, 0
	v_cmp_gt_i32_e64 s25, s42, v5
	s_and_b32 s26, s9, s25
	s_and_saveexec_b32 s27, s26
	s_cbranch_execz .LBB543_52
; %bb.51:
	v_add_co_u32 v5, s26, 0x1800, v43
	v_add_co_ci_u32_e64 v6, null, 0, v44, s26
	v_add_co_u32 v11, s26, 0x1800, v41
	v_add_co_ci_u32_e64 v12, null, 0, v42, s26
	global_load_dwordx2 v[102:103], v[5:6], off offset:256
	global_load_dwordx2 v[112:113], v[11:12], off offset:256
.LBB543_52:
	s_or_b32 exec_lo, exec_lo, s27
	v_or_b32_e32 v5, 0x340, v51
	v_mov_b32_e32 v110, 0
	v_mov_b32_e32 v114, 0
	;; [unrolled: 1-line block ×4, first 2 shown]
	v_cmp_gt_i32_e64 s26, s42, v5
	v_mov_b32_e32 v115, 0
	v_mov_b32_e32 v117, 0
	s_and_b32 s27, s9, s26
	s_and_saveexec_b32 s28, s27
	s_cbranch_execz .LBB543_54
; %bb.53:
	v_add_co_u32 v5, s27, 0x1800, v43
	v_add_co_ci_u32_e64 v6, null, 0, v44, s27
	v_add_co_u32 v11, s27, 0x1800, v41
	v_add_co_ci_u32_e64 v12, null, 0, v42, s27
	global_load_dwordx2 v[114:115], v[5:6], off offset:512
	global_load_dwordx2 v[116:117], v[11:12], off offset:512
.LBB543_54:
	s_or_b32 exec_lo, exec_lo, s28
	v_or_b32_e32 v5, 0x360, v51
	v_mov_b32_e32 v120, 0
	v_mov_b32_e32 v121, 0
	v_cmp_gt_i32_e64 s27, s42, v5
	s_and_b32 s28, s9, s27
	s_and_saveexec_b32 s29, s28
	s_cbranch_execz .LBB543_56
; %bb.55:
	v_add_co_u32 v5, s28, 0x1800, v43
	v_add_co_ci_u32_e64 v6, null, 0, v44, s28
	v_add_co_u32 v11, s28, 0x1800, v41
	v_add_co_ci_u32_e64 v12, null, 0, v42, s28
	global_load_dwordx2 v[110:111], v[5:6], off offset:768
	global_load_dwordx2 v[120:121], v[11:12], off offset:768
.LBB543_56:
	s_or_b32 exec_lo, exec_lo, s29
	v_or_b32_e32 v5, 0x380, v51
	v_mov_b32_e32 v118, 0
	v_mov_b32_e32 v122, 0
	;; [unrolled: 1-line block ×4, first 2 shown]
	v_cmp_gt_i32_e64 s28, s42, v5
	v_mov_b32_e32 v123, 0
	v_mov_b32_e32 v125, 0
	s_and_b32 s29, s9, s28
	s_and_saveexec_b32 s30, s29
	s_cbranch_execz .LBB543_58
; %bb.57:
	v_add_co_u32 v5, s29, 0x1800, v43
	v_add_co_ci_u32_e64 v6, null, 0, v44, s29
	v_add_co_u32 v11, s29, 0x1800, v41
	v_add_co_ci_u32_e64 v12, null, 0, v42, s29
	global_load_dwordx2 v[122:123], v[5:6], off offset:1024
	global_load_dwordx2 v[124:125], v[11:12], off offset:1024
.LBB543_58:
	s_or_b32 exec_lo, exec_lo, s30
	v_or_b32_e32 v5, 0x3a0, v51
	v_cmp_gt_i32_e64 s29, s42, v5
	v_mov_b32_e32 v5, 0
	v_mov_b32_e32 v6, 0
	s_and_b32 s30, s9, s29
	s_and_saveexec_b32 s31, s30
	s_cbranch_execz .LBB543_60
; %bb.59:
	v_add_co_u32 v5, s30, 0x1800, v43
	v_add_co_ci_u32_e64 v6, null, 0, v44, s30
	v_add_co_u32 v11, s30, 0x1800, v41
	v_add_co_ci_u32_e64 v12, null, 0, v42, s30
	global_load_dwordx2 v[118:119], v[5:6], off offset:1280
	global_load_dwordx2 v[5:6], v[11:12], off offset:1280
.LBB543_60:
	s_or_b32 exec_lo, exec_lo, s31
	v_or_b32_e32 v11, 0x3c0, v51
	v_mov_b32_e32 v126, 0
	v_mov_b32_e32 v15, 0
	;; [unrolled: 1-line block ×4, first 2 shown]
	v_cmp_gt_i32_e64 s30, s42, v11
	v_mov_b32_e32 v11, 0
	v_mov_b32_e32 v12, 0
	s_and_b32 s31, s9, s30
	s_and_saveexec_b32 s33, s31
	s_cbranch_execz .LBB543_62
; %bb.61:
	v_add_co_u32 v11, s31, 0x1800, v43
	v_add_co_ci_u32_e64 v12, null, 0, v44, s31
	v_add_co_u32 v15, s31, 0x1800, v41
	v_add_co_ci_u32_e64 v16, null, 0, v42, s31
	global_load_dwordx2 v[11:12], v[11:12], off offset:1536
	global_load_dwordx2 v[15:16], v[15:16], off offset:1536
.LBB543_62:
	s_or_b32 exec_lo, exec_lo, s33
	v_or_b32_e32 v0, 0x3e0, v0
	v_mov_b32_e32 v19, 0
	v_mov_b32_e32 v20, 0
	v_cmp_gt_i32_e64 s31, s42, v0
	s_and_b32 s9, s9, s31
	s_and_saveexec_b32 s33, s9
	s_cbranch_execz .LBB543_64
; %bb.63:
	v_add_co_u32 v19, s9, 0x1800, v43
	v_add_co_ci_u32_e64 v20, null, 0, v44, s9
	v_add_co_u32 v41, s9, 0x1800, v41
	v_add_co_ci_u32_e64 v42, null, 0, v42, s9
	global_load_dwordx2 v[126:127], v[19:20], off offset:1792
	global_load_dwordx2 v[19:20], v[41:42], off offset:1792
.LBB543_64:
	s_or_b32 exec_lo, exec_lo, s33
	v_add_f64 v[41:42], v[3:4], 0
	v_mbcnt_lo_u32_b32 v0, -1, 0
	s_mov_b32 s33, exec_lo
	v_xor_b32_e32 v24, 16, v0
	v_cmp_gt_i32_e64 s9, 32, v24
	v_cndmask_b32_e64 v24, v0, v24, s9
	v_lshlrev_b32_e32 v24, 2, v24
	v_add_f64 v[41:42], v[41:42], v[1:2]
	v_add_f64 v[41:42], v[41:42], v[13:14]
	;; [unrolled: 1-line block ×4, first 2 shown]
	s_waitcnt vmcnt(1)
	v_add_f64 v[41:42], v[41:42], v[17:18]
	v_add_f64 v[41:42], v[41:42], v[29:30]
	;; [unrolled: 1-line block ×27, first 2 shown]
	ds_bpermute_b32 v43, v24, v41
	ds_bpermute_b32 v44, v24, v42
	v_xor_b32_e32 v24, 8, v0
	v_cmp_gt_i32_e64 s9, 32, v24
	v_cndmask_b32_e64 v24, v0, v24, s9
	v_lshlrev_b32_e32 v24, 2, v24
	s_waitcnt lgkmcnt(0)
	v_add_f64 v[41:42], v[41:42], v[43:44]
	ds_bpermute_b32 v43, v24, v41
	ds_bpermute_b32 v44, v24, v42
	v_xor_b32_e32 v24, 4, v0
	v_cmp_gt_i32_e64 s9, 32, v24
	v_cndmask_b32_e64 v24, v0, v24, s9
	v_lshlrev_b32_e32 v24, 2, v24
	s_waitcnt lgkmcnt(0)
	v_add_f64 v[41:42], v[41:42], v[43:44]
	;; [unrolled: 8-line block ×4, first 2 shown]
	ds_bpermute_b32 v43, v0, v41
	ds_bpermute_b32 v44, v0, v42
	v_cmpx_lt_i32_e32 0, v23
	s_cbranch_execz .LBB543_98
; %bb.65:
	s_waitcnt lgkmcnt(0)
	v_add_f64 v[41:42], v[41:42], v[43:44]
	v_add_co_u32 v7, s9, s36, v7
	v_add_co_ci_u32_e64 v8, null, s37, v8, s9
	s_and_saveexec_b32 s9, vcc_lo
	s_cbranch_execnz .LBB543_99
; %bb.66:
	s_or_b32 exec_lo, exec_lo, s9
	s_and_saveexec_b32 s9, s0
	s_cbranch_execnz .LBB543_100
.LBB543_67:
	s_or_b32 exec_lo, exec_lo, s9
	s_and_saveexec_b32 s0, s1
	s_cbranch_execnz .LBB543_101
.LBB543_68:
	s_or_b32 exec_lo, exec_lo, s0
	s_and_saveexec_b32 s0, s2
	s_cbranch_execnz .LBB543_102
.LBB543_69:
	s_or_b32 exec_lo, exec_lo, s0
	s_and_saveexec_b32 s0, s3
	s_cbranch_execnz .LBB543_103
.LBB543_70:
	s_or_b32 exec_lo, exec_lo, s0
	s_and_saveexec_b32 s0, s4
	s_cbranch_execnz .LBB543_104
.LBB543_71:
	s_or_b32 exec_lo, exec_lo, s0
	s_and_saveexec_b32 s0, s5
	s_cbranch_execnz .LBB543_105
.LBB543_72:
	s_or_b32 exec_lo, exec_lo, s0
	s_and_saveexec_b32 s0, s6
	s_cbranch_execnz .LBB543_106
.LBB543_73:
	s_or_b32 exec_lo, exec_lo, s0
	s_and_saveexec_b32 s0, s7
	s_cbranch_execnz .LBB543_107
.LBB543_74:
	s_or_b32 exec_lo, exec_lo, s0
	s_and_saveexec_b32 s0, s8
	s_cbranch_execnz .LBB543_108
.LBB543_75:
	s_or_b32 exec_lo, exec_lo, s0
	s_and_saveexec_b32 s0, s10
	s_cbranch_execnz .LBB543_109
.LBB543_76:
	s_or_b32 exec_lo, exec_lo, s0
	s_and_saveexec_b32 s0, s11
	s_cbranch_execnz .LBB543_110
.LBB543_77:
	s_or_b32 exec_lo, exec_lo, s0
	s_and_saveexec_b32 s0, s12
	s_cbranch_execnz .LBB543_111
.LBB543_78:
	s_or_b32 exec_lo, exec_lo, s0
	s_and_saveexec_b32 s0, s13
	s_cbranch_execnz .LBB543_112
.LBB543_79:
	s_or_b32 exec_lo, exec_lo, s0
	s_and_saveexec_b32 s0, s14
	s_cbranch_execnz .LBB543_113
.LBB543_80:
	s_or_b32 exec_lo, exec_lo, s0
	s_and_saveexec_b32 s0, s15
	s_cbranch_execnz .LBB543_114
.LBB543_81:
	s_or_b32 exec_lo, exec_lo, s0
	s_and_saveexec_b32 s0, s16
	s_cbranch_execnz .LBB543_115
.LBB543_82:
	s_or_b32 exec_lo, exec_lo, s0
	s_and_saveexec_b32 s0, s17
	s_cbranch_execnz .LBB543_116
.LBB543_83:
	s_or_b32 exec_lo, exec_lo, s0
	s_and_saveexec_b32 s0, s18
	s_cbranch_execnz .LBB543_117
.LBB543_84:
	s_or_b32 exec_lo, exec_lo, s0
	s_and_saveexec_b32 s0, s19
	s_cbranch_execnz .LBB543_118
.LBB543_85:
	s_or_b32 exec_lo, exec_lo, s0
	s_and_saveexec_b32 s0, s20
	s_cbranch_execnz .LBB543_119
.LBB543_86:
	s_or_b32 exec_lo, exec_lo, s0
	s_and_saveexec_b32 s0, s21
	s_cbranch_execnz .LBB543_120
.LBB543_87:
	s_or_b32 exec_lo, exec_lo, s0
	s_and_saveexec_b32 s0, s22
	s_cbranch_execnz .LBB543_121
.LBB543_88:
	s_or_b32 exec_lo, exec_lo, s0
	s_and_saveexec_b32 s0, s23
	s_cbranch_execnz .LBB543_122
.LBB543_89:
	s_or_b32 exec_lo, exec_lo, s0
	s_and_saveexec_b32 s0, s24
	s_cbranch_execnz .LBB543_123
.LBB543_90:
	s_or_b32 exec_lo, exec_lo, s0
	s_and_saveexec_b32 s0, s25
	s_cbranch_execnz .LBB543_124
.LBB543_91:
	s_or_b32 exec_lo, exec_lo, s0
	s_and_saveexec_b32 s0, s26
	s_cbranch_execnz .LBB543_125
.LBB543_92:
	s_or_b32 exec_lo, exec_lo, s0
	s_and_saveexec_b32 s0, s27
	s_cbranch_execnz .LBB543_126
.LBB543_93:
	s_or_b32 exec_lo, exec_lo, s0
	s_and_saveexec_b32 s0, s28
	s_cbranch_execnz .LBB543_127
.LBB543_94:
	s_or_b32 exec_lo, exec_lo, s0
	s_and_saveexec_b32 s0, s29
	s_cbranch_execnz .LBB543_128
.LBB543_95:
	s_or_b32 exec_lo, exec_lo, s0
	s_and_saveexec_b32 s0, s30
	s_cbranch_execnz .LBB543_129
.LBB543_96:
	s_or_b32 exec_lo, exec_lo, s0
	s_and_b32 exec_lo, exec_lo, s31
	s_cbranch_execz .LBB543_98
.LBB543_97:
	s_waitcnt vmcnt(0)
	v_fma_f64 v[0:1], -v[41:42], v[19:20], v[126:127]
	v_add_co_u32 v2, vcc_lo, 0x1800, v7
	v_add_co_ci_u32_e64 v3, null, 0, v8, vcc_lo
	global_store_dwordx2 v[2:3], v[0:1], off offset:1792
.LBB543_98:
	s_endpgm
.LBB543_99:
	s_clause 0x1
	buffer_load_dword v23, off, s[44:47], 0
	buffer_load_dword v24, off, s[44:47], 0 offset:4
	s_waitcnt vmcnt(0)
	v_fma_f64 v[3:4], -v[41:42], v[23:24], v[3:4]
	global_store_dwordx2 v[7:8], v[3:4], off
	s_or_b32 exec_lo, exec_lo, s9
	s_and_saveexec_b32 s9, s0
	s_cbranch_execz .LBB543_67
.LBB543_100:
	s_clause 0x1
	buffer_load_dword v3, off, s[44:47], 0 offset:8
	buffer_load_dword v4, off, s[44:47], 0 offset:12
	s_waitcnt vmcnt(0)
	v_fma_f64 v[0:1], -v[41:42], v[3:4], v[1:2]
	global_store_dwordx2 v[7:8], v[0:1], off offset:256
	s_or_b32 exec_lo, exec_lo, s9
	s_and_saveexec_b32 s0, s1
	s_cbranch_execz .LBB543_68
.LBB543_101:
	s_clause 0x1
	buffer_load_dword v0, off, s[44:47], 0 offset:16
	buffer_load_dword v1, off, s[44:47], 0 offset:20
	s_waitcnt vmcnt(0)
	v_fma_f64 v[0:1], -v[41:42], v[0:1], v[13:14]
	global_store_dwordx2 v[7:8], v[0:1], off offset:512
	s_or_b32 exec_lo, exec_lo, s0
	s_and_saveexec_b32 s0, s2
	s_cbranch_execz .LBB543_69
.LBB543_102:
	s_clause 0x1
	buffer_load_dword v0, off, s[44:47], 0 offset:24
	buffer_load_dword v1, off, s[44:47], 0 offset:28
	s_waitcnt vmcnt(0)
	v_fma_f64 v[0:1], -v[41:42], v[0:1], v[9:10]
	global_store_dwordx2 v[7:8], v[0:1], off offset:768
	s_or_b32 exec_lo, exec_lo, s0
	s_and_saveexec_b32 s0, s3
	s_cbranch_execz .LBB543_70
.LBB543_103:
	s_clause 0x1
	buffer_load_dword v0, off, s[44:47], 0 offset:32
	buffer_load_dword v1, off, s[44:47], 0 offset:36
	s_waitcnt vmcnt(0)
	v_fma_f64 v[0:1], -v[41:42], v[0:1], v[21:22]
	global_store_dwordx2 v[7:8], v[0:1], off offset:1024
	s_or_b32 exec_lo, exec_lo, s0
	s_and_saveexec_b32 s0, s4
	s_cbranch_execz .LBB543_71
.LBB543_104:
	s_waitcnt vmcnt(0)
	v_fma_f64 v[0:1], -v[41:42], v[27:28], v[17:18]
	global_store_dwordx2 v[7:8], v[0:1], off offset:1280
	s_or_b32 exec_lo, exec_lo, s0
	s_and_saveexec_b32 s0, s5
	s_cbranch_execz .LBB543_72
.LBB543_105:
	s_waitcnt vmcnt(0)
	v_fma_f64 v[0:1], -v[41:42], v[31:32], v[29:30]
	global_store_dwordx2 v[7:8], v[0:1], off offset:1536
	s_or_b32 exec_lo, exec_lo, s0
	s_and_saveexec_b32 s0, s6
	s_cbranch_execz .LBB543_73
.LBB543_106:
	s_waitcnt vmcnt(0)
	v_fma_f64 v[0:1], -v[41:42], v[33:34], v[25:26]
	global_store_dwordx2 v[7:8], v[0:1], off offset:1792
	s_or_b32 exec_lo, exec_lo, s0
	s_and_saveexec_b32 s0, s7
	s_cbranch_execz .LBB543_74
.LBB543_107:
	s_waitcnt vmcnt(0)
	v_fma_f64 v[0:1], -v[41:42], v[39:40], v[37:38]
	v_add_co_u32 v2, vcc_lo, 0x800, v7
	v_add_co_ci_u32_e64 v3, null, 0, v8, vcc_lo
	global_store_dwordx2 v[2:3], v[0:1], off
	s_or_b32 exec_lo, exec_lo, s0
	s_and_saveexec_b32 s0, s8
	s_cbranch_execz .LBB543_75
.LBB543_108:
	s_waitcnt vmcnt(0)
	v_fma_f64 v[0:1], -v[41:42], v[47:48], v[35:36]
	v_add_co_u32 v2, vcc_lo, 0x800, v7
	v_add_co_ci_u32_e64 v3, null, 0, v8, vcc_lo
	global_store_dwordx2 v[2:3], v[0:1], off offset:256
	s_or_b32 exec_lo, exec_lo, s0
	s_and_saveexec_b32 s0, s10
	s_cbranch_execz .LBB543_76
.LBB543_109:
	s_waitcnt vmcnt(0)
	v_fma_f64 v[0:1], -v[41:42], v[52:53], v[49:50]
	v_add_co_u32 v2, vcc_lo, 0x800, v7
	v_add_co_ci_u32_e64 v3, null, 0, v8, vcc_lo
	global_store_dwordx2 v[2:3], v[0:1], off offset:512
	s_or_b32 exec_lo, exec_lo, s0
	s_and_saveexec_b32 s0, s11
	s_cbranch_execz .LBB543_77
.LBB543_110:
	s_waitcnt vmcnt(0)
	v_fma_f64 v[0:1], -v[41:42], v[56:57], v[45:46]
	v_add_co_u32 v2, vcc_lo, 0x800, v7
	v_add_co_ci_u32_e64 v3, null, 0, v8, vcc_lo
	global_store_dwordx2 v[2:3], v[0:1], off offset:768
	s_or_b32 exec_lo, exec_lo, s0
	s_and_saveexec_b32 s0, s12
	s_cbranch_execz .LBB543_78
.LBB543_111:
	s_waitcnt vmcnt(0)
	v_fma_f64 v[0:1], -v[41:42], v[60:61], v[58:59]
	v_add_co_u32 v2, vcc_lo, 0x800, v7
	v_add_co_ci_u32_e64 v3, null, 0, v8, vcc_lo
	global_store_dwordx2 v[2:3], v[0:1], off offset:1024
	s_or_b32 exec_lo, exec_lo, s0
	s_and_saveexec_b32 s0, s13
	s_cbranch_execz .LBB543_79
.LBB543_112:
	s_waitcnt vmcnt(0)
	v_fma_f64 v[0:1], -v[41:42], v[64:65], v[54:55]
	v_add_co_u32 v2, vcc_lo, 0x800, v7
	v_add_co_ci_u32_e64 v3, null, 0, v8, vcc_lo
	global_store_dwordx2 v[2:3], v[0:1], off offset:1280
	s_or_b32 exec_lo, exec_lo, s0
	s_and_saveexec_b32 s0, s14
	s_cbranch_execz .LBB543_80
.LBB543_113:
	s_waitcnt vmcnt(0)
	v_fma_f64 v[0:1], -v[41:42], v[68:69], v[66:67]
	v_add_co_u32 v2, vcc_lo, 0x800, v7
	v_add_co_ci_u32_e64 v3, null, 0, v8, vcc_lo
	global_store_dwordx2 v[2:3], v[0:1], off offset:1536
	s_or_b32 exec_lo, exec_lo, s0
	s_and_saveexec_b32 s0, s15
	s_cbranch_execz .LBB543_81
.LBB543_114:
	s_waitcnt vmcnt(0)
	v_fma_f64 v[0:1], -v[41:42], v[72:73], v[62:63]
	v_add_co_u32 v2, vcc_lo, 0x800, v7
	v_add_co_ci_u32_e64 v3, null, 0, v8, vcc_lo
	global_store_dwordx2 v[2:3], v[0:1], off offset:1792
	s_or_b32 exec_lo, exec_lo, s0
	s_and_saveexec_b32 s0, s16
	s_cbranch_execz .LBB543_82
.LBB543_115:
	s_waitcnt vmcnt(0)
	v_fma_f64 v[0:1], -v[41:42], v[76:77], v[74:75]
	v_add_co_u32 v2, vcc_lo, 0x1000, v7
	v_add_co_ci_u32_e64 v3, null, 0, v8, vcc_lo
	global_store_dwordx2 v[2:3], v[0:1], off
	s_or_b32 exec_lo, exec_lo, s0
	s_and_saveexec_b32 s0, s17
	s_cbranch_execz .LBB543_83
.LBB543_116:
	s_waitcnt vmcnt(0)
	v_fma_f64 v[0:1], -v[41:42], v[80:81], v[70:71]
	v_add_co_u32 v2, vcc_lo, 0x1000, v7
	v_add_co_ci_u32_e64 v3, null, 0, v8, vcc_lo
	global_store_dwordx2 v[2:3], v[0:1], off offset:256
	s_or_b32 exec_lo, exec_lo, s0
	s_and_saveexec_b32 s0, s18
	s_cbranch_execz .LBB543_84
.LBB543_117:
	s_waitcnt vmcnt(0)
	v_fma_f64 v[0:1], -v[41:42], v[84:85], v[82:83]
	v_add_co_u32 v2, vcc_lo, 0x1000, v7
	v_add_co_ci_u32_e64 v3, null, 0, v8, vcc_lo
	global_store_dwordx2 v[2:3], v[0:1], off offset:512
	s_or_b32 exec_lo, exec_lo, s0
	s_and_saveexec_b32 s0, s19
	s_cbranch_execz .LBB543_85
.LBB543_118:
	s_waitcnt vmcnt(0)
	v_fma_f64 v[0:1], -v[41:42], v[88:89], v[78:79]
	v_add_co_u32 v2, vcc_lo, 0x1000, v7
	v_add_co_ci_u32_e64 v3, null, 0, v8, vcc_lo
	global_store_dwordx2 v[2:3], v[0:1], off offset:768
	s_or_b32 exec_lo, exec_lo, s0
	s_and_saveexec_b32 s0, s20
	s_cbranch_execz .LBB543_86
.LBB543_119:
	s_waitcnt vmcnt(0)
	v_fma_f64 v[0:1], -v[41:42], v[92:93], v[90:91]
	v_add_co_u32 v2, vcc_lo, 0x1000, v7
	v_add_co_ci_u32_e64 v3, null, 0, v8, vcc_lo
	global_store_dwordx2 v[2:3], v[0:1], off offset:1024
	s_or_b32 exec_lo, exec_lo, s0
	s_and_saveexec_b32 s0, s21
	s_cbranch_execz .LBB543_87
.LBB543_120:
	s_waitcnt vmcnt(0)
	v_fma_f64 v[0:1], -v[41:42], v[96:97], v[86:87]
	v_add_co_u32 v2, vcc_lo, 0x1000, v7
	v_add_co_ci_u32_e64 v3, null, 0, v8, vcc_lo
	global_store_dwordx2 v[2:3], v[0:1], off offset:1280
	s_or_b32 exec_lo, exec_lo, s0
	s_and_saveexec_b32 s0, s22
	s_cbranch_execz .LBB543_88
.LBB543_121:
	s_waitcnt vmcnt(0)
	v_fma_f64 v[0:1], -v[41:42], v[100:101], v[98:99]
	v_add_co_u32 v2, vcc_lo, 0x1000, v7
	v_add_co_ci_u32_e64 v3, null, 0, v8, vcc_lo
	global_store_dwordx2 v[2:3], v[0:1], off offset:1536
	s_or_b32 exec_lo, exec_lo, s0
	s_and_saveexec_b32 s0, s23
	s_cbranch_execz .LBB543_89
.LBB543_122:
	s_waitcnt vmcnt(0)
	v_fma_f64 v[0:1], -v[41:42], v[104:105], v[94:95]
	v_add_co_u32 v2, vcc_lo, 0x1000, v7
	v_add_co_ci_u32_e64 v3, null, 0, v8, vcc_lo
	global_store_dwordx2 v[2:3], v[0:1], off offset:1792
	s_or_b32 exec_lo, exec_lo, s0
	s_and_saveexec_b32 s0, s24
	s_cbranch_execz .LBB543_90
.LBB543_123:
	s_waitcnt vmcnt(0)
	v_fma_f64 v[0:1], -v[41:42], v[108:109], v[106:107]
	v_add_co_u32 v2, vcc_lo, 0x1800, v7
	v_add_co_ci_u32_e64 v3, null, 0, v8, vcc_lo
	global_store_dwordx2 v[2:3], v[0:1], off
	s_or_b32 exec_lo, exec_lo, s0
	s_and_saveexec_b32 s0, s25
	s_cbranch_execz .LBB543_91
.LBB543_124:
	s_waitcnt vmcnt(0)
	v_fma_f64 v[0:1], -v[41:42], v[112:113], v[102:103]
	v_add_co_u32 v2, vcc_lo, 0x1800, v7
	v_add_co_ci_u32_e64 v3, null, 0, v8, vcc_lo
	global_store_dwordx2 v[2:3], v[0:1], off offset:256
	s_or_b32 exec_lo, exec_lo, s0
	s_and_saveexec_b32 s0, s26
	s_cbranch_execz .LBB543_92
.LBB543_125:
	s_waitcnt vmcnt(0)
	v_fma_f64 v[0:1], -v[41:42], v[116:117], v[114:115]
	v_add_co_u32 v2, vcc_lo, 0x1800, v7
	v_add_co_ci_u32_e64 v3, null, 0, v8, vcc_lo
	global_store_dwordx2 v[2:3], v[0:1], off offset:512
	s_or_b32 exec_lo, exec_lo, s0
	s_and_saveexec_b32 s0, s27
	s_cbranch_execz .LBB543_93
.LBB543_126:
	s_waitcnt vmcnt(0)
	v_fma_f64 v[0:1], -v[41:42], v[120:121], v[110:111]
	v_add_co_u32 v2, vcc_lo, 0x1800, v7
	v_add_co_ci_u32_e64 v3, null, 0, v8, vcc_lo
	global_store_dwordx2 v[2:3], v[0:1], off offset:768
	s_or_b32 exec_lo, exec_lo, s0
	s_and_saveexec_b32 s0, s28
	s_cbranch_execz .LBB543_94
.LBB543_127:
	s_waitcnt vmcnt(0)
	v_fma_f64 v[0:1], -v[41:42], v[124:125], v[122:123]
	v_add_co_u32 v2, vcc_lo, 0x1800, v7
	v_add_co_ci_u32_e64 v3, null, 0, v8, vcc_lo
	global_store_dwordx2 v[2:3], v[0:1], off offset:1024
	s_or_b32 exec_lo, exec_lo, s0
	s_and_saveexec_b32 s0, s29
	s_cbranch_execz .LBB543_95
.LBB543_128:
	s_waitcnt vmcnt(0)
	v_fma_f64 v[0:1], -v[41:42], v[5:6], v[118:119]
	v_add_co_u32 v2, vcc_lo, 0x1800, v7
	v_add_co_ci_u32_e64 v3, null, 0, v8, vcc_lo
	global_store_dwordx2 v[2:3], v[0:1], off offset:1280
	s_or_b32 exec_lo, exec_lo, s0
	s_and_saveexec_b32 s0, s30
	s_cbranch_execz .LBB543_96
.LBB543_129:
	s_waitcnt vmcnt(0)
	v_fma_f64 v[0:1], -v[41:42], v[15:16], v[11:12]
	v_add_co_u32 v2, vcc_lo, 0x1800, v7
	v_add_co_ci_u32_e64 v3, null, 0, v8, vcc_lo
	global_store_dwordx2 v[2:3], v[0:1], off offset:1536
	s_or_b32 exec_lo, exec_lo, s0
	s_and_b32 exec_lo, exec_lo, s31
	s_cbranch_execnz .LBB543_97
	s_branch .LBB543_98
	.section	.rodata,"a",@progbits
	.p2align	6, 0x0
	.amdhsa_kernel _ZN12_GLOBAL__N_121softmax_warp_backwardIdddLi10ELb0ELb0ELi32EEEvPT0_PKT_S5_iiiPKb
		.amdhsa_group_segment_fixed_size 0
		.amdhsa_private_segment_fixed_size 44
		.amdhsa_kernarg_size 304
		.amdhsa_user_sgpr_count 6
		.amdhsa_user_sgpr_private_segment_buffer 1
		.amdhsa_user_sgpr_dispatch_ptr 0
		.amdhsa_user_sgpr_queue_ptr 0
		.amdhsa_user_sgpr_kernarg_segment_ptr 1
		.amdhsa_user_sgpr_dispatch_id 0
		.amdhsa_user_sgpr_flat_scratch_init 0
		.amdhsa_user_sgpr_private_segment_size 0
		.amdhsa_wavefront_size32 1
		.amdhsa_uses_dynamic_stack 0
		.amdhsa_system_sgpr_private_segment_wavefront_offset 1
		.amdhsa_system_sgpr_workgroup_id_x 1
		.amdhsa_system_sgpr_workgroup_id_y 0
		.amdhsa_system_sgpr_workgroup_id_z 0
		.amdhsa_system_sgpr_workgroup_info 0
		.amdhsa_system_vgpr_workitem_id 1
		.amdhsa_next_free_vgpr 128
		.amdhsa_next_free_sgpr 48
		.amdhsa_reserve_vcc 1
		.amdhsa_reserve_flat_scratch 0
		.amdhsa_float_round_mode_32 0
		.amdhsa_float_round_mode_16_64 0
		.amdhsa_float_denorm_mode_32 3
		.amdhsa_float_denorm_mode_16_64 3
		.amdhsa_dx10_clamp 1
		.amdhsa_ieee_mode 1
		.amdhsa_fp16_overflow 0
		.amdhsa_workgroup_processor_mode 1
		.amdhsa_memory_ordered 1
		.amdhsa_forward_progress 1
		.amdhsa_shared_vgpr_count 0
		.amdhsa_exception_fp_ieee_invalid_op 0
		.amdhsa_exception_fp_denorm_src 0
		.amdhsa_exception_fp_ieee_div_zero 0
		.amdhsa_exception_fp_ieee_overflow 0
		.amdhsa_exception_fp_ieee_underflow 0
		.amdhsa_exception_fp_ieee_inexact 0
		.amdhsa_exception_int_div_zero 0
	.end_amdhsa_kernel
	.section	.text._ZN12_GLOBAL__N_121softmax_warp_backwardIdddLi10ELb0ELb0ELi32EEEvPT0_PKT_S5_iiiPKb,"axG",@progbits,_ZN12_GLOBAL__N_121softmax_warp_backwardIdddLi10ELb0ELb0ELi32EEEvPT0_PKT_S5_iiiPKb,comdat
.Lfunc_end543:
	.size	_ZN12_GLOBAL__N_121softmax_warp_backwardIdddLi10ELb0ELb0ELi32EEEvPT0_PKT_S5_iiiPKb, .Lfunc_end543-_ZN12_GLOBAL__N_121softmax_warp_backwardIdddLi10ELb0ELb0ELi32EEEvPT0_PKT_S5_iiiPKb
                                        ; -- End function
	.set _ZN12_GLOBAL__N_121softmax_warp_backwardIdddLi10ELb0ELb0ELi32EEEvPT0_PKT_S5_iiiPKb.num_vgpr, 128
	.set _ZN12_GLOBAL__N_121softmax_warp_backwardIdddLi10ELb0ELb0ELi32EEEvPT0_PKT_S5_iiiPKb.num_agpr, 0
	.set _ZN12_GLOBAL__N_121softmax_warp_backwardIdddLi10ELb0ELb0ELi32EEEvPT0_PKT_S5_iiiPKb.numbered_sgpr, 48
	.set _ZN12_GLOBAL__N_121softmax_warp_backwardIdddLi10ELb0ELb0ELi32EEEvPT0_PKT_S5_iiiPKb.num_named_barrier, 0
	.set _ZN12_GLOBAL__N_121softmax_warp_backwardIdddLi10ELb0ELb0ELi32EEEvPT0_PKT_S5_iiiPKb.private_seg_size, 44
	.set _ZN12_GLOBAL__N_121softmax_warp_backwardIdddLi10ELb0ELb0ELi32EEEvPT0_PKT_S5_iiiPKb.uses_vcc, 1
	.set _ZN12_GLOBAL__N_121softmax_warp_backwardIdddLi10ELb0ELb0ELi32EEEvPT0_PKT_S5_iiiPKb.uses_flat_scratch, 0
	.set _ZN12_GLOBAL__N_121softmax_warp_backwardIdddLi10ELb0ELb0ELi32EEEvPT0_PKT_S5_iiiPKb.has_dyn_sized_stack, 0
	.set _ZN12_GLOBAL__N_121softmax_warp_backwardIdddLi10ELb0ELb0ELi32EEEvPT0_PKT_S5_iiiPKb.has_recursion, 0
	.set _ZN12_GLOBAL__N_121softmax_warp_backwardIdddLi10ELb0ELb0ELi32EEEvPT0_PKT_S5_iiiPKb.has_indirect_call, 0
	.section	.AMDGPU.csdata,"",@progbits
; Kernel info:
; codeLenInByte = 5844
; TotalNumSgprs: 50
; NumVgprs: 128
; ScratchSize: 44
; MemoryBound: 0
; FloatMode: 240
; IeeeMode: 1
; LDSByteSize: 0 bytes/workgroup (compile time only)
; SGPRBlocks: 0
; VGPRBlocks: 15
; NumSGPRsForWavesPerEU: 50
; NumVGPRsForWavesPerEU: 128
; Occupancy: 8
; WaveLimiterHint : 0
; COMPUTE_PGM_RSRC2:SCRATCH_EN: 1
; COMPUTE_PGM_RSRC2:USER_SGPR: 6
; COMPUTE_PGM_RSRC2:TRAP_HANDLER: 0
; COMPUTE_PGM_RSRC2:TGID_X_EN: 1
; COMPUTE_PGM_RSRC2:TGID_Y_EN: 0
; COMPUTE_PGM_RSRC2:TGID_Z_EN: 0
; COMPUTE_PGM_RSRC2:TIDIG_COMP_CNT: 1
	.section	.text._ZN2at6native12_GLOBAL__N_124cunn_SoftMaxBackwardSmemILi2EdddNS1_23SoftMaxBackwardEpilogueEEEvPT0_PKT2_S8_l,"axG",@progbits,_ZN2at6native12_GLOBAL__N_124cunn_SoftMaxBackwardSmemILi2EdddNS1_23SoftMaxBackwardEpilogueEEEvPT0_PKT2_S8_l,comdat
	.globl	_ZN2at6native12_GLOBAL__N_124cunn_SoftMaxBackwardSmemILi2EdddNS1_23SoftMaxBackwardEpilogueEEEvPT0_PKT2_S8_l ; -- Begin function _ZN2at6native12_GLOBAL__N_124cunn_SoftMaxBackwardSmemILi2EdddNS1_23SoftMaxBackwardEpilogueEEEvPT0_PKT2_S8_l
	.p2align	8
	.type	_ZN2at6native12_GLOBAL__N_124cunn_SoftMaxBackwardSmemILi2EdddNS1_23SoftMaxBackwardEpilogueEEEvPT0_PKT2_S8_l,@function
_ZN2at6native12_GLOBAL__N_124cunn_SoftMaxBackwardSmemILi2EdddNS1_23SoftMaxBackwardEpilogueEEEvPT0_PKT2_S8_l: ; @_ZN2at6native12_GLOBAL__N_124cunn_SoftMaxBackwardSmemILi2EdddNS1_23SoftMaxBackwardEpilogueEEEvPT0_PKT2_S8_l
; %bb.0:
	s_load_dwordx8 s[8:15], s[4:5], 0x0
	v_mov_b32_e32 v2, 0
	v_lshlrev_b32_e32 v1, 1, v0
	v_lshl_add_u32 v7, v0, 4, 0
	s_waitcnt lgkmcnt(0)
	v_cmp_gt_i64_e32 vcc_lo, s[14:15], v[1:2]
	v_mov_b32_e32 v1, 0
	v_mov_b32_e32 v2, 0
	s_mul_i32 s0, s15, s6
	s_mul_hi_u32 s1, s14, s6
	s_mul_i32 s2, s14, s6
	s_add_i32 s3, s1, s0
	s_and_saveexec_b32 s1, vcc_lo
	s_cbranch_execz .LBB544_4
; %bb.1:
	s_load_dword s0, s[4:5], 0x2c
	s_lshl_b64 s[6:7], s[2:3], 3
	v_mov_b32_e32 v1, 0
	s_add_u32 s6, s12, s6
	s_addc_u32 s7, s13, s7
	v_lshl_add_u32 v8, v0, 4, 0
	v_mov_b32_e32 v2, 0
	v_mov_b32_e32 v5, v0
	s_mov_b32 s13, 0
	s_waitcnt lgkmcnt(0)
	s_and_b32 s12, s0, 0xffff
	v_add_lshl_u32 v3, v0, s12, 1
	s_lshl_b32 s16, s12, 1
	s_lshl_b32 s17, s12, 4
	.p2align	6
.LBB544_2:                              ; =>This Inner Loop Header: Depth=1
	v_ashrrev_i32_e32 v6, 31, v5
	v_ashrrev_i32_e32 v4, 31, v3
	v_lshlrev_b64 v[9:10], 4, v[5:6]
	v_add_nc_u32_e32 v5, s12, v5
	v_add_co_u32 v9, s0, s6, v9
	v_add_co_ci_u32_e64 v10, null, s7, v10, s0
	v_cmp_le_i64_e64 s0, s[14:15], v[3:4]
	v_add_nc_u32_e32 v3, s16, v3
	global_load_dwordx4 v[9:12], v[9:10], off
	s_or_b32 s13, s0, s13
	s_waitcnt vmcnt(0)
	v_add_f64 v[1:2], v[1:2], v[9:10]
	ds_write_b128 v8, v[9:12]
	v_add_nc_u32_e32 v8, s17, v8
	v_add_f64 v[1:2], v[1:2], v[11:12]
	s_andn2_b32 exec_lo, exec_lo, s13
	s_cbranch_execnz .LBB544_2
; %bb.3:
	s_or_b32 exec_lo, exec_lo, s13
.LBB544_4:
	s_or_b32 exec_lo, exec_lo, s1
	v_mbcnt_lo_u32_b32 v10, -1, 0
	v_and_b32_e32 v11, 31, v0
	s_lshl_b32 s1, s14, 3
	s_mov_b32 s6, exec_lo
	s_add_i32 s1, s1, 0
	v_lshl_or_b32 v5, v10, 2, 64
	v_cmp_gt_u32_e64 s0, 24, v10
	s_waitcnt lgkmcnt(0)
	s_barrier
	buffer_gl0_inv
	ds_bpermute_b32 v3, v5, v1
	ds_bpermute_b32 v4, v5, v2
	s_waitcnt lgkmcnt(0)
	v_add_f64 v[1:2], v[1:2], v[3:4]
	v_cndmask_b32_e64 v3, 0, 8, s0
	v_cmp_gt_u32_e64 s0, 28, v10
	v_add_lshl_u32 v6, v3, v10, 2
	ds_bpermute_b32 v3, v6, v1
	ds_bpermute_b32 v4, v6, v2
	s_waitcnt lgkmcnt(0)
	v_add_f64 v[1:2], v[1:2], v[3:4]
	v_cndmask_b32_e64 v3, 0, 4, s0
	v_cmp_gt_u32_e64 s0, 30, v10
	v_add_lshl_u32 v8, v3, v10, 2
	ds_bpermute_b32 v3, v8, v1
	ds_bpermute_b32 v4, v8, v2
	s_waitcnt lgkmcnt(0)
	v_add_f64 v[1:2], v[1:2], v[3:4]
	v_cndmask_b32_e64 v3, 0, 2, s0
	v_cmp_ne_u32_e64 s0, 31, v10
	v_add_lshl_u32 v9, v3, v10, 2
	ds_bpermute_b32 v3, v9, v1
	ds_bpermute_b32 v4, v9, v2
	s_waitcnt lgkmcnt(0)
	v_add_f64 v[1:2], v[1:2], v[3:4]
	v_add_co_ci_u32_e64 v3, null, 0, v10, s0
	v_lshlrev_b32_e32 v10, 2, v3
	ds_bpermute_b32 v3, v10, v1
	ds_bpermute_b32 v4, v10, v2
	v_cmpx_eq_u32_e32 0, v11
	s_cbranch_execz .LBB544_6
; %bb.5:
	s_waitcnt lgkmcnt(0)
	v_add_f64 v[1:2], v[1:2], v[3:4]
	v_lshrrev_b32_e32 v3, 2, v0
	v_add_nc_u32_e32 v3, s1, v3
	ds_write_b64 v3, v[1:2]
.LBB544_6:
	s_or_b32 exec_lo, exec_lo, s6
	s_waitcnt lgkmcnt(0)
	s_barrier
	buffer_gl0_inv
	s_load_dword s4, s[4:5], 0x2c
	v_mov_b32_e32 v1, 0
	v_mov_b32_e32 v2, 0
	s_mov_b32 s5, exec_lo
	s_waitcnt lgkmcnt(0)
	s_bfe_u32 s0, s4, 0xb0005
	v_cmpx_gt_u32_e64 s0, v0
; %bb.7:
	v_lshl_add_u32 v1, v11, 3, s1
	ds_read_b64 v[1:2], v1
; %bb.8:
	s_or_b32 exec_lo, exec_lo, s5
	s_mov_b32 s5, exec_lo
	v_cmpx_gt_u32_e32 32, v0
	s_cbranch_execz .LBB544_10
; %bb.9:
	s_waitcnt lgkmcnt(0)
	ds_bpermute_b32 v3, v5, v1
	ds_bpermute_b32 v4, v5, v2
	s_waitcnt lgkmcnt(0)
	v_add_f64 v[1:2], v[1:2], v[3:4]
	ds_bpermute_b32 v3, v6, v1
	ds_bpermute_b32 v4, v6, v2
	s_waitcnt lgkmcnt(0)
	v_add_f64 v[1:2], v[1:2], v[3:4]
	;; [unrolled: 4-line block ×5, first 2 shown]
.LBB544_10:
	s_or_b32 exec_lo, exec_lo, s5
	s_mov_b32 s5, exec_lo
	v_cmpx_eq_u32_e32 0, v0
	s_cbranch_execz .LBB544_12
; %bb.11:
	v_mov_b32_e32 v3, s1
	s_waitcnt lgkmcnt(0)
	ds_write_b64 v3, v[1:2]
.LBB544_12:
	s_or_b32 exec_lo, exec_lo, s5
	s_waitcnt lgkmcnt(0)
	s_barrier
	buffer_gl0_inv
	s_and_saveexec_b32 s0, vcc_lo
	s_cbranch_execz .LBB544_15
; %bb.13:
	v_mov_b32_e32 v1, s1
	s_lshl_b64 s[6:7], s[2:3], 3
	s_and_b32 s1, 0xffff, s4
	s_add_u32 s2, s8, s6
	v_add_lshl_u32 v4, v0, s1, 1
	ds_read_b64 v[2:3], v1
	s_addc_u32 s3, s9, s7
	s_add_u32 s4, s10, s6
	s_addc_u32 s5, s11, s7
	s_lshl_b32 s6, s1, 1
	s_mov_b32 s7, 0
	s_lshl_b32 s8, s1, 4
	.p2align	6
.LBB544_14:                             ; =>This Inner Loop Header: Depth=1
	v_ashrrev_i32_e32 v1, 31, v0
	ds_read_b128 v[12:15], v7
	v_add_nc_u32_e32 v7, s8, v7
	v_lshlrev_b64 v[16:17], 4, v[0:1]
	v_add_nc_u32_e32 v0, s1, v0
	v_add_co_u32 v5, vcc_lo, s4, v16
	v_add_co_ci_u32_e64 v6, null, s5, v17, vcc_lo
	global_load_dwordx4 v[8:11], v[5:6], off
	v_ashrrev_i32_e32 v5, 31, v4
	v_cmp_le_i64_e32 vcc_lo, s[14:15], v[4:5]
	v_add_co_u32 v5, s0, s2, v16
	v_add_co_ci_u32_e64 v6, null, s3, v17, s0
	v_add_nc_u32_e32 v4, s6, v4
	s_or_b32 s7, vcc_lo, s7
	s_waitcnt vmcnt(0) lgkmcnt(0)
	v_fma_f64 v[8:9], -v[2:3], v[8:9], v[12:13]
	v_fma_f64 v[10:11], -v[2:3], v[10:11], v[14:15]
	global_store_dwordx4 v[5:6], v[8:11], off
	s_andn2_b32 exec_lo, exec_lo, s7
	s_cbranch_execnz .LBB544_14
.LBB544_15:
	s_endpgm
	.section	.rodata,"a",@progbits
	.p2align	6, 0x0
	.amdhsa_kernel _ZN2at6native12_GLOBAL__N_124cunn_SoftMaxBackwardSmemILi2EdddNS1_23SoftMaxBackwardEpilogueEEEvPT0_PKT2_S8_l
		.amdhsa_group_segment_fixed_size 0
		.amdhsa_private_segment_fixed_size 0
		.amdhsa_kernarg_size 288
		.amdhsa_user_sgpr_count 6
		.amdhsa_user_sgpr_private_segment_buffer 1
		.amdhsa_user_sgpr_dispatch_ptr 0
		.amdhsa_user_sgpr_queue_ptr 0
		.amdhsa_user_sgpr_kernarg_segment_ptr 1
		.amdhsa_user_sgpr_dispatch_id 0
		.amdhsa_user_sgpr_flat_scratch_init 0
		.amdhsa_user_sgpr_private_segment_size 0
		.amdhsa_wavefront_size32 1
		.amdhsa_uses_dynamic_stack 0
		.amdhsa_system_sgpr_private_segment_wavefront_offset 0
		.amdhsa_system_sgpr_workgroup_id_x 1
		.amdhsa_system_sgpr_workgroup_id_y 0
		.amdhsa_system_sgpr_workgroup_id_z 0
		.amdhsa_system_sgpr_workgroup_info 0
		.amdhsa_system_vgpr_workitem_id 0
		.amdhsa_next_free_vgpr 18
		.amdhsa_next_free_sgpr 18
		.amdhsa_reserve_vcc 1
		.amdhsa_reserve_flat_scratch 0
		.amdhsa_float_round_mode_32 0
		.amdhsa_float_round_mode_16_64 0
		.amdhsa_float_denorm_mode_32 3
		.amdhsa_float_denorm_mode_16_64 3
		.amdhsa_dx10_clamp 1
		.amdhsa_ieee_mode 1
		.amdhsa_fp16_overflow 0
		.amdhsa_workgroup_processor_mode 1
		.amdhsa_memory_ordered 1
		.amdhsa_forward_progress 1
		.amdhsa_shared_vgpr_count 0
		.amdhsa_exception_fp_ieee_invalid_op 0
		.amdhsa_exception_fp_denorm_src 0
		.amdhsa_exception_fp_ieee_div_zero 0
		.amdhsa_exception_fp_ieee_overflow 0
		.amdhsa_exception_fp_ieee_underflow 0
		.amdhsa_exception_fp_ieee_inexact 0
		.amdhsa_exception_int_div_zero 0
	.end_amdhsa_kernel
	.section	.text._ZN2at6native12_GLOBAL__N_124cunn_SoftMaxBackwardSmemILi2EdddNS1_23SoftMaxBackwardEpilogueEEEvPT0_PKT2_S8_l,"axG",@progbits,_ZN2at6native12_GLOBAL__N_124cunn_SoftMaxBackwardSmemILi2EdddNS1_23SoftMaxBackwardEpilogueEEEvPT0_PKT2_S8_l,comdat
.Lfunc_end544:
	.size	_ZN2at6native12_GLOBAL__N_124cunn_SoftMaxBackwardSmemILi2EdddNS1_23SoftMaxBackwardEpilogueEEEvPT0_PKT2_S8_l, .Lfunc_end544-_ZN2at6native12_GLOBAL__N_124cunn_SoftMaxBackwardSmemILi2EdddNS1_23SoftMaxBackwardEpilogueEEEvPT0_PKT2_S8_l
                                        ; -- End function
	.set _ZN2at6native12_GLOBAL__N_124cunn_SoftMaxBackwardSmemILi2EdddNS1_23SoftMaxBackwardEpilogueEEEvPT0_PKT2_S8_l.num_vgpr, 18
	.set _ZN2at6native12_GLOBAL__N_124cunn_SoftMaxBackwardSmemILi2EdddNS1_23SoftMaxBackwardEpilogueEEEvPT0_PKT2_S8_l.num_agpr, 0
	.set _ZN2at6native12_GLOBAL__N_124cunn_SoftMaxBackwardSmemILi2EdddNS1_23SoftMaxBackwardEpilogueEEEvPT0_PKT2_S8_l.numbered_sgpr, 18
	.set _ZN2at6native12_GLOBAL__N_124cunn_SoftMaxBackwardSmemILi2EdddNS1_23SoftMaxBackwardEpilogueEEEvPT0_PKT2_S8_l.num_named_barrier, 0
	.set _ZN2at6native12_GLOBAL__N_124cunn_SoftMaxBackwardSmemILi2EdddNS1_23SoftMaxBackwardEpilogueEEEvPT0_PKT2_S8_l.private_seg_size, 0
	.set _ZN2at6native12_GLOBAL__N_124cunn_SoftMaxBackwardSmemILi2EdddNS1_23SoftMaxBackwardEpilogueEEEvPT0_PKT2_S8_l.uses_vcc, 1
	.set _ZN2at6native12_GLOBAL__N_124cunn_SoftMaxBackwardSmemILi2EdddNS1_23SoftMaxBackwardEpilogueEEEvPT0_PKT2_S8_l.uses_flat_scratch, 0
	.set _ZN2at6native12_GLOBAL__N_124cunn_SoftMaxBackwardSmemILi2EdddNS1_23SoftMaxBackwardEpilogueEEEvPT0_PKT2_S8_l.has_dyn_sized_stack, 0
	.set _ZN2at6native12_GLOBAL__N_124cunn_SoftMaxBackwardSmemILi2EdddNS1_23SoftMaxBackwardEpilogueEEEvPT0_PKT2_S8_l.has_recursion, 0
	.set _ZN2at6native12_GLOBAL__N_124cunn_SoftMaxBackwardSmemILi2EdddNS1_23SoftMaxBackwardEpilogueEEEvPT0_PKT2_S8_l.has_indirect_call, 0
	.section	.AMDGPU.csdata,"",@progbits
; Kernel info:
; codeLenInByte = 1084
; TotalNumSgprs: 20
; NumVgprs: 18
; ScratchSize: 0
; MemoryBound: 0
; FloatMode: 240
; IeeeMode: 1
; LDSByteSize: 0 bytes/workgroup (compile time only)
; SGPRBlocks: 0
; VGPRBlocks: 2
; NumSGPRsForWavesPerEU: 20
; NumVGPRsForWavesPerEU: 18
; Occupancy: 16
; WaveLimiterHint : 0
; COMPUTE_PGM_RSRC2:SCRATCH_EN: 0
; COMPUTE_PGM_RSRC2:USER_SGPR: 6
; COMPUTE_PGM_RSRC2:TRAP_HANDLER: 0
; COMPUTE_PGM_RSRC2:TGID_X_EN: 1
; COMPUTE_PGM_RSRC2:TGID_Y_EN: 0
; COMPUTE_PGM_RSRC2:TGID_Z_EN: 0
; COMPUTE_PGM_RSRC2:TIDIG_COMP_CNT: 0
	.section	.text._ZN2at6native12_GLOBAL__N_120cunn_SoftMaxBackwardILi2EdddNS1_23SoftMaxBackwardEpilogueEEEvPT0_PKT2_S8_l,"axG",@progbits,_ZN2at6native12_GLOBAL__N_120cunn_SoftMaxBackwardILi2EdddNS1_23SoftMaxBackwardEpilogueEEEvPT0_PKT2_S8_l,comdat
	.globl	_ZN2at6native12_GLOBAL__N_120cunn_SoftMaxBackwardILi2EdddNS1_23SoftMaxBackwardEpilogueEEEvPT0_PKT2_S8_l ; -- Begin function _ZN2at6native12_GLOBAL__N_120cunn_SoftMaxBackwardILi2EdddNS1_23SoftMaxBackwardEpilogueEEEvPT0_PKT2_S8_l
	.p2align	8
	.type	_ZN2at6native12_GLOBAL__N_120cunn_SoftMaxBackwardILi2EdddNS1_23SoftMaxBackwardEpilogueEEEvPT0_PKT2_S8_l,@function
_ZN2at6native12_GLOBAL__N_120cunn_SoftMaxBackwardILi2EdddNS1_23SoftMaxBackwardEpilogueEEEvPT0_PKT2_S8_l: ; @_ZN2at6native12_GLOBAL__N_120cunn_SoftMaxBackwardILi2EdddNS1_23SoftMaxBackwardEpilogueEEEvPT0_PKT2_S8_l
; %bb.0:
	s_load_dwordx8 s[8:15], s[4:5], 0x0
	s_waitcnt lgkmcnt(0)
	s_mul_i32 s1, s15, s6
	s_mul_hi_u32 s2, s14, s6
	s_mul_i32 s0, s14, s6
	s_add_i32 s1, s2, s1
	v_cmp_lt_i64_e64 s7, 0x7ffffffe, s[14:15]
	s_lshl_b64 s[18:19], s[0:1], 3
	s_mov_b64 s[16:17], s[14:15]
	s_add_u32 s2, s12, s18
	s_addc_u32 s3, s13, s19
	s_bitcmp1_b32 s2, 3
	s_cselect_b32 s26, -1, 0
	s_and_b32 vcc_lo, exec_lo, s7
	s_cbranch_vccz .LBB545_5
; %bb.1:
	v_mov_b32_e32 v1, 0
	s_add_u32 s0, s4, 32
	s_addc_u32 s1, s5, 0
	s_and_b32 vcc_lo, exec_lo, s26
	s_cbranch_vccz .LBB545_6
; %bb.2:
	v_mov_b32_e32 v2, 0
	v_mov_b32_e32 v3, 0
	s_mov_b32 s24, 0
	s_mov_b32 s0, exec_lo
	v_cmpx_ne_u32_e32 0, v0
	s_cbranch_execz .LBB545_4
; %bb.3:
	v_lshlrev_b32_e32 v2, 3, v0
	global_load_dwordx2 v[2:3], v2, s[2:3] offset:-8
	s_waitcnt vmcnt(0)
	v_add_f64 v[2:3], v[2:3], 0
.LBB545_4:
	s_or_b32 exec_lo, exec_lo, s0
	s_load_dword s20, s[4:5], 0x2c
	s_add_u32 s0, s4, 32
	s_addc_u32 s1, s5, 0
	s_waitcnt lgkmcnt(0)
	s_and_b32 s22, s20, 0xffff
	s_sub_u32 s20, s14, s22
	s_subb_u32 s21, s15, 0
	s_add_u32 s20, s20, 1
	s_addc_u32 s21, s21, 0
	s_lshl_b32 s22, s22, 3
	s_add_u32 s22, s2, s22
	s_addc_u32 s23, s3, 0
	s_add_u32 s22, s22, -8
	s_addc_u32 s23, s23, -1
	s_and_b32 vcc_lo, exec_lo, s24
	s_cbranch_vccnz .LBB545_7
	s_branch .LBB545_8
.LBB545_5:
                                        ; implicit-def: $vgpr2_vgpr3
	s_bfe_u32 s24, s2, 0x10003
	s_mov_b32 s25, 0
	s_cbranch_execnz .LBB545_18
	s_branch .LBB545_33
.LBB545_6:
                                        ; implicit-def: $sgpr22_sgpr23
                                        ; implicit-def: $sgpr20_sgpr21
                                        ; implicit-def: $vgpr2_vgpr3
	s_cbranch_execz .LBB545_8
.LBB545_7:
	v_mov_b32_e32 v2, 0
	v_mov_b32_e32 v3, 0
	s_mov_b64 s[20:21], s[16:17]
	s_mov_b64 s[22:23], s[2:3]
.LBB545_8:
	s_load_dword s24, s[0:1], 0x0
	v_mov_b32_e32 v4, 0
	s_waitcnt lgkmcnt(0)
	s_cmp_lt_u32 s6, s24
	s_cselect_b32 s24, 12, 18
	s_add_u32 s0, s0, s24
	s_addc_u32 s1, s1, 0
	global_load_ushort v4, v4, s[0:1]
	s_mov_b32 s0, 0
	s_waitcnt vmcnt(0)
	v_readfirstlane_b32 s1, v4
	v_and_b32_e32 v8, 0xffff, v4
	s_and_b32 s24, 0xffff, s1
	s_mov_b32 s1, s21
	s_lshl_b32 s27, s24, 1
	s_cmp_lg_u64 s[0:1], 0
	s_cbranch_scc0 .LBB545_41
; %bb.9:
	v_cvt_f32_u32_e32 v4, s27
	s_sub_u32 s25, 0, s27
	s_subb_u32 s28, 0, 0
	v_fmamk_f32 v4, 0, 0x4f800000, v4
	v_rcp_f32_e32 v4, v4
	v_mul_f32_e32 v4, 0x5f7ffffc, v4
	v_mul_f32_e32 v5, 0x2f800000, v4
	v_trunc_f32_e32 v5, v5
	v_fmamk_f32 v4, v5, 0xcf800000, v4
	v_cvt_u32_f32_e32 v5, v5
	v_cvt_u32_f32_e32 v4, v4
	v_readfirstlane_b32 s1, v5
	v_readfirstlane_b32 s24, v4
	s_mul_i32 s29, s25, s1
	s_mul_hi_u32 s31, s25, s24
	s_mul_i32 s30, s28, s24
	s_add_i32 s29, s31, s29
	s_mul_i32 s33, s25, s24
	s_add_i32 s29, s29, s30
	s_mul_hi_u32 s31, s24, s33
	s_mul_i32 s35, s24, s29
	s_mul_hi_u32 s34, s1, s33
	s_mul_i32 s30, s1, s33
	s_mul_hi_u32 s33, s24, s29
	s_add_u32 s31, s31, s35
	s_addc_u32 s33, 0, s33
	s_mul_hi_u32 s36, s1, s29
	s_add_u32 s30, s31, s30
	s_mul_i32 s29, s1, s29
	s_addc_u32 s30, s33, s34
	s_addc_u32 s31, s36, 0
	s_add_u32 s29, s30, s29
	s_addc_u32 s30, 0, s31
	s_add_u32 s24, s24, s29
	s_cselect_b32 s29, -1, 0
	s_mul_hi_u32 s31, s25, s24
	s_cmp_lg_u32 s29, 0
	s_mul_i32 s29, s25, s24
	s_addc_u32 s1, s1, s30
	s_mul_i32 s28, s28, s24
	s_mul_i32 s25, s25, s1
	s_mul_hi_u32 s30, s24, s29
	s_add_i32 s25, s31, s25
	s_mul_hi_u32 s31, s1, s29
	s_add_i32 s25, s25, s28
	s_mul_i32 s28, s1, s29
	s_mul_i32 s34, s24, s25
	s_mul_hi_u32 s33, s24, s25
	s_add_u32 s30, s30, s34
	s_addc_u32 s33, 0, s33
	s_mul_hi_u32 s29, s1, s25
	s_add_u32 s28, s30, s28
	s_mul_i32 s25, s1, s25
	s_addc_u32 s28, s33, s31
	s_addc_u32 s29, s29, 0
	s_add_u32 s25, s28, s25
	s_addc_u32 s28, 0, s29
	s_add_u32 s24, s24, s25
	s_cselect_b32 s25, -1, 0
	s_mul_hi_u32 s29, s20, s24
	s_cmp_lg_u32 s25, 0
	s_mul_hi_u32 s25, s21, s24
	s_addc_u32 s1, s1, s28
	s_mul_i32 s24, s21, s24
	s_mul_i32 s30, s20, s1
	s_mul_hi_u32 s28, s20, s1
	s_add_u32 s29, s29, s30
	s_addc_u32 s28, 0, s28
	s_mul_hi_u32 s31, s21, s1
	s_add_u32 s24, s29, s24
	s_mul_i32 s1, s21, s1
	s_addc_u32 s24, s28, s25
	s_addc_u32 s25, s31, 0
	s_add_u32 s1, s24, s1
	s_addc_u32 s24, 0, s25
	s_mul_hi_u32 s25, s27, s1
	s_mul_i32 s24, s27, s24
	s_mul_i32 s1, s27, s1
	s_add_i32 s25, s25, s24
	s_sub_u32 s1, s20, s1
	s_cselect_b32 s24, -1, 0
	s_cmp_lg_u32 s24, 0
	s_subb_u32 s24, s21, s25
	s_sub_u32 s25, s1, s27
	s_cselect_b32 s28, -1, 0
	s_cmp_lg_u32 s28, 0
	s_subb_u32 s28, s24, 0
	;; [unrolled: 4-line block ×3, first 2 shown]
	s_cmp_ge_u32 s25, s27
	s_cselect_b32 s31, -1, 0
	s_cmp_eq_u32 s28, 0
	s_cselect_b32 s31, s31, -1
	s_cmp_lg_u32 s31, 0
	s_cselect_b32 s28, s30, s28
	s_cselect_b32 s29, s29, s25
	s_cmp_ge_u32 s1, s27
	s_cselect_b32 s25, -1, 0
	s_cmp_eq_u32 s24, 0
	s_cselect_b32 s25, s25, -1
	s_cmp_lg_u32 s25, 0
	s_cselect_b32 s25, s28, s24
	s_cselect_b32 s24, s29, s1
	s_andn2_b32 vcc_lo, exec_lo, s0
	s_cbranch_vccnz .LBB545_11
.LBB545_10:
	v_cvt_f32_u32_e32 v4, s27
	s_sub_i32 s1, 0, s27
	s_mov_b32 s25, 0
	v_rcp_iflag_f32_e32 v4, v4
	v_mul_f32_e32 v4, 0x4f7ffffe, v4
	v_cvt_u32_f32_e32 v4, v4
	v_readfirstlane_b32 s0, v4
	s_mul_i32 s1, s1, s0
	s_mul_hi_u32 s1, s0, s1
	s_add_i32 s0, s0, s1
	s_mul_hi_u32 s0, s20, s0
	s_mul_i32 s0, s0, s27
	s_sub_i32 s0, s20, s0
	s_sub_i32 s1, s0, s27
	s_cmp_ge_u32 s0, s27
	s_cselect_b32 s0, s1, s0
	s_sub_i32 s1, s0, s27
	s_cmp_ge_u32 s0, s27
	s_cselect_b32 s24, s1, s0
.LBB545_11:
	v_lshlrev_b32_e32 v4, 4, v0
	v_mov_b32_e32 v7, v1
	v_lshlrev_b32_e32 v9, 4, v8
	v_mov_b32_e32 v6, v0
	s_sub_u32 s24, s20, s24
	v_add_co_u32 v4, s0, s22, v4
	v_add_co_ci_u32_e64 v5, null, s23, 0, s0
	s_subb_u32 s25, s21, s25
	v_add_co_u32 v4, vcc_lo, v4, 8
	v_add_co_ci_u32_e64 v5, null, 0, v5, vcc_lo
	s_mov_b32 s1, 0
	.p2align	6
.LBB545_12:                             ; =>This Inner Loop Header: Depth=1
	global_load_dwordx4 v[10:13], v[4:5], off offset:-8
	v_add_co_u32 v6, vcc_lo, v6, v8
	v_add_co_ci_u32_e64 v7, null, 0, v7, vcc_lo
	v_add_co_u32 v4, s0, v4, v9
	v_add_co_ci_u32_e64 v5, null, 0, v5, s0
	s_waitcnt vmcnt(0)
	v_add_f64 v[1:2], v[2:3], v[10:11]
	v_lshlrev_b64 v[10:11], 1, v[6:7]
	v_cmp_le_i64_e32 vcc_lo, s[24:25], v[10:11]
	s_or_b32 s1, vcc_lo, s1
	v_add_f64 v[2:3], v[1:2], v[12:13]
	s_andn2_b32 exec_lo, exec_lo, s1
	s_cbranch_execnz .LBB545_12
; %bb.13:
	s_or_b32 exec_lo, exec_lo, s1
	v_add_co_u32 v4, s0, s24, v0
	v_add_co_ci_u32_e64 v5, null, s25, 0, s0
	s_mov_b32 s0, exec_lo
	v_cmpx_gt_u64_e64 s[20:21], v[4:5]
	s_cbranch_execz .LBB545_17
; %bb.14:
	s_mov_b32 s1, 0
	.p2align	6
.LBB545_15:                             ; =>This Inner Loop Header: Depth=1
	v_lshlrev_b64 v[6:7], 3, v[4:5]
	v_add_co_u32 v6, vcc_lo, s22, v6
	v_add_co_ci_u32_e64 v7, null, s23, v7, vcc_lo
	v_add_co_u32 v4, vcc_lo, v4, v8
	v_add_co_ci_u32_e64 v5, null, 0, v5, vcc_lo
	global_load_dwordx2 v[6:7], v[6:7], off
	v_cmp_le_i64_e32 vcc_lo, s[20:21], v[4:5]
	s_or_b32 s1, vcc_lo, s1
	s_waitcnt vmcnt(0)
	v_add_f64 v[2:3], v[2:3], v[6:7]
	s_andn2_b32 exec_lo, exec_lo, s1
	s_cbranch_execnz .LBB545_15
; %bb.16:
	s_or_b32 exec_lo, exec_lo, s1
.LBB545_17:
	s_or_b32 exec_lo, exec_lo, s0
	s_bfe_u32 s24, s2, 0x10003
	s_mov_b32 s25, 0
	s_branch .LBB545_33
.LBB545_18:
	s_add_u32 s20, s4, 32
	s_addc_u32 s21, s5, 0
	s_and_b32 vcc_lo, exec_lo, s26
	s_cbranch_vccz .LBB545_22
; %bb.19:
	v_cmp_ne_u32_e32 vcc_lo, 0, v0
	v_cmp_ge_i32_e64 s0, s14, v0
	v_mov_b32_e32 v2, 0
	v_mov_b32_e32 v3, 0
	s_mov_b32 s23, 0
	s_and_b32 s1, vcc_lo, s0
	s_and_saveexec_b32 s0, s1
	s_cbranch_execz .LBB545_21
; %bb.20:
	v_lshlrev_b32_e32 v1, 3, v0
	global_load_dwordx2 v[1:2], v1, s[2:3] offset:-8
	s_waitcnt vmcnt(0)
	v_add_f64 v[2:3], v[1:2], 0
.LBB545_21:
	s_or_b32 exec_lo, exec_lo, s0
	s_load_dword s0, s[4:5], 0x2c
	s_add_i32 s1, s14, 1
	s_add_u32 s20, s4, 32
	s_addc_u32 s21, s5, 0
	s_waitcnt lgkmcnt(0)
	s_and_b32 s0, s0, 0xffff
	v_sub_nc_u32_e64 v1, s1, s0 clamp
	s_lshl_b32 s0, s0, 3
	s_add_u32 s0, s2, s0
	s_addc_u32 s1, s3, 0
	s_add_u32 s0, s0, -8
	v_readfirstlane_b32 s22, v1
	s_addc_u32 s1, s1, -1
	s_and_b32 vcc_lo, exec_lo, s23
	s_cbranch_vccnz .LBB545_23
	s_branch .LBB545_24
.LBB545_22:
                                        ; implicit-def: $sgpr0_sgpr1
                                        ; implicit-def: $sgpr22
                                        ; implicit-def: $vgpr2_vgpr3
	s_cbranch_execz .LBB545_24
.LBB545_23:
	v_mov_b32_e32 v2, 0
	v_mov_b32_e32 v3, 0
	s_mov_b32 s22, s14
	s_mov_b64 s[0:1], s[2:3]
.LBB545_24:
	s_load_dword s23, s[20:21], 0x0
	v_mov_b32_e32 v1, 0
	s_waitcnt lgkmcnt(0)
	s_cmp_lt_u32 s6, s23
	s_cselect_b32 s23, 12, 18
	s_add_u32 s20, s20, s23
	s_addc_u32 s21, s21, 0
	global_load_ushort v1, v1, s[20:21]
	s_waitcnt vmcnt(0)
	v_readfirstlane_b32 s20, v1
	s_lshl_b32 s20, s20, 1
	v_cvt_f32_u32_e32 v4, s20
	s_sub_i32 s23, 0, s20
	v_rcp_iflag_f32_e32 v4, v4
	v_mul_f32_e32 v4, 0x4f7ffffe, v4
	v_cvt_u32_f32_e32 v4, v4
	v_readfirstlane_b32 s21, v4
	v_lshlrev_b32_e32 v4, 1, v0
	s_mul_i32 s23, s23, s21
	s_mul_hi_u32 s23, s21, s23
	s_add_i32 s21, s21, s23
	s_mul_hi_u32 s21, s22, s21
	s_mul_i32 s21, s21, s20
	s_sub_i32 s21, s22, s21
	s_sub_i32 s23, s21, s20
	s_cmp_ge_u32 s21, s20
	s_cselect_b32 s21, s23, s21
	s_sub_i32 s23, s21, s20
	s_cmp_ge_u32 s21, s20
	s_cselect_b32 s20, s23, s21
	s_mov_b32 s23, 0
	s_sub_i32 s20, s22, s20
	s_mov_b32 s21, exec_lo
	v_cmpx_gt_i32_e64 s20, v4
	s_cbranch_execz .LBB545_28
; %bb.25:
	v_mov_b32_e32 v4, v0
	.p2align	6
.LBB545_26:                             ; =>This Inner Loop Header: Depth=1
	v_ashrrev_i32_e32 v5, 31, v4
	v_lshlrev_b64 v[5:6], 4, v[4:5]
	v_add_nc_u32_e32 v4, v4, v1
	v_add_co_u32 v5, vcc_lo, s0, v5
	v_add_co_ci_u32_e64 v6, null, s1, v6, vcc_lo
	global_load_dwordx4 v[5:8], v[5:6], off
	s_waitcnt vmcnt(0)
	v_add_f64 v[2:3], v[2:3], v[5:6]
	v_lshlrev_b32_e32 v5, 1, v4
	v_cmp_le_i32_e32 vcc_lo, s20, v5
	s_or_b32 s23, vcc_lo, s23
	v_add_f64 v[2:3], v[2:3], v[7:8]
	s_andn2_b32 exec_lo, exec_lo, s23
	s_cbranch_execnz .LBB545_26
; %bb.27:
	s_or_b32 exec_lo, exec_lo, s23
.LBB545_28:
	s_or_b32 exec_lo, exec_lo, s21
	v_add_nc_u32_e32 v4, s20, v0
	s_mov_b32 s20, exec_lo
	v_cmpx_gt_i32_e64 s22, v4
	s_cbranch_execz .LBB545_32
; %bb.29:
	s_mov_b32 s21, 0
.LBB545_30:                             ; =>This Inner Loop Header: Depth=1
	v_ashrrev_i32_e32 v5, 31, v4
	v_lshlrev_b64 v[5:6], 3, v[4:5]
	v_add_nc_u32_e32 v4, v4, v1
	v_add_co_u32 v5, vcc_lo, s0, v5
	v_add_co_ci_u32_e64 v6, null, s1, v6, vcc_lo
	v_cmp_le_i32_e32 vcc_lo, s22, v4
	global_load_dwordx2 v[5:6], v[5:6], off
	s_or_b32 s21, vcc_lo, s21
	s_waitcnt vmcnt(0)
	v_add_f64 v[2:3], v[2:3], v[5:6]
	s_andn2_b32 exec_lo, exec_lo, s21
	s_cbranch_execnz .LBB545_30
; %bb.31:
	s_or_b32 exec_lo, exec_lo, s21
.LBB545_32:
	s_or_b32 exec_lo, exec_lo, s20
.LBB545_33:
	v_lshl_add_u32 v1, v0, 3, 0
	s_barrier
	buffer_gl0_inv
	ds_write_b64 v1, v[2:3]
	s_waitcnt lgkmcnt(0)
	s_barrier
	buffer_gl0_inv
	s_load_dword s20, s[4:5], 0x2c
	s_add_u32 s4, s4, 32
	s_addc_u32 s5, s5, 0
	s_waitcnt lgkmcnt(0)
	s_bfe_u32 s0, s20, 0xb0005
	s_and_b32 s1, s0, 0xffff
	s_min_u32 s0, s1, 32
	v_cmp_gt_u32_e32 vcc_lo, s0, v0
	s_and_saveexec_b32 s0, vcc_lo
	s_cbranch_execz .LBB545_35
; %bb.34:
	v_mad_u32_u24 v12, 0xf8, v0, v1
	ds_read2_b64 v[2:5], v12 offset1:1
	ds_read2_b64 v[6:9], v12 offset0:2 offset1:3
	s_waitcnt lgkmcnt(1)
	v_add_f64 v[2:3], v[2:3], 0
	v_add_f64 v[2:3], v[2:3], v[4:5]
	s_waitcnt lgkmcnt(0)
	v_add_f64 v[2:3], v[2:3], v[6:7]
	v_add_f64 v[10:11], v[2:3], v[8:9]
	ds_read2_b64 v[2:5], v12 offset0:4 offset1:5
	ds_read2_b64 v[6:9], v12 offset0:6 offset1:7
	s_waitcnt lgkmcnt(1)
	v_add_f64 v[2:3], v[10:11], v[2:3]
	v_add_f64 v[2:3], v[2:3], v[4:5]
	s_waitcnt lgkmcnt(0)
	v_add_f64 v[2:3], v[2:3], v[6:7]
	v_add_f64 v[10:11], v[2:3], v[8:9]
	ds_read2_b64 v[2:5], v12 offset0:8 offset1:9
	ds_read2_b64 v[6:9], v12 offset0:10 offset1:11
	s_waitcnt lgkmcnt(1)
	v_add_f64 v[2:3], v[10:11], v[2:3]
	v_add_f64 v[2:3], v[2:3], v[4:5]
	s_waitcnt lgkmcnt(0)
	v_add_f64 v[2:3], v[2:3], v[6:7]
	v_add_f64 v[10:11], v[2:3], v[8:9]
	ds_read2_b64 v[2:5], v12 offset0:12 offset1:13
	ds_read2_b64 v[6:9], v12 offset0:14 offset1:15
	s_waitcnt lgkmcnt(1)
	v_add_f64 v[2:3], v[10:11], v[2:3]
	v_add_f64 v[2:3], v[2:3], v[4:5]
	s_waitcnt lgkmcnt(0)
	v_add_f64 v[2:3], v[2:3], v[6:7]
	v_add_f64 v[10:11], v[2:3], v[8:9]
	ds_read2_b64 v[2:5], v12 offset0:16 offset1:17
	ds_read2_b64 v[6:9], v12 offset0:18 offset1:19
	s_waitcnt lgkmcnt(1)
	v_add_f64 v[2:3], v[10:11], v[2:3]
	v_add_f64 v[2:3], v[2:3], v[4:5]
	s_waitcnt lgkmcnt(0)
	v_add_f64 v[2:3], v[2:3], v[6:7]
	v_add_f64 v[10:11], v[2:3], v[8:9]
	ds_read2_b64 v[2:5], v12 offset0:20 offset1:21
	ds_read2_b64 v[6:9], v12 offset0:22 offset1:23
	s_waitcnt lgkmcnt(1)
	v_add_f64 v[2:3], v[10:11], v[2:3]
	v_add_f64 v[2:3], v[2:3], v[4:5]
	s_waitcnt lgkmcnt(0)
	v_add_f64 v[2:3], v[2:3], v[6:7]
	v_add_f64 v[10:11], v[2:3], v[8:9]
	ds_read2_b64 v[2:5], v12 offset0:24 offset1:25
	ds_read2_b64 v[6:9], v12 offset0:26 offset1:27
	s_waitcnt lgkmcnt(1)
	v_add_f64 v[2:3], v[10:11], v[2:3]
	v_add_f64 v[2:3], v[2:3], v[4:5]
	s_waitcnt lgkmcnt(0)
	v_add_f64 v[2:3], v[2:3], v[6:7]
	v_add_f64 v[10:11], v[2:3], v[8:9]
	ds_read2_b64 v[2:5], v12 offset0:28 offset1:29
	ds_read2_b64 v[6:9], v12 offset0:30 offset1:31
	s_waitcnt lgkmcnt(1)
	v_add_f64 v[2:3], v[10:11], v[2:3]
	v_add_f64 v[2:3], v[2:3], v[4:5]
	s_waitcnt lgkmcnt(0)
	v_add_f64 v[2:3], v[2:3], v[6:7]
	v_add_f64 v[2:3], v[2:3], v[8:9]
	ds_write_b64 v1, v[2:3]
.LBB545_35:
	s_or_b32 exec_lo, exec_lo, s0
	v_cmp_ne_u32_e64 s0, 0, v0
	s_and_b32 s33, 0xffff, s20
	s_mov_b32 s20, exec_lo
	s_waitcnt lgkmcnt(0)
	s_barrier
	buffer_gl0_inv
	v_cmpx_eq_u32_e32 0, v0
	s_cbranch_execz .LBB545_46
; %bb.36:
	v_mov_b32_e32 v1, 0
	v_mov_b32_e32 v2, 0
	s_cmp_lt_u32 s33, 32
	s_cbranch_scc1 .LBB545_45
; %bb.37:
	s_add_i32 s21, s1, -1
	v_mov_b32_e32 v1, 0
	v_mov_b32_e32 v2, 0
	s_and_b32 s21, s21, 0xffff
	s_cmp_lt_u32 s21, 7
	s_cbranch_scc1 .LBB545_42
; %bb.38:
	s_and_b32 s21, s1, 0x7f8
	s_mov_b32 s22, 0
	s_mov_b32 s23, 0
	.p2align	6
.LBB545_39:                             ; =>This Inner Loop Header: Depth=1
	v_mov_b32_e32 v11, s23
	s_add_i32 s22, s22, 8
	s_add_i32 s23, s23, 64
	s_cmp_eq_u32 s21, s22
	ds_read2_b64 v[3:6], v11 offset1:1
	ds_read2_b64 v[7:10], v11 offset0:2 offset1:3
	s_waitcnt lgkmcnt(1)
	v_add_f64 v[1:2], v[1:2], v[3:4]
	v_add_f64 v[1:2], v[1:2], v[5:6]
	s_waitcnt lgkmcnt(0)
	v_add_f64 v[1:2], v[1:2], v[7:8]
	v_add_f64 v[9:10], v[1:2], v[9:10]
	ds_read2_b64 v[1:4], v11 offset0:4 offset1:5
	ds_read2_b64 v[5:8], v11 offset0:6 offset1:7
	s_waitcnt lgkmcnt(1)
	v_add_f64 v[1:2], v[9:10], v[1:2]
	v_add_f64 v[1:2], v[1:2], v[3:4]
	s_waitcnt lgkmcnt(0)
	v_add_f64 v[1:2], v[1:2], v[5:6]
	v_add_f64 v[1:2], v[1:2], v[7:8]
	s_cbranch_scc0 .LBB545_39
; %bb.40:
	s_and_b32 s1, s1, 7
	s_cmp_eq_u32 s1, 0
	s_cbranch_scc0 .LBB545_43
	s_branch .LBB545_45
.LBB545_41:
                                        ; implicit-def: $sgpr24_sgpr25
	s_branch .LBB545_10
.LBB545_42:
	s_mov_b32 s21, 0
	s_and_b32 s1, s1, 7
	s_cmp_eq_u32 s1, 0
	s_cbranch_scc1 .LBB545_45
.LBB545_43:
	s_lshl_b32 s21, s21, 3
	s_add_i32 s21, s21, 0
.LBB545_44:                             ; =>This Inner Loop Header: Depth=1
	v_mov_b32_e32 v3, s21
	s_add_i32 s1, s1, -1
	s_add_i32 s21, s21, 8
	s_cmp_lg_u32 s1, 0
	ds_read_b64 v[3:4], v3
	s_waitcnt lgkmcnt(0)
	v_add_f64 v[1:2], v[1:2], v[3:4]
	s_cbranch_scc1 .LBB545_44
.LBB545_45:
	v_mov_b32_e32 v3, 0
	ds_write_b64 v3, v[1:2]
.LBB545_46:
	s_or_b32 exec_lo, exec_lo, s20
	v_mov_b32_e32 v1, 0
	s_waitcnt lgkmcnt(0)
	s_barrier
	buffer_gl0_inv
	s_add_u32 s20, s8, s18
	ds_read_b64 v[2:3], v1
	s_addc_u32 s21, s9, s19
	s_add_u32 s22, s10, s18
	s_addc_u32 s23, s11, s19
	s_lshr_b64 s[26:27], s[20:21], 3
	s_mov_b32 s27, 0
	s_and_b32 s26, s26, 1
	s_bfe_u32 s28, s22, 0x10003
	s_mov_b32 s29, s27
	s_cmp_eq_u64 s[26:27], s[28:29]
	s_cselect_b32 s1, -1, 0
	s_cmp_eq_u64 s[26:27], s[24:25]
	s_cselect_b32 s24, -1, 0
	s_and_b32 s1, s1, s24
	s_andn2_b32 vcc_lo, exec_lo, s1
	s_mov_b32 s1, -1
	s_cbranch_vccz .LBB545_65
; %bb.47:
	s_and_b32 vcc_lo, exec_lo, s7
	s_cbranch_vccz .LBB545_56
; %bb.48:
	s_lshl_b32 s1, s33, 1
	s_mov_b32 s39, 0
	v_cvt_f32_u32_e32 v1, s1
	s_sub_i32 s25, 0, s1
	s_mov_b32 s38, exec_lo
	v_rcp_iflag_f32_e32 v1, v1
	v_mul_f32_e32 v1, 0x4f7ffffe, v1
	v_cvt_u32_f32_e32 v1, v1
	v_readfirstlane_b32 s24, v1
	v_mov_b32_e32 v1, 0
	s_mul_i32 s25, s25, s24
	v_mov_b32_e32 v5, v1
	s_mul_hi_u32 s25, s24, s25
	v_mov_b32_e32 v4, v0
	s_add_i32 s24, s24, s25
	s_mul_hi_u32 s24, s14, s24
	s_mul_i32 s24, s24, s1
	s_sub_i32 s24, s14, s24
	s_sub_i32 s25, s24, s1
	s_cmp_ge_u32 s24, s1
	s_cselect_b32 s24, s25, s24
	s_sub_i32 s25, s24, s1
	s_cmp_ge_u32 s24, s1
	s_cselect_b32 s28, s25, s24
	s_bfe_i64 s[24:25], s[14:15], 0x200000
	s_sub_u32 s28, s24, s28
	s_subb_u32 s29, s25, 0
	v_cmpx_gt_i64_e64 s[28:29], v[0:1]
	s_cbranch_execz .LBB545_52
; %bb.49:
	s_lshl_b32 s30, s33, 3
	s_lshl_b32 s40, s33, 4
	s_add_u32 s30, s18, s30
	s_addc_u32 s31, s19, 0
	s_add_u32 s41, s10, s30
	v_lshlrev_b64 v[6:7], 3, v[0:1]
	s_addc_u32 s42, s11, s31
	v_mov_b32_e32 v5, v1
	s_add_u32 s43, s12, s30
	v_mov_b32_e32 v4, v0
	s_addc_u32 s44, s13, s31
	s_add_u32 s45, s8, s30
	s_addc_u32 s46, s9, s31
	s_mov_b64 s[30:31], s[20:21]
	s_mov_b64 s[34:35], s[2:3]
	;; [unrolled: 1-line block ×3, first 2 shown]
.LBB545_50:                             ; =>This Inner Loop Header: Depth=1
	v_add_co_u32 v8, vcc_lo, s36, v6
	v_add_co_ci_u32_e64 v9, null, s37, v7, vcc_lo
	v_add_co_u32 v10, vcc_lo, s34, v6
	v_add_co_ci_u32_e64 v11, null, s35, v7, vcc_lo
	;; [unrolled: 2-line block ×4, first 2 shown]
	global_load_dwordx2 v[8:9], v[8:9], off
	global_load_dwordx2 v[10:11], v[10:11], off
	;; [unrolled: 1-line block ×4, first 2 shown]
	v_add_co_u32 v16, vcc_lo, s30, v6
	v_add_co_ci_u32_e64 v17, null, s31, v7, vcc_lo
	v_add_co_u32 v18, vcc_lo, s45, v6
	v_add_co_ci_u32_e64 v19, null, s46, v7, vcc_lo
	v_add_co_u32 v4, vcc_lo, v4, s1
	s_add_u32 s36, s36, s40
	v_add_co_ci_u32_e64 v5, null, 0, v5, vcc_lo
	s_addc_u32 s37, s37, 0
	s_add_u32 s41, s41, s40
	s_addc_u32 s42, s42, 0
	s_add_u32 s34, s34, s40
	s_addc_u32 s35, s35, 0
	v_cmp_le_i64_e32 vcc_lo, s[28:29], v[4:5]
	s_add_u32 s43, s43, s40
	s_addc_u32 s44, s44, 0
	s_add_u32 s30, s30, s40
	s_addc_u32 s31, s31, 0
	;; [unrolled: 2-line block ×3, first 2 shown]
	s_or_b32 s39, vcc_lo, s39
	s_waitcnt vmcnt(2) lgkmcnt(0)
	v_fma_f64 v[8:9], -v[2:3], v[8:9], v[10:11]
	s_waitcnt vmcnt(0)
	v_fma_f64 v[10:11], -v[2:3], v[12:13], v[14:15]
	global_store_dwordx2 v[16:17], v[8:9], off
	global_store_dwordx2 v[18:19], v[10:11], off
	s_andn2_b32 exec_lo, exec_lo, s39
	s_cbranch_execnz .LBB545_50
; %bb.51:
	s_or_b32 exec_lo, exec_lo, s39
.LBB545_52:
	s_or_b32 exec_lo, exec_lo, s38
	s_mov_b32 s28, exec_lo
	v_cmpx_gt_i64_e64 s[24:25], v[4:5]
	s_cbranch_execz .LBB545_55
; %bb.53:
	v_lshlrev_b64 v[6:7], 3, v[4:5]
	v_add_co_u32 v1, vcc_lo, s18, v6
	v_add_co_ci_u32_e64 v6, null, s19, v7, vcc_lo
	s_mov_b32 s18, 0
	s_lshl_b32 s19, s33, 3
	.p2align	6
.LBB545_54:                             ; =>This Inner Loop Header: Depth=1
	v_add_co_u32 v7, vcc_lo, s12, v1
	v_add_co_ci_u32_e64 v8, null, s13, v6, vcc_lo
	v_add_co_u32 v9, vcc_lo, s10, v1
	v_add_co_ci_u32_e64 v10, null, s11, v6, vcc_lo
	global_load_dwordx2 v[7:8], v[7:8], off
	global_load_dwordx2 v[9:10], v[9:10], off
	v_add_co_u32 v4, vcc_lo, v4, s33
	v_add_co_ci_u32_e64 v5, null, 0, v5, vcc_lo
	s_waitcnt vmcnt(0) lgkmcnt(0)
	v_fma_f64 v[7:8], -v[2:3], v[9:10], v[7:8]
	v_add_co_u32 v9, vcc_lo, s8, v1
	v_add_co_ci_u32_e64 v10, null, s9, v6, vcc_lo
	v_cmp_le_i64_e32 vcc_lo, s[24:25], v[4:5]
	v_add_co_u32 v1, s1, v1, s19
	v_add_co_ci_u32_e64 v6, null, 0, v6, s1
	s_or_b32 s18, vcc_lo, s18
	global_store_dwordx2 v[9:10], v[7:8], off
	s_andn2_b32 exec_lo, exec_lo, s18
	s_cbranch_execnz .LBB545_54
.LBB545_55:
	s_or_b32 exec_lo, exec_lo, s28
	s_mov_b32 s1, 0
.LBB545_56:
	s_and_b32 vcc_lo, exec_lo, s1
	s_cbranch_vccz .LBB545_91
; %bb.57:
	s_lshl_b32 s1, s33, 1
	v_mov_b32_e32 v4, v0
	v_cvt_f32_u32_e32 v1, s1
	s_sub_i32 s9, 0, s1
	s_mov_b32 s10, 0
	v_rcp_iflag_f32_e32 v1, v1
	v_mul_f32_e32 v1, 0x4f7ffffe, v1
	v_cvt_u32_f32_e32 v1, v1
	v_readfirstlane_b32 s8, v1
	s_mul_i32 s9, s9, s8
	s_mul_hi_u32 s9, s8, s9
	s_add_i32 s8, s8, s9
	s_mul_hi_u32 s8, s14, s8
	s_mul_i32 s8, s8, s1
	s_sub_i32 s8, s14, s8
	s_sub_i32 s9, s8, s1
	s_cmp_ge_u32 s8, s1
	s_cselect_b32 s8, s9, s8
	s_sub_i32 s9, s8, s1
	s_cmp_ge_u32 s8, s1
	s_cselect_b32 s1, s9, s8
	s_mov_b32 s8, exec_lo
	s_sub_i32 s9, s14, s1
	v_cmpx_gt_i32_e64 s9, v0
	s_cbranch_execz .LBB545_61
; %bb.58:
	v_mov_b32_e32 v5, 0
	v_mov_b32_e32 v4, v0
.LBB545_59:                             ; =>This Inner Loop Header: Depth=1
	v_lshlrev_b64 v[6:7], 3, v[4:5]
	v_add_nc_u32_e32 v4, s33, v4
	v_lshlrev_b64 v[8:9], 3, v[4:5]
	v_add_co_u32 v10, vcc_lo, s22, v6
	v_add_co_ci_u32_e64 v11, null, s23, v7, vcc_lo
	v_add_co_u32 v12, vcc_lo, s2, v6
	v_add_co_ci_u32_e64 v13, null, s3, v7, vcc_lo
	;; [unrolled: 2-line block ×4, first 2 shown]
	global_load_dwordx2 v[10:11], v[10:11], off
	global_load_dwordx2 v[12:13], v[12:13], off
	;; [unrolled: 1-line block ×4, first 2 shown]
	v_add_nc_u32_e32 v4, s33, v4
	v_add_co_u32 v6, vcc_lo, s20, v6
	v_add_co_ci_u32_e64 v7, null, s21, v7, vcc_lo
	v_cmp_le_i32_e32 vcc_lo, s9, v4
	v_add_co_u32 v8, s1, s20, v8
	v_add_co_ci_u32_e64 v9, null, s21, v9, s1
	s_or_b32 s10, vcc_lo, s10
	s_waitcnt vmcnt(2) lgkmcnt(0)
	v_fma_f64 v[10:11], -v[2:3], v[10:11], v[12:13]
	s_waitcnt vmcnt(0)
	v_fma_f64 v[12:13], -v[2:3], v[14:15], v[16:17]
	global_store_dwordx2 v[6:7], v[10:11], off
	global_store_dwordx2 v[8:9], v[12:13], off
	s_andn2_b32 exec_lo, exec_lo, s10
	s_cbranch_execnz .LBB545_59
; %bb.60:
	s_or_b32 exec_lo, exec_lo, s10
.LBB545_61:
	s_or_b32 exec_lo, exec_lo, s8
	s_mov_b32 s8, exec_lo
	v_cmpx_gt_i32_e64 s14, v4
	s_cbranch_execz .LBB545_64
; %bb.62:
	s_mov_b32 s9, 0
	.p2align	6
.LBB545_63:                             ; =>This Inner Loop Header: Depth=1
	v_ashrrev_i32_e32 v5, 31, v4
	v_lshlrev_b64 v[5:6], 3, v[4:5]
	v_add_nc_u32_e32 v4, s33, v4
	v_add_co_u32 v7, vcc_lo, s2, v5
	v_add_co_ci_u32_e64 v8, null, s3, v6, vcc_lo
	v_add_co_u32 v9, vcc_lo, s22, v5
	v_add_co_ci_u32_e64 v10, null, s23, v6, vcc_lo
	global_load_dwordx2 v[7:8], v[7:8], off
	global_load_dwordx2 v[9:10], v[9:10], off
	v_cmp_le_i32_e32 vcc_lo, s14, v4
	v_add_co_u32 v5, s1, s20, v5
	v_add_co_ci_u32_e64 v6, null, s21, v6, s1
	s_or_b32 s9, vcc_lo, s9
	s_waitcnt vmcnt(0) lgkmcnt(0)
	v_fma_f64 v[7:8], -v[2:3], v[9:10], v[7:8]
	global_store_dwordx2 v[5:6], v[7:8], off
	s_andn2_b32 exec_lo, exec_lo, s9
	s_cbranch_execnz .LBB545_63
.LBB545_64:
	s_or_b32 exec_lo, exec_lo, s8
	s_mov_b32 s1, 0
.LBB545_65:
	s_andn2_b32 vcc_lo, exec_lo, s1
	s_cbranch_vccnz .LBB545_92
.LBB545_66:
	s_cmp_lg_u64 s[26:27], 0
	s_cselect_b32 s26, -1, 0
	s_and_b32 vcc_lo, exec_lo, s7
	v_cndmask_b32_e64 v1, 0, 1, s26
	s_mov_b32 s7, -1
	v_cmp_ne_u32_e64 s1, 1, v1
	s_cbranch_vccz .LBB545_80
; %bb.67:
	v_mov_b32_e32 v1, 0
	s_and_b32 vcc_lo, exec_lo, s1
	s_mov_b64 s[8:9], s[20:21]
	s_mov_b64 s[10:11], s[22:23]
	;; [unrolled: 1-line block ×3, first 2 shown]
	s_cbranch_vccnz .LBB545_71
; %bb.68:
	s_and_saveexec_b32 s1, s0
	s_cbranch_execz .LBB545_70
; %bb.69:
	v_lshlrev_b64 v[4:5], 3, v[0:1]
	v_add_co_u32 v6, vcc_lo, s2, v4
	v_add_co_ci_u32_e64 v7, null, s3, v5, vcc_lo
	v_add_co_u32 v8, vcc_lo, s22, v4
	v_add_co_ci_u32_e64 v9, null, s23, v5, vcc_lo
	global_load_dwordx2 v[6:7], v[6:7], off offset:-8
	global_load_dwordx2 v[8:9], v[8:9], off offset:-8
	v_add_co_u32 v4, vcc_lo, s20, v4
	v_add_co_ci_u32_e64 v5, null, s21, v5, vcc_lo
	s_waitcnt vmcnt(0) lgkmcnt(0)
	v_fma_f64 v[6:7], -v[2:3], v[8:9], v[6:7]
	global_store_dwordx2 v[4:5], v[6:7], off offset:-8
.LBB545_70:
	s_or_b32 exec_lo, exec_lo, s1
	s_sub_u32 s1, s14, s33
	s_subb_u32 s7, s15, 0
	s_add_u32 s16, s1, 1
	s_addc_u32 s17, s7, 0
	s_lshl_b32 s1, s33, 3
	s_add_u32 s7, s20, s1
	s_addc_u32 s9, s21, 0
	s_add_u32 s8, s7, -8
	s_addc_u32 s9, s9, -1
	s_add_u32 s7, s22, s1
	s_addc_u32 s11, s23, 0
	s_add_u32 s10, s7, -8
	s_addc_u32 s11, s11, -1
	;; [unrolled: 4-line block ×3, first 2 shown]
.LBB545_71:
	s_load_dword s1, s[4:5], 0x0
	v_mov_b32_e32 v4, 0
	s_waitcnt lgkmcnt(0)
	s_cmp_lt_u32 s6, s1
	s_cselect_b32 s1, 12, 18
	s_add_u32 s18, s4, s1
	s_addc_u32 s19, s5, 0
	global_load_ushort v4, v4, s[18:19]
	s_mov_b32 s18, 0
	s_mov_b32 s19, s17
	s_waitcnt vmcnt(0)
	v_readfirstlane_b32 s1, v4
	v_and_b32_e32 v8, 0xffff, v4
	s_and_b32 s1, 0xffff, s1
	s_lshl_b32 s1, s1, 1
	s_cmp_lg_u64 s[18:19], 0
	s_cbranch_scc0 .LBB545_93
; %bb.72:
	v_cvt_f32_u32_e32 v4, s1
	s_sub_u32 s19, 0, s1
	s_subb_u32 s24, 0, 0
	v_fmamk_f32 v4, 0, 0x4f800000, v4
	v_rcp_f32_e32 v4, v4
	v_mul_f32_e32 v4, 0x5f7ffffc, v4
	v_mul_f32_e32 v5, 0x2f800000, v4
	v_trunc_f32_e32 v5, v5
	v_fmamk_f32 v4, v5, 0xcf800000, v4
	v_cvt_u32_f32_e32 v5, v5
	v_cvt_u32_f32_e32 v4, v4
	v_readfirstlane_b32 s7, v5
	v_readfirstlane_b32 s15, v4
	s_mul_i32 s25, s19, s7
	s_mul_hi_u32 s28, s19, s15
	s_mul_i32 s27, s24, s15
	s_add_i32 s25, s28, s25
	s_mul_i32 s29, s19, s15
	s_add_i32 s25, s25, s27
	s_mul_hi_u32 s28, s15, s29
	s_mul_i32 s31, s15, s25
	s_mul_hi_u32 s30, s7, s29
	s_mul_i32 s27, s7, s29
	s_mul_hi_u32 s29, s15, s25
	s_add_u32 s28, s28, s31
	s_addc_u32 s29, 0, s29
	s_mul_hi_u32 s34, s7, s25
	s_add_u32 s27, s28, s27
	s_mul_i32 s25, s7, s25
	s_addc_u32 s27, s29, s30
	s_addc_u32 s28, s34, 0
	s_add_u32 s25, s27, s25
	s_addc_u32 s27, 0, s28
	s_add_u32 s15, s15, s25
	s_cselect_b32 s25, -1, 0
	s_mul_hi_u32 s28, s19, s15
	s_cmp_lg_u32 s25, 0
	s_mul_i32 s25, s19, s15
	s_addc_u32 s7, s7, s27
	s_mul_i32 s24, s24, s15
	s_mul_i32 s19, s19, s7
	s_mul_hi_u32 s27, s15, s25
	s_add_i32 s19, s28, s19
	s_mul_hi_u32 s28, s7, s25
	s_add_i32 s19, s19, s24
	s_mul_i32 s24, s7, s25
	s_mul_i32 s30, s15, s19
	s_mul_hi_u32 s29, s15, s19
	s_add_u32 s27, s27, s30
	s_addc_u32 s29, 0, s29
	s_mul_hi_u32 s25, s7, s19
	s_add_u32 s24, s27, s24
	s_mul_i32 s19, s7, s19
	s_addc_u32 s24, s29, s28
	s_addc_u32 s25, s25, 0
	s_add_u32 s19, s24, s19
	s_addc_u32 s24, 0, s25
	s_add_u32 s15, s15, s19
	s_cselect_b32 s19, -1, 0
	s_mul_hi_u32 s25, s16, s15
	s_cmp_lg_u32 s19, 0
	s_mul_hi_u32 s19, s17, s15
	s_addc_u32 s7, s7, s24
	s_mul_i32 s15, s17, s15
	s_mul_i32 s27, s16, s7
	s_mul_hi_u32 s24, s16, s7
	s_add_u32 s25, s25, s27
	s_addc_u32 s24, 0, s24
	s_mul_hi_u32 s28, s17, s7
	s_add_u32 s15, s25, s15
	s_mul_i32 s7, s17, s7
	s_addc_u32 s15, s24, s19
	s_addc_u32 s19, s28, 0
	s_add_u32 s7, s15, s7
	s_addc_u32 s15, 0, s19
	s_mul_hi_u32 s19, s1, s7
	s_mul_i32 s15, s1, s15
	s_mul_i32 s7, s1, s7
	s_add_i32 s19, s19, s15
	s_sub_u32 s7, s16, s7
	s_cselect_b32 s15, -1, 0
	s_cmp_lg_u32 s15, 0
	s_subb_u32 s15, s17, s19
	s_sub_u32 s19, s7, s1
	s_cselect_b32 s24, -1, 0
	s_cmp_lg_u32 s24, 0
	s_subb_u32 s24, s15, 0
	;; [unrolled: 4-line block ×3, first 2 shown]
	s_cmp_ge_u32 s19, s1
	s_cselect_b32 s28, -1, 0
	s_cmp_eq_u32 s24, 0
	s_cselect_b32 s28, s28, -1
	s_cmp_lg_u32 s28, 0
	s_cselect_b32 s24, s27, s24
	s_cselect_b32 s19, s25, s19
	s_cmp_ge_u32 s7, s1
	s_cselect_b32 s25, -1, 0
	s_cmp_eq_u32 s15, 0
	s_cselect_b32 s25, s25, -1
	s_cmp_lg_u32 s25, 0
	s_cselect_b32 s25, s24, s15
	s_cselect_b32 s24, s19, s7
	s_andn2_b32 vcc_lo, exec_lo, s18
	s_cbranch_vccnz .LBB545_74
.LBB545_73:
	v_cvt_f32_u32_e32 v4, s1
	s_sub_i32 s15, 0, s1
	s_mov_b32 s25, 0
	v_rcp_iflag_f32_e32 v4, v4
	v_mul_f32_e32 v4, 0x4f7ffffe, v4
	v_cvt_u32_f32_e32 v4, v4
	v_readfirstlane_b32 s7, v4
	s_mul_i32 s15, s15, s7
	s_mul_hi_u32 s15, s7, s15
	s_add_i32 s7, s7, s15
	s_mul_hi_u32 s7, s16, s7
	s_mul_i32 s7, s7, s1
	s_sub_i32 s7, s16, s7
	s_sub_i32 s15, s7, s1
	s_cmp_ge_u32 s7, s1
	s_cselect_b32 s7, s15, s7
	s_sub_i32 s15, s7, s1
	s_cmp_ge_u32 s7, s1
	s_cselect_b32 s24, s15, s7
.LBB545_74:
	v_lshlrev_b64 v[4:5], 4, v[0:1]
	v_mov_b32_e32 v7, v1
	v_lshlrev_b32_e32 v9, 4, v8
	v_mov_b32_e32 v6, v0
	s_sub_u32 s18, s16, s24
	s_subb_u32 s19, s17, s25
	v_or_b32_e32 v4, 8, v4
	s_mov_b32 s7, 0
	s_inst_prefetch 0x1
	.p2align	6
.LBB545_75:                             ; =>This Inner Loop Header: Depth=1
	v_add_co_u32 v10, vcc_lo, s10, v4
	v_add_co_ci_u32_e64 v11, null, s11, v5, vcc_lo
	v_add_co_u32 v14, vcc_lo, s12, v4
	v_add_co_ci_u32_e64 v15, null, s13, v5, vcc_lo
	global_load_dwordx4 v[10:13], v[10:11], off offset:-8
	global_load_dwordx4 v[14:17], v[14:15], off offset:-8
	v_add_co_u32 v6, vcc_lo, v6, v8
	v_add_co_ci_u32_e64 v7, null, 0, v7, vcc_lo
	s_waitcnt vmcnt(0)
	v_fma_f64 v[10:11], -v[2:3], v[10:11], v[14:15]
	v_fma_f64 v[12:13], -v[2:3], v[12:13], v[16:17]
	v_lshlrev_b64 v[14:15], 1, v[6:7]
	v_add_co_u32 v16, vcc_lo, s8, v4
	v_add_co_ci_u32_e64 v17, null, s9, v5, vcc_lo
	v_add_co_u32 v4, s1, v4, v9
	v_cmp_le_i64_e32 vcc_lo, s[18:19], v[14:15]
	v_add_co_ci_u32_e64 v5, null, 0, v5, s1
	s_or_b32 s7, vcc_lo, s7
	global_store_dwordx4 v[16:17], v[10:13], off offset:-8
	s_andn2_b32 exec_lo, exec_lo, s7
	s_cbranch_execnz .LBB545_75
; %bb.76:
	s_inst_prefetch 0x2
	s_or_b32 exec_lo, exec_lo, s7
	v_add_co_u32 v4, s1, s18, v0
	v_add_co_ci_u32_e64 v5, null, s19, 0, s1
	s_mov_b32 s7, exec_lo
	v_cmpx_gt_u64_e64 s[16:17], v[4:5]
	s_cbranch_execz .LBB545_79
; %bb.77:
	s_mov_b32 s15, 0
	.p2align	6
.LBB545_78:                             ; =>This Inner Loop Header: Depth=1
	v_lshlrev_b64 v[6:7], 3, v[4:5]
	v_add_co_u32 v9, vcc_lo, s12, v6
	v_add_co_ci_u32_e64 v10, null, s13, v7, vcc_lo
	v_add_co_u32 v11, vcc_lo, s10, v6
	v_add_co_ci_u32_e64 v12, null, s11, v7, vcc_lo
	global_load_dwordx2 v[9:10], v[9:10], off
	global_load_dwordx2 v[11:12], v[11:12], off
	v_add_co_u32 v4, vcc_lo, v4, v8
	v_add_co_ci_u32_e64 v5, null, 0, v5, vcc_lo
	v_add_co_u32 v6, s1, s8, v6
	v_add_co_ci_u32_e64 v7, null, s9, v7, s1
	v_cmp_le_i64_e32 vcc_lo, s[16:17], v[4:5]
	s_or_b32 s15, vcc_lo, s15
	s_waitcnt vmcnt(0)
	v_fma_f64 v[9:10], -v[2:3], v[11:12], v[9:10]
	global_store_dwordx2 v[6:7], v[9:10], off
	s_andn2_b32 exec_lo, exec_lo, s15
	s_cbranch_execnz .LBB545_78
.LBB545_79:
	s_or_b32 exec_lo, exec_lo, s7
	s_mov_b32 s7, 0
.LBB545_80:
	s_and_b32 vcc_lo, exec_lo, s7
	s_cbranch_vccz .LBB545_92
; %bb.81:
	s_andn2_b32 vcc_lo, exec_lo, s26
	s_cbranch_vccnz .LBB545_85
; %bb.82:
	s_and_saveexec_b32 s1, s0
	s_cbranch_execz .LBB545_84
; %bb.83:
	v_mov_b32_e32 v1, 0
	v_lshlrev_b64 v[4:5], 3, v[0:1]
	v_add_co_u32 v6, vcc_lo, s2, v4
	v_add_co_ci_u32_e64 v7, null, s3, v5, vcc_lo
	v_add_co_u32 v8, vcc_lo, s22, v4
	v_add_co_ci_u32_e64 v9, null, s23, v5, vcc_lo
	global_load_dwordx2 v[6:7], v[6:7], off offset:-8
	global_load_dwordx2 v[8:9], v[8:9], off offset:-8
	v_add_co_u32 v4, vcc_lo, s20, v4
	v_add_co_ci_u32_e64 v5, null, s21, v5, vcc_lo
	s_waitcnt vmcnt(0) lgkmcnt(0)
	v_fma_f64 v[6:7], -v[2:3], v[8:9], v[6:7]
	global_store_dwordx2 v[4:5], v[6:7], off offset:-8
.LBB545_84:
	s_or_b32 exec_lo, exec_lo, s1
	s_add_i32 s0, s14, 1
	s_lshl_b32 s1, s33, 3
	v_sub_nc_u32_e64 v1, s0, s33 clamp
	s_add_u32 s0, s20, s1
	s_addc_u32 s7, s21, 0
	s_add_u32 s20, s0, -8
	s_addc_u32 s21, s7, -1
	s_add_u32 s0, s22, s1
	s_addc_u32 s7, s23, 0
	s_add_u32 s22, s0, -8
	s_addc_u32 s23, s7, -1
	v_readfirstlane_b32 s14, v1
	s_add_u32 s0, s2, s1
	s_addc_u32 s1, s3, 0
	s_add_u32 s2, s0, -8
	s_addc_u32 s3, s1, -1
.LBB545_85:
	s_load_dword s0, s[4:5], 0x0
	v_mov_b32_e32 v1, 0
	s_waitcnt lgkmcnt(0)
	s_cmp_lt_u32 s6, s0
	s_cselect_b32 s0, 12, 18
	s_add_u32 s0, s4, s0
	s_addc_u32 s1, s5, 0
	s_mov_b32 s5, 0
	global_load_ushort v6, v1, s[0:1]
	s_waitcnt vmcnt(0)
	v_readfirstlane_b32 s0, v6
	s_lshl_b32 s0, s0, 1
	v_cvt_f32_u32_e32 v1, s0
	s_sub_i32 s4, 0, s0
	v_rcp_iflag_f32_e32 v1, v1
	v_mul_f32_e32 v1, 0x4f7ffffe, v1
	v_cvt_u32_f32_e32 v1, v1
	v_readfirstlane_b32 s1, v1
	v_lshlrev_b32_e32 v1, 1, v0
	s_mul_i32 s4, s4, s1
	s_mul_hi_u32 s4, s1, s4
	s_add_i32 s1, s1, s4
	s_mul_hi_u32 s1, s14, s1
	s_mul_i32 s1, s1, s0
	s_sub_i32 s1, s14, s1
	s_sub_i32 s4, s1, s0
	s_cmp_ge_u32 s1, s0
	s_cselect_b32 s1, s4, s1
	s_sub_i32 s4, s1, s0
	s_cmp_ge_u32 s1, s0
	s_cselect_b32 s0, s4, s1
	s_mov_b32 s4, exec_lo
	s_sub_i32 s1, s14, s0
	v_cmpx_gt_i32_e64 s1, v1
	s_cbranch_execz .LBB545_88
; %bb.86:
	v_mov_b32_e32 v4, v0
	.p2align	6
.LBB545_87:                             ; =>This Inner Loop Header: Depth=1
	v_ashrrev_i32_e32 v5, 31, v4
	v_lshlrev_b64 v[15:16], 4, v[4:5]
	v_add_nc_u32_e32 v4, v4, v6
	v_lshlrev_b32_e32 v1, 1, v4
	v_add_co_u32 v7, vcc_lo, s22, v15
	v_add_co_ci_u32_e64 v8, null, s23, v16, vcc_lo
	v_add_co_u32 v11, vcc_lo, s2, v15
	v_add_co_ci_u32_e64 v12, null, s3, v16, vcc_lo
	global_load_dwordx4 v[7:10], v[7:8], off
	global_load_dwordx4 v[11:14], v[11:12], off
	v_cmp_le_i32_e32 vcc_lo, s1, v1
	s_or_b32 s5, vcc_lo, s5
	s_waitcnt vmcnt(0)
	v_fma_f64 v[7:8], -v[2:3], v[7:8], v[11:12]
	v_fma_f64 v[9:10], -v[2:3], v[9:10], v[13:14]
	v_add_co_u32 v11, s0, s20, v15
	v_add_co_ci_u32_e64 v12, null, s21, v16, s0
	global_store_dwordx4 v[11:12], v[7:10], off
	s_andn2_b32 exec_lo, exec_lo, s5
	s_cbranch_execnz .LBB545_87
.LBB545_88:
	s_or_b32 exec_lo, exec_lo, s4
	v_add_nc_u32_e32 v0, s1, v0
	s_mov_b32 s0, exec_lo
	v_cmpx_gt_i32_e64 s14, v0
	s_cbranch_execz .LBB545_92
; %bb.89:
	s_mov_b32 s1, 0
	.p2align	6
.LBB545_90:                             ; =>This Inner Loop Header: Depth=1
	v_ashrrev_i32_e32 v1, 31, v0
	v_lshlrev_b64 v[4:5], 3, v[0:1]
	v_add_nc_u32_e32 v0, v0, v6
	v_add_co_u32 v7, vcc_lo, s2, v4
	v_add_co_ci_u32_e64 v8, null, s3, v5, vcc_lo
	v_add_co_u32 v9, vcc_lo, s22, v4
	v_add_co_ci_u32_e64 v10, null, s23, v5, vcc_lo
	global_load_dwordx2 v[7:8], v[7:8], off
	global_load_dwordx2 v[9:10], v[9:10], off
	v_cmp_le_i32_e32 vcc_lo, s14, v0
	v_add_co_u32 v4, s0, s20, v4
	v_add_co_ci_u32_e64 v5, null, s21, v5, s0
	s_or_b32 s1, vcc_lo, s1
	s_waitcnt vmcnt(0)
	v_fma_f64 v[7:8], -v[2:3], v[9:10], v[7:8]
	global_store_dwordx2 v[4:5], v[7:8], off
	s_andn2_b32 exec_lo, exec_lo, s1
	s_cbranch_execnz .LBB545_90
	s_branch .LBB545_92
.LBB545_91:
	s_cbranch_execz .LBB545_66
.LBB545_92:
	s_endpgm
.LBB545_93:
                                        ; implicit-def: $sgpr24_sgpr25
	s_branch .LBB545_73
	.section	.rodata,"a",@progbits
	.p2align	6, 0x0
	.amdhsa_kernel _ZN2at6native12_GLOBAL__N_120cunn_SoftMaxBackwardILi2EdddNS1_23SoftMaxBackwardEpilogueEEEvPT0_PKT2_S8_l
		.amdhsa_group_segment_fixed_size 0
		.amdhsa_private_segment_fixed_size 0
		.amdhsa_kernarg_size 288
		.amdhsa_user_sgpr_count 6
		.amdhsa_user_sgpr_private_segment_buffer 1
		.amdhsa_user_sgpr_dispatch_ptr 0
		.amdhsa_user_sgpr_queue_ptr 0
		.amdhsa_user_sgpr_kernarg_segment_ptr 1
		.amdhsa_user_sgpr_dispatch_id 0
		.amdhsa_user_sgpr_flat_scratch_init 0
		.amdhsa_user_sgpr_private_segment_size 0
		.amdhsa_wavefront_size32 1
		.amdhsa_uses_dynamic_stack 0
		.amdhsa_system_sgpr_private_segment_wavefront_offset 0
		.amdhsa_system_sgpr_workgroup_id_x 1
		.amdhsa_system_sgpr_workgroup_id_y 0
		.amdhsa_system_sgpr_workgroup_id_z 0
		.amdhsa_system_sgpr_workgroup_info 0
		.amdhsa_system_vgpr_workitem_id 0
		.amdhsa_next_free_vgpr 20
		.amdhsa_next_free_sgpr 47
		.amdhsa_reserve_vcc 1
		.amdhsa_reserve_flat_scratch 0
		.amdhsa_float_round_mode_32 0
		.amdhsa_float_round_mode_16_64 0
		.amdhsa_float_denorm_mode_32 3
		.amdhsa_float_denorm_mode_16_64 3
		.amdhsa_dx10_clamp 1
		.amdhsa_ieee_mode 1
		.amdhsa_fp16_overflow 0
		.amdhsa_workgroup_processor_mode 1
		.amdhsa_memory_ordered 1
		.amdhsa_forward_progress 1
		.amdhsa_shared_vgpr_count 0
		.amdhsa_exception_fp_ieee_invalid_op 0
		.amdhsa_exception_fp_denorm_src 0
		.amdhsa_exception_fp_ieee_div_zero 0
		.amdhsa_exception_fp_ieee_overflow 0
		.amdhsa_exception_fp_ieee_underflow 0
		.amdhsa_exception_fp_ieee_inexact 0
		.amdhsa_exception_int_div_zero 0
	.end_amdhsa_kernel
	.section	.text._ZN2at6native12_GLOBAL__N_120cunn_SoftMaxBackwardILi2EdddNS1_23SoftMaxBackwardEpilogueEEEvPT0_PKT2_S8_l,"axG",@progbits,_ZN2at6native12_GLOBAL__N_120cunn_SoftMaxBackwardILi2EdddNS1_23SoftMaxBackwardEpilogueEEEvPT0_PKT2_S8_l,comdat
.Lfunc_end545:
	.size	_ZN2at6native12_GLOBAL__N_120cunn_SoftMaxBackwardILi2EdddNS1_23SoftMaxBackwardEpilogueEEEvPT0_PKT2_S8_l, .Lfunc_end545-_ZN2at6native12_GLOBAL__N_120cunn_SoftMaxBackwardILi2EdddNS1_23SoftMaxBackwardEpilogueEEEvPT0_PKT2_S8_l
                                        ; -- End function
	.set _ZN2at6native12_GLOBAL__N_120cunn_SoftMaxBackwardILi2EdddNS1_23SoftMaxBackwardEpilogueEEEvPT0_PKT2_S8_l.num_vgpr, 20
	.set _ZN2at6native12_GLOBAL__N_120cunn_SoftMaxBackwardILi2EdddNS1_23SoftMaxBackwardEpilogueEEEvPT0_PKT2_S8_l.num_agpr, 0
	.set _ZN2at6native12_GLOBAL__N_120cunn_SoftMaxBackwardILi2EdddNS1_23SoftMaxBackwardEpilogueEEEvPT0_PKT2_S8_l.numbered_sgpr, 47
	.set _ZN2at6native12_GLOBAL__N_120cunn_SoftMaxBackwardILi2EdddNS1_23SoftMaxBackwardEpilogueEEEvPT0_PKT2_S8_l.num_named_barrier, 0
	.set _ZN2at6native12_GLOBAL__N_120cunn_SoftMaxBackwardILi2EdddNS1_23SoftMaxBackwardEpilogueEEEvPT0_PKT2_S8_l.private_seg_size, 0
	.set _ZN2at6native12_GLOBAL__N_120cunn_SoftMaxBackwardILi2EdddNS1_23SoftMaxBackwardEpilogueEEEvPT0_PKT2_S8_l.uses_vcc, 1
	.set _ZN2at6native12_GLOBAL__N_120cunn_SoftMaxBackwardILi2EdddNS1_23SoftMaxBackwardEpilogueEEEvPT0_PKT2_S8_l.uses_flat_scratch, 0
	.set _ZN2at6native12_GLOBAL__N_120cunn_SoftMaxBackwardILi2EdddNS1_23SoftMaxBackwardEpilogueEEEvPT0_PKT2_S8_l.has_dyn_sized_stack, 0
	.set _ZN2at6native12_GLOBAL__N_120cunn_SoftMaxBackwardILi2EdddNS1_23SoftMaxBackwardEpilogueEEEvPT0_PKT2_S8_l.has_recursion, 0
	.set _ZN2at6native12_GLOBAL__N_120cunn_SoftMaxBackwardILi2EdddNS1_23SoftMaxBackwardEpilogueEEEvPT0_PKT2_S8_l.has_indirect_call, 0
	.section	.AMDGPU.csdata,"",@progbits
; Kernel info:
; codeLenInByte = 5892
; TotalNumSgprs: 49
; NumVgprs: 20
; ScratchSize: 0
; MemoryBound: 0
; FloatMode: 240
; IeeeMode: 1
; LDSByteSize: 0 bytes/workgroup (compile time only)
; SGPRBlocks: 0
; VGPRBlocks: 2
; NumSGPRsForWavesPerEU: 49
; NumVGPRsForWavesPerEU: 20
; Occupancy: 16
; WaveLimiterHint : 0
; COMPUTE_PGM_RSRC2:SCRATCH_EN: 0
; COMPUTE_PGM_RSRC2:USER_SGPR: 6
; COMPUTE_PGM_RSRC2:TRAP_HANDLER: 0
; COMPUTE_PGM_RSRC2:TGID_X_EN: 1
; COMPUTE_PGM_RSRC2:TGID_Y_EN: 0
; COMPUTE_PGM_RSRC2:TGID_Z_EN: 0
; COMPUTE_PGM_RSRC2:TIDIG_COMP_CNT: 0
	.section	.text._ZN12_GLOBAL__N_121softmax_warp_backwardIfffLi0ELb0ELb0ELi64EEEvPT0_PKT_S5_iiiPKb,"axG",@progbits,_ZN12_GLOBAL__N_121softmax_warp_backwardIfffLi0ELb0ELb0ELi64EEEvPT0_PKT_S5_iiiPKb,comdat
	.globl	_ZN12_GLOBAL__N_121softmax_warp_backwardIfffLi0ELb0ELb0ELi64EEEvPT0_PKT_S5_iiiPKb ; -- Begin function _ZN12_GLOBAL__N_121softmax_warp_backwardIfffLi0ELb0ELb0ELi64EEEvPT0_PKT_S5_iiiPKb
	.p2align	8
	.type	_ZN12_GLOBAL__N_121softmax_warp_backwardIfffLi0ELb0ELb0ELi64EEEvPT0_PKT_S5_iiiPKb,@function
_ZN12_GLOBAL__N_121softmax_warp_backwardIfffLi0ELb0ELb0ELi64EEEvPT0_PKT_S5_iiiPKb: ; @_ZN12_GLOBAL__N_121softmax_warp_backwardIfffLi0ELb0ELb0ELi64EEEvPT0_PKT_S5_iiiPKb
; %bb.0:
	s_clause 0x3
	s_load_dword s7, s[4:5], 0x3c
	s_load_dwordx4 s[0:3], s[4:5], 0x18
	s_load_dwordx4 s[8:11], s[4:5], 0x0
	s_load_dwordx2 s[4:5], s[4:5], 0x10
	v_mov_b32_e32 v7, 0
	v_mov_b32_e32 v8, 0
	s_waitcnt lgkmcnt(0)
	s_lshr_b32 s3, s7, 16
	s_and_b32 s3, s3, 0xffff
	s_cmp_gt_i32 s2, 0
	s_mul_i32 s6, s6, s3
	v_add_lshl_u32 v2, s6, v1, 1
	v_mul_lo_u32 v0, v2, s1
	v_sub_nc_u32_e32 v6, s0, v2
	s_cselect_b32 s1, -1, 0
	v_cmp_lt_i32_e32 vcc_lo, 0, v6
	v_ashrrev_i32_e32 v1, 31, v0
	s_and_b32 s3, s1, vcc_lo
	v_lshlrev_b64 v[0:1], 2, v[0:1]
	v_add_co_u32 v4, s0, s10, v0
	v_add_co_ci_u32_e64 v5, null, s11, v1, s0
	v_add_co_u32 v2, s0, s4, v0
	v_add_co_ci_u32_e64 v3, null, s5, v1, s0
	s_and_saveexec_b32 s0, s3
	s_cbranch_execz .LBB546_2
; %bb.1:
	global_load_dword v8, v[4:5], off
	global_load_dword v7, v[2:3], off
.LBB546_2:
	s_or_b32 exec_lo, exec_lo, s0
	v_cmp_gt_i32_e64 s0, 2, v6
	s_xor_b32 s3, s1, -1
	s_or_b32 s0, s3, s0
	s_and_saveexec_b32 s3, s0
	s_xor_b32 s0, exec_lo, s3
                                        ; implicit-def: $vgpr9
	s_cbranch_execnz .LBB546_6
; %bb.3:
	s_or_saveexec_b32 s4, s0
	v_mov_b32_e32 v10, 0
	s_xor_b32 exec_lo, exec_lo, s4
	s_cbranch_execnz .LBB546_7
.LBB546_4:
	s_or_b32 exec_lo, exec_lo, s4
	s_and_saveexec_b32 s0, vcc_lo
	s_cbranch_execnz .LBB546_8
.LBB546_5:
	s_endpgm
.LBB546_6:
	v_mov_b32_e32 v9, 0
                                        ; implicit-def: $vgpr2
                                        ; implicit-def: $vgpr4
	s_or_saveexec_b32 s4, s0
	v_mov_b32_e32 v10, 0
	s_xor_b32 exec_lo, exec_lo, s4
	s_cbranch_execz .LBB546_4
.LBB546_7:
	s_mov_b32 s3, 0
	s_lshl_b64 s[6:7], s[2:3], 2
	v_add_co_u32 v4, s0, v4, s6
	v_add_co_ci_u32_e64 v5, null, s7, v5, s0
	v_add_co_u32 v2, s0, v2, s6
	v_add_co_ci_u32_e64 v3, null, s7, v3, s0
	global_load_dword v9, v[4:5], off
	global_load_dword v10, v[2:3], off
	s_or_b32 exec_lo, exec_lo, s4
	s_and_saveexec_b32 s0, vcc_lo
	s_cbranch_execz .LBB546_5
.LBB546_8:
	v_add_co_u32 v0, vcc_lo, s8, v0
	v_add_co_ci_u32_e64 v1, null, s9, v1, vcc_lo
	s_andn2_b32 vcc_lo, exec_lo, s1
	s_cbranch_vccnz .LBB546_10
; %bb.9:
	s_waitcnt vmcnt(1)
	v_add_f32_e32 v2, 0, v8
	s_waitcnt vmcnt(0)
	v_fma_f32 v2, -v7, v2, v8
	global_store_dword v[0:1], v2, off
.LBB546_10:
	v_cmp_ne_u32_e32 vcc_lo, 1, v6
	s_and_b32 s0, vcc_lo, s1
	s_and_b32 exec_lo, exec_lo, s0
	s_cbranch_execz .LBB546_5
; %bb.11:
	s_mov_b32 s3, 0
	s_waitcnt vmcnt(1)
	v_add_f32_e32 v2, 0, v9
	s_lshl_b64 s[0:1], s[2:3], 2
	v_add_co_u32 v0, vcc_lo, v0, s0
	v_add_co_ci_u32_e64 v1, null, s1, v1, vcc_lo
	s_waitcnt vmcnt(0)
	v_fma_f32 v2, -v10, v2, v9
	global_store_dword v[0:1], v2, off
	s_endpgm
	.section	.rodata,"a",@progbits
	.p2align	6, 0x0
	.amdhsa_kernel _ZN12_GLOBAL__N_121softmax_warp_backwardIfffLi0ELb0ELb0ELi64EEEvPT0_PKT_S5_iiiPKb
		.amdhsa_group_segment_fixed_size 0
		.amdhsa_private_segment_fixed_size 0
		.amdhsa_kernarg_size 304
		.amdhsa_user_sgpr_count 6
		.amdhsa_user_sgpr_private_segment_buffer 1
		.amdhsa_user_sgpr_dispatch_ptr 0
		.amdhsa_user_sgpr_queue_ptr 0
		.amdhsa_user_sgpr_kernarg_segment_ptr 1
		.amdhsa_user_sgpr_dispatch_id 0
		.amdhsa_user_sgpr_flat_scratch_init 0
		.amdhsa_user_sgpr_private_segment_size 0
		.amdhsa_wavefront_size32 1
		.amdhsa_uses_dynamic_stack 0
		.amdhsa_system_sgpr_private_segment_wavefront_offset 0
		.amdhsa_system_sgpr_workgroup_id_x 1
		.amdhsa_system_sgpr_workgroup_id_y 0
		.amdhsa_system_sgpr_workgroup_id_z 0
		.amdhsa_system_sgpr_workgroup_info 0
		.amdhsa_system_vgpr_workitem_id 1
		.amdhsa_next_free_vgpr 11
		.amdhsa_next_free_sgpr 12
		.amdhsa_reserve_vcc 1
		.amdhsa_reserve_flat_scratch 0
		.amdhsa_float_round_mode_32 0
		.amdhsa_float_round_mode_16_64 0
		.amdhsa_float_denorm_mode_32 3
		.amdhsa_float_denorm_mode_16_64 3
		.amdhsa_dx10_clamp 1
		.amdhsa_ieee_mode 1
		.amdhsa_fp16_overflow 0
		.amdhsa_workgroup_processor_mode 1
		.amdhsa_memory_ordered 1
		.amdhsa_forward_progress 1
		.amdhsa_shared_vgpr_count 0
		.amdhsa_exception_fp_ieee_invalid_op 0
		.amdhsa_exception_fp_denorm_src 0
		.amdhsa_exception_fp_ieee_div_zero 0
		.amdhsa_exception_fp_ieee_overflow 0
		.amdhsa_exception_fp_ieee_underflow 0
		.amdhsa_exception_fp_ieee_inexact 0
		.amdhsa_exception_int_div_zero 0
	.end_amdhsa_kernel
	.section	.text._ZN12_GLOBAL__N_121softmax_warp_backwardIfffLi0ELb0ELb0ELi64EEEvPT0_PKT_S5_iiiPKb,"axG",@progbits,_ZN12_GLOBAL__N_121softmax_warp_backwardIfffLi0ELb0ELb0ELi64EEEvPT0_PKT_S5_iiiPKb,comdat
.Lfunc_end546:
	.size	_ZN12_GLOBAL__N_121softmax_warp_backwardIfffLi0ELb0ELb0ELi64EEEvPT0_PKT_S5_iiiPKb, .Lfunc_end546-_ZN12_GLOBAL__N_121softmax_warp_backwardIfffLi0ELb0ELb0ELi64EEEvPT0_PKT_S5_iiiPKb
                                        ; -- End function
	.set _ZN12_GLOBAL__N_121softmax_warp_backwardIfffLi0ELb0ELb0ELi64EEEvPT0_PKT_S5_iiiPKb.num_vgpr, 11
	.set _ZN12_GLOBAL__N_121softmax_warp_backwardIfffLi0ELb0ELb0ELi64EEEvPT0_PKT_S5_iiiPKb.num_agpr, 0
	.set _ZN12_GLOBAL__N_121softmax_warp_backwardIfffLi0ELb0ELb0ELi64EEEvPT0_PKT_S5_iiiPKb.numbered_sgpr, 12
	.set _ZN12_GLOBAL__N_121softmax_warp_backwardIfffLi0ELb0ELb0ELi64EEEvPT0_PKT_S5_iiiPKb.num_named_barrier, 0
	.set _ZN12_GLOBAL__N_121softmax_warp_backwardIfffLi0ELb0ELb0ELi64EEEvPT0_PKT_S5_iiiPKb.private_seg_size, 0
	.set _ZN12_GLOBAL__N_121softmax_warp_backwardIfffLi0ELb0ELb0ELi64EEEvPT0_PKT_S5_iiiPKb.uses_vcc, 1
	.set _ZN12_GLOBAL__N_121softmax_warp_backwardIfffLi0ELb0ELb0ELi64EEEvPT0_PKT_S5_iiiPKb.uses_flat_scratch, 0
	.set _ZN12_GLOBAL__N_121softmax_warp_backwardIfffLi0ELb0ELb0ELi64EEEvPT0_PKT_S5_iiiPKb.has_dyn_sized_stack, 0
	.set _ZN12_GLOBAL__N_121softmax_warp_backwardIfffLi0ELb0ELb0ELi64EEEvPT0_PKT_S5_iiiPKb.has_recursion, 0
	.set _ZN12_GLOBAL__N_121softmax_warp_backwardIfffLi0ELb0ELb0ELi64EEEvPT0_PKT_S5_iiiPKb.has_indirect_call, 0
	.section	.AMDGPU.csdata,"",@progbits
; Kernel info:
; codeLenInByte = 444
; TotalNumSgprs: 14
; NumVgprs: 11
; ScratchSize: 0
; MemoryBound: 0
; FloatMode: 240
; IeeeMode: 1
; LDSByteSize: 0 bytes/workgroup (compile time only)
; SGPRBlocks: 0
; VGPRBlocks: 1
; NumSGPRsForWavesPerEU: 14
; NumVGPRsForWavesPerEU: 11
; Occupancy: 16
; WaveLimiterHint : 0
; COMPUTE_PGM_RSRC2:SCRATCH_EN: 0
; COMPUTE_PGM_RSRC2:USER_SGPR: 6
; COMPUTE_PGM_RSRC2:TRAP_HANDLER: 0
; COMPUTE_PGM_RSRC2:TGID_X_EN: 1
; COMPUTE_PGM_RSRC2:TGID_Y_EN: 0
; COMPUTE_PGM_RSRC2:TGID_Z_EN: 0
; COMPUTE_PGM_RSRC2:TIDIG_COMP_CNT: 1
	.section	.text._ZN12_GLOBAL__N_121softmax_warp_backwardIfffLi0ELb0ELb0ELi32EEEvPT0_PKT_S5_iiiPKb,"axG",@progbits,_ZN12_GLOBAL__N_121softmax_warp_backwardIfffLi0ELb0ELb0ELi32EEEvPT0_PKT_S5_iiiPKb,comdat
	.globl	_ZN12_GLOBAL__N_121softmax_warp_backwardIfffLi0ELb0ELb0ELi32EEEvPT0_PKT_S5_iiiPKb ; -- Begin function _ZN12_GLOBAL__N_121softmax_warp_backwardIfffLi0ELb0ELb0ELi32EEEvPT0_PKT_S5_iiiPKb
	.p2align	8
	.type	_ZN12_GLOBAL__N_121softmax_warp_backwardIfffLi0ELb0ELb0ELi32EEEvPT0_PKT_S5_iiiPKb,@function
_ZN12_GLOBAL__N_121softmax_warp_backwardIfffLi0ELb0ELb0ELi32EEEvPT0_PKT_S5_iiiPKb: ; @_ZN12_GLOBAL__N_121softmax_warp_backwardIfffLi0ELb0ELb0ELi32EEEvPT0_PKT_S5_iiiPKb
; %bb.0:
	s_clause 0x3
	s_load_dword s7, s[4:5], 0x3c
	s_load_dwordx4 s[0:3], s[4:5], 0x18
	s_load_dwordx4 s[8:11], s[4:5], 0x0
	s_load_dwordx2 s[4:5], s[4:5], 0x10
	v_mov_b32_e32 v7, 0
	v_mov_b32_e32 v8, 0
	s_waitcnt lgkmcnt(0)
	s_lshr_b32 s3, s7, 16
	s_and_b32 s3, s3, 0xffff
	s_cmp_gt_i32 s2, 0
	s_mul_i32 s6, s6, s3
	v_add_lshl_u32 v2, s6, v1, 1
	v_mul_lo_u32 v0, v2, s1
	v_sub_nc_u32_e32 v6, s0, v2
	s_cselect_b32 s1, -1, 0
	v_cmp_lt_i32_e32 vcc_lo, 0, v6
	v_ashrrev_i32_e32 v1, 31, v0
	s_and_b32 s3, s1, vcc_lo
	v_lshlrev_b64 v[0:1], 2, v[0:1]
	v_add_co_u32 v4, s0, s10, v0
	v_add_co_ci_u32_e64 v5, null, s11, v1, s0
	v_add_co_u32 v2, s0, s4, v0
	v_add_co_ci_u32_e64 v3, null, s5, v1, s0
	s_and_saveexec_b32 s0, s3
	s_cbranch_execz .LBB547_2
; %bb.1:
	global_load_dword v8, v[4:5], off
	global_load_dword v7, v[2:3], off
.LBB547_2:
	s_or_b32 exec_lo, exec_lo, s0
	v_cmp_gt_i32_e64 s0, 2, v6
	s_xor_b32 s3, s1, -1
	s_or_b32 s0, s3, s0
	s_and_saveexec_b32 s3, s0
	s_xor_b32 s0, exec_lo, s3
                                        ; implicit-def: $vgpr9
	s_cbranch_execnz .LBB547_6
; %bb.3:
	s_or_saveexec_b32 s4, s0
	v_mov_b32_e32 v10, 0
	s_xor_b32 exec_lo, exec_lo, s4
	s_cbranch_execnz .LBB547_7
.LBB547_4:
	s_or_b32 exec_lo, exec_lo, s4
	s_and_saveexec_b32 s0, vcc_lo
	s_cbranch_execnz .LBB547_8
.LBB547_5:
	s_endpgm
.LBB547_6:
	v_mov_b32_e32 v9, 0
                                        ; implicit-def: $vgpr2
                                        ; implicit-def: $vgpr4
	s_or_saveexec_b32 s4, s0
	v_mov_b32_e32 v10, 0
	s_xor_b32 exec_lo, exec_lo, s4
	s_cbranch_execz .LBB547_4
.LBB547_7:
	s_mov_b32 s3, 0
	s_lshl_b64 s[6:7], s[2:3], 2
	v_add_co_u32 v4, s0, v4, s6
	v_add_co_ci_u32_e64 v5, null, s7, v5, s0
	v_add_co_u32 v2, s0, v2, s6
	v_add_co_ci_u32_e64 v3, null, s7, v3, s0
	global_load_dword v9, v[4:5], off
	global_load_dword v10, v[2:3], off
	s_or_b32 exec_lo, exec_lo, s4
	s_and_saveexec_b32 s0, vcc_lo
	s_cbranch_execz .LBB547_5
.LBB547_8:
	v_add_co_u32 v0, vcc_lo, s8, v0
	v_add_co_ci_u32_e64 v1, null, s9, v1, vcc_lo
	s_andn2_b32 vcc_lo, exec_lo, s1
	s_cbranch_vccnz .LBB547_10
; %bb.9:
	s_waitcnt vmcnt(1)
	v_add_f32_e32 v2, 0, v8
	s_waitcnt vmcnt(0)
	v_fma_f32 v2, -v7, v2, v8
	global_store_dword v[0:1], v2, off
.LBB547_10:
	v_cmp_ne_u32_e32 vcc_lo, 1, v6
	s_and_b32 s0, vcc_lo, s1
	s_and_b32 exec_lo, exec_lo, s0
	s_cbranch_execz .LBB547_5
; %bb.11:
	s_mov_b32 s3, 0
	s_waitcnt vmcnt(1)
	v_add_f32_e32 v2, 0, v9
	s_lshl_b64 s[0:1], s[2:3], 2
	v_add_co_u32 v0, vcc_lo, v0, s0
	v_add_co_ci_u32_e64 v1, null, s1, v1, vcc_lo
	s_waitcnt vmcnt(0)
	v_fma_f32 v2, -v10, v2, v9
	global_store_dword v[0:1], v2, off
	s_endpgm
	.section	.rodata,"a",@progbits
	.p2align	6, 0x0
	.amdhsa_kernel _ZN12_GLOBAL__N_121softmax_warp_backwardIfffLi0ELb0ELb0ELi32EEEvPT0_PKT_S5_iiiPKb
		.amdhsa_group_segment_fixed_size 0
		.amdhsa_private_segment_fixed_size 0
		.amdhsa_kernarg_size 304
		.amdhsa_user_sgpr_count 6
		.amdhsa_user_sgpr_private_segment_buffer 1
		.amdhsa_user_sgpr_dispatch_ptr 0
		.amdhsa_user_sgpr_queue_ptr 0
		.amdhsa_user_sgpr_kernarg_segment_ptr 1
		.amdhsa_user_sgpr_dispatch_id 0
		.amdhsa_user_sgpr_flat_scratch_init 0
		.amdhsa_user_sgpr_private_segment_size 0
		.amdhsa_wavefront_size32 1
		.amdhsa_uses_dynamic_stack 0
		.amdhsa_system_sgpr_private_segment_wavefront_offset 0
		.amdhsa_system_sgpr_workgroup_id_x 1
		.amdhsa_system_sgpr_workgroup_id_y 0
		.amdhsa_system_sgpr_workgroup_id_z 0
		.amdhsa_system_sgpr_workgroup_info 0
		.amdhsa_system_vgpr_workitem_id 1
		.amdhsa_next_free_vgpr 11
		.amdhsa_next_free_sgpr 12
		.amdhsa_reserve_vcc 1
		.amdhsa_reserve_flat_scratch 0
		.amdhsa_float_round_mode_32 0
		.amdhsa_float_round_mode_16_64 0
		.amdhsa_float_denorm_mode_32 3
		.amdhsa_float_denorm_mode_16_64 3
		.amdhsa_dx10_clamp 1
		.amdhsa_ieee_mode 1
		.amdhsa_fp16_overflow 0
		.amdhsa_workgroup_processor_mode 1
		.amdhsa_memory_ordered 1
		.amdhsa_forward_progress 1
		.amdhsa_shared_vgpr_count 0
		.amdhsa_exception_fp_ieee_invalid_op 0
		.amdhsa_exception_fp_denorm_src 0
		.amdhsa_exception_fp_ieee_div_zero 0
		.amdhsa_exception_fp_ieee_overflow 0
		.amdhsa_exception_fp_ieee_underflow 0
		.amdhsa_exception_fp_ieee_inexact 0
		.amdhsa_exception_int_div_zero 0
	.end_amdhsa_kernel
	.section	.text._ZN12_GLOBAL__N_121softmax_warp_backwardIfffLi0ELb0ELb0ELi32EEEvPT0_PKT_S5_iiiPKb,"axG",@progbits,_ZN12_GLOBAL__N_121softmax_warp_backwardIfffLi0ELb0ELb0ELi32EEEvPT0_PKT_S5_iiiPKb,comdat
.Lfunc_end547:
	.size	_ZN12_GLOBAL__N_121softmax_warp_backwardIfffLi0ELb0ELb0ELi32EEEvPT0_PKT_S5_iiiPKb, .Lfunc_end547-_ZN12_GLOBAL__N_121softmax_warp_backwardIfffLi0ELb0ELb0ELi32EEEvPT0_PKT_S5_iiiPKb
                                        ; -- End function
	.set _ZN12_GLOBAL__N_121softmax_warp_backwardIfffLi0ELb0ELb0ELi32EEEvPT0_PKT_S5_iiiPKb.num_vgpr, 11
	.set _ZN12_GLOBAL__N_121softmax_warp_backwardIfffLi0ELb0ELb0ELi32EEEvPT0_PKT_S5_iiiPKb.num_agpr, 0
	.set _ZN12_GLOBAL__N_121softmax_warp_backwardIfffLi0ELb0ELb0ELi32EEEvPT0_PKT_S5_iiiPKb.numbered_sgpr, 12
	.set _ZN12_GLOBAL__N_121softmax_warp_backwardIfffLi0ELb0ELb0ELi32EEEvPT0_PKT_S5_iiiPKb.num_named_barrier, 0
	.set _ZN12_GLOBAL__N_121softmax_warp_backwardIfffLi0ELb0ELb0ELi32EEEvPT0_PKT_S5_iiiPKb.private_seg_size, 0
	.set _ZN12_GLOBAL__N_121softmax_warp_backwardIfffLi0ELb0ELb0ELi32EEEvPT0_PKT_S5_iiiPKb.uses_vcc, 1
	.set _ZN12_GLOBAL__N_121softmax_warp_backwardIfffLi0ELb0ELb0ELi32EEEvPT0_PKT_S5_iiiPKb.uses_flat_scratch, 0
	.set _ZN12_GLOBAL__N_121softmax_warp_backwardIfffLi0ELb0ELb0ELi32EEEvPT0_PKT_S5_iiiPKb.has_dyn_sized_stack, 0
	.set _ZN12_GLOBAL__N_121softmax_warp_backwardIfffLi0ELb0ELb0ELi32EEEvPT0_PKT_S5_iiiPKb.has_recursion, 0
	.set _ZN12_GLOBAL__N_121softmax_warp_backwardIfffLi0ELb0ELb0ELi32EEEvPT0_PKT_S5_iiiPKb.has_indirect_call, 0
	.section	.AMDGPU.csdata,"",@progbits
; Kernel info:
; codeLenInByte = 444
; TotalNumSgprs: 14
; NumVgprs: 11
; ScratchSize: 0
; MemoryBound: 0
; FloatMode: 240
; IeeeMode: 1
; LDSByteSize: 0 bytes/workgroup (compile time only)
; SGPRBlocks: 0
; VGPRBlocks: 1
; NumSGPRsForWavesPerEU: 14
; NumVGPRsForWavesPerEU: 11
; Occupancy: 16
; WaveLimiterHint : 0
; COMPUTE_PGM_RSRC2:SCRATCH_EN: 0
; COMPUTE_PGM_RSRC2:USER_SGPR: 6
; COMPUTE_PGM_RSRC2:TRAP_HANDLER: 0
; COMPUTE_PGM_RSRC2:TGID_X_EN: 1
; COMPUTE_PGM_RSRC2:TGID_Y_EN: 0
; COMPUTE_PGM_RSRC2:TGID_Z_EN: 0
; COMPUTE_PGM_RSRC2:TIDIG_COMP_CNT: 1
	.section	.text._ZN12_GLOBAL__N_121softmax_warp_backwardIfffLi1ELb0ELb0ELi64EEEvPT0_PKT_S5_iiiPKb,"axG",@progbits,_ZN12_GLOBAL__N_121softmax_warp_backwardIfffLi1ELb0ELb0ELi64EEEvPT0_PKT_S5_iiiPKb,comdat
	.globl	_ZN12_GLOBAL__N_121softmax_warp_backwardIfffLi1ELb0ELb0ELi64EEEvPT0_PKT_S5_iiiPKb ; -- Begin function _ZN12_GLOBAL__N_121softmax_warp_backwardIfffLi1ELb0ELb0ELi64EEEvPT0_PKT_S5_iiiPKb
	.p2align	8
	.type	_ZN12_GLOBAL__N_121softmax_warp_backwardIfffLi1ELb0ELb0ELi64EEEvPT0_PKT_S5_iiiPKb,@function
_ZN12_GLOBAL__N_121softmax_warp_backwardIfffLi1ELb0ELb0ELi64EEEvPT0_PKT_S5_iiiPKb: ; @_ZN12_GLOBAL__N_121softmax_warp_backwardIfffLi1ELb0ELb0ELi64EEEvPT0_PKT_S5_iiiPKb
; %bb.0:
	s_clause 0x1
	s_load_dword s7, s[4:5], 0x3c
	s_load_dwordx4 s[0:3], s[4:5], 0x18
	v_and_b32_e32 v3, 1, v0
	s_clause 0x1
	s_load_dwordx4 s[8:11], s[4:5], 0x0
	s_load_dwordx2 s[4:5], s[4:5], 0x10
	v_mov_b32_e32 v7, 0
	v_mov_b32_e32 v8, 0
	s_waitcnt lgkmcnt(0)
	s_lshr_b32 s3, s7, 16
	v_cmp_gt_i32_e32 vcc_lo, s2, v3
	s_and_b32 s3, s3, 0xffff
	s_mul_i32 s6, s6, s3
	v_add_lshl_u32 v2, s6, v1, 1
	v_mul_lo_u32 v1, v2, s1
	v_sub_nc_u32_e32 v6, s0, v2
	v_cmp_lt_i32_e64 s0, 0, v6
	v_or_b32_e32 v0, v1, v3
	s_and_b32 s3, vcc_lo, s0
	v_ashrrev_i32_e32 v1, 31, v0
	v_lshlrev_b64 v[0:1], 2, v[0:1]
	v_add_co_u32 v4, s1, s10, v0
	v_add_co_ci_u32_e64 v5, null, s11, v1, s1
	v_add_co_u32 v2, s1, s4, v0
	v_add_co_ci_u32_e64 v3, null, s5, v1, s1
	s_and_saveexec_b32 s1, s3
	s_cbranch_execz .LBB548_2
; %bb.1:
	global_load_dword v8, v[4:5], off
	global_load_dword v7, v[2:3], off
.LBB548_2:
	s_or_b32 exec_lo, exec_lo, s1
	v_cmp_gt_i32_e64 s1, 2, v6
	s_xor_b32 s3, vcc_lo, -1
	s_or_b32 s1, s3, s1
	s_and_saveexec_b32 s3, s1
	s_xor_b32 s1, exec_lo, s3
                                        ; implicit-def: $vgpr9
; %bb.3:
	v_mov_b32_e32 v9, 0
                                        ; implicit-def: $vgpr2
                                        ; implicit-def: $vgpr4
; %bb.4:
	s_or_saveexec_b32 s4, s1
	v_mov_b32_e32 v10, 0
	s_xor_b32 exec_lo, exec_lo, s4
	s_cbranch_execz .LBB548_6
; %bb.5:
	s_mov_b32 s3, 0
	s_lshl_b64 s[6:7], s[2:3], 2
	v_add_co_u32 v4, s1, v4, s6
	v_add_co_ci_u32_e64 v5, null, s7, v5, s1
	v_add_co_u32 v2, s1, v2, s6
	v_add_co_ci_u32_e64 v3, null, s7, v3, s1
	global_load_dword v9, v[4:5], off
	global_load_dword v10, v[2:3], off
.LBB548_6:
	s_or_b32 exec_lo, exec_lo, s4
	v_mbcnt_lo_u32_b32 v2, -1, 0
	v_and_b32_e32 v3, 30, v2
	v_xor_b32_e32 v4, 1, v2
	v_add_nc_u32_e32 v3, 2, v3
	v_cmp_lt_i32_e64 s1, v4, v3
	v_cndmask_b32_e64 v2, v2, v4, s1
	s_waitcnt vmcnt(1)
	v_add_f32_e32 v4, 0, v8
	v_lshlrev_b32_e32 v3, 2, v2
	v_add_f32_e32 v2, 0, v9
	ds_bpermute_b32 v5, v3, v4
	ds_bpermute_b32 v3, v3, v2
	s_and_saveexec_b32 s1, s0
	s_cbranch_execz .LBB548_11
; %bb.7:
	v_add_co_u32 v0, s0, s8, v0
	v_add_co_ci_u32_e64 v1, null, s9, v1, s0
	s_and_saveexec_b32 s0, vcc_lo
	s_cbranch_execz .LBB548_9
; %bb.8:
	s_waitcnt lgkmcnt(1)
	v_add_f32_e32 v4, v4, v5
	s_waitcnt vmcnt(0)
	v_fma_f32 v4, -v7, v4, v8
	global_store_dword v[0:1], v4, off
.LBB548_9:
	s_or_b32 exec_lo, exec_lo, s0
	v_cmp_ne_u32_e64 s0, 1, v6
	s_and_b32 s0, s0, vcc_lo
	s_and_b32 exec_lo, exec_lo, s0
	s_cbranch_execz .LBB548_11
; %bb.10:
	s_mov_b32 s3, 0
	s_waitcnt lgkmcnt(0)
	v_add_f32_e32 v2, v2, v3
	s_lshl_b64 s[0:1], s[2:3], 2
	v_add_co_u32 v0, vcc_lo, v0, s0
	v_add_co_ci_u32_e64 v1, null, s1, v1, vcc_lo
	s_waitcnt vmcnt(0)
	v_fma_f32 v2, -v10, v2, v9
	global_store_dword v[0:1], v2, off
.LBB548_11:
	s_endpgm
	.section	.rodata,"a",@progbits
	.p2align	6, 0x0
	.amdhsa_kernel _ZN12_GLOBAL__N_121softmax_warp_backwardIfffLi1ELb0ELb0ELi64EEEvPT0_PKT_S5_iiiPKb
		.amdhsa_group_segment_fixed_size 0
		.amdhsa_private_segment_fixed_size 0
		.amdhsa_kernarg_size 304
		.amdhsa_user_sgpr_count 6
		.amdhsa_user_sgpr_private_segment_buffer 1
		.amdhsa_user_sgpr_dispatch_ptr 0
		.amdhsa_user_sgpr_queue_ptr 0
		.amdhsa_user_sgpr_kernarg_segment_ptr 1
		.amdhsa_user_sgpr_dispatch_id 0
		.amdhsa_user_sgpr_flat_scratch_init 0
		.amdhsa_user_sgpr_private_segment_size 0
		.amdhsa_wavefront_size32 1
		.amdhsa_uses_dynamic_stack 0
		.amdhsa_system_sgpr_private_segment_wavefront_offset 0
		.amdhsa_system_sgpr_workgroup_id_x 1
		.amdhsa_system_sgpr_workgroup_id_y 0
		.amdhsa_system_sgpr_workgroup_id_z 0
		.amdhsa_system_sgpr_workgroup_info 0
		.amdhsa_system_vgpr_workitem_id 1
		.amdhsa_next_free_vgpr 11
		.amdhsa_next_free_sgpr 12
		.amdhsa_reserve_vcc 1
		.amdhsa_reserve_flat_scratch 0
		.amdhsa_float_round_mode_32 0
		.amdhsa_float_round_mode_16_64 0
		.amdhsa_float_denorm_mode_32 3
		.amdhsa_float_denorm_mode_16_64 3
		.amdhsa_dx10_clamp 1
		.amdhsa_ieee_mode 1
		.amdhsa_fp16_overflow 0
		.amdhsa_workgroup_processor_mode 1
		.amdhsa_memory_ordered 1
		.amdhsa_forward_progress 1
		.amdhsa_shared_vgpr_count 0
		.amdhsa_exception_fp_ieee_invalid_op 0
		.amdhsa_exception_fp_denorm_src 0
		.amdhsa_exception_fp_ieee_div_zero 0
		.amdhsa_exception_fp_ieee_overflow 0
		.amdhsa_exception_fp_ieee_underflow 0
		.amdhsa_exception_fp_ieee_inexact 0
		.amdhsa_exception_int_div_zero 0
	.end_amdhsa_kernel
	.section	.text._ZN12_GLOBAL__N_121softmax_warp_backwardIfffLi1ELb0ELb0ELi64EEEvPT0_PKT_S5_iiiPKb,"axG",@progbits,_ZN12_GLOBAL__N_121softmax_warp_backwardIfffLi1ELb0ELb0ELi64EEEvPT0_PKT_S5_iiiPKb,comdat
.Lfunc_end548:
	.size	_ZN12_GLOBAL__N_121softmax_warp_backwardIfffLi1ELb0ELb0ELi64EEEvPT0_PKT_S5_iiiPKb, .Lfunc_end548-_ZN12_GLOBAL__N_121softmax_warp_backwardIfffLi1ELb0ELb0ELi64EEEvPT0_PKT_S5_iiiPKb
                                        ; -- End function
	.set _ZN12_GLOBAL__N_121softmax_warp_backwardIfffLi1ELb0ELb0ELi64EEEvPT0_PKT_S5_iiiPKb.num_vgpr, 11
	.set _ZN12_GLOBAL__N_121softmax_warp_backwardIfffLi1ELb0ELb0ELi64EEEvPT0_PKT_S5_iiiPKb.num_agpr, 0
	.set _ZN12_GLOBAL__N_121softmax_warp_backwardIfffLi1ELb0ELb0ELi64EEEvPT0_PKT_S5_iiiPKb.numbered_sgpr, 12
	.set _ZN12_GLOBAL__N_121softmax_warp_backwardIfffLi1ELb0ELb0ELi64EEEvPT0_PKT_S5_iiiPKb.num_named_barrier, 0
	.set _ZN12_GLOBAL__N_121softmax_warp_backwardIfffLi1ELb0ELb0ELi64EEEvPT0_PKT_S5_iiiPKb.private_seg_size, 0
	.set _ZN12_GLOBAL__N_121softmax_warp_backwardIfffLi1ELb0ELb0ELi64EEEvPT0_PKT_S5_iiiPKb.uses_vcc, 1
	.set _ZN12_GLOBAL__N_121softmax_warp_backwardIfffLi1ELb0ELb0ELi64EEEvPT0_PKT_S5_iiiPKb.uses_flat_scratch, 0
	.set _ZN12_GLOBAL__N_121softmax_warp_backwardIfffLi1ELb0ELb0ELi64EEEvPT0_PKT_S5_iiiPKb.has_dyn_sized_stack, 0
	.set _ZN12_GLOBAL__N_121softmax_warp_backwardIfffLi1ELb0ELb0ELi64EEEvPT0_PKT_S5_iiiPKb.has_recursion, 0
	.set _ZN12_GLOBAL__N_121softmax_warp_backwardIfffLi1ELb0ELb0ELi64EEEvPT0_PKT_S5_iiiPKb.has_indirect_call, 0
	.section	.AMDGPU.csdata,"",@progbits
; Kernel info:
; codeLenInByte = 496
; TotalNumSgprs: 14
; NumVgprs: 11
; ScratchSize: 0
; MemoryBound: 0
; FloatMode: 240
; IeeeMode: 1
; LDSByteSize: 0 bytes/workgroup (compile time only)
; SGPRBlocks: 0
; VGPRBlocks: 1
; NumSGPRsForWavesPerEU: 14
; NumVGPRsForWavesPerEU: 11
; Occupancy: 16
; WaveLimiterHint : 0
; COMPUTE_PGM_RSRC2:SCRATCH_EN: 0
; COMPUTE_PGM_RSRC2:USER_SGPR: 6
; COMPUTE_PGM_RSRC2:TRAP_HANDLER: 0
; COMPUTE_PGM_RSRC2:TGID_X_EN: 1
; COMPUTE_PGM_RSRC2:TGID_Y_EN: 0
; COMPUTE_PGM_RSRC2:TGID_Z_EN: 0
; COMPUTE_PGM_RSRC2:TIDIG_COMP_CNT: 1
	.section	.text._ZN12_GLOBAL__N_121softmax_warp_backwardIfffLi1ELb0ELb0ELi32EEEvPT0_PKT_S5_iiiPKb,"axG",@progbits,_ZN12_GLOBAL__N_121softmax_warp_backwardIfffLi1ELb0ELb0ELi32EEEvPT0_PKT_S5_iiiPKb,comdat
	.globl	_ZN12_GLOBAL__N_121softmax_warp_backwardIfffLi1ELb0ELb0ELi32EEEvPT0_PKT_S5_iiiPKb ; -- Begin function _ZN12_GLOBAL__N_121softmax_warp_backwardIfffLi1ELb0ELb0ELi32EEEvPT0_PKT_S5_iiiPKb
	.p2align	8
	.type	_ZN12_GLOBAL__N_121softmax_warp_backwardIfffLi1ELb0ELb0ELi32EEEvPT0_PKT_S5_iiiPKb,@function
_ZN12_GLOBAL__N_121softmax_warp_backwardIfffLi1ELb0ELb0ELi32EEEvPT0_PKT_S5_iiiPKb: ; @_ZN12_GLOBAL__N_121softmax_warp_backwardIfffLi1ELb0ELb0ELi32EEEvPT0_PKT_S5_iiiPKb
; %bb.0:
	s_clause 0x1
	s_load_dword s7, s[4:5], 0x3c
	s_load_dwordx4 s[0:3], s[4:5], 0x18
	v_and_b32_e32 v3, 1, v0
	s_clause 0x1
	s_load_dwordx4 s[8:11], s[4:5], 0x0
	s_load_dwordx2 s[4:5], s[4:5], 0x10
	v_mov_b32_e32 v7, 0
	v_mov_b32_e32 v8, 0
	s_waitcnt lgkmcnt(0)
	s_lshr_b32 s3, s7, 16
	v_cmp_gt_i32_e32 vcc_lo, s2, v3
	s_and_b32 s3, s3, 0xffff
	s_mul_i32 s6, s6, s3
	v_add_lshl_u32 v2, s6, v1, 1
	v_mul_lo_u32 v1, v2, s1
	v_sub_nc_u32_e32 v6, s0, v2
	v_cmp_lt_i32_e64 s0, 0, v6
	v_or_b32_e32 v0, v1, v3
	s_and_b32 s3, vcc_lo, s0
	v_ashrrev_i32_e32 v1, 31, v0
	v_lshlrev_b64 v[0:1], 2, v[0:1]
	v_add_co_u32 v4, s1, s10, v0
	v_add_co_ci_u32_e64 v5, null, s11, v1, s1
	v_add_co_u32 v2, s1, s4, v0
	v_add_co_ci_u32_e64 v3, null, s5, v1, s1
	s_and_saveexec_b32 s1, s3
	s_cbranch_execz .LBB549_2
; %bb.1:
	global_load_dword v8, v[4:5], off
	global_load_dword v7, v[2:3], off
.LBB549_2:
	s_or_b32 exec_lo, exec_lo, s1
	v_cmp_gt_i32_e64 s1, 2, v6
	s_xor_b32 s3, vcc_lo, -1
	s_or_b32 s1, s3, s1
	s_and_saveexec_b32 s3, s1
	s_xor_b32 s1, exec_lo, s3
                                        ; implicit-def: $vgpr9
; %bb.3:
	v_mov_b32_e32 v9, 0
                                        ; implicit-def: $vgpr2
                                        ; implicit-def: $vgpr4
; %bb.4:
	s_or_saveexec_b32 s4, s1
	v_mov_b32_e32 v10, 0
	s_xor_b32 exec_lo, exec_lo, s4
	s_cbranch_execz .LBB549_6
; %bb.5:
	s_mov_b32 s3, 0
	s_lshl_b64 s[6:7], s[2:3], 2
	v_add_co_u32 v4, s1, v4, s6
	v_add_co_ci_u32_e64 v5, null, s7, v5, s1
	v_add_co_u32 v2, s1, v2, s6
	v_add_co_ci_u32_e64 v3, null, s7, v3, s1
	global_load_dword v9, v[4:5], off
	global_load_dword v10, v[2:3], off
.LBB549_6:
	s_or_b32 exec_lo, exec_lo, s4
	v_mbcnt_lo_u32_b32 v2, -1, 0
	v_and_b32_e32 v3, 30, v2
	v_xor_b32_e32 v4, 1, v2
	v_add_nc_u32_e32 v3, 2, v3
	v_cmp_lt_i32_e64 s1, v4, v3
	v_cndmask_b32_e64 v2, v2, v4, s1
	s_waitcnt vmcnt(1)
	v_add_f32_e32 v4, 0, v8
	v_lshlrev_b32_e32 v3, 2, v2
	v_add_f32_e32 v2, 0, v9
	ds_bpermute_b32 v5, v3, v4
	ds_bpermute_b32 v3, v3, v2
	s_and_saveexec_b32 s1, s0
	s_cbranch_execz .LBB549_11
; %bb.7:
	v_add_co_u32 v0, s0, s8, v0
	v_add_co_ci_u32_e64 v1, null, s9, v1, s0
	s_and_saveexec_b32 s0, vcc_lo
	s_cbranch_execz .LBB549_9
; %bb.8:
	s_waitcnt lgkmcnt(1)
	v_add_f32_e32 v4, v4, v5
	s_waitcnt vmcnt(0)
	v_fma_f32 v4, -v7, v4, v8
	global_store_dword v[0:1], v4, off
.LBB549_9:
	s_or_b32 exec_lo, exec_lo, s0
	v_cmp_ne_u32_e64 s0, 1, v6
	s_and_b32 s0, s0, vcc_lo
	s_and_b32 exec_lo, exec_lo, s0
	s_cbranch_execz .LBB549_11
; %bb.10:
	s_mov_b32 s3, 0
	s_waitcnt lgkmcnt(0)
	v_add_f32_e32 v2, v2, v3
	s_lshl_b64 s[0:1], s[2:3], 2
	v_add_co_u32 v0, vcc_lo, v0, s0
	v_add_co_ci_u32_e64 v1, null, s1, v1, vcc_lo
	s_waitcnt vmcnt(0)
	v_fma_f32 v2, -v10, v2, v9
	global_store_dword v[0:1], v2, off
.LBB549_11:
	s_endpgm
	.section	.rodata,"a",@progbits
	.p2align	6, 0x0
	.amdhsa_kernel _ZN12_GLOBAL__N_121softmax_warp_backwardIfffLi1ELb0ELb0ELi32EEEvPT0_PKT_S5_iiiPKb
		.amdhsa_group_segment_fixed_size 0
		.amdhsa_private_segment_fixed_size 0
		.amdhsa_kernarg_size 304
		.amdhsa_user_sgpr_count 6
		.amdhsa_user_sgpr_private_segment_buffer 1
		.amdhsa_user_sgpr_dispatch_ptr 0
		.amdhsa_user_sgpr_queue_ptr 0
		.amdhsa_user_sgpr_kernarg_segment_ptr 1
		.amdhsa_user_sgpr_dispatch_id 0
		.amdhsa_user_sgpr_flat_scratch_init 0
		.amdhsa_user_sgpr_private_segment_size 0
		.amdhsa_wavefront_size32 1
		.amdhsa_uses_dynamic_stack 0
		.amdhsa_system_sgpr_private_segment_wavefront_offset 0
		.amdhsa_system_sgpr_workgroup_id_x 1
		.amdhsa_system_sgpr_workgroup_id_y 0
		.amdhsa_system_sgpr_workgroup_id_z 0
		.amdhsa_system_sgpr_workgroup_info 0
		.amdhsa_system_vgpr_workitem_id 1
		.amdhsa_next_free_vgpr 11
		.amdhsa_next_free_sgpr 12
		.amdhsa_reserve_vcc 1
		.amdhsa_reserve_flat_scratch 0
		.amdhsa_float_round_mode_32 0
		.amdhsa_float_round_mode_16_64 0
		.amdhsa_float_denorm_mode_32 3
		.amdhsa_float_denorm_mode_16_64 3
		.amdhsa_dx10_clamp 1
		.amdhsa_ieee_mode 1
		.amdhsa_fp16_overflow 0
		.amdhsa_workgroup_processor_mode 1
		.amdhsa_memory_ordered 1
		.amdhsa_forward_progress 1
		.amdhsa_shared_vgpr_count 0
		.amdhsa_exception_fp_ieee_invalid_op 0
		.amdhsa_exception_fp_denorm_src 0
		.amdhsa_exception_fp_ieee_div_zero 0
		.amdhsa_exception_fp_ieee_overflow 0
		.amdhsa_exception_fp_ieee_underflow 0
		.amdhsa_exception_fp_ieee_inexact 0
		.amdhsa_exception_int_div_zero 0
	.end_amdhsa_kernel
	.section	.text._ZN12_GLOBAL__N_121softmax_warp_backwardIfffLi1ELb0ELb0ELi32EEEvPT0_PKT_S5_iiiPKb,"axG",@progbits,_ZN12_GLOBAL__N_121softmax_warp_backwardIfffLi1ELb0ELb0ELi32EEEvPT0_PKT_S5_iiiPKb,comdat
.Lfunc_end549:
	.size	_ZN12_GLOBAL__N_121softmax_warp_backwardIfffLi1ELb0ELb0ELi32EEEvPT0_PKT_S5_iiiPKb, .Lfunc_end549-_ZN12_GLOBAL__N_121softmax_warp_backwardIfffLi1ELb0ELb0ELi32EEEvPT0_PKT_S5_iiiPKb
                                        ; -- End function
	.set _ZN12_GLOBAL__N_121softmax_warp_backwardIfffLi1ELb0ELb0ELi32EEEvPT0_PKT_S5_iiiPKb.num_vgpr, 11
	.set _ZN12_GLOBAL__N_121softmax_warp_backwardIfffLi1ELb0ELb0ELi32EEEvPT0_PKT_S5_iiiPKb.num_agpr, 0
	.set _ZN12_GLOBAL__N_121softmax_warp_backwardIfffLi1ELb0ELb0ELi32EEEvPT0_PKT_S5_iiiPKb.numbered_sgpr, 12
	.set _ZN12_GLOBAL__N_121softmax_warp_backwardIfffLi1ELb0ELb0ELi32EEEvPT0_PKT_S5_iiiPKb.num_named_barrier, 0
	.set _ZN12_GLOBAL__N_121softmax_warp_backwardIfffLi1ELb0ELb0ELi32EEEvPT0_PKT_S5_iiiPKb.private_seg_size, 0
	.set _ZN12_GLOBAL__N_121softmax_warp_backwardIfffLi1ELb0ELb0ELi32EEEvPT0_PKT_S5_iiiPKb.uses_vcc, 1
	.set _ZN12_GLOBAL__N_121softmax_warp_backwardIfffLi1ELb0ELb0ELi32EEEvPT0_PKT_S5_iiiPKb.uses_flat_scratch, 0
	.set _ZN12_GLOBAL__N_121softmax_warp_backwardIfffLi1ELb0ELb0ELi32EEEvPT0_PKT_S5_iiiPKb.has_dyn_sized_stack, 0
	.set _ZN12_GLOBAL__N_121softmax_warp_backwardIfffLi1ELb0ELb0ELi32EEEvPT0_PKT_S5_iiiPKb.has_recursion, 0
	.set _ZN12_GLOBAL__N_121softmax_warp_backwardIfffLi1ELb0ELb0ELi32EEEvPT0_PKT_S5_iiiPKb.has_indirect_call, 0
	.section	.AMDGPU.csdata,"",@progbits
; Kernel info:
; codeLenInByte = 496
; TotalNumSgprs: 14
; NumVgprs: 11
; ScratchSize: 0
; MemoryBound: 0
; FloatMode: 240
; IeeeMode: 1
; LDSByteSize: 0 bytes/workgroup (compile time only)
; SGPRBlocks: 0
; VGPRBlocks: 1
; NumSGPRsForWavesPerEU: 14
; NumVGPRsForWavesPerEU: 11
; Occupancy: 16
; WaveLimiterHint : 0
; COMPUTE_PGM_RSRC2:SCRATCH_EN: 0
; COMPUTE_PGM_RSRC2:USER_SGPR: 6
; COMPUTE_PGM_RSRC2:TRAP_HANDLER: 0
; COMPUTE_PGM_RSRC2:TGID_X_EN: 1
; COMPUTE_PGM_RSRC2:TGID_Y_EN: 0
; COMPUTE_PGM_RSRC2:TGID_Z_EN: 0
; COMPUTE_PGM_RSRC2:TIDIG_COMP_CNT: 1
	.section	.text._ZN12_GLOBAL__N_121softmax_warp_backwardIfffLi2ELb0ELb0ELi64EEEvPT0_PKT_S5_iiiPKb,"axG",@progbits,_ZN12_GLOBAL__N_121softmax_warp_backwardIfffLi2ELb0ELb0ELi64EEEvPT0_PKT_S5_iiiPKb,comdat
	.globl	_ZN12_GLOBAL__N_121softmax_warp_backwardIfffLi2ELb0ELb0ELi64EEEvPT0_PKT_S5_iiiPKb ; -- Begin function _ZN12_GLOBAL__N_121softmax_warp_backwardIfffLi2ELb0ELb0ELi64EEEvPT0_PKT_S5_iiiPKb
	.p2align	8
	.type	_ZN12_GLOBAL__N_121softmax_warp_backwardIfffLi2ELb0ELb0ELi64EEEvPT0_PKT_S5_iiiPKb,@function
_ZN12_GLOBAL__N_121softmax_warp_backwardIfffLi2ELb0ELb0ELi64EEEvPT0_PKT_S5_iiiPKb: ; @_ZN12_GLOBAL__N_121softmax_warp_backwardIfffLi2ELb0ELb0ELi64EEEvPT0_PKT_S5_iiiPKb
; %bb.0:
	s_clause 0x1
	s_load_dword s7, s[4:5], 0x3c
	s_load_dwordx4 s[0:3], s[4:5], 0x18
	v_and_b32_e32 v2, 3, v0
	s_clause 0x1
	s_load_dwordx4 s[8:11], s[4:5], 0x0
	s_load_dwordx2 s[4:5], s[4:5], 0x10
	v_mov_b32_e32 v7, 0
	v_mov_b32_e32 v8, 0
	s_waitcnt lgkmcnt(0)
	s_lshr_b32 s3, s7, 16
	v_cmp_gt_i32_e32 vcc_lo, s2, v2
	s_and_b32 s3, s3, 0xffff
	s_mul_i32 s6, s6, s3
	v_add_lshl_u32 v3, s6, v1, 1
	v_mad_u64_u32 v[0:1], null, v3, s1, v[2:3]
	v_sub_nc_u32_e32 v6, s0, v3
	v_cmp_lt_i32_e64 s0, 0, v6
	v_ashrrev_i32_e32 v1, 31, v0
	s_and_b32 s3, vcc_lo, s0
	v_lshlrev_b64 v[0:1], 2, v[0:1]
	v_add_co_u32 v4, s1, s10, v0
	v_add_co_ci_u32_e64 v5, null, s11, v1, s1
	v_add_co_u32 v2, s1, s4, v0
	v_add_co_ci_u32_e64 v3, null, s5, v1, s1
	s_and_saveexec_b32 s1, s3
	s_cbranch_execz .LBB550_2
; %bb.1:
	global_load_dword v8, v[4:5], off
	global_load_dword v7, v[2:3], off
.LBB550_2:
	s_or_b32 exec_lo, exec_lo, s1
	v_cmp_gt_i32_e64 s1, 2, v6
	s_xor_b32 s3, vcc_lo, -1
	s_or_b32 s1, s3, s1
	s_and_saveexec_b32 s3, s1
	s_xor_b32 s1, exec_lo, s3
                                        ; implicit-def: $vgpr9
; %bb.3:
	v_mov_b32_e32 v9, 0
                                        ; implicit-def: $vgpr2
                                        ; implicit-def: $vgpr4
; %bb.4:
	s_or_saveexec_b32 s4, s1
	v_mov_b32_e32 v10, 0
	s_xor_b32 exec_lo, exec_lo, s4
	s_cbranch_execz .LBB550_6
; %bb.5:
	s_mov_b32 s3, 0
	s_lshl_b64 s[6:7], s[2:3], 2
	v_add_co_u32 v4, s1, v4, s6
	v_add_co_ci_u32_e64 v5, null, s7, v5, s1
	v_add_co_u32 v2, s1, v2, s6
	v_add_co_ci_u32_e64 v3, null, s7, v3, s1
	global_load_dword v9, v[4:5], off
	global_load_dword v10, v[2:3], off
.LBB550_6:
	s_or_b32 exec_lo, exec_lo, s4
	v_mbcnt_lo_u32_b32 v2, -1, 0
	s_waitcnt vmcnt(1)
	v_add_f32_e32 v5, 0, v8
	v_add_f32_e32 v11, 0, v9
	v_and_b32_e32 v3, 28, v2
	v_xor_b32_e32 v4, 2, v2
	v_add_nc_u32_e32 v3, 4, v3
	v_cmp_lt_i32_e64 s1, v4, v3
	v_cndmask_b32_e64 v4, v2, v4, s1
	v_lshlrev_b32_e32 v4, 2, v4
	ds_bpermute_b32 v12, v4, v5
	ds_bpermute_b32 v13, v4, v11
	v_xor_b32_e32 v4, 1, v2
	v_cmp_lt_i32_e64 s1, v4, v3
	v_cndmask_b32_e64 v2, v2, v4, s1
	v_lshlrev_b32_e32 v3, 2, v2
	s_waitcnt lgkmcnt(1)
	v_add_f32_e32 v4, v5, v12
	s_waitcnt lgkmcnt(0)
	v_add_f32_e32 v2, v11, v13
	ds_bpermute_b32 v5, v3, v4
	ds_bpermute_b32 v3, v3, v2
	s_and_saveexec_b32 s1, s0
	s_cbranch_execz .LBB550_11
; %bb.7:
	v_add_co_u32 v0, s0, s8, v0
	v_add_co_ci_u32_e64 v1, null, s9, v1, s0
	s_and_saveexec_b32 s0, vcc_lo
	s_cbranch_execz .LBB550_9
; %bb.8:
	s_waitcnt lgkmcnt(1)
	v_add_f32_e32 v4, v4, v5
	s_waitcnt vmcnt(0)
	v_fma_f32 v4, -v7, v4, v8
	global_store_dword v[0:1], v4, off
.LBB550_9:
	s_or_b32 exec_lo, exec_lo, s0
	v_cmp_ne_u32_e64 s0, 1, v6
	s_and_b32 s0, s0, vcc_lo
	s_and_b32 exec_lo, exec_lo, s0
	s_cbranch_execz .LBB550_11
; %bb.10:
	s_mov_b32 s3, 0
	s_waitcnt lgkmcnt(0)
	v_add_f32_e32 v2, v2, v3
	s_lshl_b64 s[0:1], s[2:3], 2
	v_add_co_u32 v0, vcc_lo, v0, s0
	v_add_co_ci_u32_e64 v1, null, s1, v1, vcc_lo
	s_waitcnt vmcnt(0)
	v_fma_f32 v2, -v10, v2, v9
	global_store_dword v[0:1], v2, off
.LBB550_11:
	s_endpgm
	.section	.rodata,"a",@progbits
	.p2align	6, 0x0
	.amdhsa_kernel _ZN12_GLOBAL__N_121softmax_warp_backwardIfffLi2ELb0ELb0ELi64EEEvPT0_PKT_S5_iiiPKb
		.amdhsa_group_segment_fixed_size 0
		.amdhsa_private_segment_fixed_size 0
		.amdhsa_kernarg_size 304
		.amdhsa_user_sgpr_count 6
		.amdhsa_user_sgpr_private_segment_buffer 1
		.amdhsa_user_sgpr_dispatch_ptr 0
		.amdhsa_user_sgpr_queue_ptr 0
		.amdhsa_user_sgpr_kernarg_segment_ptr 1
		.amdhsa_user_sgpr_dispatch_id 0
		.amdhsa_user_sgpr_flat_scratch_init 0
		.amdhsa_user_sgpr_private_segment_size 0
		.amdhsa_wavefront_size32 1
		.amdhsa_uses_dynamic_stack 0
		.amdhsa_system_sgpr_private_segment_wavefront_offset 0
		.amdhsa_system_sgpr_workgroup_id_x 1
		.amdhsa_system_sgpr_workgroup_id_y 0
		.amdhsa_system_sgpr_workgroup_id_z 0
		.amdhsa_system_sgpr_workgroup_info 0
		.amdhsa_system_vgpr_workitem_id 1
		.amdhsa_next_free_vgpr 14
		.amdhsa_next_free_sgpr 12
		.amdhsa_reserve_vcc 1
		.amdhsa_reserve_flat_scratch 0
		.amdhsa_float_round_mode_32 0
		.amdhsa_float_round_mode_16_64 0
		.amdhsa_float_denorm_mode_32 3
		.amdhsa_float_denorm_mode_16_64 3
		.amdhsa_dx10_clamp 1
		.amdhsa_ieee_mode 1
		.amdhsa_fp16_overflow 0
		.amdhsa_workgroup_processor_mode 1
		.amdhsa_memory_ordered 1
		.amdhsa_forward_progress 1
		.amdhsa_shared_vgpr_count 0
		.amdhsa_exception_fp_ieee_invalid_op 0
		.amdhsa_exception_fp_denorm_src 0
		.amdhsa_exception_fp_ieee_div_zero 0
		.amdhsa_exception_fp_ieee_overflow 0
		.amdhsa_exception_fp_ieee_underflow 0
		.amdhsa_exception_fp_ieee_inexact 0
		.amdhsa_exception_int_div_zero 0
	.end_amdhsa_kernel
	.section	.text._ZN12_GLOBAL__N_121softmax_warp_backwardIfffLi2ELb0ELb0ELi64EEEvPT0_PKT_S5_iiiPKb,"axG",@progbits,_ZN12_GLOBAL__N_121softmax_warp_backwardIfffLi2ELb0ELb0ELi64EEEvPT0_PKT_S5_iiiPKb,comdat
.Lfunc_end550:
	.size	_ZN12_GLOBAL__N_121softmax_warp_backwardIfffLi2ELb0ELb0ELi64EEEvPT0_PKT_S5_iiiPKb, .Lfunc_end550-_ZN12_GLOBAL__N_121softmax_warp_backwardIfffLi2ELb0ELb0ELi64EEEvPT0_PKT_S5_iiiPKb
                                        ; -- End function
	.set _ZN12_GLOBAL__N_121softmax_warp_backwardIfffLi2ELb0ELb0ELi64EEEvPT0_PKT_S5_iiiPKb.num_vgpr, 14
	.set _ZN12_GLOBAL__N_121softmax_warp_backwardIfffLi2ELb0ELb0ELi64EEEvPT0_PKT_S5_iiiPKb.num_agpr, 0
	.set _ZN12_GLOBAL__N_121softmax_warp_backwardIfffLi2ELb0ELb0ELi64EEEvPT0_PKT_S5_iiiPKb.numbered_sgpr, 12
	.set _ZN12_GLOBAL__N_121softmax_warp_backwardIfffLi2ELb0ELb0ELi64EEEvPT0_PKT_S5_iiiPKb.num_named_barrier, 0
	.set _ZN12_GLOBAL__N_121softmax_warp_backwardIfffLi2ELb0ELb0ELi64EEEvPT0_PKT_S5_iiiPKb.private_seg_size, 0
	.set _ZN12_GLOBAL__N_121softmax_warp_backwardIfffLi2ELb0ELb0ELi64EEEvPT0_PKT_S5_iiiPKb.uses_vcc, 1
	.set _ZN12_GLOBAL__N_121softmax_warp_backwardIfffLi2ELb0ELb0ELi64EEEvPT0_PKT_S5_iiiPKb.uses_flat_scratch, 0
	.set _ZN12_GLOBAL__N_121softmax_warp_backwardIfffLi2ELb0ELb0ELi64EEEvPT0_PKT_S5_iiiPKb.has_dyn_sized_stack, 0
	.set _ZN12_GLOBAL__N_121softmax_warp_backwardIfffLi2ELb0ELb0ELi64EEEvPT0_PKT_S5_iiiPKb.has_recursion, 0
	.set _ZN12_GLOBAL__N_121softmax_warp_backwardIfffLi2ELb0ELb0ELi64EEEvPT0_PKT_S5_iiiPKb.has_indirect_call, 0
	.section	.AMDGPU.csdata,"",@progbits
; Kernel info:
; codeLenInByte = 548
; TotalNumSgprs: 14
; NumVgprs: 14
; ScratchSize: 0
; MemoryBound: 0
; FloatMode: 240
; IeeeMode: 1
; LDSByteSize: 0 bytes/workgroup (compile time only)
; SGPRBlocks: 0
; VGPRBlocks: 1
; NumSGPRsForWavesPerEU: 14
; NumVGPRsForWavesPerEU: 14
; Occupancy: 16
; WaveLimiterHint : 0
; COMPUTE_PGM_RSRC2:SCRATCH_EN: 0
; COMPUTE_PGM_RSRC2:USER_SGPR: 6
; COMPUTE_PGM_RSRC2:TRAP_HANDLER: 0
; COMPUTE_PGM_RSRC2:TGID_X_EN: 1
; COMPUTE_PGM_RSRC2:TGID_Y_EN: 0
; COMPUTE_PGM_RSRC2:TGID_Z_EN: 0
; COMPUTE_PGM_RSRC2:TIDIG_COMP_CNT: 1
	.section	.text._ZN12_GLOBAL__N_121softmax_warp_backwardIfffLi2ELb0ELb0ELi32EEEvPT0_PKT_S5_iiiPKb,"axG",@progbits,_ZN12_GLOBAL__N_121softmax_warp_backwardIfffLi2ELb0ELb0ELi32EEEvPT0_PKT_S5_iiiPKb,comdat
	.globl	_ZN12_GLOBAL__N_121softmax_warp_backwardIfffLi2ELb0ELb0ELi32EEEvPT0_PKT_S5_iiiPKb ; -- Begin function _ZN12_GLOBAL__N_121softmax_warp_backwardIfffLi2ELb0ELb0ELi32EEEvPT0_PKT_S5_iiiPKb
	.p2align	8
	.type	_ZN12_GLOBAL__N_121softmax_warp_backwardIfffLi2ELb0ELb0ELi32EEEvPT0_PKT_S5_iiiPKb,@function
_ZN12_GLOBAL__N_121softmax_warp_backwardIfffLi2ELb0ELb0ELi32EEEvPT0_PKT_S5_iiiPKb: ; @_ZN12_GLOBAL__N_121softmax_warp_backwardIfffLi2ELb0ELb0ELi32EEEvPT0_PKT_S5_iiiPKb
; %bb.0:
	s_clause 0x1
	s_load_dword s7, s[4:5], 0x3c
	s_load_dwordx4 s[0:3], s[4:5], 0x18
	v_and_b32_e32 v2, 3, v0
	s_clause 0x1
	s_load_dwordx4 s[8:11], s[4:5], 0x0
	s_load_dwordx2 s[4:5], s[4:5], 0x10
	v_mov_b32_e32 v7, 0
	v_mov_b32_e32 v8, 0
	s_waitcnt lgkmcnt(0)
	s_lshr_b32 s3, s7, 16
	v_cmp_gt_i32_e32 vcc_lo, s2, v2
	s_and_b32 s3, s3, 0xffff
	s_mul_i32 s6, s6, s3
	v_add_lshl_u32 v3, s6, v1, 1
	v_mad_u64_u32 v[0:1], null, v3, s1, v[2:3]
	v_sub_nc_u32_e32 v6, s0, v3
	v_cmp_lt_i32_e64 s0, 0, v6
	v_ashrrev_i32_e32 v1, 31, v0
	s_and_b32 s3, vcc_lo, s0
	v_lshlrev_b64 v[0:1], 2, v[0:1]
	v_add_co_u32 v4, s1, s10, v0
	v_add_co_ci_u32_e64 v5, null, s11, v1, s1
	v_add_co_u32 v2, s1, s4, v0
	v_add_co_ci_u32_e64 v3, null, s5, v1, s1
	s_and_saveexec_b32 s1, s3
	s_cbranch_execz .LBB551_2
; %bb.1:
	global_load_dword v8, v[4:5], off
	global_load_dword v7, v[2:3], off
.LBB551_2:
	s_or_b32 exec_lo, exec_lo, s1
	v_cmp_gt_i32_e64 s1, 2, v6
	s_xor_b32 s3, vcc_lo, -1
	s_or_b32 s1, s3, s1
	s_and_saveexec_b32 s3, s1
	s_xor_b32 s1, exec_lo, s3
                                        ; implicit-def: $vgpr9
; %bb.3:
	v_mov_b32_e32 v9, 0
                                        ; implicit-def: $vgpr2
                                        ; implicit-def: $vgpr4
; %bb.4:
	s_or_saveexec_b32 s4, s1
	v_mov_b32_e32 v10, 0
	s_xor_b32 exec_lo, exec_lo, s4
	s_cbranch_execz .LBB551_6
; %bb.5:
	s_mov_b32 s3, 0
	s_lshl_b64 s[6:7], s[2:3], 2
	v_add_co_u32 v4, s1, v4, s6
	v_add_co_ci_u32_e64 v5, null, s7, v5, s1
	v_add_co_u32 v2, s1, v2, s6
	v_add_co_ci_u32_e64 v3, null, s7, v3, s1
	global_load_dword v9, v[4:5], off
	global_load_dword v10, v[2:3], off
.LBB551_6:
	s_or_b32 exec_lo, exec_lo, s4
	v_mbcnt_lo_u32_b32 v2, -1, 0
	s_waitcnt vmcnt(1)
	v_add_f32_e32 v5, 0, v8
	v_add_f32_e32 v11, 0, v9
	v_and_b32_e32 v3, 28, v2
	v_xor_b32_e32 v4, 2, v2
	v_add_nc_u32_e32 v3, 4, v3
	v_cmp_lt_i32_e64 s1, v4, v3
	v_cndmask_b32_e64 v4, v2, v4, s1
	v_lshlrev_b32_e32 v4, 2, v4
	ds_bpermute_b32 v12, v4, v5
	ds_bpermute_b32 v13, v4, v11
	v_xor_b32_e32 v4, 1, v2
	v_cmp_lt_i32_e64 s1, v4, v3
	v_cndmask_b32_e64 v2, v2, v4, s1
	v_lshlrev_b32_e32 v3, 2, v2
	s_waitcnt lgkmcnt(1)
	v_add_f32_e32 v4, v5, v12
	s_waitcnt lgkmcnt(0)
	v_add_f32_e32 v2, v11, v13
	ds_bpermute_b32 v5, v3, v4
	ds_bpermute_b32 v3, v3, v2
	s_and_saveexec_b32 s1, s0
	s_cbranch_execz .LBB551_11
; %bb.7:
	v_add_co_u32 v0, s0, s8, v0
	v_add_co_ci_u32_e64 v1, null, s9, v1, s0
	s_and_saveexec_b32 s0, vcc_lo
	s_cbranch_execz .LBB551_9
; %bb.8:
	s_waitcnt lgkmcnt(1)
	v_add_f32_e32 v4, v4, v5
	s_waitcnt vmcnt(0)
	v_fma_f32 v4, -v7, v4, v8
	global_store_dword v[0:1], v4, off
.LBB551_9:
	s_or_b32 exec_lo, exec_lo, s0
	v_cmp_ne_u32_e64 s0, 1, v6
	s_and_b32 s0, s0, vcc_lo
	s_and_b32 exec_lo, exec_lo, s0
	s_cbranch_execz .LBB551_11
; %bb.10:
	s_mov_b32 s3, 0
	s_waitcnt lgkmcnt(0)
	v_add_f32_e32 v2, v2, v3
	s_lshl_b64 s[0:1], s[2:3], 2
	v_add_co_u32 v0, vcc_lo, v0, s0
	v_add_co_ci_u32_e64 v1, null, s1, v1, vcc_lo
	s_waitcnt vmcnt(0)
	v_fma_f32 v2, -v10, v2, v9
	global_store_dword v[0:1], v2, off
.LBB551_11:
	s_endpgm
	.section	.rodata,"a",@progbits
	.p2align	6, 0x0
	.amdhsa_kernel _ZN12_GLOBAL__N_121softmax_warp_backwardIfffLi2ELb0ELb0ELi32EEEvPT0_PKT_S5_iiiPKb
		.amdhsa_group_segment_fixed_size 0
		.amdhsa_private_segment_fixed_size 0
		.amdhsa_kernarg_size 304
		.amdhsa_user_sgpr_count 6
		.amdhsa_user_sgpr_private_segment_buffer 1
		.amdhsa_user_sgpr_dispatch_ptr 0
		.amdhsa_user_sgpr_queue_ptr 0
		.amdhsa_user_sgpr_kernarg_segment_ptr 1
		.amdhsa_user_sgpr_dispatch_id 0
		.amdhsa_user_sgpr_flat_scratch_init 0
		.amdhsa_user_sgpr_private_segment_size 0
		.amdhsa_wavefront_size32 1
		.amdhsa_uses_dynamic_stack 0
		.amdhsa_system_sgpr_private_segment_wavefront_offset 0
		.amdhsa_system_sgpr_workgroup_id_x 1
		.amdhsa_system_sgpr_workgroup_id_y 0
		.amdhsa_system_sgpr_workgroup_id_z 0
		.amdhsa_system_sgpr_workgroup_info 0
		.amdhsa_system_vgpr_workitem_id 1
		.amdhsa_next_free_vgpr 14
		.amdhsa_next_free_sgpr 12
		.amdhsa_reserve_vcc 1
		.amdhsa_reserve_flat_scratch 0
		.amdhsa_float_round_mode_32 0
		.amdhsa_float_round_mode_16_64 0
		.amdhsa_float_denorm_mode_32 3
		.amdhsa_float_denorm_mode_16_64 3
		.amdhsa_dx10_clamp 1
		.amdhsa_ieee_mode 1
		.amdhsa_fp16_overflow 0
		.amdhsa_workgroup_processor_mode 1
		.amdhsa_memory_ordered 1
		.amdhsa_forward_progress 1
		.amdhsa_shared_vgpr_count 0
		.amdhsa_exception_fp_ieee_invalid_op 0
		.amdhsa_exception_fp_denorm_src 0
		.amdhsa_exception_fp_ieee_div_zero 0
		.amdhsa_exception_fp_ieee_overflow 0
		.amdhsa_exception_fp_ieee_underflow 0
		.amdhsa_exception_fp_ieee_inexact 0
		.amdhsa_exception_int_div_zero 0
	.end_amdhsa_kernel
	.section	.text._ZN12_GLOBAL__N_121softmax_warp_backwardIfffLi2ELb0ELb0ELi32EEEvPT0_PKT_S5_iiiPKb,"axG",@progbits,_ZN12_GLOBAL__N_121softmax_warp_backwardIfffLi2ELb0ELb0ELi32EEEvPT0_PKT_S5_iiiPKb,comdat
.Lfunc_end551:
	.size	_ZN12_GLOBAL__N_121softmax_warp_backwardIfffLi2ELb0ELb0ELi32EEEvPT0_PKT_S5_iiiPKb, .Lfunc_end551-_ZN12_GLOBAL__N_121softmax_warp_backwardIfffLi2ELb0ELb0ELi32EEEvPT0_PKT_S5_iiiPKb
                                        ; -- End function
	.set _ZN12_GLOBAL__N_121softmax_warp_backwardIfffLi2ELb0ELb0ELi32EEEvPT0_PKT_S5_iiiPKb.num_vgpr, 14
	.set _ZN12_GLOBAL__N_121softmax_warp_backwardIfffLi2ELb0ELb0ELi32EEEvPT0_PKT_S5_iiiPKb.num_agpr, 0
	.set _ZN12_GLOBAL__N_121softmax_warp_backwardIfffLi2ELb0ELb0ELi32EEEvPT0_PKT_S5_iiiPKb.numbered_sgpr, 12
	.set _ZN12_GLOBAL__N_121softmax_warp_backwardIfffLi2ELb0ELb0ELi32EEEvPT0_PKT_S5_iiiPKb.num_named_barrier, 0
	.set _ZN12_GLOBAL__N_121softmax_warp_backwardIfffLi2ELb0ELb0ELi32EEEvPT0_PKT_S5_iiiPKb.private_seg_size, 0
	.set _ZN12_GLOBAL__N_121softmax_warp_backwardIfffLi2ELb0ELb0ELi32EEEvPT0_PKT_S5_iiiPKb.uses_vcc, 1
	.set _ZN12_GLOBAL__N_121softmax_warp_backwardIfffLi2ELb0ELb0ELi32EEEvPT0_PKT_S5_iiiPKb.uses_flat_scratch, 0
	.set _ZN12_GLOBAL__N_121softmax_warp_backwardIfffLi2ELb0ELb0ELi32EEEvPT0_PKT_S5_iiiPKb.has_dyn_sized_stack, 0
	.set _ZN12_GLOBAL__N_121softmax_warp_backwardIfffLi2ELb0ELb0ELi32EEEvPT0_PKT_S5_iiiPKb.has_recursion, 0
	.set _ZN12_GLOBAL__N_121softmax_warp_backwardIfffLi2ELb0ELb0ELi32EEEvPT0_PKT_S5_iiiPKb.has_indirect_call, 0
	.section	.AMDGPU.csdata,"",@progbits
; Kernel info:
; codeLenInByte = 548
; TotalNumSgprs: 14
; NumVgprs: 14
; ScratchSize: 0
; MemoryBound: 0
; FloatMode: 240
; IeeeMode: 1
; LDSByteSize: 0 bytes/workgroup (compile time only)
; SGPRBlocks: 0
; VGPRBlocks: 1
; NumSGPRsForWavesPerEU: 14
; NumVGPRsForWavesPerEU: 14
; Occupancy: 16
; WaveLimiterHint : 0
; COMPUTE_PGM_RSRC2:SCRATCH_EN: 0
; COMPUTE_PGM_RSRC2:USER_SGPR: 6
; COMPUTE_PGM_RSRC2:TRAP_HANDLER: 0
; COMPUTE_PGM_RSRC2:TGID_X_EN: 1
; COMPUTE_PGM_RSRC2:TGID_Y_EN: 0
; COMPUTE_PGM_RSRC2:TGID_Z_EN: 0
; COMPUTE_PGM_RSRC2:TIDIG_COMP_CNT: 1
	.section	.text._ZN12_GLOBAL__N_121softmax_warp_backwardIfffLi3ELb0ELb0ELi64EEEvPT0_PKT_S5_iiiPKb,"axG",@progbits,_ZN12_GLOBAL__N_121softmax_warp_backwardIfffLi3ELb0ELb0ELi64EEEvPT0_PKT_S5_iiiPKb,comdat
	.globl	_ZN12_GLOBAL__N_121softmax_warp_backwardIfffLi3ELb0ELb0ELi64EEEvPT0_PKT_S5_iiiPKb ; -- Begin function _ZN12_GLOBAL__N_121softmax_warp_backwardIfffLi3ELb0ELb0ELi64EEEvPT0_PKT_S5_iiiPKb
	.p2align	8
	.type	_ZN12_GLOBAL__N_121softmax_warp_backwardIfffLi3ELb0ELb0ELi64EEEvPT0_PKT_S5_iiiPKb,@function
_ZN12_GLOBAL__N_121softmax_warp_backwardIfffLi3ELb0ELb0ELi64EEEvPT0_PKT_S5_iiiPKb: ; @_ZN12_GLOBAL__N_121softmax_warp_backwardIfffLi3ELb0ELb0ELi64EEEvPT0_PKT_S5_iiiPKb
; %bb.0:
	s_clause 0x1
	s_load_dword s7, s[4:5], 0x3c
	s_load_dwordx4 s[0:3], s[4:5], 0x18
	v_and_b32_e32 v2, 7, v0
	s_clause 0x1
	s_load_dwordx4 s[8:11], s[4:5], 0x0
	s_load_dwordx2 s[4:5], s[4:5], 0x10
	v_mov_b32_e32 v7, 0
	v_mov_b32_e32 v8, 0
	s_waitcnt lgkmcnt(0)
	s_lshr_b32 s3, s7, 16
	v_cmp_gt_i32_e32 vcc_lo, s2, v2
	s_and_b32 s3, s3, 0xffff
	s_mul_i32 s6, s6, s3
	v_add_lshl_u32 v3, s6, v1, 1
	v_mad_u64_u32 v[0:1], null, v3, s1, v[2:3]
	v_sub_nc_u32_e32 v6, s0, v3
	v_cmp_lt_i32_e64 s0, 0, v6
	v_ashrrev_i32_e32 v1, 31, v0
	s_and_b32 s3, vcc_lo, s0
	v_lshlrev_b64 v[0:1], 2, v[0:1]
	v_add_co_u32 v4, s1, s10, v0
	v_add_co_ci_u32_e64 v5, null, s11, v1, s1
	v_add_co_u32 v2, s1, s4, v0
	v_add_co_ci_u32_e64 v3, null, s5, v1, s1
	s_and_saveexec_b32 s1, s3
	s_cbranch_execz .LBB552_2
; %bb.1:
	global_load_dword v8, v[4:5], off
	global_load_dword v7, v[2:3], off
.LBB552_2:
	s_or_b32 exec_lo, exec_lo, s1
	v_cmp_gt_i32_e64 s1, 2, v6
	s_xor_b32 s3, vcc_lo, -1
	s_or_b32 s1, s3, s1
	s_and_saveexec_b32 s3, s1
	s_xor_b32 s1, exec_lo, s3
                                        ; implicit-def: $vgpr9
; %bb.3:
	v_mov_b32_e32 v9, 0
                                        ; implicit-def: $vgpr2
                                        ; implicit-def: $vgpr4
; %bb.4:
	s_or_saveexec_b32 s4, s1
	v_mov_b32_e32 v10, 0
	s_xor_b32 exec_lo, exec_lo, s4
	s_cbranch_execz .LBB552_6
; %bb.5:
	s_mov_b32 s3, 0
	s_lshl_b64 s[6:7], s[2:3], 2
	v_add_co_u32 v4, s1, v4, s6
	v_add_co_ci_u32_e64 v5, null, s7, v5, s1
	v_add_co_u32 v2, s1, v2, s6
	v_add_co_ci_u32_e64 v3, null, s7, v3, s1
	global_load_dword v9, v[4:5], off
	global_load_dword v10, v[2:3], off
.LBB552_6:
	s_or_b32 exec_lo, exec_lo, s4
	v_mbcnt_lo_u32_b32 v2, -1, 0
	s_waitcnt vmcnt(1)
	v_add_f32_e32 v5, 0, v8
	v_add_f32_e32 v11, 0, v9
	v_and_b32_e32 v3, 24, v2
	v_xor_b32_e32 v4, 4, v2
	v_xor_b32_e32 v13, 2, v2
	v_add_nc_u32_e32 v3, 8, v3
	v_cmp_lt_i32_e64 s1, v4, v3
	v_cndmask_b32_e64 v4, v2, v4, s1
	v_cmp_lt_i32_e64 s1, v13, v3
	v_lshlrev_b32_e32 v4, 2, v4
	v_cndmask_b32_e64 v13, v2, v13, s1
	ds_bpermute_b32 v12, v4, v5
	ds_bpermute_b32 v4, v4, v11
	v_lshlrev_b32_e32 v13, 2, v13
	s_waitcnt lgkmcnt(1)
	v_add_f32_e32 v5, v5, v12
	s_waitcnt lgkmcnt(0)
	v_add_f32_e32 v11, v11, v4
	ds_bpermute_b32 v4, v13, v5
	ds_bpermute_b32 v12, v13, v11
	v_xor_b32_e32 v13, 1, v2
	v_cmp_lt_i32_e64 s1, v13, v3
	v_cndmask_b32_e64 v2, v2, v13, s1
	v_lshlrev_b32_e32 v3, 2, v2
	s_waitcnt lgkmcnt(1)
	v_add_f32_e32 v4, v5, v4
	s_waitcnt lgkmcnt(0)
	v_add_f32_e32 v2, v11, v12
	ds_bpermute_b32 v5, v3, v4
	ds_bpermute_b32 v3, v3, v2
	s_and_saveexec_b32 s1, s0
	s_cbranch_execz .LBB552_11
; %bb.7:
	v_add_co_u32 v0, s0, s8, v0
	v_add_co_ci_u32_e64 v1, null, s9, v1, s0
	s_and_saveexec_b32 s0, vcc_lo
	s_cbranch_execz .LBB552_9
; %bb.8:
	s_waitcnt lgkmcnt(1)
	v_add_f32_e32 v4, v4, v5
	s_waitcnt vmcnt(0)
	v_fma_f32 v4, -v7, v4, v8
	global_store_dword v[0:1], v4, off
.LBB552_9:
	s_or_b32 exec_lo, exec_lo, s0
	v_cmp_ne_u32_e64 s0, 1, v6
	s_and_b32 s0, s0, vcc_lo
	s_and_b32 exec_lo, exec_lo, s0
	s_cbranch_execz .LBB552_11
; %bb.10:
	s_mov_b32 s3, 0
	s_waitcnt lgkmcnt(0)
	v_add_f32_e32 v2, v2, v3
	s_lshl_b64 s[0:1], s[2:3], 2
	v_add_co_u32 v0, vcc_lo, v0, s0
	v_add_co_ci_u32_e64 v1, null, s1, v1, vcc_lo
	s_waitcnt vmcnt(0)
	v_fma_f32 v2, -v10, v2, v9
	global_store_dword v[0:1], v2, off
.LBB552_11:
	s_endpgm
	.section	.rodata,"a",@progbits
	.p2align	6, 0x0
	.amdhsa_kernel _ZN12_GLOBAL__N_121softmax_warp_backwardIfffLi3ELb0ELb0ELi64EEEvPT0_PKT_S5_iiiPKb
		.amdhsa_group_segment_fixed_size 0
		.amdhsa_private_segment_fixed_size 0
		.amdhsa_kernarg_size 304
		.amdhsa_user_sgpr_count 6
		.amdhsa_user_sgpr_private_segment_buffer 1
		.amdhsa_user_sgpr_dispatch_ptr 0
		.amdhsa_user_sgpr_queue_ptr 0
		.amdhsa_user_sgpr_kernarg_segment_ptr 1
		.amdhsa_user_sgpr_dispatch_id 0
		.amdhsa_user_sgpr_flat_scratch_init 0
		.amdhsa_user_sgpr_private_segment_size 0
		.amdhsa_wavefront_size32 1
		.amdhsa_uses_dynamic_stack 0
		.amdhsa_system_sgpr_private_segment_wavefront_offset 0
		.amdhsa_system_sgpr_workgroup_id_x 1
		.amdhsa_system_sgpr_workgroup_id_y 0
		.amdhsa_system_sgpr_workgroup_id_z 0
		.amdhsa_system_sgpr_workgroup_info 0
		.amdhsa_system_vgpr_workitem_id 1
		.amdhsa_next_free_vgpr 14
		.amdhsa_next_free_sgpr 12
		.amdhsa_reserve_vcc 1
		.amdhsa_reserve_flat_scratch 0
		.amdhsa_float_round_mode_32 0
		.amdhsa_float_round_mode_16_64 0
		.amdhsa_float_denorm_mode_32 3
		.amdhsa_float_denorm_mode_16_64 3
		.amdhsa_dx10_clamp 1
		.amdhsa_ieee_mode 1
		.amdhsa_fp16_overflow 0
		.amdhsa_workgroup_processor_mode 1
		.amdhsa_memory_ordered 1
		.amdhsa_forward_progress 1
		.amdhsa_shared_vgpr_count 0
		.amdhsa_exception_fp_ieee_invalid_op 0
		.amdhsa_exception_fp_denorm_src 0
		.amdhsa_exception_fp_ieee_div_zero 0
		.amdhsa_exception_fp_ieee_overflow 0
		.amdhsa_exception_fp_ieee_underflow 0
		.amdhsa_exception_fp_ieee_inexact 0
		.amdhsa_exception_int_div_zero 0
	.end_amdhsa_kernel
	.section	.text._ZN12_GLOBAL__N_121softmax_warp_backwardIfffLi3ELb0ELb0ELi64EEEvPT0_PKT_S5_iiiPKb,"axG",@progbits,_ZN12_GLOBAL__N_121softmax_warp_backwardIfffLi3ELb0ELb0ELi64EEEvPT0_PKT_S5_iiiPKb,comdat
.Lfunc_end552:
	.size	_ZN12_GLOBAL__N_121softmax_warp_backwardIfffLi3ELb0ELb0ELi64EEEvPT0_PKT_S5_iiiPKb, .Lfunc_end552-_ZN12_GLOBAL__N_121softmax_warp_backwardIfffLi3ELb0ELb0ELi64EEEvPT0_PKT_S5_iiiPKb
                                        ; -- End function
	.set _ZN12_GLOBAL__N_121softmax_warp_backwardIfffLi3ELb0ELb0ELi64EEEvPT0_PKT_S5_iiiPKb.num_vgpr, 14
	.set _ZN12_GLOBAL__N_121softmax_warp_backwardIfffLi3ELb0ELb0ELi64EEEvPT0_PKT_S5_iiiPKb.num_agpr, 0
	.set _ZN12_GLOBAL__N_121softmax_warp_backwardIfffLi3ELb0ELb0ELi64EEEvPT0_PKT_S5_iiiPKb.numbered_sgpr, 12
	.set _ZN12_GLOBAL__N_121softmax_warp_backwardIfffLi3ELb0ELb0ELi64EEEvPT0_PKT_S5_iiiPKb.num_named_barrier, 0
	.set _ZN12_GLOBAL__N_121softmax_warp_backwardIfffLi3ELb0ELb0ELi64EEEvPT0_PKT_S5_iiiPKb.private_seg_size, 0
	.set _ZN12_GLOBAL__N_121softmax_warp_backwardIfffLi3ELb0ELb0ELi64EEEvPT0_PKT_S5_iiiPKb.uses_vcc, 1
	.set _ZN12_GLOBAL__N_121softmax_warp_backwardIfffLi3ELb0ELb0ELi64EEEvPT0_PKT_S5_iiiPKb.uses_flat_scratch, 0
	.set _ZN12_GLOBAL__N_121softmax_warp_backwardIfffLi3ELb0ELb0ELi64EEEvPT0_PKT_S5_iiiPKb.has_dyn_sized_stack, 0
	.set _ZN12_GLOBAL__N_121softmax_warp_backwardIfffLi3ELb0ELb0ELi64EEEvPT0_PKT_S5_iiiPKb.has_recursion, 0
	.set _ZN12_GLOBAL__N_121softmax_warp_backwardIfffLi3ELb0ELb0ELi64EEEvPT0_PKT_S5_iiiPKb.has_indirect_call, 0
	.section	.AMDGPU.csdata,"",@progbits
; Kernel info:
; codeLenInByte = 604
; TotalNumSgprs: 14
; NumVgprs: 14
; ScratchSize: 0
; MemoryBound: 0
; FloatMode: 240
; IeeeMode: 1
; LDSByteSize: 0 bytes/workgroup (compile time only)
; SGPRBlocks: 0
; VGPRBlocks: 1
; NumSGPRsForWavesPerEU: 14
; NumVGPRsForWavesPerEU: 14
; Occupancy: 16
; WaveLimiterHint : 0
; COMPUTE_PGM_RSRC2:SCRATCH_EN: 0
; COMPUTE_PGM_RSRC2:USER_SGPR: 6
; COMPUTE_PGM_RSRC2:TRAP_HANDLER: 0
; COMPUTE_PGM_RSRC2:TGID_X_EN: 1
; COMPUTE_PGM_RSRC2:TGID_Y_EN: 0
; COMPUTE_PGM_RSRC2:TGID_Z_EN: 0
; COMPUTE_PGM_RSRC2:TIDIG_COMP_CNT: 1
	.section	.text._ZN12_GLOBAL__N_121softmax_warp_backwardIfffLi3ELb0ELb0ELi32EEEvPT0_PKT_S5_iiiPKb,"axG",@progbits,_ZN12_GLOBAL__N_121softmax_warp_backwardIfffLi3ELb0ELb0ELi32EEEvPT0_PKT_S5_iiiPKb,comdat
	.globl	_ZN12_GLOBAL__N_121softmax_warp_backwardIfffLi3ELb0ELb0ELi32EEEvPT0_PKT_S5_iiiPKb ; -- Begin function _ZN12_GLOBAL__N_121softmax_warp_backwardIfffLi3ELb0ELb0ELi32EEEvPT0_PKT_S5_iiiPKb
	.p2align	8
	.type	_ZN12_GLOBAL__N_121softmax_warp_backwardIfffLi3ELb0ELb0ELi32EEEvPT0_PKT_S5_iiiPKb,@function
_ZN12_GLOBAL__N_121softmax_warp_backwardIfffLi3ELb0ELb0ELi32EEEvPT0_PKT_S5_iiiPKb: ; @_ZN12_GLOBAL__N_121softmax_warp_backwardIfffLi3ELb0ELb0ELi32EEEvPT0_PKT_S5_iiiPKb
; %bb.0:
	s_clause 0x1
	s_load_dword s7, s[4:5], 0x3c
	s_load_dwordx4 s[0:3], s[4:5], 0x18
	v_and_b32_e32 v2, 7, v0
	s_clause 0x1
	s_load_dwordx4 s[8:11], s[4:5], 0x0
	s_load_dwordx2 s[4:5], s[4:5], 0x10
	v_mov_b32_e32 v7, 0
	v_mov_b32_e32 v8, 0
	s_waitcnt lgkmcnt(0)
	s_lshr_b32 s3, s7, 16
	v_cmp_gt_i32_e32 vcc_lo, s2, v2
	s_and_b32 s3, s3, 0xffff
	s_mul_i32 s6, s6, s3
	v_add_lshl_u32 v3, s6, v1, 1
	v_mad_u64_u32 v[0:1], null, v3, s1, v[2:3]
	v_sub_nc_u32_e32 v6, s0, v3
	v_cmp_lt_i32_e64 s0, 0, v6
	v_ashrrev_i32_e32 v1, 31, v0
	s_and_b32 s3, vcc_lo, s0
	v_lshlrev_b64 v[0:1], 2, v[0:1]
	v_add_co_u32 v4, s1, s10, v0
	v_add_co_ci_u32_e64 v5, null, s11, v1, s1
	v_add_co_u32 v2, s1, s4, v0
	v_add_co_ci_u32_e64 v3, null, s5, v1, s1
	s_and_saveexec_b32 s1, s3
	s_cbranch_execz .LBB553_2
; %bb.1:
	global_load_dword v8, v[4:5], off
	global_load_dword v7, v[2:3], off
.LBB553_2:
	s_or_b32 exec_lo, exec_lo, s1
	v_cmp_gt_i32_e64 s1, 2, v6
	s_xor_b32 s3, vcc_lo, -1
	s_or_b32 s1, s3, s1
	s_and_saveexec_b32 s3, s1
	s_xor_b32 s1, exec_lo, s3
                                        ; implicit-def: $vgpr9
; %bb.3:
	v_mov_b32_e32 v9, 0
                                        ; implicit-def: $vgpr2
                                        ; implicit-def: $vgpr4
; %bb.4:
	s_or_saveexec_b32 s4, s1
	v_mov_b32_e32 v10, 0
	s_xor_b32 exec_lo, exec_lo, s4
	s_cbranch_execz .LBB553_6
; %bb.5:
	s_mov_b32 s3, 0
	s_lshl_b64 s[6:7], s[2:3], 2
	v_add_co_u32 v4, s1, v4, s6
	v_add_co_ci_u32_e64 v5, null, s7, v5, s1
	v_add_co_u32 v2, s1, v2, s6
	v_add_co_ci_u32_e64 v3, null, s7, v3, s1
	global_load_dword v9, v[4:5], off
	global_load_dword v10, v[2:3], off
.LBB553_6:
	s_or_b32 exec_lo, exec_lo, s4
	v_mbcnt_lo_u32_b32 v2, -1, 0
	s_waitcnt vmcnt(1)
	v_add_f32_e32 v5, 0, v8
	v_add_f32_e32 v11, 0, v9
	v_and_b32_e32 v3, 24, v2
	v_xor_b32_e32 v4, 4, v2
	v_xor_b32_e32 v13, 2, v2
	v_add_nc_u32_e32 v3, 8, v3
	v_cmp_lt_i32_e64 s1, v4, v3
	v_cndmask_b32_e64 v4, v2, v4, s1
	v_cmp_lt_i32_e64 s1, v13, v3
	v_lshlrev_b32_e32 v4, 2, v4
	v_cndmask_b32_e64 v13, v2, v13, s1
	ds_bpermute_b32 v12, v4, v5
	ds_bpermute_b32 v4, v4, v11
	v_lshlrev_b32_e32 v13, 2, v13
	s_waitcnt lgkmcnt(1)
	v_add_f32_e32 v5, v5, v12
	s_waitcnt lgkmcnt(0)
	v_add_f32_e32 v11, v11, v4
	ds_bpermute_b32 v4, v13, v5
	ds_bpermute_b32 v12, v13, v11
	v_xor_b32_e32 v13, 1, v2
	v_cmp_lt_i32_e64 s1, v13, v3
	v_cndmask_b32_e64 v2, v2, v13, s1
	v_lshlrev_b32_e32 v3, 2, v2
	s_waitcnt lgkmcnt(1)
	v_add_f32_e32 v4, v5, v4
	s_waitcnt lgkmcnt(0)
	v_add_f32_e32 v2, v11, v12
	ds_bpermute_b32 v5, v3, v4
	ds_bpermute_b32 v3, v3, v2
	s_and_saveexec_b32 s1, s0
	s_cbranch_execz .LBB553_11
; %bb.7:
	v_add_co_u32 v0, s0, s8, v0
	v_add_co_ci_u32_e64 v1, null, s9, v1, s0
	s_and_saveexec_b32 s0, vcc_lo
	s_cbranch_execz .LBB553_9
; %bb.8:
	s_waitcnt lgkmcnt(1)
	v_add_f32_e32 v4, v4, v5
	s_waitcnt vmcnt(0)
	v_fma_f32 v4, -v7, v4, v8
	global_store_dword v[0:1], v4, off
.LBB553_9:
	s_or_b32 exec_lo, exec_lo, s0
	v_cmp_ne_u32_e64 s0, 1, v6
	s_and_b32 s0, s0, vcc_lo
	s_and_b32 exec_lo, exec_lo, s0
	s_cbranch_execz .LBB553_11
; %bb.10:
	s_mov_b32 s3, 0
	s_waitcnt lgkmcnt(0)
	v_add_f32_e32 v2, v2, v3
	s_lshl_b64 s[0:1], s[2:3], 2
	v_add_co_u32 v0, vcc_lo, v0, s0
	v_add_co_ci_u32_e64 v1, null, s1, v1, vcc_lo
	s_waitcnt vmcnt(0)
	v_fma_f32 v2, -v10, v2, v9
	global_store_dword v[0:1], v2, off
.LBB553_11:
	s_endpgm
	.section	.rodata,"a",@progbits
	.p2align	6, 0x0
	.amdhsa_kernel _ZN12_GLOBAL__N_121softmax_warp_backwardIfffLi3ELb0ELb0ELi32EEEvPT0_PKT_S5_iiiPKb
		.amdhsa_group_segment_fixed_size 0
		.amdhsa_private_segment_fixed_size 0
		.amdhsa_kernarg_size 304
		.amdhsa_user_sgpr_count 6
		.amdhsa_user_sgpr_private_segment_buffer 1
		.amdhsa_user_sgpr_dispatch_ptr 0
		.amdhsa_user_sgpr_queue_ptr 0
		.amdhsa_user_sgpr_kernarg_segment_ptr 1
		.amdhsa_user_sgpr_dispatch_id 0
		.amdhsa_user_sgpr_flat_scratch_init 0
		.amdhsa_user_sgpr_private_segment_size 0
		.amdhsa_wavefront_size32 1
		.amdhsa_uses_dynamic_stack 0
		.amdhsa_system_sgpr_private_segment_wavefront_offset 0
		.amdhsa_system_sgpr_workgroup_id_x 1
		.amdhsa_system_sgpr_workgroup_id_y 0
		.amdhsa_system_sgpr_workgroup_id_z 0
		.amdhsa_system_sgpr_workgroup_info 0
		.amdhsa_system_vgpr_workitem_id 1
		.amdhsa_next_free_vgpr 14
		.amdhsa_next_free_sgpr 12
		.amdhsa_reserve_vcc 1
		.amdhsa_reserve_flat_scratch 0
		.amdhsa_float_round_mode_32 0
		.amdhsa_float_round_mode_16_64 0
		.amdhsa_float_denorm_mode_32 3
		.amdhsa_float_denorm_mode_16_64 3
		.amdhsa_dx10_clamp 1
		.amdhsa_ieee_mode 1
		.amdhsa_fp16_overflow 0
		.amdhsa_workgroup_processor_mode 1
		.amdhsa_memory_ordered 1
		.amdhsa_forward_progress 1
		.amdhsa_shared_vgpr_count 0
		.amdhsa_exception_fp_ieee_invalid_op 0
		.amdhsa_exception_fp_denorm_src 0
		.amdhsa_exception_fp_ieee_div_zero 0
		.amdhsa_exception_fp_ieee_overflow 0
		.amdhsa_exception_fp_ieee_underflow 0
		.amdhsa_exception_fp_ieee_inexact 0
		.amdhsa_exception_int_div_zero 0
	.end_amdhsa_kernel
	.section	.text._ZN12_GLOBAL__N_121softmax_warp_backwardIfffLi3ELb0ELb0ELi32EEEvPT0_PKT_S5_iiiPKb,"axG",@progbits,_ZN12_GLOBAL__N_121softmax_warp_backwardIfffLi3ELb0ELb0ELi32EEEvPT0_PKT_S5_iiiPKb,comdat
.Lfunc_end553:
	.size	_ZN12_GLOBAL__N_121softmax_warp_backwardIfffLi3ELb0ELb0ELi32EEEvPT0_PKT_S5_iiiPKb, .Lfunc_end553-_ZN12_GLOBAL__N_121softmax_warp_backwardIfffLi3ELb0ELb0ELi32EEEvPT0_PKT_S5_iiiPKb
                                        ; -- End function
	.set _ZN12_GLOBAL__N_121softmax_warp_backwardIfffLi3ELb0ELb0ELi32EEEvPT0_PKT_S5_iiiPKb.num_vgpr, 14
	.set _ZN12_GLOBAL__N_121softmax_warp_backwardIfffLi3ELb0ELb0ELi32EEEvPT0_PKT_S5_iiiPKb.num_agpr, 0
	.set _ZN12_GLOBAL__N_121softmax_warp_backwardIfffLi3ELb0ELb0ELi32EEEvPT0_PKT_S5_iiiPKb.numbered_sgpr, 12
	.set _ZN12_GLOBAL__N_121softmax_warp_backwardIfffLi3ELb0ELb0ELi32EEEvPT0_PKT_S5_iiiPKb.num_named_barrier, 0
	.set _ZN12_GLOBAL__N_121softmax_warp_backwardIfffLi3ELb0ELb0ELi32EEEvPT0_PKT_S5_iiiPKb.private_seg_size, 0
	.set _ZN12_GLOBAL__N_121softmax_warp_backwardIfffLi3ELb0ELb0ELi32EEEvPT0_PKT_S5_iiiPKb.uses_vcc, 1
	.set _ZN12_GLOBAL__N_121softmax_warp_backwardIfffLi3ELb0ELb0ELi32EEEvPT0_PKT_S5_iiiPKb.uses_flat_scratch, 0
	.set _ZN12_GLOBAL__N_121softmax_warp_backwardIfffLi3ELb0ELb0ELi32EEEvPT0_PKT_S5_iiiPKb.has_dyn_sized_stack, 0
	.set _ZN12_GLOBAL__N_121softmax_warp_backwardIfffLi3ELb0ELb0ELi32EEEvPT0_PKT_S5_iiiPKb.has_recursion, 0
	.set _ZN12_GLOBAL__N_121softmax_warp_backwardIfffLi3ELb0ELb0ELi32EEEvPT0_PKT_S5_iiiPKb.has_indirect_call, 0
	.section	.AMDGPU.csdata,"",@progbits
; Kernel info:
; codeLenInByte = 604
; TotalNumSgprs: 14
; NumVgprs: 14
; ScratchSize: 0
; MemoryBound: 0
; FloatMode: 240
; IeeeMode: 1
; LDSByteSize: 0 bytes/workgroup (compile time only)
; SGPRBlocks: 0
; VGPRBlocks: 1
; NumSGPRsForWavesPerEU: 14
; NumVGPRsForWavesPerEU: 14
; Occupancy: 16
; WaveLimiterHint : 0
; COMPUTE_PGM_RSRC2:SCRATCH_EN: 0
; COMPUTE_PGM_RSRC2:USER_SGPR: 6
; COMPUTE_PGM_RSRC2:TRAP_HANDLER: 0
; COMPUTE_PGM_RSRC2:TGID_X_EN: 1
; COMPUTE_PGM_RSRC2:TGID_Y_EN: 0
; COMPUTE_PGM_RSRC2:TGID_Z_EN: 0
; COMPUTE_PGM_RSRC2:TIDIG_COMP_CNT: 1
	.section	.text._ZN12_GLOBAL__N_121softmax_warp_backwardIfffLi4ELb0ELb0ELi64EEEvPT0_PKT_S5_iiiPKb,"axG",@progbits,_ZN12_GLOBAL__N_121softmax_warp_backwardIfffLi4ELb0ELb0ELi64EEEvPT0_PKT_S5_iiiPKb,comdat
	.globl	_ZN12_GLOBAL__N_121softmax_warp_backwardIfffLi4ELb0ELb0ELi64EEEvPT0_PKT_S5_iiiPKb ; -- Begin function _ZN12_GLOBAL__N_121softmax_warp_backwardIfffLi4ELb0ELb0ELi64EEEvPT0_PKT_S5_iiiPKb
	.p2align	8
	.type	_ZN12_GLOBAL__N_121softmax_warp_backwardIfffLi4ELb0ELb0ELi64EEEvPT0_PKT_S5_iiiPKb,@function
_ZN12_GLOBAL__N_121softmax_warp_backwardIfffLi4ELb0ELb0ELi64EEEvPT0_PKT_S5_iiiPKb: ; @_ZN12_GLOBAL__N_121softmax_warp_backwardIfffLi4ELb0ELb0ELi64EEEvPT0_PKT_S5_iiiPKb
; %bb.0:
	s_clause 0x1
	s_load_dword s7, s[4:5], 0x3c
	s_load_dwordx4 s[0:3], s[4:5], 0x18
	v_and_b32_e32 v2, 15, v0
	s_clause 0x1
	s_load_dwordx4 s[8:11], s[4:5], 0x0
	s_load_dwordx2 s[4:5], s[4:5], 0x10
	v_mov_b32_e32 v7, 0
	v_mov_b32_e32 v8, 0
	s_waitcnt lgkmcnt(0)
	s_lshr_b32 s3, s7, 16
	v_cmp_gt_i32_e32 vcc_lo, s2, v2
	s_and_b32 s3, s3, 0xffff
	s_mul_i32 s6, s6, s3
	v_add_lshl_u32 v3, s6, v1, 1
	v_mad_u64_u32 v[0:1], null, v3, s1, v[2:3]
	v_sub_nc_u32_e32 v6, s0, v3
	v_cmp_lt_i32_e64 s0, 0, v6
	v_ashrrev_i32_e32 v1, 31, v0
	s_and_b32 s3, vcc_lo, s0
	v_lshlrev_b64 v[0:1], 2, v[0:1]
	v_add_co_u32 v4, s1, s10, v0
	v_add_co_ci_u32_e64 v5, null, s11, v1, s1
	v_add_co_u32 v2, s1, s4, v0
	v_add_co_ci_u32_e64 v3, null, s5, v1, s1
	s_and_saveexec_b32 s1, s3
	s_cbranch_execz .LBB554_2
; %bb.1:
	global_load_dword v8, v[4:5], off
	global_load_dword v7, v[2:3], off
.LBB554_2:
	s_or_b32 exec_lo, exec_lo, s1
	v_cmp_gt_i32_e64 s1, 2, v6
	s_xor_b32 s3, vcc_lo, -1
	s_or_b32 s1, s3, s1
	s_and_saveexec_b32 s3, s1
	s_xor_b32 s1, exec_lo, s3
                                        ; implicit-def: $vgpr9
; %bb.3:
	v_mov_b32_e32 v9, 0
                                        ; implicit-def: $vgpr2
                                        ; implicit-def: $vgpr4
; %bb.4:
	s_or_saveexec_b32 s4, s1
	v_mov_b32_e32 v10, 0
	s_xor_b32 exec_lo, exec_lo, s4
	s_cbranch_execz .LBB554_6
; %bb.5:
	s_mov_b32 s3, 0
	s_lshl_b64 s[6:7], s[2:3], 2
	v_add_co_u32 v4, s1, v4, s6
	v_add_co_ci_u32_e64 v5, null, s7, v5, s1
	v_add_co_u32 v2, s1, v2, s6
	v_add_co_ci_u32_e64 v3, null, s7, v3, s1
	global_load_dword v9, v[4:5], off
	global_load_dword v10, v[2:3], off
.LBB554_6:
	s_or_b32 exec_lo, exec_lo, s4
	v_mbcnt_lo_u32_b32 v2, -1, 0
	s_waitcnt vmcnt(1)
	v_add_f32_e32 v5, 0, v8
	v_add_f32_e32 v11, 0, v9
	v_and_b32_e32 v3, 16, v2
	v_xor_b32_e32 v4, 8, v2
	v_xor_b32_e32 v13, 4, v2
	v_add_nc_u32_e32 v3, 16, v3
	v_cmp_lt_i32_e64 s1, v4, v3
	v_cndmask_b32_e64 v4, v2, v4, s1
	v_cmp_lt_i32_e64 s1, v13, v3
	v_lshlrev_b32_e32 v4, 2, v4
	v_cndmask_b32_e64 v13, v2, v13, s1
	ds_bpermute_b32 v12, v4, v5
	ds_bpermute_b32 v4, v4, v11
	v_lshlrev_b32_e32 v13, 2, v13
	s_waitcnt lgkmcnt(1)
	v_add_f32_e32 v5, v5, v12
	s_waitcnt lgkmcnt(0)
	v_add_f32_e32 v4, v11, v4
	ds_bpermute_b32 v11, v13, v5
	ds_bpermute_b32 v12, v13, v4
	v_xor_b32_e32 v13, 2, v2
	v_cmp_lt_i32_e64 s1, v13, v3
	v_cndmask_b32_e64 v13, v2, v13, s1
	v_lshlrev_b32_e32 v13, 2, v13
	s_waitcnt lgkmcnt(1)
	v_add_f32_e32 v5, v5, v11
	s_waitcnt lgkmcnt(0)
	v_add_f32_e32 v11, v4, v12
	ds_bpermute_b32 v4, v13, v5
	ds_bpermute_b32 v12, v13, v11
	v_xor_b32_e32 v13, 1, v2
	v_cmp_lt_i32_e64 s1, v13, v3
	v_cndmask_b32_e64 v2, v2, v13, s1
	v_lshlrev_b32_e32 v3, 2, v2
	s_waitcnt lgkmcnt(1)
	v_add_f32_e32 v4, v5, v4
	s_waitcnt lgkmcnt(0)
	v_add_f32_e32 v2, v11, v12
	ds_bpermute_b32 v5, v3, v4
	ds_bpermute_b32 v3, v3, v2
	s_and_saveexec_b32 s1, s0
	s_cbranch_execz .LBB554_11
; %bb.7:
	v_add_co_u32 v0, s0, s8, v0
	v_add_co_ci_u32_e64 v1, null, s9, v1, s0
	s_and_saveexec_b32 s0, vcc_lo
	s_cbranch_execz .LBB554_9
; %bb.8:
	s_waitcnt lgkmcnt(1)
	v_add_f32_e32 v4, v4, v5
	s_waitcnt vmcnt(0)
	v_fma_f32 v4, -v7, v4, v8
	global_store_dword v[0:1], v4, off
.LBB554_9:
	s_or_b32 exec_lo, exec_lo, s0
	v_cmp_ne_u32_e64 s0, 1, v6
	s_and_b32 s0, s0, vcc_lo
	s_and_b32 exec_lo, exec_lo, s0
	s_cbranch_execz .LBB554_11
; %bb.10:
	s_mov_b32 s3, 0
	s_waitcnt lgkmcnt(0)
	v_add_f32_e32 v2, v2, v3
	s_lshl_b64 s[0:1], s[2:3], 2
	v_add_co_u32 v0, vcc_lo, v0, s0
	v_add_co_ci_u32_e64 v1, null, s1, v1, vcc_lo
	s_waitcnt vmcnt(0)
	v_fma_f32 v2, -v10, v2, v9
	global_store_dword v[0:1], v2, off
.LBB554_11:
	s_endpgm
	.section	.rodata,"a",@progbits
	.p2align	6, 0x0
	.amdhsa_kernel _ZN12_GLOBAL__N_121softmax_warp_backwardIfffLi4ELb0ELb0ELi64EEEvPT0_PKT_S5_iiiPKb
		.amdhsa_group_segment_fixed_size 0
		.amdhsa_private_segment_fixed_size 0
		.amdhsa_kernarg_size 304
		.amdhsa_user_sgpr_count 6
		.amdhsa_user_sgpr_private_segment_buffer 1
		.amdhsa_user_sgpr_dispatch_ptr 0
		.amdhsa_user_sgpr_queue_ptr 0
		.amdhsa_user_sgpr_kernarg_segment_ptr 1
		.amdhsa_user_sgpr_dispatch_id 0
		.amdhsa_user_sgpr_flat_scratch_init 0
		.amdhsa_user_sgpr_private_segment_size 0
		.amdhsa_wavefront_size32 1
		.amdhsa_uses_dynamic_stack 0
		.amdhsa_system_sgpr_private_segment_wavefront_offset 0
		.amdhsa_system_sgpr_workgroup_id_x 1
		.amdhsa_system_sgpr_workgroup_id_y 0
		.amdhsa_system_sgpr_workgroup_id_z 0
		.amdhsa_system_sgpr_workgroup_info 0
		.amdhsa_system_vgpr_workitem_id 1
		.amdhsa_next_free_vgpr 14
		.amdhsa_next_free_sgpr 12
		.amdhsa_reserve_vcc 1
		.amdhsa_reserve_flat_scratch 0
		.amdhsa_float_round_mode_32 0
		.amdhsa_float_round_mode_16_64 0
		.amdhsa_float_denorm_mode_32 3
		.amdhsa_float_denorm_mode_16_64 3
		.amdhsa_dx10_clamp 1
		.amdhsa_ieee_mode 1
		.amdhsa_fp16_overflow 0
		.amdhsa_workgroup_processor_mode 1
		.amdhsa_memory_ordered 1
		.amdhsa_forward_progress 1
		.amdhsa_shared_vgpr_count 0
		.amdhsa_exception_fp_ieee_invalid_op 0
		.amdhsa_exception_fp_denorm_src 0
		.amdhsa_exception_fp_ieee_div_zero 0
		.amdhsa_exception_fp_ieee_overflow 0
		.amdhsa_exception_fp_ieee_underflow 0
		.amdhsa_exception_fp_ieee_inexact 0
		.amdhsa_exception_int_div_zero 0
	.end_amdhsa_kernel
	.section	.text._ZN12_GLOBAL__N_121softmax_warp_backwardIfffLi4ELb0ELb0ELi64EEEvPT0_PKT_S5_iiiPKb,"axG",@progbits,_ZN12_GLOBAL__N_121softmax_warp_backwardIfffLi4ELb0ELb0ELi64EEEvPT0_PKT_S5_iiiPKb,comdat
.Lfunc_end554:
	.size	_ZN12_GLOBAL__N_121softmax_warp_backwardIfffLi4ELb0ELb0ELi64EEEvPT0_PKT_S5_iiiPKb, .Lfunc_end554-_ZN12_GLOBAL__N_121softmax_warp_backwardIfffLi4ELb0ELb0ELi64EEEvPT0_PKT_S5_iiiPKb
                                        ; -- End function
	.set _ZN12_GLOBAL__N_121softmax_warp_backwardIfffLi4ELb0ELb0ELi64EEEvPT0_PKT_S5_iiiPKb.num_vgpr, 14
	.set _ZN12_GLOBAL__N_121softmax_warp_backwardIfffLi4ELb0ELb0ELi64EEEvPT0_PKT_S5_iiiPKb.num_agpr, 0
	.set _ZN12_GLOBAL__N_121softmax_warp_backwardIfffLi4ELb0ELb0ELi64EEEvPT0_PKT_S5_iiiPKb.numbered_sgpr, 12
	.set _ZN12_GLOBAL__N_121softmax_warp_backwardIfffLi4ELb0ELb0ELi64EEEvPT0_PKT_S5_iiiPKb.num_named_barrier, 0
	.set _ZN12_GLOBAL__N_121softmax_warp_backwardIfffLi4ELb0ELb0ELi64EEEvPT0_PKT_S5_iiiPKb.private_seg_size, 0
	.set _ZN12_GLOBAL__N_121softmax_warp_backwardIfffLi4ELb0ELb0ELi64EEEvPT0_PKT_S5_iiiPKb.uses_vcc, 1
	.set _ZN12_GLOBAL__N_121softmax_warp_backwardIfffLi4ELb0ELb0ELi64EEEvPT0_PKT_S5_iiiPKb.uses_flat_scratch, 0
	.set _ZN12_GLOBAL__N_121softmax_warp_backwardIfffLi4ELb0ELb0ELi64EEEvPT0_PKT_S5_iiiPKb.has_dyn_sized_stack, 0
	.set _ZN12_GLOBAL__N_121softmax_warp_backwardIfffLi4ELb0ELb0ELi64EEEvPT0_PKT_S5_iiiPKb.has_recursion, 0
	.set _ZN12_GLOBAL__N_121softmax_warp_backwardIfffLi4ELb0ELb0ELi64EEEvPT0_PKT_S5_iiiPKb.has_indirect_call, 0
	.section	.AMDGPU.csdata,"",@progbits
; Kernel info:
; codeLenInByte = 660
; TotalNumSgprs: 14
; NumVgprs: 14
; ScratchSize: 0
; MemoryBound: 0
; FloatMode: 240
; IeeeMode: 1
; LDSByteSize: 0 bytes/workgroup (compile time only)
; SGPRBlocks: 0
; VGPRBlocks: 1
; NumSGPRsForWavesPerEU: 14
; NumVGPRsForWavesPerEU: 14
; Occupancy: 16
; WaveLimiterHint : 0
; COMPUTE_PGM_RSRC2:SCRATCH_EN: 0
; COMPUTE_PGM_RSRC2:USER_SGPR: 6
; COMPUTE_PGM_RSRC2:TRAP_HANDLER: 0
; COMPUTE_PGM_RSRC2:TGID_X_EN: 1
; COMPUTE_PGM_RSRC2:TGID_Y_EN: 0
; COMPUTE_PGM_RSRC2:TGID_Z_EN: 0
; COMPUTE_PGM_RSRC2:TIDIG_COMP_CNT: 1
	.section	.text._ZN12_GLOBAL__N_121softmax_warp_backwardIfffLi4ELb0ELb0ELi32EEEvPT0_PKT_S5_iiiPKb,"axG",@progbits,_ZN12_GLOBAL__N_121softmax_warp_backwardIfffLi4ELb0ELb0ELi32EEEvPT0_PKT_S5_iiiPKb,comdat
	.globl	_ZN12_GLOBAL__N_121softmax_warp_backwardIfffLi4ELb0ELb0ELi32EEEvPT0_PKT_S5_iiiPKb ; -- Begin function _ZN12_GLOBAL__N_121softmax_warp_backwardIfffLi4ELb0ELb0ELi32EEEvPT0_PKT_S5_iiiPKb
	.p2align	8
	.type	_ZN12_GLOBAL__N_121softmax_warp_backwardIfffLi4ELb0ELb0ELi32EEEvPT0_PKT_S5_iiiPKb,@function
_ZN12_GLOBAL__N_121softmax_warp_backwardIfffLi4ELb0ELb0ELi32EEEvPT0_PKT_S5_iiiPKb: ; @_ZN12_GLOBAL__N_121softmax_warp_backwardIfffLi4ELb0ELb0ELi32EEEvPT0_PKT_S5_iiiPKb
; %bb.0:
	s_clause 0x1
	s_load_dword s7, s[4:5], 0x3c
	s_load_dwordx4 s[0:3], s[4:5], 0x18
	v_and_b32_e32 v2, 15, v0
	s_clause 0x1
	s_load_dwordx4 s[8:11], s[4:5], 0x0
	s_load_dwordx2 s[4:5], s[4:5], 0x10
	v_mov_b32_e32 v7, 0
	v_mov_b32_e32 v8, 0
	s_waitcnt lgkmcnt(0)
	s_lshr_b32 s3, s7, 16
	v_cmp_gt_i32_e32 vcc_lo, s2, v2
	s_and_b32 s3, s3, 0xffff
	s_mul_i32 s6, s6, s3
	v_add_lshl_u32 v3, s6, v1, 1
	v_mad_u64_u32 v[0:1], null, v3, s1, v[2:3]
	v_sub_nc_u32_e32 v6, s0, v3
	v_cmp_lt_i32_e64 s0, 0, v6
	v_ashrrev_i32_e32 v1, 31, v0
	s_and_b32 s3, vcc_lo, s0
	v_lshlrev_b64 v[0:1], 2, v[0:1]
	v_add_co_u32 v4, s1, s10, v0
	v_add_co_ci_u32_e64 v5, null, s11, v1, s1
	v_add_co_u32 v2, s1, s4, v0
	v_add_co_ci_u32_e64 v3, null, s5, v1, s1
	s_and_saveexec_b32 s1, s3
	s_cbranch_execz .LBB555_2
; %bb.1:
	global_load_dword v8, v[4:5], off
	global_load_dword v7, v[2:3], off
.LBB555_2:
	s_or_b32 exec_lo, exec_lo, s1
	v_cmp_gt_i32_e64 s1, 2, v6
	s_xor_b32 s3, vcc_lo, -1
	s_or_b32 s1, s3, s1
	s_and_saveexec_b32 s3, s1
	s_xor_b32 s1, exec_lo, s3
                                        ; implicit-def: $vgpr9
; %bb.3:
	v_mov_b32_e32 v9, 0
                                        ; implicit-def: $vgpr2
                                        ; implicit-def: $vgpr4
; %bb.4:
	s_or_saveexec_b32 s4, s1
	v_mov_b32_e32 v10, 0
	s_xor_b32 exec_lo, exec_lo, s4
	s_cbranch_execz .LBB555_6
; %bb.5:
	s_mov_b32 s3, 0
	s_lshl_b64 s[6:7], s[2:3], 2
	v_add_co_u32 v4, s1, v4, s6
	v_add_co_ci_u32_e64 v5, null, s7, v5, s1
	v_add_co_u32 v2, s1, v2, s6
	v_add_co_ci_u32_e64 v3, null, s7, v3, s1
	global_load_dword v9, v[4:5], off
	global_load_dword v10, v[2:3], off
.LBB555_6:
	s_or_b32 exec_lo, exec_lo, s4
	v_mbcnt_lo_u32_b32 v2, -1, 0
	s_waitcnt vmcnt(1)
	v_add_f32_e32 v5, 0, v8
	v_add_f32_e32 v11, 0, v9
	v_and_b32_e32 v3, 16, v2
	v_xor_b32_e32 v4, 8, v2
	v_xor_b32_e32 v13, 4, v2
	v_add_nc_u32_e32 v3, 16, v3
	v_cmp_lt_i32_e64 s1, v4, v3
	v_cndmask_b32_e64 v4, v2, v4, s1
	v_cmp_lt_i32_e64 s1, v13, v3
	v_lshlrev_b32_e32 v4, 2, v4
	v_cndmask_b32_e64 v13, v2, v13, s1
	ds_bpermute_b32 v12, v4, v5
	ds_bpermute_b32 v4, v4, v11
	v_lshlrev_b32_e32 v13, 2, v13
	s_waitcnt lgkmcnt(1)
	v_add_f32_e32 v5, v5, v12
	s_waitcnt lgkmcnt(0)
	v_add_f32_e32 v4, v11, v4
	ds_bpermute_b32 v11, v13, v5
	ds_bpermute_b32 v12, v13, v4
	v_xor_b32_e32 v13, 2, v2
	v_cmp_lt_i32_e64 s1, v13, v3
	v_cndmask_b32_e64 v13, v2, v13, s1
	v_lshlrev_b32_e32 v13, 2, v13
	s_waitcnt lgkmcnt(1)
	v_add_f32_e32 v5, v5, v11
	s_waitcnt lgkmcnt(0)
	v_add_f32_e32 v11, v4, v12
	ds_bpermute_b32 v4, v13, v5
	ds_bpermute_b32 v12, v13, v11
	v_xor_b32_e32 v13, 1, v2
	v_cmp_lt_i32_e64 s1, v13, v3
	v_cndmask_b32_e64 v2, v2, v13, s1
	v_lshlrev_b32_e32 v3, 2, v2
	s_waitcnt lgkmcnt(1)
	v_add_f32_e32 v4, v5, v4
	s_waitcnt lgkmcnt(0)
	v_add_f32_e32 v2, v11, v12
	ds_bpermute_b32 v5, v3, v4
	ds_bpermute_b32 v3, v3, v2
	s_and_saveexec_b32 s1, s0
	s_cbranch_execz .LBB555_11
; %bb.7:
	v_add_co_u32 v0, s0, s8, v0
	v_add_co_ci_u32_e64 v1, null, s9, v1, s0
	s_and_saveexec_b32 s0, vcc_lo
	s_cbranch_execz .LBB555_9
; %bb.8:
	s_waitcnt lgkmcnt(1)
	v_add_f32_e32 v4, v4, v5
	s_waitcnt vmcnt(0)
	v_fma_f32 v4, -v7, v4, v8
	global_store_dword v[0:1], v4, off
.LBB555_9:
	s_or_b32 exec_lo, exec_lo, s0
	v_cmp_ne_u32_e64 s0, 1, v6
	s_and_b32 s0, s0, vcc_lo
	s_and_b32 exec_lo, exec_lo, s0
	s_cbranch_execz .LBB555_11
; %bb.10:
	s_mov_b32 s3, 0
	s_waitcnt lgkmcnt(0)
	v_add_f32_e32 v2, v2, v3
	s_lshl_b64 s[0:1], s[2:3], 2
	v_add_co_u32 v0, vcc_lo, v0, s0
	v_add_co_ci_u32_e64 v1, null, s1, v1, vcc_lo
	s_waitcnt vmcnt(0)
	v_fma_f32 v2, -v10, v2, v9
	global_store_dword v[0:1], v2, off
.LBB555_11:
	s_endpgm
	.section	.rodata,"a",@progbits
	.p2align	6, 0x0
	.amdhsa_kernel _ZN12_GLOBAL__N_121softmax_warp_backwardIfffLi4ELb0ELb0ELi32EEEvPT0_PKT_S5_iiiPKb
		.amdhsa_group_segment_fixed_size 0
		.amdhsa_private_segment_fixed_size 0
		.amdhsa_kernarg_size 304
		.amdhsa_user_sgpr_count 6
		.amdhsa_user_sgpr_private_segment_buffer 1
		.amdhsa_user_sgpr_dispatch_ptr 0
		.amdhsa_user_sgpr_queue_ptr 0
		.amdhsa_user_sgpr_kernarg_segment_ptr 1
		.amdhsa_user_sgpr_dispatch_id 0
		.amdhsa_user_sgpr_flat_scratch_init 0
		.amdhsa_user_sgpr_private_segment_size 0
		.amdhsa_wavefront_size32 1
		.amdhsa_uses_dynamic_stack 0
		.amdhsa_system_sgpr_private_segment_wavefront_offset 0
		.amdhsa_system_sgpr_workgroup_id_x 1
		.amdhsa_system_sgpr_workgroup_id_y 0
		.amdhsa_system_sgpr_workgroup_id_z 0
		.amdhsa_system_sgpr_workgroup_info 0
		.amdhsa_system_vgpr_workitem_id 1
		.amdhsa_next_free_vgpr 14
		.amdhsa_next_free_sgpr 12
		.amdhsa_reserve_vcc 1
		.amdhsa_reserve_flat_scratch 0
		.amdhsa_float_round_mode_32 0
		.amdhsa_float_round_mode_16_64 0
		.amdhsa_float_denorm_mode_32 3
		.amdhsa_float_denorm_mode_16_64 3
		.amdhsa_dx10_clamp 1
		.amdhsa_ieee_mode 1
		.amdhsa_fp16_overflow 0
		.amdhsa_workgroup_processor_mode 1
		.amdhsa_memory_ordered 1
		.amdhsa_forward_progress 1
		.amdhsa_shared_vgpr_count 0
		.amdhsa_exception_fp_ieee_invalid_op 0
		.amdhsa_exception_fp_denorm_src 0
		.amdhsa_exception_fp_ieee_div_zero 0
		.amdhsa_exception_fp_ieee_overflow 0
		.amdhsa_exception_fp_ieee_underflow 0
		.amdhsa_exception_fp_ieee_inexact 0
		.amdhsa_exception_int_div_zero 0
	.end_amdhsa_kernel
	.section	.text._ZN12_GLOBAL__N_121softmax_warp_backwardIfffLi4ELb0ELb0ELi32EEEvPT0_PKT_S5_iiiPKb,"axG",@progbits,_ZN12_GLOBAL__N_121softmax_warp_backwardIfffLi4ELb0ELb0ELi32EEEvPT0_PKT_S5_iiiPKb,comdat
.Lfunc_end555:
	.size	_ZN12_GLOBAL__N_121softmax_warp_backwardIfffLi4ELb0ELb0ELi32EEEvPT0_PKT_S5_iiiPKb, .Lfunc_end555-_ZN12_GLOBAL__N_121softmax_warp_backwardIfffLi4ELb0ELb0ELi32EEEvPT0_PKT_S5_iiiPKb
                                        ; -- End function
	.set _ZN12_GLOBAL__N_121softmax_warp_backwardIfffLi4ELb0ELb0ELi32EEEvPT0_PKT_S5_iiiPKb.num_vgpr, 14
	.set _ZN12_GLOBAL__N_121softmax_warp_backwardIfffLi4ELb0ELb0ELi32EEEvPT0_PKT_S5_iiiPKb.num_agpr, 0
	.set _ZN12_GLOBAL__N_121softmax_warp_backwardIfffLi4ELb0ELb0ELi32EEEvPT0_PKT_S5_iiiPKb.numbered_sgpr, 12
	.set _ZN12_GLOBAL__N_121softmax_warp_backwardIfffLi4ELb0ELb0ELi32EEEvPT0_PKT_S5_iiiPKb.num_named_barrier, 0
	.set _ZN12_GLOBAL__N_121softmax_warp_backwardIfffLi4ELb0ELb0ELi32EEEvPT0_PKT_S5_iiiPKb.private_seg_size, 0
	.set _ZN12_GLOBAL__N_121softmax_warp_backwardIfffLi4ELb0ELb0ELi32EEEvPT0_PKT_S5_iiiPKb.uses_vcc, 1
	.set _ZN12_GLOBAL__N_121softmax_warp_backwardIfffLi4ELb0ELb0ELi32EEEvPT0_PKT_S5_iiiPKb.uses_flat_scratch, 0
	.set _ZN12_GLOBAL__N_121softmax_warp_backwardIfffLi4ELb0ELb0ELi32EEEvPT0_PKT_S5_iiiPKb.has_dyn_sized_stack, 0
	.set _ZN12_GLOBAL__N_121softmax_warp_backwardIfffLi4ELb0ELb0ELi32EEEvPT0_PKT_S5_iiiPKb.has_recursion, 0
	.set _ZN12_GLOBAL__N_121softmax_warp_backwardIfffLi4ELb0ELb0ELi32EEEvPT0_PKT_S5_iiiPKb.has_indirect_call, 0
	.section	.AMDGPU.csdata,"",@progbits
; Kernel info:
; codeLenInByte = 660
; TotalNumSgprs: 14
; NumVgprs: 14
; ScratchSize: 0
; MemoryBound: 0
; FloatMode: 240
; IeeeMode: 1
; LDSByteSize: 0 bytes/workgroup (compile time only)
; SGPRBlocks: 0
; VGPRBlocks: 1
; NumSGPRsForWavesPerEU: 14
; NumVGPRsForWavesPerEU: 14
; Occupancy: 16
; WaveLimiterHint : 0
; COMPUTE_PGM_RSRC2:SCRATCH_EN: 0
; COMPUTE_PGM_RSRC2:USER_SGPR: 6
; COMPUTE_PGM_RSRC2:TRAP_HANDLER: 0
; COMPUTE_PGM_RSRC2:TGID_X_EN: 1
; COMPUTE_PGM_RSRC2:TGID_Y_EN: 0
; COMPUTE_PGM_RSRC2:TGID_Z_EN: 0
; COMPUTE_PGM_RSRC2:TIDIG_COMP_CNT: 1
	.section	.text._ZN12_GLOBAL__N_121softmax_warp_backwardIfffLi5ELb0ELb0ELi64EEEvPT0_PKT_S5_iiiPKb,"axG",@progbits,_ZN12_GLOBAL__N_121softmax_warp_backwardIfffLi5ELb0ELb0ELi64EEEvPT0_PKT_S5_iiiPKb,comdat
	.globl	_ZN12_GLOBAL__N_121softmax_warp_backwardIfffLi5ELb0ELb0ELi64EEEvPT0_PKT_S5_iiiPKb ; -- Begin function _ZN12_GLOBAL__N_121softmax_warp_backwardIfffLi5ELb0ELb0ELi64EEEvPT0_PKT_S5_iiiPKb
	.p2align	8
	.type	_ZN12_GLOBAL__N_121softmax_warp_backwardIfffLi5ELb0ELb0ELi64EEEvPT0_PKT_S5_iiiPKb,@function
_ZN12_GLOBAL__N_121softmax_warp_backwardIfffLi5ELb0ELb0ELi64EEEvPT0_PKT_S5_iiiPKb: ; @_ZN12_GLOBAL__N_121softmax_warp_backwardIfffLi5ELb0ELb0ELi64EEEvPT0_PKT_S5_iiiPKb
; %bb.0:
	s_clause 0x1
	s_load_dword s7, s[4:5], 0x3c
	s_load_dwordx4 s[0:3], s[4:5], 0x18
	v_and_b32_e32 v2, 31, v0
	s_clause 0x1
	s_load_dwordx4 s[8:11], s[4:5], 0x0
	s_load_dwordx2 s[4:5], s[4:5], 0x10
	v_mov_b32_e32 v7, 0
	v_mov_b32_e32 v8, 0
	s_waitcnt lgkmcnt(0)
	s_lshr_b32 s3, s7, 16
	v_cmp_gt_i32_e32 vcc_lo, s2, v2
	s_and_b32 s3, s3, 0xffff
	s_mul_i32 s6, s6, s3
	v_add_lshl_u32 v3, s6, v1, 1
	v_mad_u64_u32 v[0:1], null, v3, s1, v[2:3]
	v_sub_nc_u32_e32 v6, s0, v3
	v_cmp_lt_i32_e64 s0, 0, v6
	v_ashrrev_i32_e32 v1, 31, v0
	s_and_b32 s3, vcc_lo, s0
	v_lshlrev_b64 v[0:1], 2, v[0:1]
	v_add_co_u32 v4, s1, s10, v0
	v_add_co_ci_u32_e64 v5, null, s11, v1, s1
	v_add_co_u32 v2, s1, s4, v0
	v_add_co_ci_u32_e64 v3, null, s5, v1, s1
	s_and_saveexec_b32 s1, s3
	s_cbranch_execz .LBB556_2
; %bb.1:
	global_load_dword v8, v[4:5], off
	global_load_dword v7, v[2:3], off
.LBB556_2:
	s_or_b32 exec_lo, exec_lo, s1
	v_cmp_gt_i32_e64 s1, 2, v6
	s_xor_b32 s3, vcc_lo, -1
	s_or_b32 s1, s3, s1
	s_and_saveexec_b32 s3, s1
	s_xor_b32 s1, exec_lo, s3
                                        ; implicit-def: $vgpr9
; %bb.3:
	v_mov_b32_e32 v9, 0
                                        ; implicit-def: $vgpr2
                                        ; implicit-def: $vgpr4
; %bb.4:
	s_or_saveexec_b32 s4, s1
	v_mov_b32_e32 v10, 0
	s_xor_b32 exec_lo, exec_lo, s4
	s_cbranch_execz .LBB556_6
; %bb.5:
	s_mov_b32 s3, 0
	s_lshl_b64 s[6:7], s[2:3], 2
	v_add_co_u32 v4, s1, v4, s6
	v_add_co_ci_u32_e64 v5, null, s7, v5, s1
	v_add_co_u32 v2, s1, v2, s6
	v_add_co_ci_u32_e64 v3, null, s7, v3, s1
	global_load_dword v9, v[4:5], off
	global_load_dword v10, v[2:3], off
.LBB556_6:
	s_or_b32 exec_lo, exec_lo, s4
	v_mbcnt_lo_u32_b32 v2, -1, 0
	s_waitcnt vmcnt(1)
	v_add_f32_e32 v4, 0, v8
	v_add_f32_e32 v5, 0, v9
	v_xor_b32_e32 v3, 16, v2
	v_xor_b32_e32 v12, 8, v2
	v_cmp_gt_i32_e64 s1, 32, v3
	v_cndmask_b32_e64 v3, v2, v3, s1
	v_cmp_gt_i32_e64 s1, 32, v12
	v_lshlrev_b32_e32 v3, 2, v3
	v_cndmask_b32_e64 v12, v2, v12, s1
	ds_bpermute_b32 v11, v3, v4
	ds_bpermute_b32 v3, v3, v5
	v_lshlrev_b32_e32 v12, 2, v12
	s_waitcnt lgkmcnt(1)
	v_add_f32_e32 v4, v4, v11
	s_waitcnt lgkmcnt(0)
	v_add_f32_e32 v3, v5, v3
	ds_bpermute_b32 v5, v12, v4
	ds_bpermute_b32 v11, v12, v3
	v_xor_b32_e32 v12, 4, v2
	v_cmp_gt_i32_e64 s1, 32, v12
	v_cndmask_b32_e64 v12, v2, v12, s1
	v_lshlrev_b32_e32 v12, 2, v12
	s_waitcnt lgkmcnt(1)
	v_add_f32_e32 v4, v4, v5
	s_waitcnt lgkmcnt(0)
	v_add_f32_e32 v3, v3, v11
	ds_bpermute_b32 v5, v12, v4
	ds_bpermute_b32 v11, v12, v3
	v_xor_b32_e32 v12, 2, v2
	v_cmp_gt_i32_e64 s1, 32, v12
	v_cndmask_b32_e64 v12, v2, v12, s1
	;; [unrolled: 10-line block ×3, first 2 shown]
	v_lshlrev_b32_e32 v12, 2, v2
	s_waitcnt lgkmcnt(1)
	v_add_f32_e32 v4, v4, v5
	s_waitcnt lgkmcnt(0)
	v_add_f32_e32 v2, v3, v11
	ds_bpermute_b32 v5, v12, v4
	ds_bpermute_b32 v3, v12, v2
	s_and_saveexec_b32 s1, s0
	s_cbranch_execz .LBB556_11
; %bb.7:
	v_add_co_u32 v0, s0, s8, v0
	v_add_co_ci_u32_e64 v1, null, s9, v1, s0
	s_and_saveexec_b32 s0, vcc_lo
	s_cbranch_execz .LBB556_9
; %bb.8:
	s_waitcnt lgkmcnt(1)
	v_add_f32_e32 v4, v4, v5
	s_waitcnt vmcnt(0)
	v_fma_f32 v4, -v7, v4, v8
	global_store_dword v[0:1], v4, off
.LBB556_9:
	s_or_b32 exec_lo, exec_lo, s0
	v_cmp_ne_u32_e64 s0, 1, v6
	s_and_b32 s0, s0, vcc_lo
	s_and_b32 exec_lo, exec_lo, s0
	s_cbranch_execz .LBB556_11
; %bb.10:
	s_mov_b32 s3, 0
	s_waitcnt lgkmcnt(0)
	v_add_f32_e32 v2, v2, v3
	s_lshl_b64 s[0:1], s[2:3], 2
	v_add_co_u32 v0, vcc_lo, v0, s0
	v_add_co_ci_u32_e64 v1, null, s1, v1, vcc_lo
	s_waitcnt vmcnt(0)
	v_fma_f32 v2, -v10, v2, v9
	global_store_dword v[0:1], v2, off
.LBB556_11:
	s_endpgm
	.section	.rodata,"a",@progbits
	.p2align	6, 0x0
	.amdhsa_kernel _ZN12_GLOBAL__N_121softmax_warp_backwardIfffLi5ELb0ELb0ELi64EEEvPT0_PKT_S5_iiiPKb
		.amdhsa_group_segment_fixed_size 0
		.amdhsa_private_segment_fixed_size 0
		.amdhsa_kernarg_size 304
		.amdhsa_user_sgpr_count 6
		.amdhsa_user_sgpr_private_segment_buffer 1
		.amdhsa_user_sgpr_dispatch_ptr 0
		.amdhsa_user_sgpr_queue_ptr 0
		.amdhsa_user_sgpr_kernarg_segment_ptr 1
		.amdhsa_user_sgpr_dispatch_id 0
		.amdhsa_user_sgpr_flat_scratch_init 0
		.amdhsa_user_sgpr_private_segment_size 0
		.amdhsa_wavefront_size32 1
		.amdhsa_uses_dynamic_stack 0
		.amdhsa_system_sgpr_private_segment_wavefront_offset 0
		.amdhsa_system_sgpr_workgroup_id_x 1
		.amdhsa_system_sgpr_workgroup_id_y 0
		.amdhsa_system_sgpr_workgroup_id_z 0
		.amdhsa_system_sgpr_workgroup_info 0
		.amdhsa_system_vgpr_workitem_id 1
		.amdhsa_next_free_vgpr 13
		.amdhsa_next_free_sgpr 12
		.amdhsa_reserve_vcc 1
		.amdhsa_reserve_flat_scratch 0
		.amdhsa_float_round_mode_32 0
		.amdhsa_float_round_mode_16_64 0
		.amdhsa_float_denorm_mode_32 3
		.amdhsa_float_denorm_mode_16_64 3
		.amdhsa_dx10_clamp 1
		.amdhsa_ieee_mode 1
		.amdhsa_fp16_overflow 0
		.amdhsa_workgroup_processor_mode 1
		.amdhsa_memory_ordered 1
		.amdhsa_forward_progress 1
		.amdhsa_shared_vgpr_count 0
		.amdhsa_exception_fp_ieee_invalid_op 0
		.amdhsa_exception_fp_denorm_src 0
		.amdhsa_exception_fp_ieee_div_zero 0
		.amdhsa_exception_fp_ieee_overflow 0
		.amdhsa_exception_fp_ieee_underflow 0
		.amdhsa_exception_fp_ieee_inexact 0
		.amdhsa_exception_int_div_zero 0
	.end_amdhsa_kernel
	.section	.text._ZN12_GLOBAL__N_121softmax_warp_backwardIfffLi5ELb0ELb0ELi64EEEvPT0_PKT_S5_iiiPKb,"axG",@progbits,_ZN12_GLOBAL__N_121softmax_warp_backwardIfffLi5ELb0ELb0ELi64EEEvPT0_PKT_S5_iiiPKb,comdat
.Lfunc_end556:
	.size	_ZN12_GLOBAL__N_121softmax_warp_backwardIfffLi5ELb0ELb0ELi64EEEvPT0_PKT_S5_iiiPKb, .Lfunc_end556-_ZN12_GLOBAL__N_121softmax_warp_backwardIfffLi5ELb0ELb0ELi64EEEvPT0_PKT_S5_iiiPKb
                                        ; -- End function
	.set _ZN12_GLOBAL__N_121softmax_warp_backwardIfffLi5ELb0ELb0ELi64EEEvPT0_PKT_S5_iiiPKb.num_vgpr, 13
	.set _ZN12_GLOBAL__N_121softmax_warp_backwardIfffLi5ELb0ELb0ELi64EEEvPT0_PKT_S5_iiiPKb.num_agpr, 0
	.set _ZN12_GLOBAL__N_121softmax_warp_backwardIfffLi5ELb0ELb0ELi64EEEvPT0_PKT_S5_iiiPKb.numbered_sgpr, 12
	.set _ZN12_GLOBAL__N_121softmax_warp_backwardIfffLi5ELb0ELb0ELi64EEEvPT0_PKT_S5_iiiPKb.num_named_barrier, 0
	.set _ZN12_GLOBAL__N_121softmax_warp_backwardIfffLi5ELb0ELb0ELi64EEEvPT0_PKT_S5_iiiPKb.private_seg_size, 0
	.set _ZN12_GLOBAL__N_121softmax_warp_backwardIfffLi5ELb0ELb0ELi64EEEvPT0_PKT_S5_iiiPKb.uses_vcc, 1
	.set _ZN12_GLOBAL__N_121softmax_warp_backwardIfffLi5ELb0ELb0ELi64EEEvPT0_PKT_S5_iiiPKb.uses_flat_scratch, 0
	.set _ZN12_GLOBAL__N_121softmax_warp_backwardIfffLi5ELb0ELb0ELi64EEEvPT0_PKT_S5_iiiPKb.has_dyn_sized_stack, 0
	.set _ZN12_GLOBAL__N_121softmax_warp_backwardIfffLi5ELb0ELb0ELi64EEEvPT0_PKT_S5_iiiPKb.has_recursion, 0
	.set _ZN12_GLOBAL__N_121softmax_warp_backwardIfffLi5ELb0ELb0ELi64EEEvPT0_PKT_S5_iiiPKb.has_indirect_call, 0
	.section	.AMDGPU.csdata,"",@progbits
; Kernel info:
; codeLenInByte = 708
; TotalNumSgprs: 14
; NumVgprs: 13
; ScratchSize: 0
; MemoryBound: 0
; FloatMode: 240
; IeeeMode: 1
; LDSByteSize: 0 bytes/workgroup (compile time only)
; SGPRBlocks: 0
; VGPRBlocks: 1
; NumSGPRsForWavesPerEU: 14
; NumVGPRsForWavesPerEU: 13
; Occupancy: 16
; WaveLimiterHint : 0
; COMPUTE_PGM_RSRC2:SCRATCH_EN: 0
; COMPUTE_PGM_RSRC2:USER_SGPR: 6
; COMPUTE_PGM_RSRC2:TRAP_HANDLER: 0
; COMPUTE_PGM_RSRC2:TGID_X_EN: 1
; COMPUTE_PGM_RSRC2:TGID_Y_EN: 0
; COMPUTE_PGM_RSRC2:TGID_Z_EN: 0
; COMPUTE_PGM_RSRC2:TIDIG_COMP_CNT: 1
	.section	.text._ZN12_GLOBAL__N_121softmax_warp_backwardIfffLi5ELb0ELb0ELi32EEEvPT0_PKT_S5_iiiPKb,"axG",@progbits,_ZN12_GLOBAL__N_121softmax_warp_backwardIfffLi5ELb0ELb0ELi32EEEvPT0_PKT_S5_iiiPKb,comdat
	.globl	_ZN12_GLOBAL__N_121softmax_warp_backwardIfffLi5ELb0ELb0ELi32EEEvPT0_PKT_S5_iiiPKb ; -- Begin function _ZN12_GLOBAL__N_121softmax_warp_backwardIfffLi5ELb0ELb0ELi32EEEvPT0_PKT_S5_iiiPKb
	.p2align	8
	.type	_ZN12_GLOBAL__N_121softmax_warp_backwardIfffLi5ELb0ELb0ELi32EEEvPT0_PKT_S5_iiiPKb,@function
_ZN12_GLOBAL__N_121softmax_warp_backwardIfffLi5ELb0ELb0ELi32EEEvPT0_PKT_S5_iiiPKb: ; @_ZN12_GLOBAL__N_121softmax_warp_backwardIfffLi5ELb0ELb0ELi32EEEvPT0_PKT_S5_iiiPKb
; %bb.0:
	s_clause 0x1
	s_load_dword s7, s[4:5], 0x3c
	s_load_dwordx4 s[0:3], s[4:5], 0x18
	v_and_b32_e32 v2, 31, v0
	s_clause 0x1
	s_load_dwordx4 s[8:11], s[4:5], 0x0
	s_load_dwordx2 s[4:5], s[4:5], 0x10
	v_mov_b32_e32 v7, 0
	v_mov_b32_e32 v8, 0
	s_waitcnt lgkmcnt(0)
	s_lshr_b32 s3, s7, 16
	v_cmp_gt_i32_e32 vcc_lo, s2, v2
	s_and_b32 s3, s3, 0xffff
	s_mul_i32 s6, s6, s3
	v_add_lshl_u32 v3, s6, v1, 1
	v_mad_u64_u32 v[0:1], null, v3, s1, v[2:3]
	v_sub_nc_u32_e32 v6, s0, v3
	v_cmp_lt_i32_e64 s0, 0, v6
	v_ashrrev_i32_e32 v1, 31, v0
	s_and_b32 s3, vcc_lo, s0
	v_lshlrev_b64 v[0:1], 2, v[0:1]
	v_add_co_u32 v4, s1, s10, v0
	v_add_co_ci_u32_e64 v5, null, s11, v1, s1
	v_add_co_u32 v2, s1, s4, v0
	v_add_co_ci_u32_e64 v3, null, s5, v1, s1
	s_and_saveexec_b32 s1, s3
	s_cbranch_execz .LBB557_2
; %bb.1:
	global_load_dword v8, v[4:5], off
	global_load_dword v7, v[2:3], off
.LBB557_2:
	s_or_b32 exec_lo, exec_lo, s1
	v_cmp_gt_i32_e64 s1, 2, v6
	s_xor_b32 s3, vcc_lo, -1
	s_or_b32 s1, s3, s1
	s_and_saveexec_b32 s3, s1
	s_xor_b32 s1, exec_lo, s3
                                        ; implicit-def: $vgpr9
; %bb.3:
	v_mov_b32_e32 v9, 0
                                        ; implicit-def: $vgpr2
                                        ; implicit-def: $vgpr4
; %bb.4:
	s_or_saveexec_b32 s4, s1
	v_mov_b32_e32 v10, 0
	s_xor_b32 exec_lo, exec_lo, s4
	s_cbranch_execz .LBB557_6
; %bb.5:
	s_mov_b32 s3, 0
	s_lshl_b64 s[6:7], s[2:3], 2
	v_add_co_u32 v4, s1, v4, s6
	v_add_co_ci_u32_e64 v5, null, s7, v5, s1
	v_add_co_u32 v2, s1, v2, s6
	v_add_co_ci_u32_e64 v3, null, s7, v3, s1
	global_load_dword v9, v[4:5], off
	global_load_dword v10, v[2:3], off
.LBB557_6:
	s_or_b32 exec_lo, exec_lo, s4
	v_mbcnt_lo_u32_b32 v2, -1, 0
	s_waitcnt vmcnt(1)
	v_add_f32_e32 v4, 0, v8
	v_add_f32_e32 v5, 0, v9
	v_xor_b32_e32 v3, 16, v2
	v_xor_b32_e32 v12, 8, v2
	v_cmp_gt_i32_e64 s1, 32, v3
	v_cndmask_b32_e64 v3, v2, v3, s1
	v_cmp_gt_i32_e64 s1, 32, v12
	v_lshlrev_b32_e32 v3, 2, v3
	v_cndmask_b32_e64 v12, v2, v12, s1
	ds_bpermute_b32 v11, v3, v4
	ds_bpermute_b32 v3, v3, v5
	v_lshlrev_b32_e32 v12, 2, v12
	s_waitcnt lgkmcnt(1)
	v_add_f32_e32 v4, v4, v11
	s_waitcnt lgkmcnt(0)
	v_add_f32_e32 v3, v5, v3
	ds_bpermute_b32 v5, v12, v4
	ds_bpermute_b32 v11, v12, v3
	v_xor_b32_e32 v12, 4, v2
	v_cmp_gt_i32_e64 s1, 32, v12
	v_cndmask_b32_e64 v12, v2, v12, s1
	v_lshlrev_b32_e32 v12, 2, v12
	s_waitcnt lgkmcnt(1)
	v_add_f32_e32 v4, v4, v5
	s_waitcnt lgkmcnt(0)
	v_add_f32_e32 v3, v3, v11
	ds_bpermute_b32 v5, v12, v4
	ds_bpermute_b32 v11, v12, v3
	v_xor_b32_e32 v12, 2, v2
	v_cmp_gt_i32_e64 s1, 32, v12
	v_cndmask_b32_e64 v12, v2, v12, s1
	;; [unrolled: 10-line block ×3, first 2 shown]
	v_lshlrev_b32_e32 v12, 2, v2
	s_waitcnt lgkmcnt(1)
	v_add_f32_e32 v4, v4, v5
	s_waitcnt lgkmcnt(0)
	v_add_f32_e32 v2, v3, v11
	ds_bpermute_b32 v5, v12, v4
	ds_bpermute_b32 v3, v12, v2
	s_and_saveexec_b32 s1, s0
	s_cbranch_execz .LBB557_11
; %bb.7:
	v_add_co_u32 v0, s0, s8, v0
	v_add_co_ci_u32_e64 v1, null, s9, v1, s0
	s_and_saveexec_b32 s0, vcc_lo
	s_cbranch_execz .LBB557_9
; %bb.8:
	s_waitcnt lgkmcnt(1)
	v_add_f32_e32 v4, v4, v5
	s_waitcnt vmcnt(0)
	v_fma_f32 v4, -v7, v4, v8
	global_store_dword v[0:1], v4, off
.LBB557_9:
	s_or_b32 exec_lo, exec_lo, s0
	v_cmp_ne_u32_e64 s0, 1, v6
	s_and_b32 s0, s0, vcc_lo
	s_and_b32 exec_lo, exec_lo, s0
	s_cbranch_execz .LBB557_11
; %bb.10:
	s_mov_b32 s3, 0
	s_waitcnt lgkmcnt(0)
	v_add_f32_e32 v2, v2, v3
	s_lshl_b64 s[0:1], s[2:3], 2
	v_add_co_u32 v0, vcc_lo, v0, s0
	v_add_co_ci_u32_e64 v1, null, s1, v1, vcc_lo
	s_waitcnt vmcnt(0)
	v_fma_f32 v2, -v10, v2, v9
	global_store_dword v[0:1], v2, off
.LBB557_11:
	s_endpgm
	.section	.rodata,"a",@progbits
	.p2align	6, 0x0
	.amdhsa_kernel _ZN12_GLOBAL__N_121softmax_warp_backwardIfffLi5ELb0ELb0ELi32EEEvPT0_PKT_S5_iiiPKb
		.amdhsa_group_segment_fixed_size 0
		.amdhsa_private_segment_fixed_size 0
		.amdhsa_kernarg_size 304
		.amdhsa_user_sgpr_count 6
		.amdhsa_user_sgpr_private_segment_buffer 1
		.amdhsa_user_sgpr_dispatch_ptr 0
		.amdhsa_user_sgpr_queue_ptr 0
		.amdhsa_user_sgpr_kernarg_segment_ptr 1
		.amdhsa_user_sgpr_dispatch_id 0
		.amdhsa_user_sgpr_flat_scratch_init 0
		.amdhsa_user_sgpr_private_segment_size 0
		.amdhsa_wavefront_size32 1
		.amdhsa_uses_dynamic_stack 0
		.amdhsa_system_sgpr_private_segment_wavefront_offset 0
		.amdhsa_system_sgpr_workgroup_id_x 1
		.amdhsa_system_sgpr_workgroup_id_y 0
		.amdhsa_system_sgpr_workgroup_id_z 0
		.amdhsa_system_sgpr_workgroup_info 0
		.amdhsa_system_vgpr_workitem_id 1
		.amdhsa_next_free_vgpr 13
		.amdhsa_next_free_sgpr 12
		.amdhsa_reserve_vcc 1
		.amdhsa_reserve_flat_scratch 0
		.amdhsa_float_round_mode_32 0
		.amdhsa_float_round_mode_16_64 0
		.amdhsa_float_denorm_mode_32 3
		.amdhsa_float_denorm_mode_16_64 3
		.amdhsa_dx10_clamp 1
		.amdhsa_ieee_mode 1
		.amdhsa_fp16_overflow 0
		.amdhsa_workgroup_processor_mode 1
		.amdhsa_memory_ordered 1
		.amdhsa_forward_progress 1
		.amdhsa_shared_vgpr_count 0
		.amdhsa_exception_fp_ieee_invalid_op 0
		.amdhsa_exception_fp_denorm_src 0
		.amdhsa_exception_fp_ieee_div_zero 0
		.amdhsa_exception_fp_ieee_overflow 0
		.amdhsa_exception_fp_ieee_underflow 0
		.amdhsa_exception_fp_ieee_inexact 0
		.amdhsa_exception_int_div_zero 0
	.end_amdhsa_kernel
	.section	.text._ZN12_GLOBAL__N_121softmax_warp_backwardIfffLi5ELb0ELb0ELi32EEEvPT0_PKT_S5_iiiPKb,"axG",@progbits,_ZN12_GLOBAL__N_121softmax_warp_backwardIfffLi5ELb0ELb0ELi32EEEvPT0_PKT_S5_iiiPKb,comdat
.Lfunc_end557:
	.size	_ZN12_GLOBAL__N_121softmax_warp_backwardIfffLi5ELb0ELb0ELi32EEEvPT0_PKT_S5_iiiPKb, .Lfunc_end557-_ZN12_GLOBAL__N_121softmax_warp_backwardIfffLi5ELb0ELb0ELi32EEEvPT0_PKT_S5_iiiPKb
                                        ; -- End function
	.set _ZN12_GLOBAL__N_121softmax_warp_backwardIfffLi5ELb0ELb0ELi32EEEvPT0_PKT_S5_iiiPKb.num_vgpr, 13
	.set _ZN12_GLOBAL__N_121softmax_warp_backwardIfffLi5ELb0ELb0ELi32EEEvPT0_PKT_S5_iiiPKb.num_agpr, 0
	.set _ZN12_GLOBAL__N_121softmax_warp_backwardIfffLi5ELb0ELb0ELi32EEEvPT0_PKT_S5_iiiPKb.numbered_sgpr, 12
	.set _ZN12_GLOBAL__N_121softmax_warp_backwardIfffLi5ELb0ELb0ELi32EEEvPT0_PKT_S5_iiiPKb.num_named_barrier, 0
	.set _ZN12_GLOBAL__N_121softmax_warp_backwardIfffLi5ELb0ELb0ELi32EEEvPT0_PKT_S5_iiiPKb.private_seg_size, 0
	.set _ZN12_GLOBAL__N_121softmax_warp_backwardIfffLi5ELb0ELb0ELi32EEEvPT0_PKT_S5_iiiPKb.uses_vcc, 1
	.set _ZN12_GLOBAL__N_121softmax_warp_backwardIfffLi5ELb0ELb0ELi32EEEvPT0_PKT_S5_iiiPKb.uses_flat_scratch, 0
	.set _ZN12_GLOBAL__N_121softmax_warp_backwardIfffLi5ELb0ELb0ELi32EEEvPT0_PKT_S5_iiiPKb.has_dyn_sized_stack, 0
	.set _ZN12_GLOBAL__N_121softmax_warp_backwardIfffLi5ELb0ELb0ELi32EEEvPT0_PKT_S5_iiiPKb.has_recursion, 0
	.set _ZN12_GLOBAL__N_121softmax_warp_backwardIfffLi5ELb0ELb0ELi32EEEvPT0_PKT_S5_iiiPKb.has_indirect_call, 0
	.section	.AMDGPU.csdata,"",@progbits
; Kernel info:
; codeLenInByte = 708
; TotalNumSgprs: 14
; NumVgprs: 13
; ScratchSize: 0
; MemoryBound: 0
; FloatMode: 240
; IeeeMode: 1
; LDSByteSize: 0 bytes/workgroup (compile time only)
; SGPRBlocks: 0
; VGPRBlocks: 1
; NumSGPRsForWavesPerEU: 14
; NumVGPRsForWavesPerEU: 13
; Occupancy: 16
; WaveLimiterHint : 0
; COMPUTE_PGM_RSRC2:SCRATCH_EN: 0
; COMPUTE_PGM_RSRC2:USER_SGPR: 6
; COMPUTE_PGM_RSRC2:TRAP_HANDLER: 0
; COMPUTE_PGM_RSRC2:TGID_X_EN: 1
; COMPUTE_PGM_RSRC2:TGID_Y_EN: 0
; COMPUTE_PGM_RSRC2:TGID_Z_EN: 0
; COMPUTE_PGM_RSRC2:TIDIG_COMP_CNT: 1
	.section	.text._ZN12_GLOBAL__N_121softmax_warp_backwardIfffLi6ELb0ELb0ELi64EEEvPT0_PKT_S5_iiiPKb,"axG",@progbits,_ZN12_GLOBAL__N_121softmax_warp_backwardIfffLi6ELb0ELb0ELi64EEEvPT0_PKT_S5_iiiPKb,comdat
	.globl	_ZN12_GLOBAL__N_121softmax_warp_backwardIfffLi6ELb0ELb0ELi64EEEvPT0_PKT_S5_iiiPKb ; -- Begin function _ZN12_GLOBAL__N_121softmax_warp_backwardIfffLi6ELb0ELb0ELi64EEEvPT0_PKT_S5_iiiPKb
	.p2align	8
	.type	_ZN12_GLOBAL__N_121softmax_warp_backwardIfffLi6ELb0ELb0ELi64EEEvPT0_PKT_S5_iiiPKb,@function
_ZN12_GLOBAL__N_121softmax_warp_backwardIfffLi6ELb0ELb0ELi64EEEvPT0_PKT_S5_iiiPKb: ; @_ZN12_GLOBAL__N_121softmax_warp_backwardIfffLi6ELb0ELb0ELi64EEEvPT0_PKT_S5_iiiPKb
; %bb.0:
	s_clause 0x1
	s_load_dword s7, s[4:5], 0x3c
	s_load_dwordx4 s[0:3], s[4:5], 0x18
	v_and_b32_e32 v2, 63, v0
	s_clause 0x1
	s_load_dwordx4 s[8:11], s[4:5], 0x0
	s_load_dwordx2 s[4:5], s[4:5], 0x10
	v_mov_b32_e32 v7, 0
	v_mov_b32_e32 v8, 0
	s_waitcnt lgkmcnt(0)
	s_lshr_b32 s3, s7, 16
	v_cmp_gt_i32_e32 vcc_lo, s2, v2
	s_and_b32 s3, s3, 0xffff
	s_mul_i32 s6, s6, s3
	v_add_lshl_u32 v3, s6, v1, 1
	v_mad_u64_u32 v[0:1], null, v3, s1, v[2:3]
	v_sub_nc_u32_e32 v6, s0, v3
	v_cmp_lt_i32_e64 s0, 0, v6
	v_ashrrev_i32_e32 v1, 31, v0
	s_and_b32 s3, vcc_lo, s0
	v_lshlrev_b64 v[0:1], 2, v[0:1]
	v_add_co_u32 v4, s1, s10, v0
	v_add_co_ci_u32_e64 v5, null, s11, v1, s1
	v_add_co_u32 v2, s1, s4, v0
	v_add_co_ci_u32_e64 v3, null, s5, v1, s1
	s_and_saveexec_b32 s1, s3
	s_cbranch_execz .LBB558_2
; %bb.1:
	global_load_dword v8, v[4:5], off
	global_load_dword v7, v[2:3], off
.LBB558_2:
	s_or_b32 exec_lo, exec_lo, s1
	v_cmp_gt_i32_e64 s1, 2, v6
	s_xor_b32 s3, vcc_lo, -1
	s_or_b32 s1, s3, s1
	s_and_saveexec_b32 s3, s1
	s_xor_b32 s1, exec_lo, s3
                                        ; implicit-def: $vgpr9
; %bb.3:
	v_mov_b32_e32 v9, 0
                                        ; implicit-def: $vgpr2
                                        ; implicit-def: $vgpr4
; %bb.4:
	s_or_saveexec_b32 s4, s1
	v_mov_b32_e32 v10, 0
	s_xor_b32 exec_lo, exec_lo, s4
	s_cbranch_execz .LBB558_6
; %bb.5:
	s_mov_b32 s3, 0
	s_lshl_b64 s[6:7], s[2:3], 2
	v_add_co_u32 v4, s1, v4, s6
	v_add_co_ci_u32_e64 v5, null, s7, v5, s1
	v_add_co_u32 v2, s1, v2, s6
	v_add_co_ci_u32_e64 v3, null, s7, v3, s1
	global_load_dword v9, v[4:5], off
	global_load_dword v10, v[2:3], off
.LBB558_6:
	s_or_b32 exec_lo, exec_lo, s4
	v_mbcnt_lo_u32_b32 v2, -1, 0
	s_waitcnt vmcnt(1)
	v_add_f32_e32 v4, 0, v8
	v_add_f32_e32 v5, 0, v9
	v_or_b32_e32 v3, 32, v2
	v_xor_b32_e32 v12, 16, v2
	v_cmp_gt_i32_e64 s1, 64, v3
	v_cndmask_b32_e64 v3, v2, v3, s1
	v_cmp_gt_i32_e64 s1, 64, v12
	v_lshlrev_b32_e32 v3, 2, v3
	v_cndmask_b32_e64 v12, v2, v12, s1
	ds_bpermute_b32 v11, v3, v4
	ds_bpermute_b32 v3, v3, v5
	v_lshlrev_b32_e32 v12, 2, v12
	s_waitcnt lgkmcnt(1)
	v_add_f32_e32 v4, v4, v11
	s_waitcnt lgkmcnt(0)
	v_add_f32_e32 v3, v5, v3
	ds_bpermute_b32 v5, v12, v4
	ds_bpermute_b32 v11, v12, v3
	v_xor_b32_e32 v12, 8, v2
	v_cmp_gt_i32_e64 s1, 64, v12
	v_cndmask_b32_e64 v12, v2, v12, s1
	v_lshlrev_b32_e32 v12, 2, v12
	s_waitcnt lgkmcnt(1)
	v_add_f32_e32 v4, v4, v5
	s_waitcnt lgkmcnt(0)
	v_add_f32_e32 v3, v3, v11
	ds_bpermute_b32 v5, v12, v4
	ds_bpermute_b32 v11, v12, v3
	v_xor_b32_e32 v12, 4, v2
	v_cmp_gt_i32_e64 s1, 64, v12
	v_cndmask_b32_e64 v12, v2, v12, s1
	;; [unrolled: 10-line block ×4, first 2 shown]
	v_lshlrev_b32_e32 v12, 2, v2
	s_waitcnt lgkmcnt(1)
	v_add_f32_e32 v4, v4, v5
	s_waitcnt lgkmcnt(0)
	v_add_f32_e32 v2, v3, v11
	ds_bpermute_b32 v5, v12, v4
	ds_bpermute_b32 v3, v12, v2
	s_and_saveexec_b32 s1, s0
	s_cbranch_execz .LBB558_11
; %bb.7:
	v_add_co_u32 v0, s0, s8, v0
	v_add_co_ci_u32_e64 v1, null, s9, v1, s0
	s_and_saveexec_b32 s0, vcc_lo
	s_cbranch_execz .LBB558_9
; %bb.8:
	s_waitcnt lgkmcnt(1)
	v_add_f32_e32 v4, v4, v5
	s_waitcnt vmcnt(0)
	v_fma_f32 v4, -v7, v4, v8
	global_store_dword v[0:1], v4, off
.LBB558_9:
	s_or_b32 exec_lo, exec_lo, s0
	v_cmp_ne_u32_e64 s0, 1, v6
	s_and_b32 s0, s0, vcc_lo
	s_and_b32 exec_lo, exec_lo, s0
	s_cbranch_execz .LBB558_11
; %bb.10:
	s_mov_b32 s3, 0
	s_waitcnt lgkmcnt(0)
	v_add_f32_e32 v2, v2, v3
	s_lshl_b64 s[0:1], s[2:3], 2
	v_add_co_u32 v0, vcc_lo, v0, s0
	v_add_co_ci_u32_e64 v1, null, s1, v1, vcc_lo
	s_waitcnt vmcnt(0)
	v_fma_f32 v2, -v10, v2, v9
	global_store_dword v[0:1], v2, off
.LBB558_11:
	s_endpgm
	.section	.rodata,"a",@progbits
	.p2align	6, 0x0
	.amdhsa_kernel _ZN12_GLOBAL__N_121softmax_warp_backwardIfffLi6ELb0ELb0ELi64EEEvPT0_PKT_S5_iiiPKb
		.amdhsa_group_segment_fixed_size 0
		.amdhsa_private_segment_fixed_size 0
		.amdhsa_kernarg_size 304
		.amdhsa_user_sgpr_count 6
		.amdhsa_user_sgpr_private_segment_buffer 1
		.amdhsa_user_sgpr_dispatch_ptr 0
		.amdhsa_user_sgpr_queue_ptr 0
		.amdhsa_user_sgpr_kernarg_segment_ptr 1
		.amdhsa_user_sgpr_dispatch_id 0
		.amdhsa_user_sgpr_flat_scratch_init 0
		.amdhsa_user_sgpr_private_segment_size 0
		.amdhsa_wavefront_size32 1
		.amdhsa_uses_dynamic_stack 0
		.amdhsa_system_sgpr_private_segment_wavefront_offset 0
		.amdhsa_system_sgpr_workgroup_id_x 1
		.amdhsa_system_sgpr_workgroup_id_y 0
		.amdhsa_system_sgpr_workgroup_id_z 0
		.amdhsa_system_sgpr_workgroup_info 0
		.amdhsa_system_vgpr_workitem_id 1
		.amdhsa_next_free_vgpr 13
		.amdhsa_next_free_sgpr 12
		.amdhsa_reserve_vcc 1
		.amdhsa_reserve_flat_scratch 0
		.amdhsa_float_round_mode_32 0
		.amdhsa_float_round_mode_16_64 0
		.amdhsa_float_denorm_mode_32 3
		.amdhsa_float_denorm_mode_16_64 3
		.amdhsa_dx10_clamp 1
		.amdhsa_ieee_mode 1
		.amdhsa_fp16_overflow 0
		.amdhsa_workgroup_processor_mode 1
		.amdhsa_memory_ordered 1
		.amdhsa_forward_progress 1
		.amdhsa_shared_vgpr_count 0
		.amdhsa_exception_fp_ieee_invalid_op 0
		.amdhsa_exception_fp_denorm_src 0
		.amdhsa_exception_fp_ieee_div_zero 0
		.amdhsa_exception_fp_ieee_overflow 0
		.amdhsa_exception_fp_ieee_underflow 0
		.amdhsa_exception_fp_ieee_inexact 0
		.amdhsa_exception_int_div_zero 0
	.end_amdhsa_kernel
	.section	.text._ZN12_GLOBAL__N_121softmax_warp_backwardIfffLi6ELb0ELb0ELi64EEEvPT0_PKT_S5_iiiPKb,"axG",@progbits,_ZN12_GLOBAL__N_121softmax_warp_backwardIfffLi6ELb0ELb0ELi64EEEvPT0_PKT_S5_iiiPKb,comdat
.Lfunc_end558:
	.size	_ZN12_GLOBAL__N_121softmax_warp_backwardIfffLi6ELb0ELb0ELi64EEEvPT0_PKT_S5_iiiPKb, .Lfunc_end558-_ZN12_GLOBAL__N_121softmax_warp_backwardIfffLi6ELb0ELb0ELi64EEEvPT0_PKT_S5_iiiPKb
                                        ; -- End function
	.set _ZN12_GLOBAL__N_121softmax_warp_backwardIfffLi6ELb0ELb0ELi64EEEvPT0_PKT_S5_iiiPKb.num_vgpr, 13
	.set _ZN12_GLOBAL__N_121softmax_warp_backwardIfffLi6ELb0ELb0ELi64EEEvPT0_PKT_S5_iiiPKb.num_agpr, 0
	.set _ZN12_GLOBAL__N_121softmax_warp_backwardIfffLi6ELb0ELb0ELi64EEEvPT0_PKT_S5_iiiPKb.numbered_sgpr, 12
	.set _ZN12_GLOBAL__N_121softmax_warp_backwardIfffLi6ELb0ELb0ELi64EEEvPT0_PKT_S5_iiiPKb.num_named_barrier, 0
	.set _ZN12_GLOBAL__N_121softmax_warp_backwardIfffLi6ELb0ELb0ELi64EEEvPT0_PKT_S5_iiiPKb.private_seg_size, 0
	.set _ZN12_GLOBAL__N_121softmax_warp_backwardIfffLi6ELb0ELb0ELi64EEEvPT0_PKT_S5_iiiPKb.uses_vcc, 1
	.set _ZN12_GLOBAL__N_121softmax_warp_backwardIfffLi6ELb0ELb0ELi64EEEvPT0_PKT_S5_iiiPKb.uses_flat_scratch, 0
	.set _ZN12_GLOBAL__N_121softmax_warp_backwardIfffLi6ELb0ELb0ELi64EEEvPT0_PKT_S5_iiiPKb.has_dyn_sized_stack, 0
	.set _ZN12_GLOBAL__N_121softmax_warp_backwardIfffLi6ELb0ELb0ELi64EEEvPT0_PKT_S5_iiiPKb.has_recursion, 0
	.set _ZN12_GLOBAL__N_121softmax_warp_backwardIfffLi6ELb0ELb0ELi64EEEvPT0_PKT_S5_iiiPKb.has_indirect_call, 0
	.section	.AMDGPU.csdata,"",@progbits
; Kernel info:
; codeLenInByte = 764
; TotalNumSgprs: 14
; NumVgprs: 13
; ScratchSize: 0
; MemoryBound: 0
; FloatMode: 240
; IeeeMode: 1
; LDSByteSize: 0 bytes/workgroup (compile time only)
; SGPRBlocks: 0
; VGPRBlocks: 1
; NumSGPRsForWavesPerEU: 14
; NumVGPRsForWavesPerEU: 13
; Occupancy: 16
; WaveLimiterHint : 0
; COMPUTE_PGM_RSRC2:SCRATCH_EN: 0
; COMPUTE_PGM_RSRC2:USER_SGPR: 6
; COMPUTE_PGM_RSRC2:TRAP_HANDLER: 0
; COMPUTE_PGM_RSRC2:TGID_X_EN: 1
; COMPUTE_PGM_RSRC2:TGID_Y_EN: 0
; COMPUTE_PGM_RSRC2:TGID_Z_EN: 0
; COMPUTE_PGM_RSRC2:TIDIG_COMP_CNT: 1
	.section	.text._ZN12_GLOBAL__N_121softmax_warp_backwardIfffLi6ELb0ELb0ELi32EEEvPT0_PKT_S5_iiiPKb,"axG",@progbits,_ZN12_GLOBAL__N_121softmax_warp_backwardIfffLi6ELb0ELb0ELi32EEEvPT0_PKT_S5_iiiPKb,comdat
	.globl	_ZN12_GLOBAL__N_121softmax_warp_backwardIfffLi6ELb0ELb0ELi32EEEvPT0_PKT_S5_iiiPKb ; -- Begin function _ZN12_GLOBAL__N_121softmax_warp_backwardIfffLi6ELb0ELb0ELi32EEEvPT0_PKT_S5_iiiPKb
	.p2align	8
	.type	_ZN12_GLOBAL__N_121softmax_warp_backwardIfffLi6ELb0ELb0ELi32EEEvPT0_PKT_S5_iiiPKb,@function
_ZN12_GLOBAL__N_121softmax_warp_backwardIfffLi6ELb0ELb0ELi32EEEvPT0_PKT_S5_iiiPKb: ; @_ZN12_GLOBAL__N_121softmax_warp_backwardIfffLi6ELb0ELb0ELi32EEEvPT0_PKT_S5_iiiPKb
; %bb.0:
	s_clause 0x1
	s_load_dword s0, s[4:5], 0x3c
	s_load_dwordx4 s[8:11], s[4:5], 0x18
	v_and_b32_e32 v6, 31, v0
	s_clause 0x1
	s_load_dwordx4 s[12:15], s[4:5], 0x0
	s_load_dwordx2 s[2:3], s[4:5], 0x10
	v_mov_b32_e32 v8, 0
	v_mov_b32_e32 v9, 0
	;; [unrolled: 1-line block ×3, first 2 shown]
	s_waitcnt lgkmcnt(0)
	s_lshr_b32 s0, s0, 16
	v_cmp_gt_i32_e32 vcc_lo, s10, v6
	s_and_b32 s0, s0, 0xffff
	s_mul_i32 s6, s6, s0
	v_add_lshl_u32 v2, s6, v1, 1
	v_mad_u64_u32 v[0:1], null, v2, s9, v[6:7]
	v_sub_nc_u32_e32 v7, s8, v2
	v_cmp_lt_i32_e64 s1, 0, v7
	v_ashrrev_i32_e32 v1, 31, v0
	v_lshlrev_b64 v[0:1], 2, v[0:1]
	v_add_co_u32 v4, s0, s14, v0
	v_add_co_ci_u32_e64 v5, null, s15, v1, s0
	v_add_co_u32 v2, s0, s2, v0
	v_add_co_ci_u32_e64 v3, null, s3, v1, s0
	s_and_b32 s2, s1, vcc_lo
	s_and_saveexec_b32 s0, s2
	s_cbranch_execz .LBB559_2
; %bb.1:
	global_load_dword v9, v[4:5], off
	global_load_dword v10, v[2:3], off
.LBB559_2:
	s_or_b32 exec_lo, exec_lo, s0
	v_or_b32_e32 v6, 32, v6
	v_mov_b32_e32 v11, 0
	v_cmp_gt_i32_e64 s0, s10, v6
	s_and_b32 s3, s1, s0
	s_and_saveexec_b32 s2, s3
	s_cbranch_execz .LBB559_4
; %bb.3:
	global_load_dword v8, v[4:5], off offset:128
	global_load_dword v11, v[2:3], off offset:128
.LBB559_4:
	s_or_b32 exec_lo, exec_lo, s2
	v_cmp_lt_i32_e64 s2, 1, v7
	v_mov_b32_e32 v6, 0
	v_mov_b32_e32 v12, 0
	;; [unrolled: 1-line block ×3, first 2 shown]
	s_and_b32 s3, s2, vcc_lo
	s_and_saveexec_b32 s4, s3
	s_cbranch_execz .LBB559_6
; %bb.5:
	s_mov_b32 s11, 0
	s_lshl_b64 s[6:7], s[10:11], 2
	v_add_co_u32 v12, s3, v4, s6
	v_add_co_ci_u32_e64 v13, null, s7, v5, s3
	v_add_co_u32 v14, s3, v2, s6
	v_add_co_ci_u32_e64 v15, null, s7, v3, s3
	global_load_dword v12, v[12:13], off
	global_load_dword v13, v[14:15], off
.LBB559_6:
	s_or_b32 exec_lo, exec_lo, s4
	v_mov_b32_e32 v14, 0
	s_and_b32 s2, s2, s0
	s_and_saveexec_b32 s3, s2
	s_cbranch_execz .LBB559_8
; %bb.7:
	s_mov_b32 s11, 0
	s_lshl_b64 s[4:5], s[10:11], 2
	v_add_co_u32 v4, s2, v4, s4
	v_add_co_ci_u32_e64 v5, null, s5, v5, s2
	v_add_co_u32 v2, s2, v2, s4
	v_add_co_ci_u32_e64 v3, null, s5, v3, s2
	global_load_dword v6, v[4:5], off offset:128
	global_load_dword v14, v[2:3], off offset:128
.LBB559_8:
	s_or_b32 exec_lo, exec_lo, s3
	v_mbcnt_lo_u32_b32 v2, -1, 0
	s_waitcnt vmcnt(1)
	v_add_f32_e32 v4, 0, v9
	v_add_f32_e32 v5, 0, v12
	v_xor_b32_e32 v3, 16, v2
	v_add_f32_e32 v4, v4, v8
	v_add_f32_e32 v5, v5, v6
	v_xor_b32_e32 v16, 8, v2
	v_cmp_gt_i32_e64 s2, 32, v3
	v_cndmask_b32_e64 v3, v2, v3, s2
	v_cmp_gt_i32_e64 s2, 32, v16
	v_lshlrev_b32_e32 v3, 2, v3
	v_cndmask_b32_e64 v16, v2, v16, s2
	ds_bpermute_b32 v15, v3, v4
	ds_bpermute_b32 v3, v3, v5
	v_lshlrev_b32_e32 v16, 2, v16
	s_waitcnt lgkmcnt(1)
	v_add_f32_e32 v4, v4, v15
	s_waitcnt lgkmcnt(0)
	v_add_f32_e32 v3, v5, v3
	ds_bpermute_b32 v5, v16, v4
	ds_bpermute_b32 v15, v16, v3
	v_xor_b32_e32 v16, 4, v2
	v_cmp_gt_i32_e64 s2, 32, v16
	v_cndmask_b32_e64 v16, v2, v16, s2
	v_lshlrev_b32_e32 v16, 2, v16
	s_waitcnt lgkmcnt(1)
	v_add_f32_e32 v4, v4, v5
	s_waitcnt lgkmcnt(0)
	v_add_f32_e32 v3, v3, v15
	ds_bpermute_b32 v5, v16, v4
	ds_bpermute_b32 v15, v16, v3
	v_xor_b32_e32 v16, 2, v2
	v_cmp_gt_i32_e64 s2, 32, v16
	v_cndmask_b32_e64 v16, v2, v16, s2
	;; [unrolled: 10-line block ×3, first 2 shown]
	v_lshlrev_b32_e32 v16, 2, v2
	s_waitcnt lgkmcnt(1)
	v_add_f32_e32 v4, v4, v5
	s_waitcnt lgkmcnt(0)
	v_add_f32_e32 v2, v3, v15
	ds_bpermute_b32 v5, v16, v4
	ds_bpermute_b32 v3, v16, v2
	s_and_saveexec_b32 s2, s1
	s_cbranch_execz .LBB559_12
; %bb.9:
	v_add_co_u32 v0, s1, s12, v0
	v_add_co_ci_u32_e64 v1, null, s13, v1, s1
	s_waitcnt lgkmcnt(1)
	v_add_f32_e32 v4, v4, v5
	s_and_saveexec_b32 s1, vcc_lo
	s_cbranch_execnz .LBB559_13
; %bb.10:
	s_or_b32 exec_lo, exec_lo, s1
	s_and_saveexec_b32 s1, s0
	s_cbranch_execnz .LBB559_14
.LBB559_11:
	s_or_b32 exec_lo, exec_lo, s1
	v_cmp_ne_u32_e64 s1, 1, v7
	s_and_b32 exec_lo, exec_lo, s1
	s_cbranch_execnz .LBB559_15
.LBB559_12:
	s_endpgm
.LBB559_13:
	s_waitcnt vmcnt(0)
	v_fma_f32 v5, -v4, v10, v9
	global_store_dword v[0:1], v5, off
	s_or_b32 exec_lo, exec_lo, s1
	s_and_saveexec_b32 s1, s0
	s_cbranch_execz .LBB559_11
.LBB559_14:
	s_waitcnt vmcnt(0)
	v_fma_f32 v4, -v4, v11, v8
	global_store_dword v[0:1], v4, off offset:128
	s_or_b32 exec_lo, exec_lo, s1
	v_cmp_ne_u32_e64 s1, 1, v7
	s_and_b32 exec_lo, exec_lo, s1
	s_cbranch_execz .LBB559_12
.LBB559_15:
	s_waitcnt lgkmcnt(0)
	v_add_f32_e32 v2, v2, v3
	s_and_saveexec_b32 s1, vcc_lo
	s_cbranch_execz .LBB559_17
; %bb.16:
	s_mov_b32 s11, 0
	s_waitcnt vmcnt(0)
	v_fma_f32 v5, -v2, v13, v12
	s_lshl_b64 s[2:3], s[10:11], 2
	v_add_co_u32 v3, vcc_lo, v0, s2
	v_add_co_ci_u32_e64 v4, null, s3, v1, vcc_lo
	global_store_dword v[3:4], v5, off
.LBB559_17:
	s_or_b32 exec_lo, exec_lo, s1
	s_and_b32 exec_lo, exec_lo, s0
	s_cbranch_execz .LBB559_12
; %bb.18:
	s_mov_b32 s11, 0
	s_waitcnt vmcnt(0)
	v_fma_f32 v2, -v2, v14, v6
	s_lshl_b64 s[0:1], s[10:11], 2
	v_add_co_u32 v0, vcc_lo, v0, s0
	v_add_co_ci_u32_e64 v1, null, s1, v1, vcc_lo
	global_store_dword v[0:1], v2, off offset:128
	s_endpgm
	.section	.rodata,"a",@progbits
	.p2align	6, 0x0
	.amdhsa_kernel _ZN12_GLOBAL__N_121softmax_warp_backwardIfffLi6ELb0ELb0ELi32EEEvPT0_PKT_S5_iiiPKb
		.amdhsa_group_segment_fixed_size 0
		.amdhsa_private_segment_fixed_size 0
		.amdhsa_kernarg_size 304
		.amdhsa_user_sgpr_count 6
		.amdhsa_user_sgpr_private_segment_buffer 1
		.amdhsa_user_sgpr_dispatch_ptr 0
		.amdhsa_user_sgpr_queue_ptr 0
		.amdhsa_user_sgpr_kernarg_segment_ptr 1
		.amdhsa_user_sgpr_dispatch_id 0
		.amdhsa_user_sgpr_flat_scratch_init 0
		.amdhsa_user_sgpr_private_segment_size 0
		.amdhsa_wavefront_size32 1
		.amdhsa_uses_dynamic_stack 0
		.amdhsa_system_sgpr_private_segment_wavefront_offset 0
		.amdhsa_system_sgpr_workgroup_id_x 1
		.amdhsa_system_sgpr_workgroup_id_y 0
		.amdhsa_system_sgpr_workgroup_id_z 0
		.amdhsa_system_sgpr_workgroup_info 0
		.amdhsa_system_vgpr_workitem_id 1
		.amdhsa_next_free_vgpr 17
		.amdhsa_next_free_sgpr 16
		.amdhsa_reserve_vcc 1
		.amdhsa_reserve_flat_scratch 0
		.amdhsa_float_round_mode_32 0
		.amdhsa_float_round_mode_16_64 0
		.amdhsa_float_denorm_mode_32 3
		.amdhsa_float_denorm_mode_16_64 3
		.amdhsa_dx10_clamp 1
		.amdhsa_ieee_mode 1
		.amdhsa_fp16_overflow 0
		.amdhsa_workgroup_processor_mode 1
		.amdhsa_memory_ordered 1
		.amdhsa_forward_progress 1
		.amdhsa_shared_vgpr_count 0
		.amdhsa_exception_fp_ieee_invalid_op 0
		.amdhsa_exception_fp_denorm_src 0
		.amdhsa_exception_fp_ieee_div_zero 0
		.amdhsa_exception_fp_ieee_overflow 0
		.amdhsa_exception_fp_ieee_underflow 0
		.amdhsa_exception_fp_ieee_inexact 0
		.amdhsa_exception_int_div_zero 0
	.end_amdhsa_kernel
	.section	.text._ZN12_GLOBAL__N_121softmax_warp_backwardIfffLi6ELb0ELb0ELi32EEEvPT0_PKT_S5_iiiPKb,"axG",@progbits,_ZN12_GLOBAL__N_121softmax_warp_backwardIfffLi6ELb0ELb0ELi32EEEvPT0_PKT_S5_iiiPKb,comdat
.Lfunc_end559:
	.size	_ZN12_GLOBAL__N_121softmax_warp_backwardIfffLi6ELb0ELb0ELi32EEEvPT0_PKT_S5_iiiPKb, .Lfunc_end559-_ZN12_GLOBAL__N_121softmax_warp_backwardIfffLi6ELb0ELb0ELi32EEEvPT0_PKT_S5_iiiPKb
                                        ; -- End function
	.set _ZN12_GLOBAL__N_121softmax_warp_backwardIfffLi6ELb0ELb0ELi32EEEvPT0_PKT_S5_iiiPKb.num_vgpr, 17
	.set _ZN12_GLOBAL__N_121softmax_warp_backwardIfffLi6ELb0ELb0ELi32EEEvPT0_PKT_S5_iiiPKb.num_agpr, 0
	.set _ZN12_GLOBAL__N_121softmax_warp_backwardIfffLi6ELb0ELb0ELi32EEEvPT0_PKT_S5_iiiPKb.numbered_sgpr, 16
	.set _ZN12_GLOBAL__N_121softmax_warp_backwardIfffLi6ELb0ELb0ELi32EEEvPT0_PKT_S5_iiiPKb.num_named_barrier, 0
	.set _ZN12_GLOBAL__N_121softmax_warp_backwardIfffLi6ELb0ELb0ELi32EEEvPT0_PKT_S5_iiiPKb.private_seg_size, 0
	.set _ZN12_GLOBAL__N_121softmax_warp_backwardIfffLi6ELb0ELb0ELi32EEEvPT0_PKT_S5_iiiPKb.uses_vcc, 1
	.set _ZN12_GLOBAL__N_121softmax_warp_backwardIfffLi6ELb0ELb0ELi32EEEvPT0_PKT_S5_iiiPKb.uses_flat_scratch, 0
	.set _ZN12_GLOBAL__N_121softmax_warp_backwardIfffLi6ELb0ELb0ELi32EEEvPT0_PKT_S5_iiiPKb.has_dyn_sized_stack, 0
	.set _ZN12_GLOBAL__N_121softmax_warp_backwardIfffLi6ELb0ELb0ELi32EEEvPT0_PKT_S5_iiiPKb.has_recursion, 0
	.set _ZN12_GLOBAL__N_121softmax_warp_backwardIfffLi6ELb0ELb0ELi32EEEvPT0_PKT_S5_iiiPKb.has_indirect_call, 0
	.section	.AMDGPU.csdata,"",@progbits
; Kernel info:
; codeLenInByte = 960
; TotalNumSgprs: 18
; NumVgprs: 17
; ScratchSize: 0
; MemoryBound: 0
; FloatMode: 240
; IeeeMode: 1
; LDSByteSize: 0 bytes/workgroup (compile time only)
; SGPRBlocks: 0
; VGPRBlocks: 2
; NumSGPRsForWavesPerEU: 18
; NumVGPRsForWavesPerEU: 17
; Occupancy: 16
; WaveLimiterHint : 0
; COMPUTE_PGM_RSRC2:SCRATCH_EN: 0
; COMPUTE_PGM_RSRC2:USER_SGPR: 6
; COMPUTE_PGM_RSRC2:TRAP_HANDLER: 0
; COMPUTE_PGM_RSRC2:TGID_X_EN: 1
; COMPUTE_PGM_RSRC2:TGID_Y_EN: 0
; COMPUTE_PGM_RSRC2:TGID_Z_EN: 0
; COMPUTE_PGM_RSRC2:TIDIG_COMP_CNT: 1
	.section	.text._ZN12_GLOBAL__N_121softmax_warp_backwardIfffLi7ELb0ELb0ELi64EEEvPT0_PKT_S5_iiiPKb,"axG",@progbits,_ZN12_GLOBAL__N_121softmax_warp_backwardIfffLi7ELb0ELb0ELi64EEEvPT0_PKT_S5_iiiPKb,comdat
	.globl	_ZN12_GLOBAL__N_121softmax_warp_backwardIfffLi7ELb0ELb0ELi64EEEvPT0_PKT_S5_iiiPKb ; -- Begin function _ZN12_GLOBAL__N_121softmax_warp_backwardIfffLi7ELb0ELb0ELi64EEEvPT0_PKT_S5_iiiPKb
	.p2align	8
	.type	_ZN12_GLOBAL__N_121softmax_warp_backwardIfffLi7ELb0ELb0ELi64EEEvPT0_PKT_S5_iiiPKb,@function
_ZN12_GLOBAL__N_121softmax_warp_backwardIfffLi7ELb0ELb0ELi64EEEvPT0_PKT_S5_iiiPKb: ; @_ZN12_GLOBAL__N_121softmax_warp_backwardIfffLi7ELb0ELb0ELi64EEEvPT0_PKT_S5_iiiPKb
; %bb.0:
	s_clause 0x1
	s_load_dword s0, s[4:5], 0x3c
	s_load_dwordx4 s[8:11], s[4:5], 0x18
	v_and_b32_e32 v6, 63, v0
	s_clause 0x1
	s_load_dwordx4 s[12:15], s[4:5], 0x0
	s_load_dwordx2 s[2:3], s[4:5], 0x10
	v_mov_b32_e32 v8, 0
	v_mov_b32_e32 v9, 0
	;; [unrolled: 1-line block ×3, first 2 shown]
	s_waitcnt lgkmcnt(0)
	s_lshr_b32 s0, s0, 16
	v_cmp_gt_i32_e32 vcc_lo, s10, v6
	s_and_b32 s0, s0, 0xffff
	s_mul_i32 s6, s6, s0
	v_add_lshl_u32 v2, s6, v1, 1
	v_mad_u64_u32 v[0:1], null, v2, s9, v[6:7]
	v_sub_nc_u32_e32 v7, s8, v2
	v_cmp_lt_i32_e64 s1, 0, v7
	v_ashrrev_i32_e32 v1, 31, v0
	v_lshlrev_b64 v[0:1], 2, v[0:1]
	v_add_co_u32 v4, s0, s14, v0
	v_add_co_ci_u32_e64 v5, null, s15, v1, s0
	v_add_co_u32 v2, s0, s2, v0
	v_add_co_ci_u32_e64 v3, null, s3, v1, s0
	s_and_b32 s2, s1, vcc_lo
	s_and_saveexec_b32 s0, s2
	s_cbranch_execz .LBB560_2
; %bb.1:
	global_load_dword v9, v[4:5], off
	global_load_dword v10, v[2:3], off
.LBB560_2:
	s_or_b32 exec_lo, exec_lo, s0
	v_or_b32_e32 v6, 64, v6
	v_mov_b32_e32 v11, 0
	v_cmp_gt_i32_e64 s0, s10, v6
	s_and_b32 s3, s1, s0
	s_and_saveexec_b32 s2, s3
	s_cbranch_execz .LBB560_4
; %bb.3:
	global_load_dword v8, v[4:5], off offset:256
	global_load_dword v11, v[2:3], off offset:256
.LBB560_4:
	s_or_b32 exec_lo, exec_lo, s2
	v_cmp_lt_i32_e64 s2, 1, v7
	v_mov_b32_e32 v6, 0
	v_mov_b32_e32 v12, 0
	;; [unrolled: 1-line block ×3, first 2 shown]
	s_and_b32 s3, s2, vcc_lo
	s_and_saveexec_b32 s4, s3
	s_cbranch_execz .LBB560_6
; %bb.5:
	s_mov_b32 s11, 0
	s_lshl_b64 s[6:7], s[10:11], 2
	v_add_co_u32 v12, s3, v4, s6
	v_add_co_ci_u32_e64 v13, null, s7, v5, s3
	v_add_co_u32 v14, s3, v2, s6
	v_add_co_ci_u32_e64 v15, null, s7, v3, s3
	global_load_dword v12, v[12:13], off
	global_load_dword v13, v[14:15], off
.LBB560_6:
	s_or_b32 exec_lo, exec_lo, s4
	v_mov_b32_e32 v14, 0
	s_and_b32 s2, s2, s0
	s_and_saveexec_b32 s3, s2
	s_cbranch_execz .LBB560_8
; %bb.7:
	s_mov_b32 s11, 0
	s_lshl_b64 s[4:5], s[10:11], 2
	v_add_co_u32 v4, s2, v4, s4
	v_add_co_ci_u32_e64 v5, null, s5, v5, s2
	v_add_co_u32 v2, s2, v2, s4
	v_add_co_ci_u32_e64 v3, null, s5, v3, s2
	global_load_dword v6, v[4:5], off offset:256
	global_load_dword v14, v[2:3], off offset:256
.LBB560_8:
	s_or_b32 exec_lo, exec_lo, s3
	v_mbcnt_lo_u32_b32 v2, -1, 0
	s_waitcnt vmcnt(1)
	v_add_f32_e32 v4, 0, v9
	v_add_f32_e32 v5, 0, v12
	v_or_b32_e32 v3, 32, v2
	v_add_f32_e32 v4, v4, v8
	v_add_f32_e32 v5, v5, v6
	v_xor_b32_e32 v16, 16, v2
	v_cmp_gt_i32_e64 s2, 64, v3
	v_cndmask_b32_e64 v3, v2, v3, s2
	v_cmp_gt_i32_e64 s2, 64, v16
	v_lshlrev_b32_e32 v3, 2, v3
	v_cndmask_b32_e64 v16, v2, v16, s2
	ds_bpermute_b32 v15, v3, v4
	ds_bpermute_b32 v3, v3, v5
	v_lshlrev_b32_e32 v16, 2, v16
	s_waitcnt lgkmcnt(1)
	v_add_f32_e32 v4, v4, v15
	s_waitcnt lgkmcnt(0)
	v_add_f32_e32 v3, v5, v3
	ds_bpermute_b32 v5, v16, v4
	ds_bpermute_b32 v15, v16, v3
	v_xor_b32_e32 v16, 8, v2
	v_cmp_gt_i32_e64 s2, 64, v16
	v_cndmask_b32_e64 v16, v2, v16, s2
	v_lshlrev_b32_e32 v16, 2, v16
	s_waitcnt lgkmcnt(1)
	v_add_f32_e32 v4, v4, v5
	s_waitcnt lgkmcnt(0)
	v_add_f32_e32 v3, v3, v15
	ds_bpermute_b32 v5, v16, v4
	ds_bpermute_b32 v15, v16, v3
	v_xor_b32_e32 v16, 4, v2
	v_cmp_gt_i32_e64 s2, 64, v16
	v_cndmask_b32_e64 v16, v2, v16, s2
	;; [unrolled: 10-line block ×4, first 2 shown]
	v_lshlrev_b32_e32 v16, 2, v2
	s_waitcnt lgkmcnt(1)
	v_add_f32_e32 v4, v4, v5
	s_waitcnt lgkmcnt(0)
	v_add_f32_e32 v2, v3, v15
	ds_bpermute_b32 v5, v16, v4
	ds_bpermute_b32 v3, v16, v2
	s_and_saveexec_b32 s2, s1
	s_cbranch_execz .LBB560_12
; %bb.9:
	v_add_co_u32 v0, s1, s12, v0
	v_add_co_ci_u32_e64 v1, null, s13, v1, s1
	s_waitcnt lgkmcnt(1)
	v_add_f32_e32 v4, v4, v5
	s_and_saveexec_b32 s1, vcc_lo
	s_cbranch_execnz .LBB560_13
; %bb.10:
	s_or_b32 exec_lo, exec_lo, s1
	s_and_saveexec_b32 s1, s0
	s_cbranch_execnz .LBB560_14
.LBB560_11:
	s_or_b32 exec_lo, exec_lo, s1
	v_cmp_ne_u32_e64 s1, 1, v7
	s_and_b32 exec_lo, exec_lo, s1
	s_cbranch_execnz .LBB560_15
.LBB560_12:
	s_endpgm
.LBB560_13:
	s_waitcnt vmcnt(0)
	v_fma_f32 v5, -v4, v10, v9
	global_store_dword v[0:1], v5, off
	s_or_b32 exec_lo, exec_lo, s1
	s_and_saveexec_b32 s1, s0
	s_cbranch_execz .LBB560_11
.LBB560_14:
	s_waitcnt vmcnt(0)
	v_fma_f32 v4, -v4, v11, v8
	global_store_dword v[0:1], v4, off offset:256
	s_or_b32 exec_lo, exec_lo, s1
	v_cmp_ne_u32_e64 s1, 1, v7
	s_and_b32 exec_lo, exec_lo, s1
	s_cbranch_execz .LBB560_12
.LBB560_15:
	s_waitcnt lgkmcnt(0)
	v_add_f32_e32 v2, v2, v3
	s_and_saveexec_b32 s1, vcc_lo
	s_cbranch_execz .LBB560_17
; %bb.16:
	s_mov_b32 s11, 0
	s_waitcnt vmcnt(0)
	v_fma_f32 v5, -v2, v13, v12
	s_lshl_b64 s[2:3], s[10:11], 2
	v_add_co_u32 v3, vcc_lo, v0, s2
	v_add_co_ci_u32_e64 v4, null, s3, v1, vcc_lo
	global_store_dword v[3:4], v5, off
.LBB560_17:
	s_or_b32 exec_lo, exec_lo, s1
	s_and_b32 exec_lo, exec_lo, s0
	s_cbranch_execz .LBB560_12
; %bb.18:
	s_mov_b32 s11, 0
	s_waitcnt vmcnt(0)
	v_fma_f32 v2, -v2, v14, v6
	s_lshl_b64 s[0:1], s[10:11], 2
	v_add_co_u32 v0, vcc_lo, v0, s0
	v_add_co_ci_u32_e64 v1, null, s1, v1, vcc_lo
	global_store_dword v[0:1], v2, off offset:256
	s_endpgm
	.section	.rodata,"a",@progbits
	.p2align	6, 0x0
	.amdhsa_kernel _ZN12_GLOBAL__N_121softmax_warp_backwardIfffLi7ELb0ELb0ELi64EEEvPT0_PKT_S5_iiiPKb
		.amdhsa_group_segment_fixed_size 0
		.amdhsa_private_segment_fixed_size 0
		.amdhsa_kernarg_size 304
		.amdhsa_user_sgpr_count 6
		.amdhsa_user_sgpr_private_segment_buffer 1
		.amdhsa_user_sgpr_dispatch_ptr 0
		.amdhsa_user_sgpr_queue_ptr 0
		.amdhsa_user_sgpr_kernarg_segment_ptr 1
		.amdhsa_user_sgpr_dispatch_id 0
		.amdhsa_user_sgpr_flat_scratch_init 0
		.amdhsa_user_sgpr_private_segment_size 0
		.amdhsa_wavefront_size32 1
		.amdhsa_uses_dynamic_stack 0
		.amdhsa_system_sgpr_private_segment_wavefront_offset 0
		.amdhsa_system_sgpr_workgroup_id_x 1
		.amdhsa_system_sgpr_workgroup_id_y 0
		.amdhsa_system_sgpr_workgroup_id_z 0
		.amdhsa_system_sgpr_workgroup_info 0
		.amdhsa_system_vgpr_workitem_id 1
		.amdhsa_next_free_vgpr 17
		.amdhsa_next_free_sgpr 16
		.amdhsa_reserve_vcc 1
		.amdhsa_reserve_flat_scratch 0
		.amdhsa_float_round_mode_32 0
		.amdhsa_float_round_mode_16_64 0
		.amdhsa_float_denorm_mode_32 3
		.amdhsa_float_denorm_mode_16_64 3
		.amdhsa_dx10_clamp 1
		.amdhsa_ieee_mode 1
		.amdhsa_fp16_overflow 0
		.amdhsa_workgroup_processor_mode 1
		.amdhsa_memory_ordered 1
		.amdhsa_forward_progress 1
		.amdhsa_shared_vgpr_count 0
		.amdhsa_exception_fp_ieee_invalid_op 0
		.amdhsa_exception_fp_denorm_src 0
		.amdhsa_exception_fp_ieee_div_zero 0
		.amdhsa_exception_fp_ieee_overflow 0
		.amdhsa_exception_fp_ieee_underflow 0
		.amdhsa_exception_fp_ieee_inexact 0
		.amdhsa_exception_int_div_zero 0
	.end_amdhsa_kernel
	.section	.text._ZN12_GLOBAL__N_121softmax_warp_backwardIfffLi7ELb0ELb0ELi64EEEvPT0_PKT_S5_iiiPKb,"axG",@progbits,_ZN12_GLOBAL__N_121softmax_warp_backwardIfffLi7ELb0ELb0ELi64EEEvPT0_PKT_S5_iiiPKb,comdat
.Lfunc_end560:
	.size	_ZN12_GLOBAL__N_121softmax_warp_backwardIfffLi7ELb0ELb0ELi64EEEvPT0_PKT_S5_iiiPKb, .Lfunc_end560-_ZN12_GLOBAL__N_121softmax_warp_backwardIfffLi7ELb0ELb0ELi64EEEvPT0_PKT_S5_iiiPKb
                                        ; -- End function
	.set _ZN12_GLOBAL__N_121softmax_warp_backwardIfffLi7ELb0ELb0ELi64EEEvPT0_PKT_S5_iiiPKb.num_vgpr, 17
	.set _ZN12_GLOBAL__N_121softmax_warp_backwardIfffLi7ELb0ELb0ELi64EEEvPT0_PKT_S5_iiiPKb.num_agpr, 0
	.set _ZN12_GLOBAL__N_121softmax_warp_backwardIfffLi7ELb0ELb0ELi64EEEvPT0_PKT_S5_iiiPKb.numbered_sgpr, 16
	.set _ZN12_GLOBAL__N_121softmax_warp_backwardIfffLi7ELb0ELb0ELi64EEEvPT0_PKT_S5_iiiPKb.num_named_barrier, 0
	.set _ZN12_GLOBAL__N_121softmax_warp_backwardIfffLi7ELb0ELb0ELi64EEEvPT0_PKT_S5_iiiPKb.private_seg_size, 0
	.set _ZN12_GLOBAL__N_121softmax_warp_backwardIfffLi7ELb0ELb0ELi64EEEvPT0_PKT_S5_iiiPKb.uses_vcc, 1
	.set _ZN12_GLOBAL__N_121softmax_warp_backwardIfffLi7ELb0ELb0ELi64EEEvPT0_PKT_S5_iiiPKb.uses_flat_scratch, 0
	.set _ZN12_GLOBAL__N_121softmax_warp_backwardIfffLi7ELb0ELb0ELi64EEEvPT0_PKT_S5_iiiPKb.has_dyn_sized_stack, 0
	.set _ZN12_GLOBAL__N_121softmax_warp_backwardIfffLi7ELb0ELb0ELi64EEEvPT0_PKT_S5_iiiPKb.has_recursion, 0
	.set _ZN12_GLOBAL__N_121softmax_warp_backwardIfffLi7ELb0ELb0ELi64EEEvPT0_PKT_S5_iiiPKb.has_indirect_call, 0
	.section	.AMDGPU.csdata,"",@progbits
; Kernel info:
; codeLenInByte = 1016
; TotalNumSgprs: 18
; NumVgprs: 17
; ScratchSize: 0
; MemoryBound: 0
; FloatMode: 240
; IeeeMode: 1
; LDSByteSize: 0 bytes/workgroup (compile time only)
; SGPRBlocks: 0
; VGPRBlocks: 2
; NumSGPRsForWavesPerEU: 18
; NumVGPRsForWavesPerEU: 17
; Occupancy: 16
; WaveLimiterHint : 0
; COMPUTE_PGM_RSRC2:SCRATCH_EN: 0
; COMPUTE_PGM_RSRC2:USER_SGPR: 6
; COMPUTE_PGM_RSRC2:TRAP_HANDLER: 0
; COMPUTE_PGM_RSRC2:TGID_X_EN: 1
; COMPUTE_PGM_RSRC2:TGID_Y_EN: 0
; COMPUTE_PGM_RSRC2:TGID_Z_EN: 0
; COMPUTE_PGM_RSRC2:TIDIG_COMP_CNT: 1
	.section	.text._ZN12_GLOBAL__N_121softmax_warp_backwardIfffLi7ELb0ELb0ELi32EEEvPT0_PKT_S5_iiiPKb,"axG",@progbits,_ZN12_GLOBAL__N_121softmax_warp_backwardIfffLi7ELb0ELb0ELi32EEEvPT0_PKT_S5_iiiPKb,comdat
	.globl	_ZN12_GLOBAL__N_121softmax_warp_backwardIfffLi7ELb0ELb0ELi32EEEvPT0_PKT_S5_iiiPKb ; -- Begin function _ZN12_GLOBAL__N_121softmax_warp_backwardIfffLi7ELb0ELb0ELi32EEEvPT0_PKT_S5_iiiPKb
	.p2align	8
	.type	_ZN12_GLOBAL__N_121softmax_warp_backwardIfffLi7ELb0ELb0ELi32EEEvPT0_PKT_S5_iiiPKb,@function
_ZN12_GLOBAL__N_121softmax_warp_backwardIfffLi7ELb0ELb0ELi32EEEvPT0_PKT_S5_iiiPKb: ; @_ZN12_GLOBAL__N_121softmax_warp_backwardIfffLi7ELb0ELb0ELi32EEEvPT0_PKT_S5_iiiPKb
; %bb.0:
	s_clause 0x1
	s_load_dword s0, s[4:5], 0x3c
	s_load_dwordx4 s[8:11], s[4:5], 0x18
	v_and_b32_e32 v6, 31, v0
	s_clause 0x1
	s_load_dwordx4 s[12:15], s[4:5], 0x0
	s_load_dwordx2 s[4:5], s[4:5], 0x10
	v_mov_b32_e32 v8, 0
	v_mov_b32_e32 v9, 0
	v_mov_b32_e32 v10, 0
	s_waitcnt lgkmcnt(0)
	s_lshr_b32 s0, s0, 16
	v_cmp_gt_i32_e32 vcc_lo, s10, v6
	s_and_b32 s0, s0, 0xffff
	s_mul_i32 s6, s6, s0
	v_add_lshl_u32 v2, s6, v1, 1
	v_mad_u64_u32 v[0:1], null, v2, s9, v[6:7]
	v_sub_nc_u32_e32 v7, s8, v2
	v_cmp_lt_i32_e64 s3, 0, v7
	v_ashrrev_i32_e32 v1, 31, v0
	s_and_b32 s1, s3, vcc_lo
	v_lshlrev_b64 v[0:1], 2, v[0:1]
	v_add_co_u32 v4, s0, s14, v0
	v_add_co_ci_u32_e64 v5, null, s15, v1, s0
	v_add_co_u32 v2, s0, s4, v0
	v_add_co_ci_u32_e64 v3, null, s5, v1, s0
	s_and_saveexec_b32 s0, s1
	s_cbranch_execz .LBB561_2
; %bb.1:
	global_load_dword v9, v[4:5], off
	global_load_dword v10, v[2:3], off
.LBB561_2:
	s_or_b32 exec_lo, exec_lo, s0
	v_or_b32_e32 v11, 32, v6
	v_mov_b32_e32 v12, 0
	v_cmp_gt_i32_e64 s0, s10, v11
	s_and_b32 s2, s3, s0
	s_and_saveexec_b32 s1, s2
	s_cbranch_execz .LBB561_4
; %bb.3:
	global_load_dword v8, v[4:5], off offset:128
	global_load_dword v12, v[2:3], off offset:128
.LBB561_4:
	s_or_b32 exec_lo, exec_lo, s1
	v_or_b32_e32 v11, 64, v6
	v_mov_b32_e32 v13, 0
	v_mov_b32_e32 v14, 0
	v_cmp_gt_i32_e64 s1, s10, v11
	v_mov_b32_e32 v11, 0
	s_and_b32 s4, s3, s1
	s_and_saveexec_b32 s2, s4
	s_cbranch_execz .LBB561_6
; %bb.5:
	global_load_dword v13, v[4:5], off offset:256
	global_load_dword v14, v[2:3], off offset:256
.LBB561_6:
	s_or_b32 exec_lo, exec_lo, s2
	v_or_b32_e32 v6, 0x60, v6
	v_mov_b32_e32 v15, 0
	v_cmp_gt_i32_e64 s2, s10, v6
	s_and_b32 s5, s3, s2
	s_and_saveexec_b32 s4, s5
	s_cbranch_execz .LBB561_8
; %bb.7:
	global_load_dword v11, v[4:5], off offset:384
	global_load_dword v15, v[2:3], off offset:384
.LBB561_8:
	s_or_b32 exec_lo, exec_lo, s4
	v_cmp_lt_i32_e64 s4, 1, v7
	v_mov_b32_e32 v6, 0
	v_mov_b32_e32 v16, 0
	;; [unrolled: 1-line block ×3, first 2 shown]
	s_and_b32 s5, s4, vcc_lo
	s_and_saveexec_b32 s6, s5
	s_cbranch_execz .LBB561_10
; %bb.9:
	s_mov_b32 s11, 0
	s_lshl_b64 s[8:9], s[10:11], 2
	v_add_co_u32 v16, s5, v4, s8
	v_add_co_ci_u32_e64 v17, null, s9, v5, s5
	v_add_co_u32 v18, s5, v2, s8
	v_add_co_ci_u32_e64 v19, null, s9, v3, s5
	global_load_dword v16, v[16:17], off
	global_load_dword v17, v[18:19], off
.LBB561_10:
	s_or_b32 exec_lo, exec_lo, s6
	v_mov_b32_e32 v19, 0
	s_and_b32 s5, s4, s0
	s_and_saveexec_b32 s6, s5
	s_cbranch_execz .LBB561_12
; %bb.11:
	s_mov_b32 s11, 0
	s_lshl_b64 s[8:9], s[10:11], 2
	v_add_co_u32 v18, s5, v4, s8
	v_add_co_ci_u32_e64 v19, null, s9, v5, s5
	v_add_co_u32 v20, s5, v2, s8
	v_add_co_ci_u32_e64 v21, null, s9, v3, s5
	global_load_dword v6, v[18:19], off offset:128
	global_load_dword v19, v[20:21], off offset:128
.LBB561_12:
	s_or_b32 exec_lo, exec_lo, s6
	v_mov_b32_e32 v18, 0
	v_mov_b32_e32 v20, 0
	;; [unrolled: 1-line block ×3, first 2 shown]
	s_and_b32 s5, s4, s1
	s_and_saveexec_b32 s6, s5
	s_cbranch_execz .LBB561_14
; %bb.13:
	s_mov_b32 s11, 0
	s_lshl_b64 s[8:9], s[10:11], 2
	v_add_co_u32 v20, s5, v4, s8
	v_add_co_ci_u32_e64 v21, null, s9, v5, s5
	v_add_co_u32 v22, s5, v2, s8
	v_add_co_ci_u32_e64 v23, null, s9, v3, s5
	global_load_dword v20, v[20:21], off offset:256
	global_load_dword v21, v[22:23], off offset:256
.LBB561_14:
	s_or_b32 exec_lo, exec_lo, s6
	v_mov_b32_e32 v22, 0
	s_and_b32 s4, s4, s2
	s_and_saveexec_b32 s5, s4
	s_cbranch_execz .LBB561_16
; %bb.15:
	s_mov_b32 s11, 0
	s_lshl_b64 s[6:7], s[10:11], 2
	v_add_co_u32 v4, s4, v4, s6
	v_add_co_ci_u32_e64 v5, null, s7, v5, s4
	v_add_co_u32 v2, s4, v2, s6
	v_add_co_ci_u32_e64 v3, null, s7, v3, s4
	global_load_dword v18, v[4:5], off offset:384
	global_load_dword v22, v[2:3], off offset:384
.LBB561_16:
	s_or_b32 exec_lo, exec_lo, s5
	v_mbcnt_lo_u32_b32 v3, -1, 0
	s_waitcnt vmcnt(1)
	v_add_f32_e32 v2, 0, v9
	v_add_f32_e32 v4, 0, v16
	v_xor_b32_e32 v5, 16, v3
	v_add_f32_e32 v2, v2, v8
	v_add_f32_e32 v4, v4, v6
	v_xor_b32_e32 v24, 8, v3
	v_cmp_gt_i32_e64 s4, 32, v5
	v_add_f32_e32 v2, v2, v13
	v_add_f32_e32 v4, v4, v20
	v_cndmask_b32_e64 v5, v3, v5, s4
	v_add_f32_e32 v2, v2, v11
	v_add_f32_e32 v4, v4, v18
	v_cmp_gt_i32_e64 s4, 32, v24
	v_lshlrev_b32_e32 v5, 2, v5
	v_cndmask_b32_e64 v24, v3, v24, s4
	ds_bpermute_b32 v23, v5, v2
	ds_bpermute_b32 v5, v5, v4
	v_lshlrev_b32_e32 v24, 2, v24
	s_waitcnt lgkmcnt(1)
	v_add_f32_e32 v2, v2, v23
	s_waitcnt lgkmcnt(0)
	v_add_f32_e32 v4, v4, v5
	ds_bpermute_b32 v5, v24, v2
	ds_bpermute_b32 v23, v24, v4
	v_xor_b32_e32 v24, 4, v3
	v_cmp_gt_i32_e64 s4, 32, v24
	v_cndmask_b32_e64 v24, v3, v24, s4
	v_lshlrev_b32_e32 v24, 2, v24
	s_waitcnt lgkmcnt(1)
	v_add_f32_e32 v2, v2, v5
	s_waitcnt lgkmcnt(0)
	v_add_f32_e32 v4, v4, v23
	ds_bpermute_b32 v5, v24, v2
	ds_bpermute_b32 v23, v24, v4
	v_xor_b32_e32 v24, 2, v3
	v_cmp_gt_i32_e64 s4, 32, v24
	v_cndmask_b32_e64 v24, v3, v24, s4
	;; [unrolled: 10-line block ×3, first 2 shown]
	v_lshlrev_b32_e32 v3, 2, v3
	s_waitcnt lgkmcnt(1)
	v_add_f32_e32 v4, v2, v4
	s_waitcnt lgkmcnt(0)
	v_add_f32_e32 v2, v5, v23
	ds_bpermute_b32 v5, v3, v4
	ds_bpermute_b32 v3, v3, v2
	s_and_saveexec_b32 s4, s3
	s_cbranch_execz .LBB561_22
; %bb.17:
	v_add_co_u32 v0, s3, s12, v0
	v_add_co_ci_u32_e64 v1, null, s13, v1, s3
	s_waitcnt lgkmcnt(1)
	v_add_f32_e32 v4, v4, v5
	s_and_saveexec_b32 s3, vcc_lo
	s_cbranch_execnz .LBB561_23
; %bb.18:
	s_or_b32 exec_lo, exec_lo, s3
	s_and_saveexec_b32 s3, s0
	s_cbranch_execnz .LBB561_24
.LBB561_19:
	s_or_b32 exec_lo, exec_lo, s3
	s_and_saveexec_b32 s3, s1
	s_cbranch_execnz .LBB561_25
.LBB561_20:
	s_or_b32 exec_lo, exec_lo, s3
	s_and_saveexec_b32 s3, s2
	s_cbranch_execnz .LBB561_26
.LBB561_21:
	s_or_b32 exec_lo, exec_lo, s3
	v_cmp_ne_u32_e64 s3, 1, v7
	s_and_b32 exec_lo, exec_lo, s3
	s_cbranch_execnz .LBB561_27
.LBB561_22:
	s_endpgm
.LBB561_23:
	s_waitcnt vmcnt(0)
	v_fma_f32 v5, -v4, v10, v9
	global_store_dword v[0:1], v5, off
	s_or_b32 exec_lo, exec_lo, s3
	s_and_saveexec_b32 s3, s0
	s_cbranch_execz .LBB561_19
.LBB561_24:
	s_waitcnt vmcnt(0)
	v_fma_f32 v5, -v4, v12, v8
	global_store_dword v[0:1], v5, off offset:128
	s_or_b32 exec_lo, exec_lo, s3
	s_and_saveexec_b32 s3, s1
	s_cbranch_execz .LBB561_20
.LBB561_25:
	s_waitcnt vmcnt(0)
	v_fma_f32 v5, -v4, v14, v13
	global_store_dword v[0:1], v5, off offset:256
	s_or_b32 exec_lo, exec_lo, s3
	s_and_saveexec_b32 s3, s2
	s_cbranch_execz .LBB561_21
.LBB561_26:
	s_waitcnt vmcnt(0)
	v_fma_f32 v4, -v4, v15, v11
	global_store_dword v[0:1], v4, off offset:384
	s_or_b32 exec_lo, exec_lo, s3
	v_cmp_ne_u32_e64 s3, 1, v7
	s_and_b32 exec_lo, exec_lo, s3
	s_cbranch_execz .LBB561_22
.LBB561_27:
	s_waitcnt lgkmcnt(0)
	v_add_f32_e32 v2, v2, v3
	s_and_saveexec_b32 s3, vcc_lo
	s_cbranch_execnz .LBB561_31
; %bb.28:
	s_or_b32 exec_lo, exec_lo, s3
	s_and_saveexec_b32 s3, s0
	s_cbranch_execnz .LBB561_32
.LBB561_29:
	s_or_b32 exec_lo, exec_lo, s3
	s_and_saveexec_b32 s0, s1
	s_cbranch_execnz .LBB561_33
.LBB561_30:
	s_or_b32 exec_lo, exec_lo, s0
	s_and_b32 exec_lo, exec_lo, s2
	s_cbranch_execz .LBB561_22
	s_branch .LBB561_34
.LBB561_31:
	s_mov_b32 s11, 0
	s_waitcnt vmcnt(0)
	v_fma_f32 v5, -v2, v17, v16
	s_lshl_b64 s[4:5], s[10:11], 2
	v_add_co_u32 v3, vcc_lo, v0, s4
	v_add_co_ci_u32_e64 v4, null, s5, v1, vcc_lo
	global_store_dword v[3:4], v5, off
	s_or_b32 exec_lo, exec_lo, s3
	s_and_saveexec_b32 s3, s0
	s_cbranch_execz .LBB561_29
.LBB561_32:
	s_mov_b32 s11, 0
	s_waitcnt vmcnt(0)
	v_fma_f32 v5, -v2, v19, v6
	s_lshl_b64 s[4:5], s[10:11], 2
	v_add_co_u32 v3, vcc_lo, v0, s4
	v_add_co_ci_u32_e64 v4, null, s5, v1, vcc_lo
	global_store_dword v[3:4], v5, off offset:128
	s_or_b32 exec_lo, exec_lo, s3
	s_and_saveexec_b32 s0, s1
	s_cbranch_execz .LBB561_30
.LBB561_33:
	s_mov_b32 s11, 0
	s_waitcnt vmcnt(0)
	v_fma_f32 v5, -v2, v21, v20
	s_lshl_b64 s[4:5], s[10:11], 2
	v_add_co_u32 v3, vcc_lo, v0, s4
	v_add_co_ci_u32_e64 v4, null, s5, v1, vcc_lo
	global_store_dword v[3:4], v5, off offset:256
	s_or_b32 exec_lo, exec_lo, s0
	s_and_b32 exec_lo, exec_lo, s2
	s_cbranch_execz .LBB561_22
.LBB561_34:
	s_mov_b32 s11, 0
	s_waitcnt vmcnt(0)
	v_fma_f32 v2, -v2, v22, v18
	s_lshl_b64 s[0:1], s[10:11], 2
	v_add_co_u32 v0, vcc_lo, v0, s0
	v_add_co_ci_u32_e64 v1, null, s1, v1, vcc_lo
	global_store_dword v[0:1], v2, off offset:384
	s_endpgm
	.section	.rodata,"a",@progbits
	.p2align	6, 0x0
	.amdhsa_kernel _ZN12_GLOBAL__N_121softmax_warp_backwardIfffLi7ELb0ELb0ELi32EEEvPT0_PKT_S5_iiiPKb
		.amdhsa_group_segment_fixed_size 0
		.amdhsa_private_segment_fixed_size 0
		.amdhsa_kernarg_size 304
		.amdhsa_user_sgpr_count 6
		.amdhsa_user_sgpr_private_segment_buffer 1
		.amdhsa_user_sgpr_dispatch_ptr 0
		.amdhsa_user_sgpr_queue_ptr 0
		.amdhsa_user_sgpr_kernarg_segment_ptr 1
		.amdhsa_user_sgpr_dispatch_id 0
		.amdhsa_user_sgpr_flat_scratch_init 0
		.amdhsa_user_sgpr_private_segment_size 0
		.amdhsa_wavefront_size32 1
		.amdhsa_uses_dynamic_stack 0
		.amdhsa_system_sgpr_private_segment_wavefront_offset 0
		.amdhsa_system_sgpr_workgroup_id_x 1
		.amdhsa_system_sgpr_workgroup_id_y 0
		.amdhsa_system_sgpr_workgroup_id_z 0
		.amdhsa_system_sgpr_workgroup_info 0
		.amdhsa_system_vgpr_workitem_id 1
		.amdhsa_next_free_vgpr 25
		.amdhsa_next_free_sgpr 16
		.amdhsa_reserve_vcc 1
		.amdhsa_reserve_flat_scratch 0
		.amdhsa_float_round_mode_32 0
		.amdhsa_float_round_mode_16_64 0
		.amdhsa_float_denorm_mode_32 3
		.amdhsa_float_denorm_mode_16_64 3
		.amdhsa_dx10_clamp 1
		.amdhsa_ieee_mode 1
		.amdhsa_fp16_overflow 0
		.amdhsa_workgroup_processor_mode 1
		.amdhsa_memory_ordered 1
		.amdhsa_forward_progress 1
		.amdhsa_shared_vgpr_count 0
		.amdhsa_exception_fp_ieee_invalid_op 0
		.amdhsa_exception_fp_denorm_src 0
		.amdhsa_exception_fp_ieee_div_zero 0
		.amdhsa_exception_fp_ieee_overflow 0
		.amdhsa_exception_fp_ieee_underflow 0
		.amdhsa_exception_fp_ieee_inexact 0
		.amdhsa_exception_int_div_zero 0
	.end_amdhsa_kernel
	.section	.text._ZN12_GLOBAL__N_121softmax_warp_backwardIfffLi7ELb0ELb0ELi32EEEvPT0_PKT_S5_iiiPKb,"axG",@progbits,_ZN12_GLOBAL__N_121softmax_warp_backwardIfffLi7ELb0ELb0ELi32EEEvPT0_PKT_S5_iiiPKb,comdat
.Lfunc_end561:
	.size	_ZN12_GLOBAL__N_121softmax_warp_backwardIfffLi7ELb0ELb0ELi32EEEvPT0_PKT_S5_iiiPKb, .Lfunc_end561-_ZN12_GLOBAL__N_121softmax_warp_backwardIfffLi7ELb0ELb0ELi32EEEvPT0_PKT_S5_iiiPKb
                                        ; -- End function
	.set _ZN12_GLOBAL__N_121softmax_warp_backwardIfffLi7ELb0ELb0ELi32EEEvPT0_PKT_S5_iiiPKb.num_vgpr, 25
	.set _ZN12_GLOBAL__N_121softmax_warp_backwardIfffLi7ELb0ELb0ELi32EEEvPT0_PKT_S5_iiiPKb.num_agpr, 0
	.set _ZN12_GLOBAL__N_121softmax_warp_backwardIfffLi7ELb0ELb0ELi32EEEvPT0_PKT_S5_iiiPKb.numbered_sgpr, 16
	.set _ZN12_GLOBAL__N_121softmax_warp_backwardIfffLi7ELb0ELb0ELi32EEEvPT0_PKT_S5_iiiPKb.num_named_barrier, 0
	.set _ZN12_GLOBAL__N_121softmax_warp_backwardIfffLi7ELb0ELb0ELi32EEEvPT0_PKT_S5_iiiPKb.private_seg_size, 0
	.set _ZN12_GLOBAL__N_121softmax_warp_backwardIfffLi7ELb0ELb0ELi32EEEvPT0_PKT_S5_iiiPKb.uses_vcc, 1
	.set _ZN12_GLOBAL__N_121softmax_warp_backwardIfffLi7ELb0ELb0ELi32EEEvPT0_PKT_S5_iiiPKb.uses_flat_scratch, 0
	.set _ZN12_GLOBAL__N_121softmax_warp_backwardIfffLi7ELb0ELb0ELi32EEEvPT0_PKT_S5_iiiPKb.has_dyn_sized_stack, 0
	.set _ZN12_GLOBAL__N_121softmax_warp_backwardIfffLi7ELb0ELb0ELi32EEEvPT0_PKT_S5_iiiPKb.has_recursion, 0
	.set _ZN12_GLOBAL__N_121softmax_warp_backwardIfffLi7ELb0ELb0ELi32EEEvPT0_PKT_S5_iiiPKb.has_indirect_call, 0
	.section	.AMDGPU.csdata,"",@progbits
; Kernel info:
; codeLenInByte = 1484
; TotalNumSgprs: 18
; NumVgprs: 25
; ScratchSize: 0
; MemoryBound: 0
; FloatMode: 240
; IeeeMode: 1
; LDSByteSize: 0 bytes/workgroup (compile time only)
; SGPRBlocks: 0
; VGPRBlocks: 3
; NumSGPRsForWavesPerEU: 18
; NumVGPRsForWavesPerEU: 25
; Occupancy: 16
; WaveLimiterHint : 0
; COMPUTE_PGM_RSRC2:SCRATCH_EN: 0
; COMPUTE_PGM_RSRC2:USER_SGPR: 6
; COMPUTE_PGM_RSRC2:TRAP_HANDLER: 0
; COMPUTE_PGM_RSRC2:TGID_X_EN: 1
; COMPUTE_PGM_RSRC2:TGID_Y_EN: 0
; COMPUTE_PGM_RSRC2:TGID_Z_EN: 0
; COMPUTE_PGM_RSRC2:TIDIG_COMP_CNT: 1
	.section	.text._ZN12_GLOBAL__N_121softmax_warp_backwardIfffLi8ELb0ELb0ELi64EEEvPT0_PKT_S5_iiiPKb,"axG",@progbits,_ZN12_GLOBAL__N_121softmax_warp_backwardIfffLi8ELb0ELb0ELi64EEEvPT0_PKT_S5_iiiPKb,comdat
	.globl	_ZN12_GLOBAL__N_121softmax_warp_backwardIfffLi8ELb0ELb0ELi64EEEvPT0_PKT_S5_iiiPKb ; -- Begin function _ZN12_GLOBAL__N_121softmax_warp_backwardIfffLi8ELb0ELb0ELi64EEEvPT0_PKT_S5_iiiPKb
	.p2align	8
	.type	_ZN12_GLOBAL__N_121softmax_warp_backwardIfffLi8ELb0ELb0ELi64EEEvPT0_PKT_S5_iiiPKb,@function
_ZN12_GLOBAL__N_121softmax_warp_backwardIfffLi8ELb0ELb0ELi64EEEvPT0_PKT_S5_iiiPKb: ; @_ZN12_GLOBAL__N_121softmax_warp_backwardIfffLi8ELb0ELb0ELi64EEEvPT0_PKT_S5_iiiPKb
; %bb.0:
	s_clause 0x1
	s_load_dword s7, s[4:5], 0x3c
	s_load_dwordx4 s[0:3], s[4:5], 0x18
	v_and_b32_e32 v6, 63, v0
	s_clause 0x1
	s_load_dwordx4 s[8:11], s[4:5], 0x0
	s_load_dwordx2 s[4:5], s[4:5], 0x10
	v_mov_b32_e32 v9, 0
	s_waitcnt lgkmcnt(0)
	s_lshr_b32 s3, s7, 16
	v_cmp_gt_i32_e32 vcc_lo, s2, v6
	v_mad_u64_u32 v[1:2], null, s6, s3, v[1:2]
	v_mad_u64_u32 v[2:3], null, v1, s1, v[6:7]
	v_sub_nc_u32_e32 v8, s0, v1
	v_mov_b32_e32 v7, 0
	v_cmp_lt_i32_e64 s3, 0, v8
	v_ashrrev_i32_e32 v3, 31, v2
	s_and_b32 s1, s3, vcc_lo
	v_lshlrev_b64 v[0:1], 2, v[2:3]
	v_add_co_u32 v2, s0, s10, v0
	v_add_co_ci_u32_e64 v3, null, s11, v1, s0
	v_add_co_u32 v4, s0, s4, v0
	v_add_co_ci_u32_e64 v5, null, s5, v1, s0
	s_and_saveexec_b32 s0, s1
	s_cbranch_execz .LBB562_2
; %bb.1:
	global_load_dword v9, v[2:3], off
	global_load_dword v7, v[4:5], off
.LBB562_2:
	s_or_b32 exec_lo, exec_lo, s0
	v_or_b32_e32 v10, 64, v6
	v_cmp_gt_i32_e64 s0, s2, v10
	s_and_b32 s1, s3, s0
	s_xor_b32 s1, s1, -1
	s_and_saveexec_b32 s4, s1
	s_xor_b32 s1, exec_lo, s4
                                        ; implicit-def: $vgpr11
                                        ; implicit-def: $vgpr12
                                        ; implicit-def: $vgpr10
; %bb.3:
	s_mov_b32 s4, 0
                                        ; implicit-def: $vgpr11
                                        ; implicit-def: $vgpr10
	v_mov_b32_e32 v12, s4
; %bb.4:
	s_or_saveexec_b32 s1, s1
	v_mov_b32_e32 v13, 0
	s_xor_b32 exec_lo, exec_lo, s1
	s_cbranch_execz .LBB562_6
; %bb.5:
	global_load_dword v12, v[2:3], off offset:256
	global_load_dword v13, v[4:5], off offset:256
.LBB562_6:
	s_or_b32 exec_lo, exec_lo, s1
	v_or_b32_e32 v14, 0x80, v6
	v_cmp_gt_i32_e64 s1, s2, v14
	s_and_b32 s4, s3, s1
	s_xor_b32 s4, s4, -1
	s_and_saveexec_b32 s5, s4
	s_xor_b32 s4, exec_lo, s5
; %bb.7:
	s_mov_b32 s5, 0
	v_mov_b32_e32 v11, s5
; %bb.8:
	s_or_saveexec_b32 s4, s4
	v_mov_b32_e32 v14, 0
	s_xor_b32 exec_lo, exec_lo, s4
	s_cbranch_execz .LBB562_10
; %bb.9:
	global_load_dword v11, v[2:3], off offset:512
	global_load_dword v14, v[4:5], off offset:512
.LBB562_10:
	s_or_b32 exec_lo, exec_lo, s4
	v_or_b32_e32 v6, 0xc0, v6
	v_cmp_gt_i32_e64 s2, s2, v6
	s_and_b32 s3, s3, s2
	s_xor_b32 s3, s3, -1
	s_and_saveexec_b32 s4, s3
	s_xor_b32 s3, exec_lo, s4
; %bb.11:
	s_mov_b32 s4, 0
                                        ; implicit-def: $vgpr2_vgpr3
                                        ; implicit-def: $vgpr4_vgpr5
	v_mov_b32_e32 v10, s4
; %bb.12:
	s_or_saveexec_b32 s3, s3
	v_mov_b32_e32 v6, 0
	s_xor_b32 exec_lo, exec_lo, s3
	s_cbranch_execz .LBB562_14
; %bb.13:
	global_load_dword v10, v[2:3], off offset:768
	global_load_dword v6, v[4:5], off offset:768
.LBB562_14:
	s_or_b32 exec_lo, exec_lo, s3
	v_mbcnt_lo_u32_b32 v3, -1, 0
	s_waitcnt vmcnt(1)
	v_add_f32_e32 v2, 0, v9
	s_mov_b32 s4, exec_lo
	v_or_b32_e32 v4, 32, v3
	v_add_f32_e32 v2, v2, v12
	v_xor_b32_e32 v5, 16, v3
	v_cmp_gt_i32_e64 s3, 64, v4
	v_add_f32_e32 v2, v2, v11
	v_cndmask_b32_e64 v4, v3, v4, s3
	v_add_f32_e32 v2, v2, v10
	v_cmp_gt_i32_e64 s3, 64, v5
	v_lshlrev_b32_e32 v4, 2, v4
	v_cndmask_b32_e64 v5, v3, v5, s3
	ds_bpermute_b32 v4, v4, v2
	v_lshlrev_b32_e32 v5, 2, v5
	s_waitcnt lgkmcnt(0)
	v_add_f32_e32 v2, v2, v4
	ds_bpermute_b32 v4, v5, v2
	v_xor_b32_e32 v5, 8, v3
	v_cmp_gt_i32_e64 s3, 64, v5
	v_cndmask_b32_e64 v5, v3, v5, s3
	v_lshlrev_b32_e32 v5, 2, v5
	s_waitcnt lgkmcnt(0)
	v_add_f32_e32 v2, v2, v4
	ds_bpermute_b32 v4, v5, v2
	v_xor_b32_e32 v5, 4, v3
	v_cmp_gt_i32_e64 s3, 64, v5
	v_cndmask_b32_e64 v5, v3, v5, s3
	v_lshlrev_b32_e32 v5, 2, v5
	s_waitcnt lgkmcnt(0)
	v_add_f32_e32 v2, v2, v4
	ds_bpermute_b32 v4, v5, v2
	v_xor_b32_e32 v5, 2, v3
	v_cmp_gt_i32_e64 s3, 64, v5
	v_cndmask_b32_e64 v5, v3, v5, s3
	v_lshlrev_b32_e32 v5, 2, v5
	s_waitcnt lgkmcnt(0)
	v_add_f32_e32 v2, v2, v4
	ds_bpermute_b32 v4, v5, v2
	v_xor_b32_e32 v5, 1, v3
	v_cmp_gt_i32_e64 s3, 64, v5
	v_cndmask_b32_e64 v3, v3, v5, s3
	v_lshlrev_b32_e32 v3, 2, v3
	s_waitcnt lgkmcnt(0)
	v_add_f32_e32 v2, v2, v4
	ds_bpermute_b32 v3, v3, v2
	v_cmpx_lt_i32_e32 0, v8
	s_cbranch_execz .LBB562_20
; %bb.15:
	v_add_co_u32 v0, s3, s8, v0
	v_add_co_ci_u32_e64 v1, null, s9, v1, s3
	s_waitcnt lgkmcnt(0)
	v_add_f32_e32 v2, v2, v3
	s_and_saveexec_b32 s3, vcc_lo
	s_cbranch_execnz .LBB562_21
; %bb.16:
	s_or_b32 exec_lo, exec_lo, s3
	s_and_saveexec_b32 s3, s0
	s_cbranch_execnz .LBB562_22
.LBB562_17:
	s_or_b32 exec_lo, exec_lo, s3
	s_and_saveexec_b32 s0, s1
	s_cbranch_execnz .LBB562_23
.LBB562_18:
	s_or_b32 exec_lo, exec_lo, s0
	s_and_b32 exec_lo, exec_lo, s2
	s_cbranch_execz .LBB562_20
.LBB562_19:
	s_waitcnt vmcnt(0)
	v_fma_f32 v2, -v2, v6, v10
	global_store_dword v[0:1], v2, off offset:768
.LBB562_20:
	s_endpgm
.LBB562_21:
	s_waitcnt vmcnt(0)
	v_fma_f32 v3, -v2, v7, v9
	global_store_dword v[0:1], v3, off
	s_or_b32 exec_lo, exec_lo, s3
	s_and_saveexec_b32 s3, s0
	s_cbranch_execz .LBB562_17
.LBB562_22:
	s_waitcnt vmcnt(0)
	v_fma_f32 v3, -v2, v13, v12
	global_store_dword v[0:1], v3, off offset:256
	s_or_b32 exec_lo, exec_lo, s3
	s_and_saveexec_b32 s0, s1
	s_cbranch_execz .LBB562_18
.LBB562_23:
	s_waitcnt vmcnt(0)
	v_fma_f32 v3, -v2, v14, v11
	global_store_dword v[0:1], v3, off offset:512
	s_or_b32 exec_lo, exec_lo, s0
	s_and_b32 exec_lo, exec_lo, s2
	s_cbranch_execnz .LBB562_19
	s_branch .LBB562_20
	.section	.rodata,"a",@progbits
	.p2align	6, 0x0
	.amdhsa_kernel _ZN12_GLOBAL__N_121softmax_warp_backwardIfffLi8ELb0ELb0ELi64EEEvPT0_PKT_S5_iiiPKb
		.amdhsa_group_segment_fixed_size 0
		.amdhsa_private_segment_fixed_size 0
		.amdhsa_kernarg_size 304
		.amdhsa_user_sgpr_count 6
		.amdhsa_user_sgpr_private_segment_buffer 1
		.amdhsa_user_sgpr_dispatch_ptr 0
		.amdhsa_user_sgpr_queue_ptr 0
		.amdhsa_user_sgpr_kernarg_segment_ptr 1
		.amdhsa_user_sgpr_dispatch_id 0
		.amdhsa_user_sgpr_flat_scratch_init 0
		.amdhsa_user_sgpr_private_segment_size 0
		.amdhsa_wavefront_size32 1
		.amdhsa_uses_dynamic_stack 0
		.amdhsa_system_sgpr_private_segment_wavefront_offset 0
		.amdhsa_system_sgpr_workgroup_id_x 1
		.amdhsa_system_sgpr_workgroup_id_y 0
		.amdhsa_system_sgpr_workgroup_id_z 0
		.amdhsa_system_sgpr_workgroup_info 0
		.amdhsa_system_vgpr_workitem_id 1
		.amdhsa_next_free_vgpr 15
		.amdhsa_next_free_sgpr 12
		.amdhsa_reserve_vcc 1
		.amdhsa_reserve_flat_scratch 0
		.amdhsa_float_round_mode_32 0
		.amdhsa_float_round_mode_16_64 0
		.amdhsa_float_denorm_mode_32 3
		.amdhsa_float_denorm_mode_16_64 3
		.amdhsa_dx10_clamp 1
		.amdhsa_ieee_mode 1
		.amdhsa_fp16_overflow 0
		.amdhsa_workgroup_processor_mode 1
		.amdhsa_memory_ordered 1
		.amdhsa_forward_progress 1
		.amdhsa_shared_vgpr_count 0
		.amdhsa_exception_fp_ieee_invalid_op 0
		.amdhsa_exception_fp_denorm_src 0
		.amdhsa_exception_fp_ieee_div_zero 0
		.amdhsa_exception_fp_ieee_overflow 0
		.amdhsa_exception_fp_ieee_underflow 0
		.amdhsa_exception_fp_ieee_inexact 0
		.amdhsa_exception_int_div_zero 0
	.end_amdhsa_kernel
	.section	.text._ZN12_GLOBAL__N_121softmax_warp_backwardIfffLi8ELb0ELb0ELi64EEEvPT0_PKT_S5_iiiPKb,"axG",@progbits,_ZN12_GLOBAL__N_121softmax_warp_backwardIfffLi8ELb0ELb0ELi64EEEvPT0_PKT_S5_iiiPKb,comdat
.Lfunc_end562:
	.size	_ZN12_GLOBAL__N_121softmax_warp_backwardIfffLi8ELb0ELb0ELi64EEEvPT0_PKT_S5_iiiPKb, .Lfunc_end562-_ZN12_GLOBAL__N_121softmax_warp_backwardIfffLi8ELb0ELb0ELi64EEEvPT0_PKT_S5_iiiPKb
                                        ; -- End function
	.set _ZN12_GLOBAL__N_121softmax_warp_backwardIfffLi8ELb0ELb0ELi64EEEvPT0_PKT_S5_iiiPKb.num_vgpr, 15
	.set _ZN12_GLOBAL__N_121softmax_warp_backwardIfffLi8ELb0ELb0ELi64EEEvPT0_PKT_S5_iiiPKb.num_agpr, 0
	.set _ZN12_GLOBAL__N_121softmax_warp_backwardIfffLi8ELb0ELb0ELi64EEEvPT0_PKT_S5_iiiPKb.numbered_sgpr, 12
	.set _ZN12_GLOBAL__N_121softmax_warp_backwardIfffLi8ELb0ELb0ELi64EEEvPT0_PKT_S5_iiiPKb.num_named_barrier, 0
	.set _ZN12_GLOBAL__N_121softmax_warp_backwardIfffLi8ELb0ELb0ELi64EEEvPT0_PKT_S5_iiiPKb.private_seg_size, 0
	.set _ZN12_GLOBAL__N_121softmax_warp_backwardIfffLi8ELb0ELb0ELi64EEEvPT0_PKT_S5_iiiPKb.uses_vcc, 1
	.set _ZN12_GLOBAL__N_121softmax_warp_backwardIfffLi8ELb0ELb0ELi64EEEvPT0_PKT_S5_iiiPKb.uses_flat_scratch, 0
	.set _ZN12_GLOBAL__N_121softmax_warp_backwardIfffLi8ELb0ELb0ELi64EEEvPT0_PKT_S5_iiiPKb.has_dyn_sized_stack, 0
	.set _ZN12_GLOBAL__N_121softmax_warp_backwardIfffLi8ELb0ELb0ELi64EEEvPT0_PKT_S5_iiiPKb.has_recursion, 0
	.set _ZN12_GLOBAL__N_121softmax_warp_backwardIfffLi8ELb0ELb0ELi64EEEvPT0_PKT_S5_iiiPKb.has_indirect_call, 0
	.section	.AMDGPU.csdata,"",@progbits
; Kernel info:
; codeLenInByte = 856
; TotalNumSgprs: 14
; NumVgprs: 15
; ScratchSize: 0
; MemoryBound: 0
; FloatMode: 240
; IeeeMode: 1
; LDSByteSize: 0 bytes/workgroup (compile time only)
; SGPRBlocks: 0
; VGPRBlocks: 1
; NumSGPRsForWavesPerEU: 14
; NumVGPRsForWavesPerEU: 15
; Occupancy: 16
; WaveLimiterHint : 0
; COMPUTE_PGM_RSRC2:SCRATCH_EN: 0
; COMPUTE_PGM_RSRC2:USER_SGPR: 6
; COMPUTE_PGM_RSRC2:TRAP_HANDLER: 0
; COMPUTE_PGM_RSRC2:TGID_X_EN: 1
; COMPUTE_PGM_RSRC2:TGID_Y_EN: 0
; COMPUTE_PGM_RSRC2:TGID_Z_EN: 0
; COMPUTE_PGM_RSRC2:TIDIG_COMP_CNT: 1
	.section	.text._ZN12_GLOBAL__N_121softmax_warp_backwardIfffLi8ELb0ELb0ELi32EEEvPT0_PKT_S5_iiiPKb,"axG",@progbits,_ZN12_GLOBAL__N_121softmax_warp_backwardIfffLi8ELb0ELb0ELi32EEEvPT0_PKT_S5_iiiPKb,comdat
	.globl	_ZN12_GLOBAL__N_121softmax_warp_backwardIfffLi8ELb0ELb0ELi32EEEvPT0_PKT_S5_iiiPKb ; -- Begin function _ZN12_GLOBAL__N_121softmax_warp_backwardIfffLi8ELb0ELb0ELi32EEEvPT0_PKT_S5_iiiPKb
	.p2align	8
	.type	_ZN12_GLOBAL__N_121softmax_warp_backwardIfffLi8ELb0ELb0ELi32EEEvPT0_PKT_S5_iiiPKb,@function
_ZN12_GLOBAL__N_121softmax_warp_backwardIfffLi8ELb0ELb0ELi32EEEvPT0_PKT_S5_iiiPKb: ; @_ZN12_GLOBAL__N_121softmax_warp_backwardIfffLi8ELb0ELb0ELi32EEEvPT0_PKT_S5_iiiPKb
; %bb.0:
	s_clause 0x1
	s_load_dword s0, s[4:5], 0x3c
	s_load_dwordx4 s[12:15], s[4:5], 0x18
	v_and_b32_e32 v6, 31, v0
	s_clause 0x1
	s_load_dwordx4 s[8:11], s[4:5], 0x0
	s_load_dwordx2 s[4:5], s[4:5], 0x10
	v_mov_b32_e32 v10, 0
	v_mov_b32_e32 v13, 0
	s_waitcnt lgkmcnt(0)
	s_lshr_b32 s0, s0, 16
	v_cmp_gt_i32_e32 vcc_lo, s14, v6
	v_mad_u64_u32 v[1:2], null, s6, s0, v[1:2]
	v_mad_u64_u32 v[2:3], null, v1, s13, v[6:7]
	v_sub_nc_u32_e32 v11, s12, v1
	v_cmp_lt_i32_e64 s3, 0, v11
	v_ashrrev_i32_e32 v3, 31, v2
	s_and_b32 s1, s3, vcc_lo
	v_lshlrev_b64 v[0:1], 2, v[2:3]
	v_add_co_u32 v2, s0, s10, v0
	v_add_co_ci_u32_e64 v3, null, s11, v1, s0
	v_add_co_u32 v4, s0, s4, v0
	v_add_co_ci_u32_e64 v5, null, s5, v1, s0
	s_and_saveexec_b32 s0, s1
	s_cbranch_execz .LBB563_2
; %bb.1:
	global_load_dword v13, v[2:3], off
	global_load_dword v10, v[4:5], off
.LBB563_2:
	s_or_b32 exec_lo, exec_lo, s0
	v_or_b32_e32 v7, 32, v6
	v_cmp_gt_i32_e64 s0, s14, v7
	s_and_b32 s1, s3, s0
	s_xor_b32 s1, s1, -1
	s_and_saveexec_b32 s2, s1
	s_xor_b32 s1, exec_lo, s2
                                        ; implicit-def: $vgpr7
                                        ; implicit-def: $vgpr9
                                        ; implicit-def: $vgpr12
                                        ; implicit-def: $vgpr14
                                        ; implicit-def: $vgpr15
                                        ; implicit-def: $vgpr16
                                        ; implicit-def: $vgpr8
; %bb.3:
	s_mov_b32 s2, 0
                                        ; implicit-def: $vgpr7
                                        ; implicit-def: $vgpr9
                                        ; implicit-def: $vgpr12
                                        ; implicit-def: $vgpr14
                                        ; implicit-def: $vgpr15
                                        ; implicit-def: $vgpr8
	v_mov_b32_e32 v16, s2
; %bb.4:
	s_or_saveexec_b32 s1, s1
	v_mov_b32_e32 v17, 0
	s_xor_b32 exec_lo, exec_lo, s1
	s_cbranch_execz .LBB563_6
; %bb.5:
	global_load_dword v16, v[2:3], off offset:128
	global_load_dword v17, v[4:5], off offset:128
.LBB563_6:
	s_or_b32 exec_lo, exec_lo, s1
	v_or_b32_e32 v18, 64, v6
	v_cmp_gt_i32_e64 s1, s14, v18
	s_and_b32 s2, s3, s1
	s_xor_b32 s2, s2, -1
	s_and_saveexec_b32 s4, s2
	s_xor_b32 s2, exec_lo, s4
; %bb.7:
	s_mov_b32 s4, 0
	v_mov_b32_e32 v15, s4
; %bb.8:
	s_or_saveexec_b32 s2, s2
	v_mov_b32_e32 v18, 0
	s_xor_b32 exec_lo, exec_lo, s2
	s_cbranch_execz .LBB563_10
; %bb.9:
	global_load_dword v15, v[2:3], off offset:256
	global_load_dword v18, v[4:5], off offset:256
.LBB563_10:
	s_or_b32 exec_lo, exec_lo, s2
	v_or_b32_e32 v19, 0x60, v6
	v_cmp_gt_i32_e64 s2, s14, v19
	s_and_b32 s4, s3, s2
	s_xor_b32 s4, s4, -1
	s_and_saveexec_b32 s5, s4
	s_xor_b32 s4, exec_lo, s5
; %bb.11:
	s_mov_b32 s5, 0
	;; [unrolled: 19-line block ×6, first 2 shown]
                                        ; implicit-def: $vgpr2_vgpr3
                                        ; implicit-def: $vgpr4_vgpr5
	v_mov_b32_e32 v8, s10
; %bb.28:
	s_or_saveexec_b32 s3, s3
	v_mov_b32_e32 v6, 0
	s_xor_b32 exec_lo, exec_lo, s3
	s_cbranch_execz .LBB563_30
; %bb.29:
	global_load_dword v8, v[2:3], off offset:896
	global_load_dword v6, v[4:5], off offset:896
.LBB563_30:
	s_or_b32 exec_lo, exec_lo, s3
	s_waitcnt vmcnt(1)
	v_add_f32_e32 v2, 0, v13
	v_mbcnt_lo_u32_b32 v3, -1, 0
	s_mov_b32 s10, exec_lo
	v_add_f32_e32 v2, v2, v16
	v_xor_b32_e32 v4, 16, v3
	v_xor_b32_e32 v5, 8, v3
	v_add_f32_e32 v2, v2, v15
	v_cmp_gt_i32_e64 s3, 32, v4
	v_add_f32_e32 v2, v2, v14
	v_cndmask_b32_e64 v4, v3, v4, s3
	v_cmp_gt_i32_e64 s3, 32, v5
	v_add_f32_e32 v2, v2, v12
	v_lshlrev_b32_e32 v4, 2, v4
	v_cndmask_b32_e64 v5, v3, v5, s3
	v_add_f32_e32 v2, v2, v9
	v_lshlrev_b32_e32 v5, 2, v5
	v_add_f32_e32 v2, v2, v7
	v_add_f32_e32 v2, v2, v8
	ds_bpermute_b32 v4, v4, v2
	s_waitcnt lgkmcnt(0)
	v_add_f32_e32 v2, v2, v4
	ds_bpermute_b32 v4, v5, v2
	v_xor_b32_e32 v5, 4, v3
	v_cmp_gt_i32_e64 s3, 32, v5
	v_cndmask_b32_e64 v5, v3, v5, s3
	v_lshlrev_b32_e32 v5, 2, v5
	s_waitcnt lgkmcnt(0)
	v_add_f32_e32 v2, v2, v4
	ds_bpermute_b32 v4, v5, v2
	v_xor_b32_e32 v5, 2, v3
	v_cmp_gt_i32_e64 s3, 32, v5
	v_cndmask_b32_e64 v5, v3, v5, s3
	v_lshlrev_b32_e32 v5, 2, v5
	;; [unrolled: 7-line block ×3, first 2 shown]
	s_waitcnt lgkmcnt(0)
	v_add_f32_e32 v2, v2, v4
	ds_bpermute_b32 v3, v3, v2
	v_cmpx_lt_i32_e32 0, v11
	s_cbranch_execz .LBB563_40
; %bb.31:
	v_add_co_u32 v0, s3, s8, v0
	v_add_co_ci_u32_e64 v1, null, s9, v1, s3
	s_waitcnt lgkmcnt(0)
	v_add_f32_e32 v2, v2, v3
	s_and_saveexec_b32 s3, vcc_lo
	s_cbranch_execnz .LBB563_41
; %bb.32:
	s_or_b32 exec_lo, exec_lo, s3
	s_and_saveexec_b32 s3, s0
	s_cbranch_execnz .LBB563_42
.LBB563_33:
	s_or_b32 exec_lo, exec_lo, s3
	s_and_saveexec_b32 s0, s1
	s_cbranch_execnz .LBB563_43
.LBB563_34:
	s_or_b32 exec_lo, exec_lo, s0
	s_and_saveexec_b32 s0, s2
	s_cbranch_execnz .LBB563_44
.LBB563_35:
	s_or_b32 exec_lo, exec_lo, s0
	s_and_saveexec_b32 s0, s4
	s_cbranch_execnz .LBB563_45
.LBB563_36:
	s_or_b32 exec_lo, exec_lo, s0
	s_and_saveexec_b32 s0, s5
	s_cbranch_execnz .LBB563_46
.LBB563_37:
	s_or_b32 exec_lo, exec_lo, s0
	s_and_saveexec_b32 s0, s6
	s_cbranch_execnz .LBB563_47
.LBB563_38:
	s_or_b32 exec_lo, exec_lo, s0
	s_and_b32 exec_lo, exec_lo, s7
	s_cbranch_execz .LBB563_40
.LBB563_39:
	s_waitcnt vmcnt(0)
	v_fma_f32 v2, -v2, v6, v8
	global_store_dword v[0:1], v2, off offset:896
.LBB563_40:
	s_endpgm
.LBB563_41:
	s_waitcnt vmcnt(0)
	v_fma_f32 v3, -v2, v10, v13
	global_store_dword v[0:1], v3, off
	s_or_b32 exec_lo, exec_lo, s3
	s_and_saveexec_b32 s3, s0
	s_cbranch_execz .LBB563_33
.LBB563_42:
	s_waitcnt vmcnt(0)
	v_fma_f32 v3, -v2, v17, v16
	global_store_dword v[0:1], v3, off offset:128
	s_or_b32 exec_lo, exec_lo, s3
	s_and_saveexec_b32 s0, s1
	s_cbranch_execz .LBB563_34
.LBB563_43:
	s_waitcnt vmcnt(0)
	v_fma_f32 v3, -v2, v18, v15
	global_store_dword v[0:1], v3, off offset:256
	s_or_b32 exec_lo, exec_lo, s0
	s_and_saveexec_b32 s0, s2
	s_cbranch_execz .LBB563_35
.LBB563_44:
	s_waitcnt vmcnt(0)
	v_fma_f32 v3, -v2, v19, v14
	global_store_dword v[0:1], v3, off offset:384
	s_or_b32 exec_lo, exec_lo, s0
	s_and_saveexec_b32 s0, s4
	s_cbranch_execz .LBB563_36
.LBB563_45:
	s_waitcnt vmcnt(0)
	v_fma_f32 v3, -v2, v20, v12
	global_store_dword v[0:1], v3, off offset:512
	s_or_b32 exec_lo, exec_lo, s0
	s_and_saveexec_b32 s0, s5
	s_cbranch_execz .LBB563_37
.LBB563_46:
	s_waitcnt vmcnt(0)
	v_fma_f32 v3, -v2, v21, v9
	global_store_dword v[0:1], v3, off offset:640
	s_or_b32 exec_lo, exec_lo, s0
	s_and_saveexec_b32 s0, s6
	s_cbranch_execz .LBB563_38
.LBB563_47:
	s_waitcnt vmcnt(0)
	v_fma_f32 v3, -v2, v22, v7
	global_store_dword v[0:1], v3, off offset:768
	s_or_b32 exec_lo, exec_lo, s0
	s_and_b32 exec_lo, exec_lo, s7
	s_cbranch_execnz .LBB563_39
	s_branch .LBB563_40
	.section	.rodata,"a",@progbits
	.p2align	6, 0x0
	.amdhsa_kernel _ZN12_GLOBAL__N_121softmax_warp_backwardIfffLi8ELb0ELb0ELi32EEEvPT0_PKT_S5_iiiPKb
		.amdhsa_group_segment_fixed_size 0
		.amdhsa_private_segment_fixed_size 0
		.amdhsa_kernarg_size 304
		.amdhsa_user_sgpr_count 6
		.amdhsa_user_sgpr_private_segment_buffer 1
		.amdhsa_user_sgpr_dispatch_ptr 0
		.amdhsa_user_sgpr_queue_ptr 0
		.amdhsa_user_sgpr_kernarg_segment_ptr 1
		.amdhsa_user_sgpr_dispatch_id 0
		.amdhsa_user_sgpr_flat_scratch_init 0
		.amdhsa_user_sgpr_private_segment_size 0
		.amdhsa_wavefront_size32 1
		.amdhsa_uses_dynamic_stack 0
		.amdhsa_system_sgpr_private_segment_wavefront_offset 0
		.amdhsa_system_sgpr_workgroup_id_x 1
		.amdhsa_system_sgpr_workgroup_id_y 0
		.amdhsa_system_sgpr_workgroup_id_z 0
		.amdhsa_system_sgpr_workgroup_info 0
		.amdhsa_system_vgpr_workitem_id 1
		.amdhsa_next_free_vgpr 23
		.amdhsa_next_free_sgpr 16
		.amdhsa_reserve_vcc 1
		.amdhsa_reserve_flat_scratch 0
		.amdhsa_float_round_mode_32 0
		.amdhsa_float_round_mode_16_64 0
		.amdhsa_float_denorm_mode_32 3
		.amdhsa_float_denorm_mode_16_64 3
		.amdhsa_dx10_clamp 1
		.amdhsa_ieee_mode 1
		.amdhsa_fp16_overflow 0
		.amdhsa_workgroup_processor_mode 1
		.amdhsa_memory_ordered 1
		.amdhsa_forward_progress 1
		.amdhsa_shared_vgpr_count 0
		.amdhsa_exception_fp_ieee_invalid_op 0
		.amdhsa_exception_fp_denorm_src 0
		.amdhsa_exception_fp_ieee_div_zero 0
		.amdhsa_exception_fp_ieee_overflow 0
		.amdhsa_exception_fp_ieee_underflow 0
		.amdhsa_exception_fp_ieee_inexact 0
		.amdhsa_exception_int_div_zero 0
	.end_amdhsa_kernel
	.section	.text._ZN12_GLOBAL__N_121softmax_warp_backwardIfffLi8ELb0ELb0ELi32EEEvPT0_PKT_S5_iiiPKb,"axG",@progbits,_ZN12_GLOBAL__N_121softmax_warp_backwardIfffLi8ELb0ELb0ELi32EEEvPT0_PKT_S5_iiiPKb,comdat
.Lfunc_end563:
	.size	_ZN12_GLOBAL__N_121softmax_warp_backwardIfffLi8ELb0ELb0ELi32EEEvPT0_PKT_S5_iiiPKb, .Lfunc_end563-_ZN12_GLOBAL__N_121softmax_warp_backwardIfffLi8ELb0ELb0ELi32EEEvPT0_PKT_S5_iiiPKb
                                        ; -- End function
	.set _ZN12_GLOBAL__N_121softmax_warp_backwardIfffLi8ELb0ELb0ELi32EEEvPT0_PKT_S5_iiiPKb.num_vgpr, 23
	.set _ZN12_GLOBAL__N_121softmax_warp_backwardIfffLi8ELb0ELb0ELi32EEEvPT0_PKT_S5_iiiPKb.num_agpr, 0
	.set _ZN12_GLOBAL__N_121softmax_warp_backwardIfffLi8ELb0ELb0ELi32EEEvPT0_PKT_S5_iiiPKb.numbered_sgpr, 16
	.set _ZN12_GLOBAL__N_121softmax_warp_backwardIfffLi8ELb0ELb0ELi32EEEvPT0_PKT_S5_iiiPKb.num_named_barrier, 0
	.set _ZN12_GLOBAL__N_121softmax_warp_backwardIfffLi8ELb0ELb0ELi32EEEvPT0_PKT_S5_iiiPKb.private_seg_size, 0
	.set _ZN12_GLOBAL__N_121softmax_warp_backwardIfffLi8ELb0ELb0ELi32EEEvPT0_PKT_S5_iiiPKb.uses_vcc, 1
	.set _ZN12_GLOBAL__N_121softmax_warp_backwardIfffLi8ELb0ELb0ELi32EEEvPT0_PKT_S5_iiiPKb.uses_flat_scratch, 0
	.set _ZN12_GLOBAL__N_121softmax_warp_backwardIfffLi8ELb0ELb0ELi32EEEvPT0_PKT_S5_iiiPKb.has_dyn_sized_stack, 0
	.set _ZN12_GLOBAL__N_121softmax_warp_backwardIfffLi8ELb0ELb0ELi32EEEvPT0_PKT_S5_iiiPKb.has_recursion, 0
	.set _ZN12_GLOBAL__N_121softmax_warp_backwardIfffLi8ELb0ELb0ELi32EEEvPT0_PKT_S5_iiiPKb.has_indirect_call, 0
	.section	.AMDGPU.csdata,"",@progbits
; Kernel info:
; codeLenInByte = 1308
; TotalNumSgprs: 18
; NumVgprs: 23
; ScratchSize: 0
; MemoryBound: 0
; FloatMode: 240
; IeeeMode: 1
; LDSByteSize: 0 bytes/workgroup (compile time only)
; SGPRBlocks: 0
; VGPRBlocks: 2
; NumSGPRsForWavesPerEU: 18
; NumVGPRsForWavesPerEU: 23
; Occupancy: 16
; WaveLimiterHint : 0
; COMPUTE_PGM_RSRC2:SCRATCH_EN: 0
; COMPUTE_PGM_RSRC2:USER_SGPR: 6
; COMPUTE_PGM_RSRC2:TRAP_HANDLER: 0
; COMPUTE_PGM_RSRC2:TGID_X_EN: 1
; COMPUTE_PGM_RSRC2:TGID_Y_EN: 0
; COMPUTE_PGM_RSRC2:TGID_Z_EN: 0
; COMPUTE_PGM_RSRC2:TIDIG_COMP_CNT: 1
	.section	.text._ZN12_GLOBAL__N_121softmax_warp_backwardIfffLi9ELb0ELb0ELi64EEEvPT0_PKT_S5_iiiPKb,"axG",@progbits,_ZN12_GLOBAL__N_121softmax_warp_backwardIfffLi9ELb0ELb0ELi64EEEvPT0_PKT_S5_iiiPKb,comdat
	.globl	_ZN12_GLOBAL__N_121softmax_warp_backwardIfffLi9ELb0ELb0ELi64EEEvPT0_PKT_S5_iiiPKb ; -- Begin function _ZN12_GLOBAL__N_121softmax_warp_backwardIfffLi9ELb0ELb0ELi64EEEvPT0_PKT_S5_iiiPKb
	.p2align	8
	.type	_ZN12_GLOBAL__N_121softmax_warp_backwardIfffLi9ELb0ELb0ELi64EEEvPT0_PKT_S5_iiiPKb,@function
_ZN12_GLOBAL__N_121softmax_warp_backwardIfffLi9ELb0ELb0ELi64EEEvPT0_PKT_S5_iiiPKb: ; @_ZN12_GLOBAL__N_121softmax_warp_backwardIfffLi9ELb0ELb0ELi64EEEvPT0_PKT_S5_iiiPKb
; %bb.0:
	s_clause 0x1
	s_load_dword s0, s[4:5], 0x3c
	s_load_dwordx4 s[12:15], s[4:5], 0x18
	v_and_b32_e32 v6, 63, v0
	s_clause 0x1
	s_load_dwordx4 s[8:11], s[4:5], 0x0
	s_load_dwordx2 s[4:5], s[4:5], 0x10
	v_mov_b32_e32 v10, 0
	v_mov_b32_e32 v13, 0
	s_waitcnt lgkmcnt(0)
	s_lshr_b32 s0, s0, 16
	v_cmp_gt_i32_e32 vcc_lo, s14, v6
	v_mad_u64_u32 v[1:2], null, s6, s0, v[1:2]
	v_mad_u64_u32 v[2:3], null, v1, s13, v[6:7]
	v_sub_nc_u32_e32 v11, s12, v1
	v_cmp_lt_i32_e64 s3, 0, v11
	v_ashrrev_i32_e32 v3, 31, v2
	s_and_b32 s1, s3, vcc_lo
	v_lshlrev_b64 v[0:1], 2, v[2:3]
	v_add_co_u32 v2, s0, s10, v0
	v_add_co_ci_u32_e64 v3, null, s11, v1, s0
	v_add_co_u32 v4, s0, s4, v0
	v_add_co_ci_u32_e64 v5, null, s5, v1, s0
	s_and_saveexec_b32 s0, s1
	s_cbranch_execz .LBB564_2
; %bb.1:
	global_load_dword v13, v[2:3], off
	global_load_dword v10, v[4:5], off
.LBB564_2:
	s_or_b32 exec_lo, exec_lo, s0
	v_or_b32_e32 v7, 64, v6
	v_cmp_gt_i32_e64 s0, s14, v7
	s_and_b32 s1, s3, s0
	s_xor_b32 s1, s1, -1
	s_and_saveexec_b32 s2, s1
	s_xor_b32 s1, exec_lo, s2
                                        ; implicit-def: $vgpr7
                                        ; implicit-def: $vgpr9
                                        ; implicit-def: $vgpr12
                                        ; implicit-def: $vgpr14
                                        ; implicit-def: $vgpr15
                                        ; implicit-def: $vgpr16
                                        ; implicit-def: $vgpr8
; %bb.3:
	s_mov_b32 s2, 0
                                        ; implicit-def: $vgpr7
                                        ; implicit-def: $vgpr9
                                        ; implicit-def: $vgpr12
                                        ; implicit-def: $vgpr14
                                        ; implicit-def: $vgpr15
                                        ; implicit-def: $vgpr8
	v_mov_b32_e32 v16, s2
; %bb.4:
	s_or_saveexec_b32 s1, s1
	v_mov_b32_e32 v17, 0
	s_xor_b32 exec_lo, exec_lo, s1
	s_cbranch_execz .LBB564_6
; %bb.5:
	global_load_dword v16, v[2:3], off offset:256
	global_load_dword v17, v[4:5], off offset:256
.LBB564_6:
	s_or_b32 exec_lo, exec_lo, s1
	v_or_b32_e32 v18, 0x80, v6
	v_cmp_gt_i32_e64 s1, s14, v18
	s_and_b32 s2, s3, s1
	s_xor_b32 s2, s2, -1
	s_and_saveexec_b32 s4, s2
	s_xor_b32 s2, exec_lo, s4
; %bb.7:
	s_mov_b32 s4, 0
	v_mov_b32_e32 v15, s4
; %bb.8:
	s_or_saveexec_b32 s2, s2
	v_mov_b32_e32 v18, 0
	s_xor_b32 exec_lo, exec_lo, s2
	s_cbranch_execz .LBB564_10
; %bb.9:
	global_load_dword v15, v[2:3], off offset:512
	global_load_dword v18, v[4:5], off offset:512
.LBB564_10:
	s_or_b32 exec_lo, exec_lo, s2
	v_or_b32_e32 v19, 0xc0, v6
	v_cmp_gt_i32_e64 s2, s14, v19
	s_and_b32 s4, s3, s2
	s_xor_b32 s4, s4, -1
	s_and_saveexec_b32 s5, s4
	s_xor_b32 s4, exec_lo, s5
; %bb.11:
	s_mov_b32 s5, 0
	;; [unrolled: 19-line block ×6, first 2 shown]
                                        ; implicit-def: $vgpr2_vgpr3
                                        ; implicit-def: $vgpr4_vgpr5
	v_mov_b32_e32 v8, s10
; %bb.28:
	s_or_saveexec_b32 s3, s3
	v_mov_b32_e32 v6, 0
	s_xor_b32 exec_lo, exec_lo, s3
	s_cbranch_execz .LBB564_30
; %bb.29:
	global_load_dword v8, v[2:3], off offset:1792
	global_load_dword v6, v[4:5], off offset:1792
.LBB564_30:
	s_or_b32 exec_lo, exec_lo, s3
	s_waitcnt vmcnt(1)
	v_add_f32_e32 v2, 0, v13
	v_mbcnt_lo_u32_b32 v3, -1, 0
	s_mov_b32 s10, exec_lo
	v_add_f32_e32 v2, v2, v16
	v_or_b32_e32 v4, 32, v3
	v_xor_b32_e32 v5, 16, v3
	v_add_f32_e32 v2, v2, v15
	v_cmp_gt_i32_e64 s3, 64, v4
	v_add_f32_e32 v2, v2, v14
	v_cndmask_b32_e64 v4, v3, v4, s3
	v_cmp_gt_i32_e64 s3, 64, v5
	v_add_f32_e32 v2, v2, v12
	v_lshlrev_b32_e32 v4, 2, v4
	v_cndmask_b32_e64 v5, v3, v5, s3
	v_add_f32_e32 v2, v2, v9
	v_lshlrev_b32_e32 v5, 2, v5
	v_add_f32_e32 v2, v2, v7
	v_add_f32_e32 v2, v2, v8
	ds_bpermute_b32 v4, v4, v2
	s_waitcnt lgkmcnt(0)
	v_add_f32_e32 v2, v2, v4
	ds_bpermute_b32 v4, v5, v2
	v_xor_b32_e32 v5, 8, v3
	v_cmp_gt_i32_e64 s3, 64, v5
	v_cndmask_b32_e64 v5, v3, v5, s3
	v_lshlrev_b32_e32 v5, 2, v5
	s_waitcnt lgkmcnt(0)
	v_add_f32_e32 v2, v2, v4
	ds_bpermute_b32 v4, v5, v2
	v_xor_b32_e32 v5, 4, v3
	v_cmp_gt_i32_e64 s3, 64, v5
	v_cndmask_b32_e64 v5, v3, v5, s3
	v_lshlrev_b32_e32 v5, 2, v5
	;; [unrolled: 7-line block ×4, first 2 shown]
	s_waitcnt lgkmcnt(0)
	v_add_f32_e32 v2, v2, v4
	ds_bpermute_b32 v3, v3, v2
	v_cmpx_lt_i32_e32 0, v11
	s_cbranch_execz .LBB564_40
; %bb.31:
	v_add_co_u32 v0, s3, s8, v0
	v_add_co_ci_u32_e64 v1, null, s9, v1, s3
	s_waitcnt lgkmcnt(0)
	v_add_f32_e32 v2, v2, v3
	s_and_saveexec_b32 s3, vcc_lo
	s_cbranch_execnz .LBB564_41
; %bb.32:
	s_or_b32 exec_lo, exec_lo, s3
	s_and_saveexec_b32 s3, s0
	s_cbranch_execnz .LBB564_42
.LBB564_33:
	s_or_b32 exec_lo, exec_lo, s3
	s_and_saveexec_b32 s0, s1
	s_cbranch_execnz .LBB564_43
.LBB564_34:
	s_or_b32 exec_lo, exec_lo, s0
	s_and_saveexec_b32 s0, s2
	s_cbranch_execnz .LBB564_44
.LBB564_35:
	s_or_b32 exec_lo, exec_lo, s0
	s_and_saveexec_b32 s0, s4
	s_cbranch_execnz .LBB564_45
.LBB564_36:
	s_or_b32 exec_lo, exec_lo, s0
	s_and_saveexec_b32 s0, s5
	s_cbranch_execnz .LBB564_46
.LBB564_37:
	s_or_b32 exec_lo, exec_lo, s0
	s_and_saveexec_b32 s0, s6
	s_cbranch_execnz .LBB564_47
.LBB564_38:
	s_or_b32 exec_lo, exec_lo, s0
	s_and_b32 exec_lo, exec_lo, s7
	s_cbranch_execz .LBB564_40
.LBB564_39:
	s_waitcnt vmcnt(0)
	v_fma_f32 v2, -v2, v6, v8
	global_store_dword v[0:1], v2, off offset:1792
.LBB564_40:
	s_endpgm
.LBB564_41:
	s_waitcnt vmcnt(0)
	v_fma_f32 v3, -v2, v10, v13
	global_store_dword v[0:1], v3, off
	s_or_b32 exec_lo, exec_lo, s3
	s_and_saveexec_b32 s3, s0
	s_cbranch_execz .LBB564_33
.LBB564_42:
	s_waitcnt vmcnt(0)
	v_fma_f32 v3, -v2, v17, v16
	global_store_dword v[0:1], v3, off offset:256
	s_or_b32 exec_lo, exec_lo, s3
	s_and_saveexec_b32 s0, s1
	s_cbranch_execz .LBB564_34
.LBB564_43:
	s_waitcnt vmcnt(0)
	v_fma_f32 v3, -v2, v18, v15
	global_store_dword v[0:1], v3, off offset:512
	s_or_b32 exec_lo, exec_lo, s0
	s_and_saveexec_b32 s0, s2
	s_cbranch_execz .LBB564_35
.LBB564_44:
	s_waitcnt vmcnt(0)
	v_fma_f32 v3, -v2, v19, v14
	global_store_dword v[0:1], v3, off offset:768
	s_or_b32 exec_lo, exec_lo, s0
	s_and_saveexec_b32 s0, s4
	s_cbranch_execz .LBB564_36
.LBB564_45:
	s_waitcnt vmcnt(0)
	v_fma_f32 v3, -v2, v20, v12
	global_store_dword v[0:1], v3, off offset:1024
	s_or_b32 exec_lo, exec_lo, s0
	s_and_saveexec_b32 s0, s5
	s_cbranch_execz .LBB564_37
.LBB564_46:
	s_waitcnt vmcnt(0)
	v_fma_f32 v3, -v2, v21, v9
	global_store_dword v[0:1], v3, off offset:1280
	s_or_b32 exec_lo, exec_lo, s0
	s_and_saveexec_b32 s0, s6
	s_cbranch_execz .LBB564_38
.LBB564_47:
	s_waitcnt vmcnt(0)
	v_fma_f32 v3, -v2, v22, v7
	global_store_dword v[0:1], v3, off offset:1536
	s_or_b32 exec_lo, exec_lo, s0
	s_and_b32 exec_lo, exec_lo, s7
	s_cbranch_execnz .LBB564_39
	s_branch .LBB564_40
	.section	.rodata,"a",@progbits
	.p2align	6, 0x0
	.amdhsa_kernel _ZN12_GLOBAL__N_121softmax_warp_backwardIfffLi9ELb0ELb0ELi64EEEvPT0_PKT_S5_iiiPKb
		.amdhsa_group_segment_fixed_size 0
		.amdhsa_private_segment_fixed_size 0
		.amdhsa_kernarg_size 304
		.amdhsa_user_sgpr_count 6
		.amdhsa_user_sgpr_private_segment_buffer 1
		.amdhsa_user_sgpr_dispatch_ptr 0
		.amdhsa_user_sgpr_queue_ptr 0
		.amdhsa_user_sgpr_kernarg_segment_ptr 1
		.amdhsa_user_sgpr_dispatch_id 0
		.amdhsa_user_sgpr_flat_scratch_init 0
		.amdhsa_user_sgpr_private_segment_size 0
		.amdhsa_wavefront_size32 1
		.amdhsa_uses_dynamic_stack 0
		.amdhsa_system_sgpr_private_segment_wavefront_offset 0
		.amdhsa_system_sgpr_workgroup_id_x 1
		.amdhsa_system_sgpr_workgroup_id_y 0
		.amdhsa_system_sgpr_workgroup_id_z 0
		.amdhsa_system_sgpr_workgroup_info 0
		.amdhsa_system_vgpr_workitem_id 1
		.amdhsa_next_free_vgpr 23
		.amdhsa_next_free_sgpr 16
		.amdhsa_reserve_vcc 1
		.amdhsa_reserve_flat_scratch 0
		.amdhsa_float_round_mode_32 0
		.amdhsa_float_round_mode_16_64 0
		.amdhsa_float_denorm_mode_32 3
		.amdhsa_float_denorm_mode_16_64 3
		.amdhsa_dx10_clamp 1
		.amdhsa_ieee_mode 1
		.amdhsa_fp16_overflow 0
		.amdhsa_workgroup_processor_mode 1
		.amdhsa_memory_ordered 1
		.amdhsa_forward_progress 1
		.amdhsa_shared_vgpr_count 0
		.amdhsa_exception_fp_ieee_invalid_op 0
		.amdhsa_exception_fp_denorm_src 0
		.amdhsa_exception_fp_ieee_div_zero 0
		.amdhsa_exception_fp_ieee_overflow 0
		.amdhsa_exception_fp_ieee_underflow 0
		.amdhsa_exception_fp_ieee_inexact 0
		.amdhsa_exception_int_div_zero 0
	.end_amdhsa_kernel
	.section	.text._ZN12_GLOBAL__N_121softmax_warp_backwardIfffLi9ELb0ELb0ELi64EEEvPT0_PKT_S5_iiiPKb,"axG",@progbits,_ZN12_GLOBAL__N_121softmax_warp_backwardIfffLi9ELb0ELb0ELi64EEEvPT0_PKT_S5_iiiPKb,comdat
.Lfunc_end564:
	.size	_ZN12_GLOBAL__N_121softmax_warp_backwardIfffLi9ELb0ELb0ELi64EEEvPT0_PKT_S5_iiiPKb, .Lfunc_end564-_ZN12_GLOBAL__N_121softmax_warp_backwardIfffLi9ELb0ELb0ELi64EEEvPT0_PKT_S5_iiiPKb
                                        ; -- End function
	.set _ZN12_GLOBAL__N_121softmax_warp_backwardIfffLi9ELb0ELb0ELi64EEEvPT0_PKT_S5_iiiPKb.num_vgpr, 23
	.set _ZN12_GLOBAL__N_121softmax_warp_backwardIfffLi9ELb0ELb0ELi64EEEvPT0_PKT_S5_iiiPKb.num_agpr, 0
	.set _ZN12_GLOBAL__N_121softmax_warp_backwardIfffLi9ELb0ELb0ELi64EEEvPT0_PKT_S5_iiiPKb.numbered_sgpr, 16
	.set _ZN12_GLOBAL__N_121softmax_warp_backwardIfffLi9ELb0ELb0ELi64EEEvPT0_PKT_S5_iiiPKb.num_named_barrier, 0
	.set _ZN12_GLOBAL__N_121softmax_warp_backwardIfffLi9ELb0ELb0ELi64EEEvPT0_PKT_S5_iiiPKb.private_seg_size, 0
	.set _ZN12_GLOBAL__N_121softmax_warp_backwardIfffLi9ELb0ELb0ELi64EEEvPT0_PKT_S5_iiiPKb.uses_vcc, 1
	.set _ZN12_GLOBAL__N_121softmax_warp_backwardIfffLi9ELb0ELb0ELi64EEEvPT0_PKT_S5_iiiPKb.uses_flat_scratch, 0
	.set _ZN12_GLOBAL__N_121softmax_warp_backwardIfffLi9ELb0ELb0ELi64EEEvPT0_PKT_S5_iiiPKb.has_dyn_sized_stack, 0
	.set _ZN12_GLOBAL__N_121softmax_warp_backwardIfffLi9ELb0ELb0ELi64EEEvPT0_PKT_S5_iiiPKb.has_recursion, 0
	.set _ZN12_GLOBAL__N_121softmax_warp_backwardIfffLi9ELb0ELb0ELi64EEEvPT0_PKT_S5_iiiPKb.has_indirect_call, 0
	.section	.AMDGPU.csdata,"",@progbits
; Kernel info:
; codeLenInByte = 1352
; TotalNumSgprs: 18
; NumVgprs: 23
; ScratchSize: 0
; MemoryBound: 0
; FloatMode: 240
; IeeeMode: 1
; LDSByteSize: 0 bytes/workgroup (compile time only)
; SGPRBlocks: 0
; VGPRBlocks: 2
; NumSGPRsForWavesPerEU: 18
; NumVGPRsForWavesPerEU: 23
; Occupancy: 16
; WaveLimiterHint : 0
; COMPUTE_PGM_RSRC2:SCRATCH_EN: 0
; COMPUTE_PGM_RSRC2:USER_SGPR: 6
; COMPUTE_PGM_RSRC2:TRAP_HANDLER: 0
; COMPUTE_PGM_RSRC2:TGID_X_EN: 1
; COMPUTE_PGM_RSRC2:TGID_Y_EN: 0
; COMPUTE_PGM_RSRC2:TGID_Z_EN: 0
; COMPUTE_PGM_RSRC2:TIDIG_COMP_CNT: 1
	.section	.text._ZN12_GLOBAL__N_121softmax_warp_backwardIfffLi9ELb0ELb0ELi32EEEvPT0_PKT_S5_iiiPKb,"axG",@progbits,_ZN12_GLOBAL__N_121softmax_warp_backwardIfffLi9ELb0ELb0ELi32EEEvPT0_PKT_S5_iiiPKb,comdat
	.globl	_ZN12_GLOBAL__N_121softmax_warp_backwardIfffLi9ELb0ELb0ELi32EEEvPT0_PKT_S5_iiiPKb ; -- Begin function _ZN12_GLOBAL__N_121softmax_warp_backwardIfffLi9ELb0ELb0ELi32EEEvPT0_PKT_S5_iiiPKb
	.p2align	8
	.type	_ZN12_GLOBAL__N_121softmax_warp_backwardIfffLi9ELb0ELb0ELi32EEEvPT0_PKT_S5_iiiPKb,@function
_ZN12_GLOBAL__N_121softmax_warp_backwardIfffLi9ELb0ELb0ELi32EEEvPT0_PKT_S5_iiiPKb: ; @_ZN12_GLOBAL__N_121softmax_warp_backwardIfffLi9ELb0ELb0ELi32EEEvPT0_PKT_S5_iiiPKb
; %bb.0:
	s_clause 0x1
	s_load_dword s0, s[4:5], 0x3c
	s_load_dwordx4 s[20:23], s[4:5], 0x18
	v_and_b32_e32 v6, 31, v0
	s_clause 0x1
	s_load_dwordx4 s[16:19], s[4:5], 0x0
	s_load_dwordx2 s[4:5], s[4:5], 0x10
	v_mov_b32_e32 v17, 0
	v_mov_b32_e32 v19, 0
	s_waitcnt lgkmcnt(0)
	s_lshr_b32 s0, s0, 16
	v_cmp_gt_i32_e32 vcc_lo, s22, v6
	v_mad_u64_u32 v[1:2], null, s6, s0, v[1:2]
	v_mad_u64_u32 v[2:3], null, v1, s21, v[6:7]
	v_sub_nc_u32_e32 v18, s20, v1
	v_cmp_lt_i32_e64 s3, 0, v18
	v_ashrrev_i32_e32 v3, 31, v2
	s_and_b32 s1, s3, vcc_lo
	v_lshlrev_b64 v[0:1], 2, v[2:3]
	v_add_co_u32 v2, s0, s18, v0
	v_add_co_ci_u32_e64 v3, null, s19, v1, s0
	v_add_co_u32 v4, s0, s4, v0
	v_add_co_ci_u32_e64 v5, null, s5, v1, s0
	s_and_saveexec_b32 s0, s1
	s_cbranch_execz .LBB565_2
; %bb.1:
	global_load_dword v19, v[2:3], off
	global_load_dword v17, v[4:5], off
.LBB565_2:
	s_or_b32 exec_lo, exec_lo, s0
	v_or_b32_e32 v7, 32, v6
	v_cmp_gt_i32_e64 s0, s22, v7
	s_and_b32 s1, s3, s0
	s_xor_b32 s1, s1, -1
	s_and_saveexec_b32 s2, s1
	s_xor_b32 s1, exec_lo, s2
                                        ; implicit-def: $vgpr7
                                        ; implicit-def: $vgpr8
                                        ; implicit-def: $vgpr10
                                        ; implicit-def: $vgpr11
                                        ; implicit-def: $vgpr12
                                        ; implicit-def: $vgpr13
                                        ; implicit-def: $vgpr14
                                        ; implicit-def: $vgpr15
                                        ; implicit-def: $vgpr16
                                        ; implicit-def: $vgpr20
                                        ; implicit-def: $vgpr21
                                        ; implicit-def: $vgpr22
                                        ; implicit-def: $vgpr24
                                        ; implicit-def: $vgpr23
                                        ; implicit-def: $vgpr9
; %bb.3:
	s_mov_b32 s2, 0
                                        ; implicit-def: $vgpr7
                                        ; implicit-def: $vgpr8
                                        ; implicit-def: $vgpr10
                                        ; implicit-def: $vgpr11
                                        ; implicit-def: $vgpr12
                                        ; implicit-def: $vgpr13
                                        ; implicit-def: $vgpr14
                                        ; implicit-def: $vgpr15
                                        ; implicit-def: $vgpr16
                                        ; implicit-def: $vgpr20
                                        ; implicit-def: $vgpr21
                                        ; implicit-def: $vgpr22
                                        ; implicit-def: $vgpr24
                                        ; implicit-def: $vgpr9
	v_mov_b32_e32 v23, s2
; %bb.4:
	s_or_saveexec_b32 s1, s1
	v_mov_b32_e32 v25, 0
	s_xor_b32 exec_lo, exec_lo, s1
	s_cbranch_execz .LBB565_6
; %bb.5:
	global_load_dword v23, v[2:3], off offset:128
	global_load_dword v25, v[4:5], off offset:128
.LBB565_6:
	s_or_b32 exec_lo, exec_lo, s1
	v_or_b32_e32 v26, 64, v6
	v_cmp_gt_i32_e64 s1, s22, v26
	s_and_b32 s2, s3, s1
	s_xor_b32 s2, s2, -1
	s_and_saveexec_b32 s4, s2
	s_xor_b32 s2, exec_lo, s4
; %bb.7:
	s_mov_b32 s4, 0
	v_mov_b32_e32 v24, s4
; %bb.8:
	s_or_saveexec_b32 s2, s2
	v_mov_b32_e32 v26, 0
	s_xor_b32 exec_lo, exec_lo, s2
	s_cbranch_execz .LBB565_10
; %bb.9:
	global_load_dword v24, v[2:3], off offset:256
	global_load_dword v26, v[4:5], off offset:256
.LBB565_10:
	s_or_b32 exec_lo, exec_lo, s2
	v_or_b32_e32 v27, 0x60, v6
	v_cmp_gt_i32_e64 s2, s22, v27
	s_and_b32 s4, s3, s2
	s_xor_b32 s4, s4, -1
	s_and_saveexec_b32 s5, s4
	s_xor_b32 s4, exec_lo, s5
; %bb.11:
	s_mov_b32 s5, 0
	;; [unrolled: 19-line block ×14, first 2 shown]
                                        ; implicit-def: $vgpr2_vgpr3
                                        ; implicit-def: $vgpr4_vgpr5
	v_mov_b32_e32 v9, s18
; %bb.60:
	s_or_saveexec_b32 s3, s3
	v_mov_b32_e32 v6, 0
	s_xor_b32 exec_lo, exec_lo, s3
	s_cbranch_execz .LBB565_62
; %bb.61:
	global_load_dword v9, v[2:3], off offset:1920
	global_load_dword v6, v[4:5], off offset:1920
.LBB565_62:
	s_or_b32 exec_lo, exec_lo, s3
	s_waitcnt vmcnt(1)
	v_add_f32_e32 v2, 0, v19
	v_mbcnt_lo_u32_b32 v3, -1, 0
	s_mov_b32 s18, exec_lo
	v_add_f32_e32 v2, v2, v23
	v_xor_b32_e32 v4, 16, v3
	v_xor_b32_e32 v5, 8, v3
	v_add_f32_e32 v2, v2, v24
	v_cmp_gt_i32_e64 s3, 32, v4
	v_add_f32_e32 v2, v2, v22
	v_cndmask_b32_e64 v4, v3, v4, s3
	v_cmp_gt_i32_e64 s3, 32, v5
	v_add_f32_e32 v2, v2, v21
	v_lshlrev_b32_e32 v4, 2, v4
	v_cndmask_b32_e64 v5, v3, v5, s3
	v_add_f32_e32 v2, v2, v20
	v_lshlrev_b32_e32 v5, 2, v5
	v_add_f32_e32 v2, v2, v16
	v_add_f32_e32 v2, v2, v15
	;; [unrolled: 1-line block ×10, first 2 shown]
	ds_bpermute_b32 v4, v4, v2
	s_waitcnt lgkmcnt(0)
	v_add_f32_e32 v2, v2, v4
	ds_bpermute_b32 v4, v5, v2
	v_xor_b32_e32 v5, 4, v3
	v_cmp_gt_i32_e64 s3, 32, v5
	v_cndmask_b32_e64 v5, v3, v5, s3
	v_lshlrev_b32_e32 v5, 2, v5
	s_waitcnt lgkmcnt(0)
	v_add_f32_e32 v2, v2, v4
	ds_bpermute_b32 v4, v5, v2
	v_xor_b32_e32 v5, 2, v3
	v_cmp_gt_i32_e64 s3, 32, v5
	v_cndmask_b32_e64 v5, v3, v5, s3
	v_lshlrev_b32_e32 v5, 2, v5
	;; [unrolled: 7-line block ×3, first 2 shown]
	s_waitcnt lgkmcnt(0)
	v_add_f32_e32 v2, v2, v4
	ds_bpermute_b32 v3, v3, v2
	v_cmpx_lt_i32_e32 0, v18
	s_cbranch_execz .LBB565_80
; %bb.63:
	v_add_co_u32 v0, s3, s16, v0
	v_add_co_ci_u32_e64 v1, null, s17, v1, s3
	s_waitcnt lgkmcnt(0)
	v_add_f32_e32 v2, v2, v3
	s_and_saveexec_b32 s3, vcc_lo
	s_cbranch_execnz .LBB565_81
; %bb.64:
	s_or_b32 exec_lo, exec_lo, s3
	s_and_saveexec_b32 s3, s0
	s_cbranch_execnz .LBB565_82
.LBB565_65:
	s_or_b32 exec_lo, exec_lo, s3
	s_and_saveexec_b32 s0, s1
	s_cbranch_execnz .LBB565_83
.LBB565_66:
	s_or_b32 exec_lo, exec_lo, s0
	s_and_saveexec_b32 s0, s2
	s_cbranch_execnz .LBB565_84
.LBB565_67:
	s_or_b32 exec_lo, exec_lo, s0
	s_and_saveexec_b32 s0, s4
	s_cbranch_execnz .LBB565_85
.LBB565_68:
	s_or_b32 exec_lo, exec_lo, s0
	s_and_saveexec_b32 s0, s5
	s_cbranch_execnz .LBB565_86
.LBB565_69:
	s_or_b32 exec_lo, exec_lo, s0
	s_and_saveexec_b32 s0, s6
	s_cbranch_execnz .LBB565_87
.LBB565_70:
	s_or_b32 exec_lo, exec_lo, s0
	s_and_saveexec_b32 s0, s7
	s_cbranch_execnz .LBB565_88
.LBB565_71:
	s_or_b32 exec_lo, exec_lo, s0
	s_and_saveexec_b32 s0, s8
	s_cbranch_execnz .LBB565_89
.LBB565_72:
	s_or_b32 exec_lo, exec_lo, s0
	s_and_saveexec_b32 s0, s9
	s_cbranch_execnz .LBB565_90
.LBB565_73:
	s_or_b32 exec_lo, exec_lo, s0
	s_and_saveexec_b32 s0, s10
	s_cbranch_execnz .LBB565_91
.LBB565_74:
	s_or_b32 exec_lo, exec_lo, s0
	s_and_saveexec_b32 s0, s11
	s_cbranch_execnz .LBB565_92
.LBB565_75:
	s_or_b32 exec_lo, exec_lo, s0
	s_and_saveexec_b32 s0, s12
	s_cbranch_execnz .LBB565_93
.LBB565_76:
	s_or_b32 exec_lo, exec_lo, s0
	s_and_saveexec_b32 s0, s13
	s_cbranch_execnz .LBB565_94
.LBB565_77:
	s_or_b32 exec_lo, exec_lo, s0
	s_and_saveexec_b32 s0, s14
	s_cbranch_execnz .LBB565_95
.LBB565_78:
	s_or_b32 exec_lo, exec_lo, s0
	s_and_b32 exec_lo, exec_lo, s15
	s_cbranch_execz .LBB565_80
.LBB565_79:
	s_waitcnt vmcnt(0)
	v_fma_f32 v2, -v2, v6, v9
	global_store_dword v[0:1], v2, off offset:1920
.LBB565_80:
	s_endpgm
.LBB565_81:
	s_waitcnt vmcnt(0)
	v_fma_f32 v3, -v2, v17, v19
	global_store_dword v[0:1], v3, off
	s_or_b32 exec_lo, exec_lo, s3
	s_and_saveexec_b32 s3, s0
	s_cbranch_execz .LBB565_65
.LBB565_82:
	s_waitcnt vmcnt(0)
	v_fma_f32 v3, -v2, v25, v23
	global_store_dword v[0:1], v3, off offset:128
	s_or_b32 exec_lo, exec_lo, s3
	s_and_saveexec_b32 s0, s1
	s_cbranch_execz .LBB565_66
.LBB565_83:
	s_waitcnt vmcnt(0)
	v_fma_f32 v3, -v2, v26, v24
	global_store_dword v[0:1], v3, off offset:256
	s_or_b32 exec_lo, exec_lo, s0
	s_and_saveexec_b32 s0, s2
	s_cbranch_execz .LBB565_67
.LBB565_84:
	s_waitcnt vmcnt(0)
	v_fma_f32 v3, -v2, v27, v22
	global_store_dword v[0:1], v3, off offset:384
	s_or_b32 exec_lo, exec_lo, s0
	s_and_saveexec_b32 s0, s4
	s_cbranch_execz .LBB565_68
.LBB565_85:
	s_waitcnt vmcnt(0)
	v_fma_f32 v3, -v2, v28, v21
	global_store_dword v[0:1], v3, off offset:512
	s_or_b32 exec_lo, exec_lo, s0
	s_and_saveexec_b32 s0, s5
	s_cbranch_execz .LBB565_69
.LBB565_86:
	s_waitcnt vmcnt(0)
	v_fma_f32 v3, -v2, v29, v20
	global_store_dword v[0:1], v3, off offset:640
	s_or_b32 exec_lo, exec_lo, s0
	s_and_saveexec_b32 s0, s6
	s_cbranch_execz .LBB565_70
.LBB565_87:
	s_waitcnt vmcnt(0)
	v_fma_f32 v3, -v2, v30, v16
	global_store_dword v[0:1], v3, off offset:768
	s_or_b32 exec_lo, exec_lo, s0
	s_and_saveexec_b32 s0, s7
	s_cbranch_execz .LBB565_71
.LBB565_88:
	s_waitcnt vmcnt(0)
	v_fma_f32 v3, -v2, v31, v15
	global_store_dword v[0:1], v3, off offset:896
	s_or_b32 exec_lo, exec_lo, s0
	s_and_saveexec_b32 s0, s8
	s_cbranch_execz .LBB565_72
.LBB565_89:
	s_waitcnt vmcnt(0)
	v_fma_f32 v3, -v2, v32, v14
	global_store_dword v[0:1], v3, off offset:1024
	s_or_b32 exec_lo, exec_lo, s0
	s_and_saveexec_b32 s0, s9
	s_cbranch_execz .LBB565_73
.LBB565_90:
	s_waitcnt vmcnt(0)
	v_fma_f32 v3, -v2, v33, v13
	global_store_dword v[0:1], v3, off offset:1152
	s_or_b32 exec_lo, exec_lo, s0
	s_and_saveexec_b32 s0, s10
	s_cbranch_execz .LBB565_74
.LBB565_91:
	s_waitcnt vmcnt(0)
	v_fma_f32 v3, -v2, v34, v12
	global_store_dword v[0:1], v3, off offset:1280
	s_or_b32 exec_lo, exec_lo, s0
	s_and_saveexec_b32 s0, s11
	s_cbranch_execz .LBB565_75
.LBB565_92:
	s_waitcnt vmcnt(0)
	v_fma_f32 v3, -v2, v35, v11
	global_store_dword v[0:1], v3, off offset:1408
	s_or_b32 exec_lo, exec_lo, s0
	s_and_saveexec_b32 s0, s12
	s_cbranch_execz .LBB565_76
.LBB565_93:
	s_waitcnt vmcnt(0)
	v_fma_f32 v3, -v2, v36, v10
	global_store_dword v[0:1], v3, off offset:1536
	s_or_b32 exec_lo, exec_lo, s0
	s_and_saveexec_b32 s0, s13
	s_cbranch_execz .LBB565_77
.LBB565_94:
	s_waitcnt vmcnt(0)
	v_fma_f32 v3, -v2, v37, v8
	global_store_dword v[0:1], v3, off offset:1664
	s_or_b32 exec_lo, exec_lo, s0
	s_and_saveexec_b32 s0, s14
	s_cbranch_execz .LBB565_78
.LBB565_95:
	s_waitcnt vmcnt(0)
	v_fma_f32 v3, -v2, v38, v7
	global_store_dword v[0:1], v3, off offset:1792
	s_or_b32 exec_lo, exec_lo, s0
	s_and_b32 exec_lo, exec_lo, s15
	s_cbranch_execnz .LBB565_79
	s_branch .LBB565_80
	.section	.rodata,"a",@progbits
	.p2align	6, 0x0
	.amdhsa_kernel _ZN12_GLOBAL__N_121softmax_warp_backwardIfffLi9ELb0ELb0ELi32EEEvPT0_PKT_S5_iiiPKb
		.amdhsa_group_segment_fixed_size 0
		.amdhsa_private_segment_fixed_size 0
		.amdhsa_kernarg_size 304
		.amdhsa_user_sgpr_count 6
		.amdhsa_user_sgpr_private_segment_buffer 1
		.amdhsa_user_sgpr_dispatch_ptr 0
		.amdhsa_user_sgpr_queue_ptr 0
		.amdhsa_user_sgpr_kernarg_segment_ptr 1
		.amdhsa_user_sgpr_dispatch_id 0
		.amdhsa_user_sgpr_flat_scratch_init 0
		.amdhsa_user_sgpr_private_segment_size 0
		.amdhsa_wavefront_size32 1
		.amdhsa_uses_dynamic_stack 0
		.amdhsa_system_sgpr_private_segment_wavefront_offset 0
		.amdhsa_system_sgpr_workgroup_id_x 1
		.amdhsa_system_sgpr_workgroup_id_y 0
		.amdhsa_system_sgpr_workgroup_id_z 0
		.amdhsa_system_sgpr_workgroup_info 0
		.amdhsa_system_vgpr_workitem_id 1
		.amdhsa_next_free_vgpr 39
		.amdhsa_next_free_sgpr 24
		.amdhsa_reserve_vcc 1
		.amdhsa_reserve_flat_scratch 0
		.amdhsa_float_round_mode_32 0
		.amdhsa_float_round_mode_16_64 0
		.amdhsa_float_denorm_mode_32 3
		.amdhsa_float_denorm_mode_16_64 3
		.amdhsa_dx10_clamp 1
		.amdhsa_ieee_mode 1
		.amdhsa_fp16_overflow 0
		.amdhsa_workgroup_processor_mode 1
		.amdhsa_memory_ordered 1
		.amdhsa_forward_progress 1
		.amdhsa_shared_vgpr_count 0
		.amdhsa_exception_fp_ieee_invalid_op 0
		.amdhsa_exception_fp_denorm_src 0
		.amdhsa_exception_fp_ieee_div_zero 0
		.amdhsa_exception_fp_ieee_overflow 0
		.amdhsa_exception_fp_ieee_underflow 0
		.amdhsa_exception_fp_ieee_inexact 0
		.amdhsa_exception_int_div_zero 0
	.end_amdhsa_kernel
	.section	.text._ZN12_GLOBAL__N_121softmax_warp_backwardIfffLi9ELb0ELb0ELi32EEEvPT0_PKT_S5_iiiPKb,"axG",@progbits,_ZN12_GLOBAL__N_121softmax_warp_backwardIfffLi9ELb0ELb0ELi32EEEvPT0_PKT_S5_iiiPKb,comdat
.Lfunc_end565:
	.size	_ZN12_GLOBAL__N_121softmax_warp_backwardIfffLi9ELb0ELb0ELi32EEEvPT0_PKT_S5_iiiPKb, .Lfunc_end565-_ZN12_GLOBAL__N_121softmax_warp_backwardIfffLi9ELb0ELb0ELi32EEEvPT0_PKT_S5_iiiPKb
                                        ; -- End function
	.set _ZN12_GLOBAL__N_121softmax_warp_backwardIfffLi9ELb0ELb0ELi32EEEvPT0_PKT_S5_iiiPKb.num_vgpr, 39
	.set _ZN12_GLOBAL__N_121softmax_warp_backwardIfffLi9ELb0ELb0ELi32EEEvPT0_PKT_S5_iiiPKb.num_agpr, 0
	.set _ZN12_GLOBAL__N_121softmax_warp_backwardIfffLi9ELb0ELb0ELi32EEEvPT0_PKT_S5_iiiPKb.numbered_sgpr, 24
	.set _ZN12_GLOBAL__N_121softmax_warp_backwardIfffLi9ELb0ELb0ELi32EEEvPT0_PKT_S5_iiiPKb.num_named_barrier, 0
	.set _ZN12_GLOBAL__N_121softmax_warp_backwardIfffLi9ELb0ELb0ELi32EEEvPT0_PKT_S5_iiiPKb.private_seg_size, 0
	.set _ZN12_GLOBAL__N_121softmax_warp_backwardIfffLi9ELb0ELb0ELi32EEEvPT0_PKT_S5_iiiPKb.uses_vcc, 1
	.set _ZN12_GLOBAL__N_121softmax_warp_backwardIfffLi9ELb0ELb0ELi32EEEvPT0_PKT_S5_iiiPKb.uses_flat_scratch, 0
	.set _ZN12_GLOBAL__N_121softmax_warp_backwardIfffLi9ELb0ELb0ELi32EEEvPT0_PKT_S5_iiiPKb.has_dyn_sized_stack, 0
	.set _ZN12_GLOBAL__N_121softmax_warp_backwardIfffLi9ELb0ELb0ELi32EEEvPT0_PKT_S5_iiiPKb.has_recursion, 0
	.set _ZN12_GLOBAL__N_121softmax_warp_backwardIfffLi9ELb0ELb0ELi32EEEvPT0_PKT_S5_iiiPKb.has_indirect_call, 0
	.section	.AMDGPU.csdata,"",@progbits
; Kernel info:
; codeLenInByte = 2300
; TotalNumSgprs: 26
; NumVgprs: 39
; ScratchSize: 0
; MemoryBound: 0
; FloatMode: 240
; IeeeMode: 1
; LDSByteSize: 0 bytes/workgroup (compile time only)
; SGPRBlocks: 0
; VGPRBlocks: 4
; NumSGPRsForWavesPerEU: 26
; NumVGPRsForWavesPerEU: 39
; Occupancy: 16
; WaveLimiterHint : 0
; COMPUTE_PGM_RSRC2:SCRATCH_EN: 0
; COMPUTE_PGM_RSRC2:USER_SGPR: 6
; COMPUTE_PGM_RSRC2:TRAP_HANDLER: 0
; COMPUTE_PGM_RSRC2:TGID_X_EN: 1
; COMPUTE_PGM_RSRC2:TGID_Y_EN: 0
; COMPUTE_PGM_RSRC2:TGID_Z_EN: 0
; COMPUTE_PGM_RSRC2:TIDIG_COMP_CNT: 1
	.section	.text._ZN12_GLOBAL__N_121softmax_warp_backwardIfffLi10ELb0ELb0ELi64EEEvPT0_PKT_S5_iiiPKb,"axG",@progbits,_ZN12_GLOBAL__N_121softmax_warp_backwardIfffLi10ELb0ELb0ELi64EEEvPT0_PKT_S5_iiiPKb,comdat
	.globl	_ZN12_GLOBAL__N_121softmax_warp_backwardIfffLi10ELb0ELb0ELi64EEEvPT0_PKT_S5_iiiPKb ; -- Begin function _ZN12_GLOBAL__N_121softmax_warp_backwardIfffLi10ELb0ELb0ELi64EEEvPT0_PKT_S5_iiiPKb
	.p2align	8
	.type	_ZN12_GLOBAL__N_121softmax_warp_backwardIfffLi10ELb0ELb0ELi64EEEvPT0_PKT_S5_iiiPKb,@function
_ZN12_GLOBAL__N_121softmax_warp_backwardIfffLi10ELb0ELb0ELi64EEEvPT0_PKT_S5_iiiPKb: ; @_ZN12_GLOBAL__N_121softmax_warp_backwardIfffLi10ELb0ELb0ELi64EEEvPT0_PKT_S5_iiiPKb
; %bb.0:
	s_clause 0x1
	s_load_dword s0, s[4:5], 0x3c
	s_load_dwordx4 s[20:23], s[4:5], 0x18
	v_and_b32_e32 v7, 63, v0
	s_clause 0x1
	s_load_dwordx4 s[16:19], s[4:5], 0x0
	s_load_dwordx2 s[2:3], s[4:5], 0x10
	v_mov_b32_e32 v18, 0
	v_mov_b32_e32 v20, 0
	s_waitcnt lgkmcnt(0)
	s_lshr_b32 s0, s0, 16
	v_cmp_gt_i32_e32 vcc_lo, s22, v7
	v_mad_u64_u32 v[1:2], null, s6, s0, v[1:2]
	v_mad_u64_u32 v[2:3], null, v1, s21, v[7:8]
	v_sub_nc_u32_e32 v19, s20, v1
	v_cmp_lt_i32_e64 s4, 0, v19
	v_ashrrev_i32_e32 v3, 31, v2
	s_and_b32 s1, s4, vcc_lo
	v_lshlrev_b64 v[1:2], 2, v[2:3]
	v_add_co_u32 v5, s0, s18, v1
	v_add_co_ci_u32_e64 v6, null, s19, v2, s0
	v_add_co_u32 v3, s0, s2, v1
	v_add_co_ci_u32_e64 v4, null, s3, v2, s0
	s_and_saveexec_b32 s0, s1
	s_cbranch_execz .LBB566_2
; %bb.1:
	global_load_dword v20, v[5:6], off
	global_load_dword v18, v[3:4], off
.LBB566_2:
	s_or_b32 exec_lo, exec_lo, s0
	v_or_b32_e32 v8, 64, v7
	v_cmp_gt_i32_e64 s0, s22, v8
	s_and_b32 s1, s4, s0
	s_xor_b32 s1, s1, -1
	s_and_saveexec_b32 s2, s1
	s_xor_b32 s1, exec_lo, s2
                                        ; implicit-def: $vgpr8
                                        ; implicit-def: $vgpr10
                                        ; implicit-def: $vgpr11
                                        ; implicit-def: $vgpr12
                                        ; implicit-def: $vgpr13
                                        ; implicit-def: $vgpr14
                                        ; implicit-def: $vgpr15
                                        ; implicit-def: $vgpr16
                                        ; implicit-def: $vgpr17
                                        ; implicit-def: $vgpr21
                                        ; implicit-def: $vgpr22
                                        ; implicit-def: $vgpr23
                                        ; implicit-def: $vgpr25
                                        ; implicit-def: $vgpr24
                                        ; implicit-def: $vgpr9
; %bb.3:
	s_mov_b32 s2, 0
                                        ; implicit-def: $vgpr8
                                        ; implicit-def: $vgpr10
                                        ; implicit-def: $vgpr11
                                        ; implicit-def: $vgpr12
                                        ; implicit-def: $vgpr13
                                        ; implicit-def: $vgpr14
                                        ; implicit-def: $vgpr15
                                        ; implicit-def: $vgpr16
                                        ; implicit-def: $vgpr17
                                        ; implicit-def: $vgpr21
                                        ; implicit-def: $vgpr22
                                        ; implicit-def: $vgpr23
                                        ; implicit-def: $vgpr25
                                        ; implicit-def: $vgpr9
	v_mov_b32_e32 v24, s2
; %bb.4:
	s_or_saveexec_b32 s1, s1
	v_mov_b32_e32 v26, 0
	s_xor_b32 exec_lo, exec_lo, s1
	s_cbranch_execz .LBB566_6
; %bb.5:
	global_load_dword v24, v[5:6], off offset:256
	global_load_dword v26, v[3:4], off offset:256
.LBB566_6:
	s_or_b32 exec_lo, exec_lo, s1
	v_or_b32_e32 v27, 0x80, v7
	v_cmp_gt_i32_e64 s1, s22, v27
	s_and_b32 s2, s4, s1
	s_xor_b32 s2, s2, -1
	s_and_saveexec_b32 s3, s2
	s_xor_b32 s2, exec_lo, s3
; %bb.7:
	s_mov_b32 s3, 0
	v_mov_b32_e32 v25, s3
; %bb.8:
	s_or_saveexec_b32 s2, s2
	v_mov_b32_e32 v27, 0
	s_xor_b32 exec_lo, exec_lo, s2
	s_cbranch_execz .LBB566_10
; %bb.9:
	global_load_dword v25, v[5:6], off offset:512
	global_load_dword v27, v[3:4], off offset:512
.LBB566_10:
	s_or_b32 exec_lo, exec_lo, s2
	v_or_b32_e32 v28, 0xc0, v7
	v_cmp_gt_i32_e64 s2, s22, v28
	s_and_b32 s3, s4, s2
	s_xor_b32 s3, s3, -1
	s_and_saveexec_b32 s5, s3
	s_xor_b32 s3, exec_lo, s5
; %bb.11:
	s_mov_b32 s5, 0
	;; [unrolled: 19-line block ×7, first 2 shown]
	v_mov_b32_e32 v15, s10
; %bb.32:
	s_or_saveexec_b32 s10, s9
	v_mov_b32_e32 v33, 0
	s_xor_b32 exec_lo, exec_lo, s10
	s_cbranch_execz .LBB566_34
; %bb.33:
	v_add_co_u32 v33, s9, 0x800, v5
	v_add_co_ci_u32_e64 v34, null, 0, v6, s9
	v_add_co_u32 v35, s9, 0x800, v3
	v_add_co_ci_u32_e64 v36, null, 0, v4, s9
	global_load_dword v15, v[33:34], off
	global_load_dword v33, v[35:36], off
.LBB566_34:
	s_or_b32 exec_lo, exec_lo, s10
	v_or_b32_e32 v34, 0x240, v7
	v_cmp_gt_i32_e64 s9, s22, v34
	s_and_b32 s10, s4, s9
	s_xor_b32 s10, s10, -1
	s_and_saveexec_b32 s11, s10
	s_xor_b32 s10, exec_lo, s11
; %bb.35:
	s_mov_b32 s11, 0
	v_mov_b32_e32 v14, s11
; %bb.36:
	s_or_saveexec_b32 s11, s10
	v_mov_b32_e32 v34, 0
	s_xor_b32 exec_lo, exec_lo, s11
	s_cbranch_execz .LBB566_38
; %bb.37:
	v_add_co_u32 v34, s10, 0x800, v5
	v_add_co_ci_u32_e64 v35, null, 0, v6, s10
	v_add_co_u32 v36, s10, 0x800, v3
	v_add_co_ci_u32_e64 v37, null, 0, v4, s10
	global_load_dword v14, v[34:35], off offset:256
	global_load_dword v34, v[36:37], off offset:256
.LBB566_38:
	s_or_b32 exec_lo, exec_lo, s11
	v_or_b32_e32 v35, 0x280, v7
	v_cmp_gt_i32_e64 s10, s22, v35
	s_and_b32 s11, s4, s10
	s_xor_b32 s11, s11, -1
	s_and_saveexec_b32 s12, s11
	s_xor_b32 s11, exec_lo, s12
; %bb.39:
	s_mov_b32 s12, 0
	v_mov_b32_e32 v13, s12
; %bb.40:
	s_or_saveexec_b32 s12, s11
	v_mov_b32_e32 v35, 0
	s_xor_b32 exec_lo, exec_lo, s12
	s_cbranch_execz .LBB566_42
; %bb.41:
	v_add_co_u32 v35, s11, 0x800, v5
	v_add_co_ci_u32_e64 v36, null, 0, v6, s11
	v_add_co_u32 v37, s11, 0x800, v3
	v_add_co_ci_u32_e64 v38, null, 0, v4, s11
	global_load_dword v13, v[35:36], off offset:512
	global_load_dword v35, v[37:38], off offset:512
.LBB566_42:
	;; [unrolled: 23-line block ×6, first 2 shown]
	s_or_b32 exec_lo, exec_lo, s18
	v_or_b32_e32 v0, 0x3c0, v0
	v_cmp_gt_i32_e64 s15, s22, v0
	s_and_b32 s4, s4, s15
	s_xor_b32 s4, s4, -1
	s_and_saveexec_b32 s18, s4
	s_xor_b32 s4, exec_lo, s18
; %bb.59:
	s_mov_b32 s18, 0
                                        ; implicit-def: $vgpr5
                                        ; implicit-def: $vgpr3
	v_mov_b32_e32 v9, s18
; %bb.60:
	s_or_saveexec_b32 s18, s4
	v_mov_b32_e32 v39, 0
	s_xor_b32 exec_lo, exec_lo, s18
	s_cbranch_execz .LBB566_62
; %bb.61:
	v_add_co_u32 v5, s4, 0x800, v5
	v_add_co_ci_u32_e64 v6, null, 0, v6, s4
	v_add_co_u32 v3, s4, 0x800, v3
	v_add_co_ci_u32_e64 v4, null, 0, v4, s4
	global_load_dword v9, v[5:6], off offset:1792
	global_load_dword v39, v[3:4], off offset:1792
.LBB566_62:
	s_or_b32 exec_lo, exec_lo, s18
	s_waitcnt vmcnt(1)
	v_add_f32_e32 v0, 0, v20
	v_mbcnt_lo_u32_b32 v3, -1, 0
	s_mov_b32 s18, exec_lo
	v_add_f32_e32 v0, v0, v24
	v_or_b32_e32 v4, 32, v3
	v_xor_b32_e32 v5, 16, v3
	v_add_f32_e32 v0, v0, v25
	v_cmp_gt_i32_e64 s4, 64, v4
	v_add_f32_e32 v0, v0, v23
	v_cndmask_b32_e64 v4, v3, v4, s4
	v_cmp_gt_i32_e64 s4, 64, v5
	v_add_f32_e32 v0, v0, v22
	v_lshlrev_b32_e32 v4, 2, v4
	v_cndmask_b32_e64 v5, v3, v5, s4
	v_add_f32_e32 v0, v0, v21
	v_lshlrev_b32_e32 v5, 2, v5
	v_add_f32_e32 v0, v0, v17
	v_add_f32_e32 v0, v0, v16
	;; [unrolled: 1-line block ×10, first 2 shown]
	ds_bpermute_b32 v4, v4, v0
	s_waitcnt lgkmcnt(0)
	v_add_f32_e32 v0, v0, v4
	ds_bpermute_b32 v4, v5, v0
	v_xor_b32_e32 v5, 8, v3
	v_cmp_gt_i32_e64 s4, 64, v5
	v_cndmask_b32_e64 v5, v3, v5, s4
	v_lshlrev_b32_e32 v5, 2, v5
	s_waitcnt lgkmcnt(0)
	v_add_f32_e32 v0, v0, v4
	ds_bpermute_b32 v4, v5, v0
	v_xor_b32_e32 v5, 4, v3
	v_cmp_gt_i32_e64 s4, 64, v5
	v_cndmask_b32_e64 v5, v3, v5, s4
	v_lshlrev_b32_e32 v5, 2, v5
	;; [unrolled: 7-line block ×3, first 2 shown]
	s_waitcnt lgkmcnt(0)
	v_add_f32_e32 v0, v0, v4
	ds_bpermute_b32 v4, v5, v0
	v_xor_b32_e32 v5, 1, v3
	v_cmp_gt_i32_e64 s4, 64, v5
	v_cndmask_b32_e64 v5, v3, v5, s4
	s_waitcnt lgkmcnt(0)
	v_add_f32_e32 v3, v0, v4
	v_lshlrev_b32_e32 v0, 2, v5
	ds_bpermute_b32 v4, v0, v3
	v_cmpx_lt_i32_e32 0, v19
	s_cbranch_execz .LBB566_80
; %bb.63:
	v_add_co_u32 v0, s4, s16, v1
	v_add_co_ci_u32_e64 v1, null, s17, v2, s4
	s_waitcnt lgkmcnt(0)
	v_add_f32_e32 v2, v3, v4
	s_and_saveexec_b32 s4, vcc_lo
	s_cbranch_execnz .LBB566_81
; %bb.64:
	s_or_b32 exec_lo, exec_lo, s4
	s_and_saveexec_b32 s4, s0
	s_cbranch_execnz .LBB566_82
.LBB566_65:
	s_or_b32 exec_lo, exec_lo, s4
	s_and_saveexec_b32 s0, s1
	s_cbranch_execnz .LBB566_83
.LBB566_66:
	s_or_b32 exec_lo, exec_lo, s0
	s_and_saveexec_b32 s0, s2
	s_cbranch_execnz .LBB566_84
.LBB566_67:
	s_or_b32 exec_lo, exec_lo, s0
	s_and_saveexec_b32 s0, s3
	s_cbranch_execnz .LBB566_85
.LBB566_68:
	s_or_b32 exec_lo, exec_lo, s0
	s_and_saveexec_b32 s0, s5
	s_cbranch_execnz .LBB566_86
.LBB566_69:
	s_or_b32 exec_lo, exec_lo, s0
	s_and_saveexec_b32 s0, s6
	s_cbranch_execnz .LBB566_87
.LBB566_70:
	s_or_b32 exec_lo, exec_lo, s0
	s_and_saveexec_b32 s0, s7
	s_cbranch_execnz .LBB566_88
.LBB566_71:
	s_or_b32 exec_lo, exec_lo, s0
	s_and_saveexec_b32 s0, s8
	s_cbranch_execnz .LBB566_89
.LBB566_72:
	s_or_b32 exec_lo, exec_lo, s0
	s_and_saveexec_b32 s0, s9
	s_cbranch_execnz .LBB566_90
.LBB566_73:
	s_or_b32 exec_lo, exec_lo, s0
	s_and_saveexec_b32 s0, s10
	s_cbranch_execnz .LBB566_91
.LBB566_74:
	s_or_b32 exec_lo, exec_lo, s0
	s_and_saveexec_b32 s0, s11
	s_cbranch_execnz .LBB566_92
.LBB566_75:
	s_or_b32 exec_lo, exec_lo, s0
	s_and_saveexec_b32 s0, s12
	s_cbranch_execnz .LBB566_93
.LBB566_76:
	s_or_b32 exec_lo, exec_lo, s0
	s_and_saveexec_b32 s0, s13
	s_cbranch_execnz .LBB566_94
.LBB566_77:
	s_or_b32 exec_lo, exec_lo, s0
	s_and_saveexec_b32 s0, s14
	s_cbranch_execnz .LBB566_95
.LBB566_78:
	s_or_b32 exec_lo, exec_lo, s0
	s_and_b32 exec_lo, exec_lo, s15
	s_cbranch_execz .LBB566_80
.LBB566_79:
	v_add_co_u32 v0, vcc_lo, 0x800, v0
	s_waitcnt vmcnt(0)
	v_fma_f32 v2, -v2, v39, v9
	v_add_co_ci_u32_e64 v1, null, 0, v1, vcc_lo
	global_store_dword v[0:1], v2, off offset:1792
.LBB566_80:
	s_endpgm
.LBB566_81:
	s_waitcnt vmcnt(0)
	v_fma_f32 v3, -v2, v18, v20
	global_store_dword v[0:1], v3, off
	s_or_b32 exec_lo, exec_lo, s4
	s_and_saveexec_b32 s4, s0
	s_cbranch_execz .LBB566_65
.LBB566_82:
	s_waitcnt vmcnt(0)
	v_fma_f32 v3, -v2, v26, v24
	global_store_dword v[0:1], v3, off offset:256
	s_or_b32 exec_lo, exec_lo, s4
	s_and_saveexec_b32 s0, s1
	s_cbranch_execz .LBB566_66
.LBB566_83:
	s_waitcnt vmcnt(0)
	v_fma_f32 v3, -v2, v27, v25
	global_store_dword v[0:1], v3, off offset:512
	s_or_b32 exec_lo, exec_lo, s0
	s_and_saveexec_b32 s0, s2
	s_cbranch_execz .LBB566_67
.LBB566_84:
	s_waitcnt vmcnt(0)
	v_fma_f32 v3, -v2, v28, v23
	global_store_dword v[0:1], v3, off offset:768
	s_or_b32 exec_lo, exec_lo, s0
	s_and_saveexec_b32 s0, s3
	s_cbranch_execz .LBB566_68
.LBB566_85:
	s_waitcnt vmcnt(0)
	v_fma_f32 v3, -v2, v29, v22
	global_store_dword v[0:1], v3, off offset:1024
	s_or_b32 exec_lo, exec_lo, s0
	s_and_saveexec_b32 s0, s5
	s_cbranch_execz .LBB566_69
.LBB566_86:
	s_waitcnt vmcnt(0)
	v_fma_f32 v3, -v2, v30, v21
	global_store_dword v[0:1], v3, off offset:1280
	s_or_b32 exec_lo, exec_lo, s0
	s_and_saveexec_b32 s0, s6
	s_cbranch_execz .LBB566_70
.LBB566_87:
	s_waitcnt vmcnt(0)
	v_fma_f32 v3, -v2, v31, v17
	global_store_dword v[0:1], v3, off offset:1536
	s_or_b32 exec_lo, exec_lo, s0
	s_and_saveexec_b32 s0, s7
	s_cbranch_execz .LBB566_71
.LBB566_88:
	s_waitcnt vmcnt(0)
	v_fma_f32 v3, -v2, v32, v16
	global_store_dword v[0:1], v3, off offset:1792
	s_or_b32 exec_lo, exec_lo, s0
	s_and_saveexec_b32 s0, s8
	s_cbranch_execz .LBB566_72
.LBB566_89:
	v_add_co_u32 v3, vcc_lo, 0x800, v0
	s_waitcnt vmcnt(0)
	v_fma_f32 v5, -v2, v33, v15
	v_add_co_ci_u32_e64 v4, null, 0, v1, vcc_lo
	global_store_dword v[3:4], v5, off
	s_or_b32 exec_lo, exec_lo, s0
	s_and_saveexec_b32 s0, s9
	s_cbranch_execz .LBB566_73
.LBB566_90:
	v_add_co_u32 v3, vcc_lo, 0x800, v0
	s_waitcnt vmcnt(0)
	v_fma_f32 v5, -v2, v34, v14
	v_add_co_ci_u32_e64 v4, null, 0, v1, vcc_lo
	global_store_dword v[3:4], v5, off offset:256
	s_or_b32 exec_lo, exec_lo, s0
	s_and_saveexec_b32 s0, s10
	s_cbranch_execz .LBB566_74
.LBB566_91:
	v_add_co_u32 v3, vcc_lo, 0x800, v0
	s_waitcnt vmcnt(0)
	v_fma_f32 v5, -v2, v35, v13
	v_add_co_ci_u32_e64 v4, null, 0, v1, vcc_lo
	global_store_dword v[3:4], v5, off offset:512
	s_or_b32 exec_lo, exec_lo, s0
	s_and_saveexec_b32 s0, s11
	s_cbranch_execz .LBB566_75
.LBB566_92:
	v_add_co_u32 v3, vcc_lo, 0x800, v0
	s_waitcnt vmcnt(0)
	v_fma_f32 v5, -v2, v36, v12
	v_add_co_ci_u32_e64 v4, null, 0, v1, vcc_lo
	global_store_dword v[3:4], v5, off offset:768
	s_or_b32 exec_lo, exec_lo, s0
	s_and_saveexec_b32 s0, s12
	s_cbranch_execz .LBB566_76
.LBB566_93:
	v_add_co_u32 v3, vcc_lo, 0x800, v0
	s_waitcnt vmcnt(0)
	v_fma_f32 v5, -v2, v37, v11
	v_add_co_ci_u32_e64 v4, null, 0, v1, vcc_lo
	global_store_dword v[3:4], v5, off offset:1024
	s_or_b32 exec_lo, exec_lo, s0
	s_and_saveexec_b32 s0, s13
	s_cbranch_execz .LBB566_77
.LBB566_94:
	v_add_co_u32 v3, vcc_lo, 0x800, v0
	s_waitcnt vmcnt(0)
	v_fma_f32 v5, -v2, v38, v10
	v_add_co_ci_u32_e64 v4, null, 0, v1, vcc_lo
	global_store_dword v[3:4], v5, off offset:1280
	s_or_b32 exec_lo, exec_lo, s0
	s_and_saveexec_b32 s0, s14
	s_cbranch_execz .LBB566_78
.LBB566_95:
	v_add_co_u32 v3, vcc_lo, 0x800, v0
	s_waitcnt vmcnt(0)
	v_fma_f32 v5, -v2, v7, v8
	v_add_co_ci_u32_e64 v4, null, 0, v1, vcc_lo
	global_store_dword v[3:4], v5, off offset:1536
	s_or_b32 exec_lo, exec_lo, s0
	s_and_b32 exec_lo, exec_lo, s15
	s_cbranch_execnz .LBB566_79
	s_branch .LBB566_80
	.section	.rodata,"a",@progbits
	.p2align	6, 0x0
	.amdhsa_kernel _ZN12_GLOBAL__N_121softmax_warp_backwardIfffLi10ELb0ELb0ELi64EEEvPT0_PKT_S5_iiiPKb
		.amdhsa_group_segment_fixed_size 0
		.amdhsa_private_segment_fixed_size 0
		.amdhsa_kernarg_size 304
		.amdhsa_user_sgpr_count 6
		.amdhsa_user_sgpr_private_segment_buffer 1
		.amdhsa_user_sgpr_dispatch_ptr 0
		.amdhsa_user_sgpr_queue_ptr 0
		.amdhsa_user_sgpr_kernarg_segment_ptr 1
		.amdhsa_user_sgpr_dispatch_id 0
		.amdhsa_user_sgpr_flat_scratch_init 0
		.amdhsa_user_sgpr_private_segment_size 0
		.amdhsa_wavefront_size32 1
		.amdhsa_uses_dynamic_stack 0
		.amdhsa_system_sgpr_private_segment_wavefront_offset 0
		.amdhsa_system_sgpr_workgroup_id_x 1
		.amdhsa_system_sgpr_workgroup_id_y 0
		.amdhsa_system_sgpr_workgroup_id_z 0
		.amdhsa_system_sgpr_workgroup_info 0
		.amdhsa_system_vgpr_workitem_id 1
		.amdhsa_next_free_vgpr 42
		.amdhsa_next_free_sgpr 24
		.amdhsa_reserve_vcc 1
		.amdhsa_reserve_flat_scratch 0
		.amdhsa_float_round_mode_32 0
		.amdhsa_float_round_mode_16_64 0
		.amdhsa_float_denorm_mode_32 3
		.amdhsa_float_denorm_mode_16_64 3
		.amdhsa_dx10_clamp 1
		.amdhsa_ieee_mode 1
		.amdhsa_fp16_overflow 0
		.amdhsa_workgroup_processor_mode 1
		.amdhsa_memory_ordered 1
		.amdhsa_forward_progress 1
		.amdhsa_shared_vgpr_count 0
		.amdhsa_exception_fp_ieee_invalid_op 0
		.amdhsa_exception_fp_denorm_src 0
		.amdhsa_exception_fp_ieee_div_zero 0
		.amdhsa_exception_fp_ieee_overflow 0
		.amdhsa_exception_fp_ieee_underflow 0
		.amdhsa_exception_fp_ieee_inexact 0
		.amdhsa_exception_int_div_zero 0
	.end_amdhsa_kernel
	.section	.text._ZN12_GLOBAL__N_121softmax_warp_backwardIfffLi10ELb0ELb0ELi64EEEvPT0_PKT_S5_iiiPKb,"axG",@progbits,_ZN12_GLOBAL__N_121softmax_warp_backwardIfffLi10ELb0ELb0ELi64EEEvPT0_PKT_S5_iiiPKb,comdat
.Lfunc_end566:
	.size	_ZN12_GLOBAL__N_121softmax_warp_backwardIfffLi10ELb0ELb0ELi64EEEvPT0_PKT_S5_iiiPKb, .Lfunc_end566-_ZN12_GLOBAL__N_121softmax_warp_backwardIfffLi10ELb0ELb0ELi64EEEvPT0_PKT_S5_iiiPKb
                                        ; -- End function
	.set _ZN12_GLOBAL__N_121softmax_warp_backwardIfffLi10ELb0ELb0ELi64EEEvPT0_PKT_S5_iiiPKb.num_vgpr, 42
	.set _ZN12_GLOBAL__N_121softmax_warp_backwardIfffLi10ELb0ELb0ELi64EEEvPT0_PKT_S5_iiiPKb.num_agpr, 0
	.set _ZN12_GLOBAL__N_121softmax_warp_backwardIfffLi10ELb0ELb0ELi64EEEvPT0_PKT_S5_iiiPKb.numbered_sgpr, 24
	.set _ZN12_GLOBAL__N_121softmax_warp_backwardIfffLi10ELb0ELb0ELi64EEEvPT0_PKT_S5_iiiPKb.num_named_barrier, 0
	.set _ZN12_GLOBAL__N_121softmax_warp_backwardIfffLi10ELb0ELb0ELi64EEEvPT0_PKT_S5_iiiPKb.private_seg_size, 0
	.set _ZN12_GLOBAL__N_121softmax_warp_backwardIfffLi10ELb0ELb0ELi64EEEvPT0_PKT_S5_iiiPKb.uses_vcc, 1
	.set _ZN12_GLOBAL__N_121softmax_warp_backwardIfffLi10ELb0ELb0ELi64EEEvPT0_PKT_S5_iiiPKb.uses_flat_scratch, 0
	.set _ZN12_GLOBAL__N_121softmax_warp_backwardIfffLi10ELb0ELb0ELi64EEEvPT0_PKT_S5_iiiPKb.has_dyn_sized_stack, 0
	.set _ZN12_GLOBAL__N_121softmax_warp_backwardIfffLi10ELb0ELb0ELi64EEEvPT0_PKT_S5_iiiPKb.has_recursion, 0
	.set _ZN12_GLOBAL__N_121softmax_warp_backwardIfffLi10ELb0ELb0ELi64EEEvPT0_PKT_S5_iiiPKb.has_indirect_call, 0
	.section	.AMDGPU.csdata,"",@progbits
; Kernel info:
; codeLenInByte = 2824
; TotalNumSgprs: 26
; NumVgprs: 42
; ScratchSize: 0
; MemoryBound: 0
; FloatMode: 240
; IeeeMode: 1
; LDSByteSize: 0 bytes/workgroup (compile time only)
; SGPRBlocks: 0
; VGPRBlocks: 5
; NumSGPRsForWavesPerEU: 26
; NumVGPRsForWavesPerEU: 42
; Occupancy: 16
; WaveLimiterHint : 0
; COMPUTE_PGM_RSRC2:SCRATCH_EN: 0
; COMPUTE_PGM_RSRC2:USER_SGPR: 6
; COMPUTE_PGM_RSRC2:TRAP_HANDLER: 0
; COMPUTE_PGM_RSRC2:TGID_X_EN: 1
; COMPUTE_PGM_RSRC2:TGID_Y_EN: 0
; COMPUTE_PGM_RSRC2:TGID_Z_EN: 0
; COMPUTE_PGM_RSRC2:TIDIG_COMP_CNT: 1
	.section	.text._ZN12_GLOBAL__N_121softmax_warp_backwardIfffLi10ELb0ELb0ELi32EEEvPT0_PKT_S5_iiiPKb,"axG",@progbits,_ZN12_GLOBAL__N_121softmax_warp_backwardIfffLi10ELb0ELb0ELi32EEEvPT0_PKT_S5_iiiPKb,comdat
	.globl	_ZN12_GLOBAL__N_121softmax_warp_backwardIfffLi10ELb0ELb0ELi32EEEvPT0_PKT_S5_iiiPKb ; -- Begin function _ZN12_GLOBAL__N_121softmax_warp_backwardIfffLi10ELb0ELb0ELi32EEEvPT0_PKT_S5_iiiPKb
	.p2align	8
	.type	_ZN12_GLOBAL__N_121softmax_warp_backwardIfffLi10ELb0ELb0ELi32EEEvPT0_PKT_S5_iiiPKb,@function
_ZN12_GLOBAL__N_121softmax_warp_backwardIfffLi10ELb0ELb0ELi32EEEvPT0_PKT_S5_iiiPKb: ; @_ZN12_GLOBAL__N_121softmax_warp_backwardIfffLi10ELb0ELb0ELi32EEEvPT0_PKT_S5_iiiPKb
; %bb.0:
	s_clause 0x1
	s_load_dword s0, s[4:5], 0x3c
	s_load_dwordx4 s[40:43], s[4:5], 0x18
	v_and_b32_e32 v7, 31, v0
	s_clause 0x1
	s_load_dwordx4 s[36:39], s[4:5], 0x0
	s_load_dwordx2 s[4:5], s[4:5], 0x10
	v_mov_b32_e32 v31, 0
	v_mov_b32_e32 v34, 0
	s_waitcnt lgkmcnt(0)
	s_lshr_b32 s0, s0, 16
	v_cmp_gt_i32_e32 vcc_lo, s42, v7
	v_mad_u64_u32 v[1:2], null, s6, s0, v[1:2]
	v_mad_u64_u32 v[2:3], null, v1, s41, v[7:8]
	v_sub_nc_u32_e32 v32, s40, v1
	v_cmp_lt_i32_e64 s3, 0, v32
	v_ashrrev_i32_e32 v3, 31, v2
	s_and_b32 s1, s3, vcc_lo
	v_lshlrev_b64 v[1:2], 2, v[2:3]
	v_add_co_u32 v5, s0, s38, v1
	v_add_co_ci_u32_e64 v6, null, s39, v2, s0
	v_add_co_u32 v3, s0, s4, v1
	v_add_co_ci_u32_e64 v4, null, s5, v2, s0
	s_and_saveexec_b32 s0, s1
	s_cbranch_execz .LBB567_2
; %bb.1:
	global_load_dword v34, v[5:6], off
	global_load_dword v31, v[3:4], off
.LBB567_2:
	s_or_b32 exec_lo, exec_lo, s0
	v_or_b32_e32 v8, 32, v7
	v_cmp_gt_i32_e64 s0, s42, v8
	s_and_b32 s1, s3, s0
	s_xor_b32 s1, s1, -1
	s_mov_b32 s2, exec_lo
	s_and_b32 s4, s2, s1
                                        ; implicit-def: $vgpr8
                                        ; implicit-def: $vgpr9
                                        ; implicit-def: $vgpr10
                                        ; implicit-def: $vgpr12
                                        ; implicit-def: $vgpr13
                                        ; implicit-def: $vgpr14
                                        ; implicit-def: $vgpr15
                                        ; implicit-def: $vgpr16
                                        ; implicit-def: $vgpr17
                                        ; implicit-def: $vgpr18
                                        ; implicit-def: $vgpr19
                                        ; implicit-def: $vgpr20
                                        ; implicit-def: $vgpr21
                                        ; implicit-def: $vgpr22
                                        ; implicit-def: $vgpr23
                                        ; implicit-def: $vgpr24
                                        ; implicit-def: $vgpr25
                                        ; implicit-def: $vgpr26
                                        ; implicit-def: $vgpr27
                                        ; implicit-def: $vgpr28
                                        ; implicit-def: $vgpr29
                                        ; implicit-def: $vgpr30
                                        ; implicit-def: $vgpr33
                                        ; implicit-def: $vgpr35
                                        ; implicit-def: $vgpr36
                                        ; implicit-def: $vgpr37
                                        ; implicit-def: $vgpr38
                                        ; implicit-def: $vgpr40
                                        ; implicit-def: $vgpr41
                                        ; implicit-def: $vgpr39
                                        ; implicit-def: $vgpr11
	s_xor_b32 s1, s4, s2
	s_mov_b32 exec_lo, s4
; %bb.3:
	s_mov_b32 s2, 0
                                        ; implicit-def: $vgpr8
                                        ; implicit-def: $vgpr9
                                        ; implicit-def: $vgpr10
                                        ; implicit-def: $vgpr12
                                        ; implicit-def: $vgpr13
                                        ; implicit-def: $vgpr14
                                        ; implicit-def: $vgpr15
                                        ; implicit-def: $vgpr16
                                        ; implicit-def: $vgpr17
                                        ; implicit-def: $vgpr18
                                        ; implicit-def: $vgpr19
                                        ; implicit-def: $vgpr20
                                        ; implicit-def: $vgpr21
                                        ; implicit-def: $vgpr22
                                        ; implicit-def: $vgpr23
                                        ; implicit-def: $vgpr24
                                        ; implicit-def: $vgpr25
                                        ; implicit-def: $vgpr26
                                        ; implicit-def: $vgpr27
                                        ; implicit-def: $vgpr28
                                        ; implicit-def: $vgpr29
                                        ; implicit-def: $vgpr30
                                        ; implicit-def: $vgpr33
                                        ; implicit-def: $vgpr35
                                        ; implicit-def: $vgpr36
                                        ; implicit-def: $vgpr37
                                        ; implicit-def: $vgpr38
                                        ; implicit-def: $vgpr40
                                        ; implicit-def: $vgpr41
                                        ; implicit-def: $vgpr11
	v_mov_b32_e32 v39, s2
; %bb.4:
	s_or_saveexec_b32 s1, s1
	v_mov_b32_e32 v42, 0
	s_xor_b32 exec_lo, exec_lo, s1
	s_cbranch_execz .LBB567_6
; %bb.5:
	global_load_dword v39, v[5:6], off offset:128
	global_load_dword v42, v[3:4], off offset:128
.LBB567_6:
	s_or_b32 exec_lo, exec_lo, s1
	v_or_b32_e32 v43, 64, v7
	v_cmp_gt_i32_e64 s1, s42, v43
	s_and_b32 s2, s3, s1
	s_xor_b32 s2, s2, -1
	s_and_saveexec_b32 s4, s2
	s_xor_b32 s2, exec_lo, s4
; %bb.7:
	s_mov_b32 s4, 0
	v_mov_b32_e32 v41, s4
; %bb.8:
	s_or_saveexec_b32 s2, s2
	v_mov_b32_e32 v43, 0
	s_xor_b32 exec_lo, exec_lo, s2
	s_cbranch_execz .LBB567_10
; %bb.9:
	global_load_dword v41, v[5:6], off offset:256
	global_load_dword v43, v[3:4], off offset:256
.LBB567_10:
	s_or_b32 exec_lo, exec_lo, s2
	v_or_b32_e32 v44, 0x60, v7
	v_cmp_gt_i32_e64 s2, s42, v44
	s_and_b32 s4, s3, s2
	s_xor_b32 s4, s4, -1
	s_and_saveexec_b32 s5, s4
	s_xor_b32 s4, exec_lo, s5
; %bb.11:
	s_mov_b32 s5, 0
	;; [unrolled: 19-line block ×15, first 2 shown]
	v_mov_b32_e32 v23, s18
; %bb.64:
	s_or_saveexec_b32 s18, s17
	v_mov_b32_e32 v57, 0
	s_xor_b32 exec_lo, exec_lo, s18
	s_cbranch_execz .LBB567_66
; %bb.65:
	v_add_co_u32 v57, s17, 0x800, v5
	v_add_co_ci_u32_e64 v58, null, 0, v6, s17
	v_add_co_u32 v59, s17, 0x800, v3
	v_add_co_ci_u32_e64 v60, null, 0, v4, s17
	global_load_dword v23, v[57:58], off
	global_load_dword v57, v[59:60], off
.LBB567_66:
	s_or_b32 exec_lo, exec_lo, s18
	v_or_b32_e32 v58, 0x220, v7
	v_cmp_gt_i32_e64 s17, s42, v58
	s_and_b32 s18, s3, s17
	s_xor_b32 s18, s18, -1
	s_and_saveexec_b32 s19, s18
	s_xor_b32 s18, exec_lo, s19
; %bb.67:
	s_mov_b32 s19, 0
	v_mov_b32_e32 v22, s19
; %bb.68:
	s_or_saveexec_b32 s19, s18
	v_mov_b32_e32 v58, 0
	s_xor_b32 exec_lo, exec_lo, s19
	s_cbranch_execz .LBB567_70
; %bb.69:
	v_add_co_u32 v58, s18, 0x800, v5
	v_add_co_ci_u32_e64 v59, null, 0, v6, s18
	v_add_co_u32 v60, s18, 0x800, v3
	v_add_co_ci_u32_e64 v61, null, 0, v4, s18
	global_load_dword v22, v[58:59], off offset:128
	global_load_dword v58, v[60:61], off offset:128
.LBB567_70:
	s_or_b32 exec_lo, exec_lo, s19
	v_or_b32_e32 v59, 0x240, v7
	v_cmp_gt_i32_e64 s18, s42, v59
	s_and_b32 s19, s3, s18
	s_xor_b32 s19, s19, -1
	s_and_saveexec_b32 s20, s19
	s_xor_b32 s19, exec_lo, s20
; %bb.71:
	s_mov_b32 s20, 0
	v_mov_b32_e32 v21, s20
; %bb.72:
	s_or_saveexec_b32 s20, s19
	v_mov_b32_e32 v59, 0
	s_xor_b32 exec_lo, exec_lo, s20
	s_cbranch_execz .LBB567_74
; %bb.73:
	v_add_co_u32 v59, s19, 0x800, v5
	v_add_co_ci_u32_e64 v60, null, 0, v6, s19
	v_add_co_u32 v61, s19, 0x800, v3
	v_add_co_ci_u32_e64 v62, null, 0, v4, s19
	global_load_dword v21, v[59:60], off offset:256
	global_load_dword v59, v[61:62], off offset:256
.LBB567_74:
	;; [unrolled: 23-line block ×3, first 2 shown]
	s_or_b32 exec_lo, exec_lo, s21
	v_or_b32_e32 v61, 0x280, v7
	v_cmp_gt_i32_e64 s20, s42, v61
	s_and_b32 s21, s3, s20
	s_xor_b32 s21, s21, -1
	s_and_saveexec_b32 s22, s21
	s_xor_b32 s21, exec_lo, s22
; %bb.79:
	s_mov_b32 s22, 0
	v_mov_b32_e32 v19, s22
; %bb.80:
	s_or_saveexec_b32 s22, s21
	v_mov_b32_e32 v61, 0
	s_xor_b32 exec_lo, exec_lo, s22
	s_cbranch_execz .LBB567_82
; %bb.81:
	v_add_co_u32 v61, s21, 0x800, v5
	v_add_co_ci_u32_e64 v62, null, 0, v6, s21
	global_load_dword v19, v[61:62], off offset:512
	v_add_co_u32 v61, s21, 0x800, v3
	v_add_co_ci_u32_e64 v62, null, 0, v4, s21
	global_load_dword v61, v[61:62], off offset:512
.LBB567_82:
	s_or_b32 exec_lo, exec_lo, s22
	v_or_b32_e32 v62, 0x2a0, v7
	v_cmp_gt_i32_e64 s21, s42, v62
	s_and_b32 s22, s3, s21
	s_xor_b32 s22, s22, -1
	s_and_saveexec_b32 s23, s22
	s_xor_b32 s22, exec_lo, s23
; %bb.83:
	s_mov_b32 s23, 0
	v_mov_b32_e32 v18, s23
; %bb.84:
	s_or_saveexec_b32 s23, s22
	v_mov_b32_e32 v62, 0
	s_xor_b32 exec_lo, exec_lo, s23
	s_cbranch_execz .LBB567_86
; %bb.85:
	v_add_co_u32 v62, s22, 0x800, v5
	v_add_co_ci_u32_e64 v63, null, 0, v6, s22
	v_add_co_u32 v64, s22, 0x800, v3
	v_add_co_ci_u32_e64 v65, null, 0, v4, s22
	global_load_dword v18, v[62:63], off offset:640
	global_load_dword v62, v[64:65], off offset:640
.LBB567_86:
	s_or_b32 exec_lo, exec_lo, s23
	v_or_b32_e32 v63, 0x2c0, v7
	v_cmp_gt_i32_e64 s22, s42, v63
	s_and_b32 s23, s3, s22
	s_xor_b32 s23, s23, -1
	s_and_saveexec_b32 s24, s23
	s_xor_b32 s23, exec_lo, s24
; %bb.87:
	s_mov_b32 s24, 0
	v_mov_b32_e32 v17, s24
; %bb.88:
	s_or_saveexec_b32 s24, s23
	v_mov_b32_e32 v63, 0
	s_xor_b32 exec_lo, exec_lo, s24
	s_cbranch_execz .LBB567_90
; %bb.89:
	v_add_co_u32 v63, s23, 0x800, v5
	v_add_co_ci_u32_e64 v64, null, 0, v6, s23
	v_add_co_u32 v65, s23, 0x800, v3
	v_add_co_ci_u32_e64 v66, null, 0, v4, s23
	global_load_dword v17, v[63:64], off offset:768
	global_load_dword v63, v[65:66], off offset:768
.LBB567_90:
	;; [unrolled: 23-line block ×10, first 2 shown]
	s_or_b32 exec_lo, exec_lo, s33
	v_or_b32_e32 v0, 0x3e0, v0
	v_cmp_gt_i32_e64 s31, s42, v0
	s_and_b32 s3, s3, s31
	s_xor_b32 s3, s3, -1
	s_and_saveexec_b32 s33, s3
	s_xor_b32 s3, exec_lo, s33
; %bb.123:
	s_mov_b32 s33, 0
                                        ; implicit-def: $vgpr5
                                        ; implicit-def: $vgpr3
	v_mov_b32_e32 v11, s33
; %bb.124:
	s_or_saveexec_b32 s33, s3
	v_mov_b32_e32 v71, 0
	s_xor_b32 exec_lo, exec_lo, s33
	s_cbranch_execz .LBB567_126
; %bb.125:
	v_add_co_u32 v5, s3, 0x800, v5
	v_add_co_ci_u32_e64 v6, null, 0, v6, s3
	v_add_co_u32 v3, s3, 0x800, v3
	v_add_co_ci_u32_e64 v4, null, 0, v4, s3
	global_load_dword v11, v[5:6], off offset:1920
	global_load_dword v71, v[3:4], off offset:1920
.LBB567_126:
	s_or_b32 exec_lo, exec_lo, s33
	s_waitcnt vmcnt(1)
	v_add_f32_e32 v0, 0, v34
	v_mbcnt_lo_u32_b32 v3, -1, 0
	s_mov_b32 s33, exec_lo
	v_add_f32_e32 v0, v0, v39
	v_xor_b32_e32 v4, 16, v3
	v_xor_b32_e32 v5, 8, v3
	v_add_f32_e32 v0, v0, v41
	v_cmp_gt_i32_e64 s3, 32, v4
	v_add_f32_e32 v0, v0, v40
	v_cndmask_b32_e64 v4, v3, v4, s3
	v_cmp_gt_i32_e64 s3, 32, v5
	v_add_f32_e32 v0, v0, v38
	v_lshlrev_b32_e32 v4, 2, v4
	v_cndmask_b32_e64 v5, v3, v5, s3
	v_add_f32_e32 v0, v0, v37
	v_lshlrev_b32_e32 v5, 2, v5
	v_add_f32_e32 v0, v0, v36
	v_add_f32_e32 v0, v0, v35
	;; [unrolled: 1-line block ×26, first 2 shown]
	ds_bpermute_b32 v4, v4, v0
	s_waitcnt lgkmcnt(0)
	v_add_f32_e32 v0, v0, v4
	ds_bpermute_b32 v4, v5, v0
	v_xor_b32_e32 v5, 4, v3
	v_cmp_gt_i32_e64 s3, 32, v5
	v_cndmask_b32_e64 v5, v3, v5, s3
	v_lshlrev_b32_e32 v5, 2, v5
	s_waitcnt lgkmcnt(0)
	v_add_f32_e32 v0, v0, v4
	ds_bpermute_b32 v4, v5, v0
	v_xor_b32_e32 v5, 2, v3
	v_cmp_gt_i32_e64 s3, 32, v5
	v_cndmask_b32_e64 v5, v3, v5, s3
	v_lshlrev_b32_e32 v5, 2, v5
	s_waitcnt lgkmcnt(0)
	v_add_f32_e32 v0, v0, v4
	ds_bpermute_b32 v4, v5, v0
	v_xor_b32_e32 v5, 1, v3
	v_cmp_gt_i32_e64 s3, 32, v5
	v_cndmask_b32_e64 v5, v3, v5, s3
	s_waitcnt lgkmcnt(0)
	v_add_f32_e32 v3, v0, v4
	v_lshlrev_b32_e32 v0, 2, v5
	ds_bpermute_b32 v4, v0, v3
	v_cmpx_lt_i32_e32 0, v32
	s_cbranch_execz .LBB567_160
; %bb.127:
	v_add_co_u32 v0, s3, s36, v1
	v_add_co_ci_u32_e64 v1, null, s37, v2, s3
	s_waitcnt lgkmcnt(0)
	v_add_f32_e32 v2, v3, v4
	s_and_saveexec_b32 s3, vcc_lo
	s_cbranch_execnz .LBB567_161
; %bb.128:
	s_or_b32 exec_lo, exec_lo, s3
	s_and_saveexec_b32 s3, s0
	s_cbranch_execnz .LBB567_162
.LBB567_129:
	s_or_b32 exec_lo, exec_lo, s3
	s_and_saveexec_b32 s0, s1
	s_cbranch_execnz .LBB567_163
.LBB567_130:
	s_or_b32 exec_lo, exec_lo, s0
	s_and_saveexec_b32 s0, s2
	s_cbranch_execnz .LBB567_164
.LBB567_131:
	s_or_b32 exec_lo, exec_lo, s0
	s_and_saveexec_b32 s0, s4
	s_cbranch_execnz .LBB567_165
.LBB567_132:
	s_or_b32 exec_lo, exec_lo, s0
	s_and_saveexec_b32 s0, s5
	s_cbranch_execnz .LBB567_166
.LBB567_133:
	s_or_b32 exec_lo, exec_lo, s0
	s_and_saveexec_b32 s0, s6
	s_cbranch_execnz .LBB567_167
.LBB567_134:
	s_or_b32 exec_lo, exec_lo, s0
	s_and_saveexec_b32 s0, s7
	s_cbranch_execnz .LBB567_168
.LBB567_135:
	s_or_b32 exec_lo, exec_lo, s0
	s_and_saveexec_b32 s0, s8
	s_cbranch_execnz .LBB567_169
.LBB567_136:
	s_or_b32 exec_lo, exec_lo, s0
	s_and_saveexec_b32 s0, s9
	s_cbranch_execnz .LBB567_170
.LBB567_137:
	s_or_b32 exec_lo, exec_lo, s0
	s_and_saveexec_b32 s0, s10
	s_cbranch_execnz .LBB567_171
.LBB567_138:
	s_or_b32 exec_lo, exec_lo, s0
	s_and_saveexec_b32 s0, s11
	s_cbranch_execnz .LBB567_172
.LBB567_139:
	s_or_b32 exec_lo, exec_lo, s0
	s_and_saveexec_b32 s0, s12
	s_cbranch_execnz .LBB567_173
.LBB567_140:
	s_or_b32 exec_lo, exec_lo, s0
	s_and_saveexec_b32 s0, s13
	s_cbranch_execnz .LBB567_174
.LBB567_141:
	s_or_b32 exec_lo, exec_lo, s0
	s_and_saveexec_b32 s0, s14
	s_cbranch_execnz .LBB567_175
.LBB567_142:
	s_or_b32 exec_lo, exec_lo, s0
	s_and_saveexec_b32 s0, s15
	s_cbranch_execnz .LBB567_176
.LBB567_143:
	s_or_b32 exec_lo, exec_lo, s0
	s_and_saveexec_b32 s0, s16
	s_cbranch_execnz .LBB567_177
.LBB567_144:
	s_or_b32 exec_lo, exec_lo, s0
	s_and_saveexec_b32 s0, s17
	s_cbranch_execnz .LBB567_178
.LBB567_145:
	s_or_b32 exec_lo, exec_lo, s0
	s_and_saveexec_b32 s0, s18
	s_cbranch_execnz .LBB567_179
.LBB567_146:
	s_or_b32 exec_lo, exec_lo, s0
	s_and_saveexec_b32 s0, s19
	s_cbranch_execnz .LBB567_180
.LBB567_147:
	s_or_b32 exec_lo, exec_lo, s0
	s_and_saveexec_b32 s0, s20
	s_cbranch_execnz .LBB567_181
.LBB567_148:
	s_or_b32 exec_lo, exec_lo, s0
	s_and_saveexec_b32 s0, s21
	s_cbranch_execnz .LBB567_182
.LBB567_149:
	s_or_b32 exec_lo, exec_lo, s0
	s_and_saveexec_b32 s0, s22
	s_cbranch_execnz .LBB567_183
.LBB567_150:
	s_or_b32 exec_lo, exec_lo, s0
	s_and_saveexec_b32 s0, s23
	s_cbranch_execnz .LBB567_184
.LBB567_151:
	s_or_b32 exec_lo, exec_lo, s0
	s_and_saveexec_b32 s0, s24
	s_cbranch_execnz .LBB567_185
.LBB567_152:
	s_or_b32 exec_lo, exec_lo, s0
	s_and_saveexec_b32 s0, s25
	s_cbranch_execnz .LBB567_186
.LBB567_153:
	s_or_b32 exec_lo, exec_lo, s0
	s_and_saveexec_b32 s0, s26
	s_cbranch_execnz .LBB567_187
.LBB567_154:
	s_or_b32 exec_lo, exec_lo, s0
	s_and_saveexec_b32 s0, s27
	s_cbranch_execnz .LBB567_188
.LBB567_155:
	s_or_b32 exec_lo, exec_lo, s0
	s_and_saveexec_b32 s0, s28
	s_cbranch_execnz .LBB567_189
.LBB567_156:
	s_or_b32 exec_lo, exec_lo, s0
	s_and_saveexec_b32 s0, s29
	s_cbranch_execnz .LBB567_190
.LBB567_157:
	s_or_b32 exec_lo, exec_lo, s0
	s_and_saveexec_b32 s0, s30
	s_cbranch_execnz .LBB567_191
.LBB567_158:
	s_or_b32 exec_lo, exec_lo, s0
	s_and_b32 exec_lo, exec_lo, s31
	s_cbranch_execz .LBB567_160
.LBB567_159:
	v_add_co_u32 v0, vcc_lo, 0x800, v0
	s_waitcnt vmcnt(0)
	v_fma_f32 v2, -v2, v71, v11
	v_add_co_ci_u32_e64 v1, null, 0, v1, vcc_lo
	global_store_dword v[0:1], v2, off offset:1920
.LBB567_160:
	s_endpgm
.LBB567_161:
	s_waitcnt vmcnt(0)
	v_fma_f32 v3, -v2, v31, v34
	global_store_dword v[0:1], v3, off
	s_or_b32 exec_lo, exec_lo, s3
	s_and_saveexec_b32 s3, s0
	s_cbranch_execz .LBB567_129
.LBB567_162:
	s_waitcnt vmcnt(0)
	v_fma_f32 v3, -v2, v42, v39
	global_store_dword v[0:1], v3, off offset:128
	s_or_b32 exec_lo, exec_lo, s3
	s_and_saveexec_b32 s0, s1
	s_cbranch_execz .LBB567_130
.LBB567_163:
	s_waitcnt vmcnt(0)
	v_fma_f32 v3, -v2, v43, v41
	global_store_dword v[0:1], v3, off offset:256
	s_or_b32 exec_lo, exec_lo, s0
	s_and_saveexec_b32 s0, s2
	s_cbranch_execz .LBB567_131
.LBB567_164:
	s_waitcnt vmcnt(0)
	v_fma_f32 v3, -v2, v44, v40
	global_store_dword v[0:1], v3, off offset:384
	s_or_b32 exec_lo, exec_lo, s0
	s_and_saveexec_b32 s0, s4
	s_cbranch_execz .LBB567_132
.LBB567_165:
	s_waitcnt vmcnt(0)
	v_fma_f32 v3, -v2, v45, v38
	global_store_dword v[0:1], v3, off offset:512
	s_or_b32 exec_lo, exec_lo, s0
	s_and_saveexec_b32 s0, s5
	s_cbranch_execz .LBB567_133
.LBB567_166:
	s_waitcnt vmcnt(0)
	v_fma_f32 v3, -v2, v46, v37
	global_store_dword v[0:1], v3, off offset:640
	s_or_b32 exec_lo, exec_lo, s0
	s_and_saveexec_b32 s0, s6
	s_cbranch_execz .LBB567_134
.LBB567_167:
	s_waitcnt vmcnt(0)
	v_fma_f32 v3, -v2, v47, v36
	global_store_dword v[0:1], v3, off offset:768
	s_or_b32 exec_lo, exec_lo, s0
	s_and_saveexec_b32 s0, s7
	s_cbranch_execz .LBB567_135
.LBB567_168:
	s_waitcnt vmcnt(0)
	v_fma_f32 v3, -v2, v48, v35
	global_store_dword v[0:1], v3, off offset:896
	s_or_b32 exec_lo, exec_lo, s0
	s_and_saveexec_b32 s0, s8
	s_cbranch_execz .LBB567_136
.LBB567_169:
	s_waitcnt vmcnt(0)
	v_fma_f32 v3, -v2, v49, v33
	global_store_dword v[0:1], v3, off offset:1024
	s_or_b32 exec_lo, exec_lo, s0
	s_and_saveexec_b32 s0, s9
	s_cbranch_execz .LBB567_137
.LBB567_170:
	s_waitcnt vmcnt(0)
	v_fma_f32 v3, -v2, v50, v30
	global_store_dword v[0:1], v3, off offset:1152
	s_or_b32 exec_lo, exec_lo, s0
	s_and_saveexec_b32 s0, s10
	s_cbranch_execz .LBB567_138
.LBB567_171:
	s_waitcnt vmcnt(0)
	v_fma_f32 v3, -v2, v51, v29
	global_store_dword v[0:1], v3, off offset:1280
	s_or_b32 exec_lo, exec_lo, s0
	s_and_saveexec_b32 s0, s11
	s_cbranch_execz .LBB567_139
.LBB567_172:
	s_waitcnt vmcnt(0)
	v_fma_f32 v3, -v2, v52, v28
	global_store_dword v[0:1], v3, off offset:1408
	s_or_b32 exec_lo, exec_lo, s0
	s_and_saveexec_b32 s0, s12
	s_cbranch_execz .LBB567_140
.LBB567_173:
	s_waitcnt vmcnt(0)
	v_fma_f32 v3, -v2, v53, v27
	global_store_dword v[0:1], v3, off offset:1536
	s_or_b32 exec_lo, exec_lo, s0
	s_and_saveexec_b32 s0, s13
	s_cbranch_execz .LBB567_141
.LBB567_174:
	s_waitcnt vmcnt(0)
	v_fma_f32 v3, -v2, v54, v26
	global_store_dword v[0:1], v3, off offset:1664
	s_or_b32 exec_lo, exec_lo, s0
	s_and_saveexec_b32 s0, s14
	s_cbranch_execz .LBB567_142
.LBB567_175:
	s_waitcnt vmcnt(0)
	v_fma_f32 v3, -v2, v55, v25
	global_store_dword v[0:1], v3, off offset:1792
	s_or_b32 exec_lo, exec_lo, s0
	s_and_saveexec_b32 s0, s15
	s_cbranch_execz .LBB567_143
.LBB567_176:
	s_waitcnt vmcnt(0)
	v_fma_f32 v3, -v2, v56, v24
	global_store_dword v[0:1], v3, off offset:1920
	s_or_b32 exec_lo, exec_lo, s0
	s_and_saveexec_b32 s0, s16
	s_cbranch_execz .LBB567_144
.LBB567_177:
	v_add_co_u32 v3, vcc_lo, 0x800, v0
	s_waitcnt vmcnt(0)
	v_fma_f32 v5, -v2, v57, v23
	v_add_co_ci_u32_e64 v4, null, 0, v1, vcc_lo
	global_store_dword v[3:4], v5, off
	s_or_b32 exec_lo, exec_lo, s0
	s_and_saveexec_b32 s0, s17
	s_cbranch_execz .LBB567_145
.LBB567_178:
	v_add_co_u32 v3, vcc_lo, 0x800, v0
	s_waitcnt vmcnt(0)
	v_fma_f32 v5, -v2, v58, v22
	v_add_co_ci_u32_e64 v4, null, 0, v1, vcc_lo
	global_store_dword v[3:4], v5, off offset:128
	s_or_b32 exec_lo, exec_lo, s0
	s_and_saveexec_b32 s0, s18
	s_cbranch_execz .LBB567_146
.LBB567_179:
	v_add_co_u32 v3, vcc_lo, 0x800, v0
	s_waitcnt vmcnt(0)
	v_fma_f32 v5, -v2, v59, v21
	v_add_co_ci_u32_e64 v4, null, 0, v1, vcc_lo
	global_store_dword v[3:4], v5, off offset:256
	s_or_b32 exec_lo, exec_lo, s0
	s_and_saveexec_b32 s0, s19
	s_cbranch_execz .LBB567_147
.LBB567_180:
	v_add_co_u32 v3, vcc_lo, 0x800, v0
	s_waitcnt vmcnt(0)
	v_fma_f32 v5, -v2, v60, v20
	v_add_co_ci_u32_e64 v4, null, 0, v1, vcc_lo
	global_store_dword v[3:4], v5, off offset:384
	s_or_b32 exec_lo, exec_lo, s0
	s_and_saveexec_b32 s0, s20
	s_cbranch_execz .LBB567_148
.LBB567_181:
	v_add_co_u32 v3, vcc_lo, 0x800, v0
	s_waitcnt vmcnt(0)
	v_fma_f32 v5, -v2, v61, v19
	v_add_co_ci_u32_e64 v4, null, 0, v1, vcc_lo
	global_store_dword v[3:4], v5, off offset:512
	s_or_b32 exec_lo, exec_lo, s0
	s_and_saveexec_b32 s0, s21
	s_cbranch_execz .LBB567_149
.LBB567_182:
	v_add_co_u32 v3, vcc_lo, 0x800, v0
	s_waitcnt vmcnt(0)
	v_fma_f32 v5, -v2, v62, v18
	v_add_co_ci_u32_e64 v4, null, 0, v1, vcc_lo
	global_store_dword v[3:4], v5, off offset:640
	s_or_b32 exec_lo, exec_lo, s0
	s_and_saveexec_b32 s0, s22
	s_cbranch_execz .LBB567_150
.LBB567_183:
	v_add_co_u32 v3, vcc_lo, 0x800, v0
	s_waitcnt vmcnt(0)
	v_fma_f32 v5, -v2, v63, v17
	v_add_co_ci_u32_e64 v4, null, 0, v1, vcc_lo
	global_store_dword v[3:4], v5, off offset:768
	s_or_b32 exec_lo, exec_lo, s0
	s_and_saveexec_b32 s0, s23
	s_cbranch_execz .LBB567_151
.LBB567_184:
	v_add_co_u32 v3, vcc_lo, 0x800, v0
	s_waitcnt vmcnt(0)
	v_fma_f32 v5, -v2, v64, v16
	v_add_co_ci_u32_e64 v4, null, 0, v1, vcc_lo
	global_store_dword v[3:4], v5, off offset:896
	s_or_b32 exec_lo, exec_lo, s0
	s_and_saveexec_b32 s0, s24
	s_cbranch_execz .LBB567_152
.LBB567_185:
	v_add_co_u32 v3, vcc_lo, 0x800, v0
	s_waitcnt vmcnt(0)
	v_fma_f32 v5, -v2, v65, v15
	v_add_co_ci_u32_e64 v4, null, 0, v1, vcc_lo
	global_store_dword v[3:4], v5, off offset:1024
	s_or_b32 exec_lo, exec_lo, s0
	s_and_saveexec_b32 s0, s25
	s_cbranch_execz .LBB567_153
.LBB567_186:
	v_add_co_u32 v3, vcc_lo, 0x800, v0
	s_waitcnt vmcnt(0)
	v_fma_f32 v5, -v2, v66, v14
	v_add_co_ci_u32_e64 v4, null, 0, v1, vcc_lo
	global_store_dword v[3:4], v5, off offset:1152
	s_or_b32 exec_lo, exec_lo, s0
	s_and_saveexec_b32 s0, s26
	s_cbranch_execz .LBB567_154
.LBB567_187:
	v_add_co_u32 v3, vcc_lo, 0x800, v0
	s_waitcnt vmcnt(0)
	v_fma_f32 v5, -v2, v67, v13
	v_add_co_ci_u32_e64 v4, null, 0, v1, vcc_lo
	global_store_dword v[3:4], v5, off offset:1280
	s_or_b32 exec_lo, exec_lo, s0
	s_and_saveexec_b32 s0, s27
	s_cbranch_execz .LBB567_155
.LBB567_188:
	v_add_co_u32 v3, vcc_lo, 0x800, v0
	s_waitcnt vmcnt(0)
	v_fma_f32 v5, -v2, v68, v12
	v_add_co_ci_u32_e64 v4, null, 0, v1, vcc_lo
	global_store_dword v[3:4], v5, off offset:1408
	s_or_b32 exec_lo, exec_lo, s0
	s_and_saveexec_b32 s0, s28
	s_cbranch_execz .LBB567_156
.LBB567_189:
	v_add_co_u32 v3, vcc_lo, 0x800, v0
	s_waitcnt vmcnt(0)
	v_fma_f32 v5, -v2, v69, v10
	v_add_co_ci_u32_e64 v4, null, 0, v1, vcc_lo
	global_store_dword v[3:4], v5, off offset:1536
	s_or_b32 exec_lo, exec_lo, s0
	s_and_saveexec_b32 s0, s29
	s_cbranch_execz .LBB567_157
.LBB567_190:
	v_add_co_u32 v3, vcc_lo, 0x800, v0
	s_waitcnt vmcnt(0)
	v_fma_f32 v5, -v2, v70, v9
	v_add_co_ci_u32_e64 v4, null, 0, v1, vcc_lo
	global_store_dword v[3:4], v5, off offset:1664
	s_or_b32 exec_lo, exec_lo, s0
	s_and_saveexec_b32 s0, s30
	s_cbranch_execz .LBB567_158
.LBB567_191:
	v_add_co_u32 v3, vcc_lo, 0x800, v0
	s_waitcnt vmcnt(0)
	v_fma_f32 v5, -v2, v7, v8
	v_add_co_ci_u32_e64 v4, null, 0, v1, vcc_lo
	global_store_dword v[3:4], v5, off offset:1792
	s_or_b32 exec_lo, exec_lo, s0
	s_and_b32 exec_lo, exec_lo, s31
	s_cbranch_execnz .LBB567_159
	s_branch .LBB567_160
	.section	.rodata,"a",@progbits
	.p2align	6, 0x0
	.amdhsa_kernel _ZN12_GLOBAL__N_121softmax_warp_backwardIfffLi10ELb0ELb0ELi32EEEvPT0_PKT_S5_iiiPKb
		.amdhsa_group_segment_fixed_size 0
		.amdhsa_private_segment_fixed_size 0
		.amdhsa_kernarg_size 304
		.amdhsa_user_sgpr_count 6
		.amdhsa_user_sgpr_private_segment_buffer 1
		.amdhsa_user_sgpr_dispatch_ptr 0
		.amdhsa_user_sgpr_queue_ptr 0
		.amdhsa_user_sgpr_kernarg_segment_ptr 1
		.amdhsa_user_sgpr_dispatch_id 0
		.amdhsa_user_sgpr_flat_scratch_init 0
		.amdhsa_user_sgpr_private_segment_size 0
		.amdhsa_wavefront_size32 1
		.amdhsa_uses_dynamic_stack 0
		.amdhsa_system_sgpr_private_segment_wavefront_offset 0
		.amdhsa_system_sgpr_workgroup_id_x 1
		.amdhsa_system_sgpr_workgroup_id_y 0
		.amdhsa_system_sgpr_workgroup_id_z 0
		.amdhsa_system_sgpr_workgroup_info 0
		.amdhsa_system_vgpr_workitem_id 1
		.amdhsa_next_free_vgpr 74
		.amdhsa_next_free_sgpr 44
		.amdhsa_reserve_vcc 1
		.amdhsa_reserve_flat_scratch 0
		.amdhsa_float_round_mode_32 0
		.amdhsa_float_round_mode_16_64 0
		.amdhsa_float_denorm_mode_32 3
		.amdhsa_float_denorm_mode_16_64 3
		.amdhsa_dx10_clamp 1
		.amdhsa_ieee_mode 1
		.amdhsa_fp16_overflow 0
		.amdhsa_workgroup_processor_mode 1
		.amdhsa_memory_ordered 1
		.amdhsa_forward_progress 1
		.amdhsa_shared_vgpr_count 0
		.amdhsa_exception_fp_ieee_invalid_op 0
		.amdhsa_exception_fp_denorm_src 0
		.amdhsa_exception_fp_ieee_div_zero 0
		.amdhsa_exception_fp_ieee_overflow 0
		.amdhsa_exception_fp_ieee_underflow 0
		.amdhsa_exception_fp_ieee_inexact 0
		.amdhsa_exception_int_div_zero 0
	.end_amdhsa_kernel
	.section	.text._ZN12_GLOBAL__N_121softmax_warp_backwardIfffLi10ELb0ELb0ELi32EEEvPT0_PKT_S5_iiiPKb,"axG",@progbits,_ZN12_GLOBAL__N_121softmax_warp_backwardIfffLi10ELb0ELb0ELi32EEEvPT0_PKT_S5_iiiPKb,comdat
.Lfunc_end567:
	.size	_ZN12_GLOBAL__N_121softmax_warp_backwardIfffLi10ELb0ELb0ELi32EEEvPT0_PKT_S5_iiiPKb, .Lfunc_end567-_ZN12_GLOBAL__N_121softmax_warp_backwardIfffLi10ELb0ELb0ELi32EEEvPT0_PKT_S5_iiiPKb
                                        ; -- End function
	.set _ZN12_GLOBAL__N_121softmax_warp_backwardIfffLi10ELb0ELb0ELi32EEEvPT0_PKT_S5_iiiPKb.num_vgpr, 74
	.set _ZN12_GLOBAL__N_121softmax_warp_backwardIfffLi10ELb0ELb0ELi32EEEvPT0_PKT_S5_iiiPKb.num_agpr, 0
	.set _ZN12_GLOBAL__N_121softmax_warp_backwardIfffLi10ELb0ELb0ELi32EEEvPT0_PKT_S5_iiiPKb.numbered_sgpr, 44
	.set _ZN12_GLOBAL__N_121softmax_warp_backwardIfffLi10ELb0ELb0ELi32EEEvPT0_PKT_S5_iiiPKb.num_named_barrier, 0
	.set _ZN12_GLOBAL__N_121softmax_warp_backwardIfffLi10ELb0ELb0ELi32EEEvPT0_PKT_S5_iiiPKb.private_seg_size, 0
	.set _ZN12_GLOBAL__N_121softmax_warp_backwardIfffLi10ELb0ELb0ELi32EEEvPT0_PKT_S5_iiiPKb.uses_vcc, 1
	.set _ZN12_GLOBAL__N_121softmax_warp_backwardIfffLi10ELb0ELb0ELi32EEEvPT0_PKT_S5_iiiPKb.uses_flat_scratch, 0
	.set _ZN12_GLOBAL__N_121softmax_warp_backwardIfffLi10ELb0ELb0ELi32EEEvPT0_PKT_S5_iiiPKb.has_dyn_sized_stack, 0
	.set _ZN12_GLOBAL__N_121softmax_warp_backwardIfffLi10ELb0ELb0ELi32EEEvPT0_PKT_S5_iiiPKb.has_recursion, 0
	.set _ZN12_GLOBAL__N_121softmax_warp_backwardIfffLi10ELb0ELb0ELi32EEEvPT0_PKT_S5_iiiPKb.has_indirect_call, 0
	.section	.AMDGPU.csdata,"",@progbits
; Kernel info:
; codeLenInByte = 5252
; TotalNumSgprs: 46
; NumVgprs: 74
; ScratchSize: 0
; MemoryBound: 0
; FloatMode: 240
; IeeeMode: 1
; LDSByteSize: 0 bytes/workgroup (compile time only)
; SGPRBlocks: 0
; VGPRBlocks: 9
; NumSGPRsForWavesPerEU: 46
; NumVGPRsForWavesPerEU: 74
; Occupancy: 12
; WaveLimiterHint : 0
; COMPUTE_PGM_RSRC2:SCRATCH_EN: 0
; COMPUTE_PGM_RSRC2:USER_SGPR: 6
; COMPUTE_PGM_RSRC2:TRAP_HANDLER: 0
; COMPUTE_PGM_RSRC2:TGID_X_EN: 1
; COMPUTE_PGM_RSRC2:TGID_Y_EN: 0
; COMPUTE_PGM_RSRC2:TGID_Z_EN: 0
; COMPUTE_PGM_RSRC2:TIDIG_COMP_CNT: 1
	.section	.text._ZN2at6native12_GLOBAL__N_124cunn_SoftMaxBackwardSmemILi4EfffNS1_23SoftMaxBackwardEpilogueEEEvPT0_PKT2_S8_l,"axG",@progbits,_ZN2at6native12_GLOBAL__N_124cunn_SoftMaxBackwardSmemILi4EfffNS1_23SoftMaxBackwardEpilogueEEEvPT0_PKT2_S8_l,comdat
	.globl	_ZN2at6native12_GLOBAL__N_124cunn_SoftMaxBackwardSmemILi4EfffNS1_23SoftMaxBackwardEpilogueEEEvPT0_PKT2_S8_l ; -- Begin function _ZN2at6native12_GLOBAL__N_124cunn_SoftMaxBackwardSmemILi4EfffNS1_23SoftMaxBackwardEpilogueEEEvPT0_PKT2_S8_l
	.p2align	8
	.type	_ZN2at6native12_GLOBAL__N_124cunn_SoftMaxBackwardSmemILi4EfffNS1_23SoftMaxBackwardEpilogueEEEvPT0_PKT2_S8_l,@function
_ZN2at6native12_GLOBAL__N_124cunn_SoftMaxBackwardSmemILi4EfffNS1_23SoftMaxBackwardEpilogueEEEvPT0_PKT2_S8_l: ; @_ZN2at6native12_GLOBAL__N_124cunn_SoftMaxBackwardSmemILi4EfffNS1_23SoftMaxBackwardEpilogueEEEvPT0_PKT2_S8_l
; %bb.0:
	s_load_dwordx8 s[8:15], s[4:5], 0x0
	v_mov_b32_e32 v2, 0
	v_lshlrev_b32_e32 v1, 2, v0
	v_lshl_add_u32 v5, v0, 4, 0
	s_waitcnt lgkmcnt(0)
	v_cmp_gt_i64_e32 vcc_lo, s[14:15], v[1:2]
	s_mul_i32 s0, s15, s6
	s_mul_hi_u32 s1, s14, s6
	s_mul_i32 s2, s14, s6
	s_add_i32 s3, s1, s0
	s_and_saveexec_b32 s1, vcc_lo
	s_cbranch_execz .LBB568_4
; %bb.1:
	s_load_dword s0, s[4:5], 0x2c
	s_lshl_b64 s[6:7], s[2:3], 2
	v_lshl_add_u32 v6, v0, 4, 0
	s_add_u32 s6, s12, s6
	s_addc_u32 s7, s13, s7
	v_mov_b32_e32 v2, 0
	v_mov_b32_e32 v3, v0
	s_mov_b32 s13, 0
	s_waitcnt lgkmcnt(0)
	s_and_b32 s12, s0, 0xffff
	v_add_lshl_u32 v1, v0, s12, 2
	s_lshl_b32 s16, s12, 2
	s_lshl_b32 s17, s12, 4
	.p2align	6
.LBB568_2:                              ; =>This Inner Loop Header: Depth=1
	v_ashrrev_i32_e32 v4, 31, v3
	v_lshlrev_b64 v[7:8], 4, v[3:4]
	v_add_nc_u32_e32 v3, s12, v3
	v_add_co_u32 v7, s0, s6, v7
	v_add_co_ci_u32_e64 v8, null, s7, v8, s0
	global_load_dwordx4 v[7:10], v[7:8], off
	s_waitcnt vmcnt(0)
	v_add_f32_e32 v2, v2, v7
	ds_write_b128 v6, v[7:10]
	v_add_nc_u32_e32 v6, s17, v6
	v_add_f32_e32 v4, v2, v8
	v_ashrrev_i32_e32 v2, 31, v1
	v_add_f32_e32 v4, v4, v9
	v_cmp_le_i64_e64 s0, s[14:15], v[1:2]
	v_add_nc_u32_e32 v1, s16, v1
	v_add_f32_e32 v2, v4, v10
	s_or_b32 s13, s0, s13
	s_andn2_b32 exec_lo, exec_lo, s13
	s_cbranch_execnz .LBB568_2
; %bb.3:
	s_or_b32 exec_lo, exec_lo, s13
.LBB568_4:
	s_or_b32 exec_lo, exec_lo, s1
	v_mbcnt_lo_u32_b32 v6, -1, 0
	s_lshl_b32 s1, s14, 2
	s_mov_b32 s6, exec_lo
	s_add_i32 s1, s1, 0
	s_waitcnt lgkmcnt(0)
	v_lshl_or_b32 v1, v6, 2, 64
	v_cmp_gt_u32_e64 s0, 24, v6
	s_barrier
	buffer_gl0_inv
	ds_bpermute_b32 v4, v1, v2
	v_cndmask_b32_e64 v3, 0, 8, s0
	v_cmp_gt_u32_e64 s0, 28, v6
	v_add_lshl_u32 v3, v3, v6, 2
	s_waitcnt lgkmcnt(0)
	v_add_f32_e32 v4, v2, v4
	v_cndmask_b32_e64 v2, 0, 4, s0
	v_cmp_gt_u32_e64 s0, 30, v6
	ds_bpermute_b32 v7, v3, v4
	v_add_lshl_u32 v2, v2, v6, 2
	s_waitcnt lgkmcnt(0)
	v_add_f32_e32 v7, v4, v7
	v_cndmask_b32_e64 v4, 0, 2, s0
	v_cmp_ne_u32_e64 s0, 31, v6
	ds_bpermute_b32 v8, v2, v7
	v_add_lshl_u32 v4, v4, v6, 2
	v_add_co_ci_u32_e64 v6, null, 0, v6, s0
	v_lshlrev_b32_e32 v6, 2, v6
	s_waitcnt lgkmcnt(0)
	v_add_f32_e32 v7, v7, v8
	ds_bpermute_b32 v8, v4, v7
	s_waitcnt lgkmcnt(0)
	v_add_f32_e32 v8, v7, v8
	v_and_b32_e32 v7, 31, v0
	ds_bpermute_b32 v9, v6, v8
	v_cmpx_eq_u32_e32 0, v7
	s_cbranch_execz .LBB568_6
; %bb.5:
	v_lshrrev_b32_e32 v10, 3, v0
	s_waitcnt lgkmcnt(0)
	v_add_f32_e32 v8, v8, v9
	v_add_nc_u32_e32 v10, s1, v10
	ds_write_b32 v10, v8
.LBB568_6:
	s_or_b32 exec_lo, exec_lo, s6
	s_waitcnt lgkmcnt(0)
	s_barrier
	buffer_gl0_inv
	s_load_dword s4, s[4:5], 0x2c
	v_mov_b32_e32 v8, 0
	s_mov_b32 s5, exec_lo
	s_waitcnt lgkmcnt(0)
	s_bfe_u32 s0, s4, 0xb0005
	v_cmpx_gt_u32_e64 s0, v0
; %bb.7:
	v_lshl_add_u32 v7, v7, 2, s1
	ds_read_b32 v8, v7
; %bb.8:
	s_or_b32 exec_lo, exec_lo, s5
	s_mov_b32 s5, exec_lo
	v_cmpx_gt_u32_e32 32, v0
	s_cbranch_execz .LBB568_10
; %bb.9:
	s_waitcnt lgkmcnt(0)
	ds_bpermute_b32 v1, v1, v8
	s_waitcnt lgkmcnt(0)
	v_add_f32_e32 v1, v8, v1
	ds_bpermute_b32 v3, v3, v1
	s_waitcnt lgkmcnt(0)
	v_add_f32_e32 v1, v1, v3
	;; [unrolled: 3-line block ×5, first 2 shown]
.LBB568_10:
	s_or_b32 exec_lo, exec_lo, s5
	s_mov_b32 s5, exec_lo
	v_cmpx_eq_u32_e32 0, v0
	s_cbranch_execz .LBB568_12
; %bb.11:
	v_mov_b32_e32 v1, s1
	s_waitcnt lgkmcnt(0)
	ds_write_b32 v1, v8
.LBB568_12:
	s_or_b32 exec_lo, exec_lo, s5
	s_waitcnt lgkmcnt(0)
	s_barrier
	buffer_gl0_inv
	s_and_saveexec_b32 s0, vcc_lo
	s_cbranch_execz .LBB568_15
; %bb.13:
	v_mov_b32_e32 v1, s1
	s_lshl_b64 s[6:7], s[2:3], 2
	s_and_b32 s1, 0xffff, s4
	s_add_u32 s2, s8, s6
	v_add_lshl_u32 v2, v0, s1, 2
	ds_read_b32 v4, v1
	s_addc_u32 s3, s9, s7
	s_add_u32 s4, s10, s6
	s_addc_u32 s5, s11, s7
	s_lshl_b32 s6, s1, 2
	s_mov_b32 s7, 0
	s_lshl_b32 s8, s1, 4
	s_inst_prefetch 0x1
	.p2align	6
.LBB568_14:                             ; =>This Inner Loop Header: Depth=1
	v_ashrrev_i32_e32 v1, 31, v0
	ds_read_b128 v[10:13], v5
	v_ashrrev_i32_e32 v3, 31, v2
	v_add_nc_u32_e32 v5, s8, v5
	v_lshlrev_b64 v[14:15], 4, v[0:1]
	v_add_nc_u32_e32 v0, s1, v0
	v_add_co_u32 v6, vcc_lo, s4, v14
	v_add_co_ci_u32_e64 v7, null, s5, v15, vcc_lo
	v_cmp_le_i64_e32 vcc_lo, s[14:15], v[2:3]
	v_add_co_u32 v14, s0, s2, v14
	global_load_dwordx4 v[6:9], v[6:7], off
	v_add_co_ci_u32_e64 v15, null, s3, v15, s0
	v_add_nc_u32_e32 v2, s6, v2
	s_or_b32 s7, vcc_lo, s7
	s_waitcnt vmcnt(0) lgkmcnt(0)
	v_fma_f32 v6, -v4, v6, v10
	v_fma_f32 v7, -v4, v7, v11
	;; [unrolled: 1-line block ×4, first 2 shown]
	global_store_dwordx4 v[14:15], v[6:9], off
	s_andn2_b32 exec_lo, exec_lo, s7
	s_cbranch_execnz .LBB568_14
.LBB568_15:
	s_inst_prefetch 0x2
	s_endpgm
	.section	.rodata,"a",@progbits
	.p2align	6, 0x0
	.amdhsa_kernel _ZN2at6native12_GLOBAL__N_124cunn_SoftMaxBackwardSmemILi4EfffNS1_23SoftMaxBackwardEpilogueEEEvPT0_PKT2_S8_l
		.amdhsa_group_segment_fixed_size 0
		.amdhsa_private_segment_fixed_size 0
		.amdhsa_kernarg_size 288
		.amdhsa_user_sgpr_count 6
		.amdhsa_user_sgpr_private_segment_buffer 1
		.amdhsa_user_sgpr_dispatch_ptr 0
		.amdhsa_user_sgpr_queue_ptr 0
		.amdhsa_user_sgpr_kernarg_segment_ptr 1
		.amdhsa_user_sgpr_dispatch_id 0
		.amdhsa_user_sgpr_flat_scratch_init 0
		.amdhsa_user_sgpr_private_segment_size 0
		.amdhsa_wavefront_size32 1
		.amdhsa_uses_dynamic_stack 0
		.amdhsa_system_sgpr_private_segment_wavefront_offset 0
		.amdhsa_system_sgpr_workgroup_id_x 1
		.amdhsa_system_sgpr_workgroup_id_y 0
		.amdhsa_system_sgpr_workgroup_id_z 0
		.amdhsa_system_sgpr_workgroup_info 0
		.amdhsa_system_vgpr_workitem_id 0
		.amdhsa_next_free_vgpr 16
		.amdhsa_next_free_sgpr 18
		.amdhsa_reserve_vcc 1
		.amdhsa_reserve_flat_scratch 0
		.amdhsa_float_round_mode_32 0
		.amdhsa_float_round_mode_16_64 0
		.amdhsa_float_denorm_mode_32 3
		.amdhsa_float_denorm_mode_16_64 3
		.amdhsa_dx10_clamp 1
		.amdhsa_ieee_mode 1
		.amdhsa_fp16_overflow 0
		.amdhsa_workgroup_processor_mode 1
		.amdhsa_memory_ordered 1
		.amdhsa_forward_progress 1
		.amdhsa_shared_vgpr_count 0
		.amdhsa_exception_fp_ieee_invalid_op 0
		.amdhsa_exception_fp_denorm_src 0
		.amdhsa_exception_fp_ieee_div_zero 0
		.amdhsa_exception_fp_ieee_overflow 0
		.amdhsa_exception_fp_ieee_underflow 0
		.amdhsa_exception_fp_ieee_inexact 0
		.amdhsa_exception_int_div_zero 0
	.end_amdhsa_kernel
	.section	.text._ZN2at6native12_GLOBAL__N_124cunn_SoftMaxBackwardSmemILi4EfffNS1_23SoftMaxBackwardEpilogueEEEvPT0_PKT2_S8_l,"axG",@progbits,_ZN2at6native12_GLOBAL__N_124cunn_SoftMaxBackwardSmemILi4EfffNS1_23SoftMaxBackwardEpilogueEEEvPT0_PKT2_S8_l,comdat
.Lfunc_end568:
	.size	_ZN2at6native12_GLOBAL__N_124cunn_SoftMaxBackwardSmemILi4EfffNS1_23SoftMaxBackwardEpilogueEEEvPT0_PKT2_S8_l, .Lfunc_end568-_ZN2at6native12_GLOBAL__N_124cunn_SoftMaxBackwardSmemILi4EfffNS1_23SoftMaxBackwardEpilogueEEEvPT0_PKT2_S8_l
                                        ; -- End function
	.set _ZN2at6native12_GLOBAL__N_124cunn_SoftMaxBackwardSmemILi4EfffNS1_23SoftMaxBackwardEpilogueEEEvPT0_PKT2_S8_l.num_vgpr, 16
	.set _ZN2at6native12_GLOBAL__N_124cunn_SoftMaxBackwardSmemILi4EfffNS1_23SoftMaxBackwardEpilogueEEEvPT0_PKT2_S8_l.num_agpr, 0
	.set _ZN2at6native12_GLOBAL__N_124cunn_SoftMaxBackwardSmemILi4EfffNS1_23SoftMaxBackwardEpilogueEEEvPT0_PKT2_S8_l.numbered_sgpr, 18
	.set _ZN2at6native12_GLOBAL__N_124cunn_SoftMaxBackwardSmemILi4EfffNS1_23SoftMaxBackwardEpilogueEEEvPT0_PKT2_S8_l.num_named_barrier, 0
	.set _ZN2at6native12_GLOBAL__N_124cunn_SoftMaxBackwardSmemILi4EfffNS1_23SoftMaxBackwardEpilogueEEEvPT0_PKT2_S8_l.private_seg_size, 0
	.set _ZN2at6native12_GLOBAL__N_124cunn_SoftMaxBackwardSmemILi4EfffNS1_23SoftMaxBackwardEpilogueEEEvPT0_PKT2_S8_l.uses_vcc, 1
	.set _ZN2at6native12_GLOBAL__N_124cunn_SoftMaxBackwardSmemILi4EfffNS1_23SoftMaxBackwardEpilogueEEEvPT0_PKT2_S8_l.uses_flat_scratch, 0
	.set _ZN2at6native12_GLOBAL__N_124cunn_SoftMaxBackwardSmemILi4EfffNS1_23SoftMaxBackwardEpilogueEEEvPT0_PKT2_S8_l.has_dyn_sized_stack, 0
	.set _ZN2at6native12_GLOBAL__N_124cunn_SoftMaxBackwardSmemILi4EfffNS1_23SoftMaxBackwardEpilogueEEEvPT0_PKT2_S8_l.has_recursion, 0
	.set _ZN2at6native12_GLOBAL__N_124cunn_SoftMaxBackwardSmemILi4EfffNS1_23SoftMaxBackwardEpilogueEEEvPT0_PKT2_S8_l.has_indirect_call, 0
	.section	.AMDGPU.csdata,"",@progbits
; Kernel info:
; codeLenInByte = 976
; TotalNumSgprs: 20
; NumVgprs: 16
; ScratchSize: 0
; MemoryBound: 0
; FloatMode: 240
; IeeeMode: 1
; LDSByteSize: 0 bytes/workgroup (compile time only)
; SGPRBlocks: 0
; VGPRBlocks: 1
; NumSGPRsForWavesPerEU: 20
; NumVGPRsForWavesPerEU: 16
; Occupancy: 16
; WaveLimiterHint : 0
; COMPUTE_PGM_RSRC2:SCRATCH_EN: 0
; COMPUTE_PGM_RSRC2:USER_SGPR: 6
; COMPUTE_PGM_RSRC2:TRAP_HANDLER: 0
; COMPUTE_PGM_RSRC2:TGID_X_EN: 1
; COMPUTE_PGM_RSRC2:TGID_Y_EN: 0
; COMPUTE_PGM_RSRC2:TGID_Z_EN: 0
; COMPUTE_PGM_RSRC2:TIDIG_COMP_CNT: 0
	.section	.text._ZN2at6native12_GLOBAL__N_120cunn_SoftMaxBackwardILi4EfffNS1_23SoftMaxBackwardEpilogueEEEvPT0_PKT2_S8_l,"axG",@progbits,_ZN2at6native12_GLOBAL__N_120cunn_SoftMaxBackwardILi4EfffNS1_23SoftMaxBackwardEpilogueEEEvPT0_PKT2_S8_l,comdat
	.globl	_ZN2at6native12_GLOBAL__N_120cunn_SoftMaxBackwardILi4EfffNS1_23SoftMaxBackwardEpilogueEEEvPT0_PKT2_S8_l ; -- Begin function _ZN2at6native12_GLOBAL__N_120cunn_SoftMaxBackwardILi4EfffNS1_23SoftMaxBackwardEpilogueEEEvPT0_PKT2_S8_l
	.p2align	8
	.type	_ZN2at6native12_GLOBAL__N_120cunn_SoftMaxBackwardILi4EfffNS1_23SoftMaxBackwardEpilogueEEEvPT0_PKT2_S8_l,@function
_ZN2at6native12_GLOBAL__N_120cunn_SoftMaxBackwardILi4EfffNS1_23SoftMaxBackwardEpilogueEEEvPT0_PKT2_S8_l: ; @_ZN2at6native12_GLOBAL__N_120cunn_SoftMaxBackwardILi4EfffNS1_23SoftMaxBackwardEpilogueEEEvPT0_PKT2_S8_l
; %bb.0:
	s_load_dwordx8 s[8:15], s[4:5], 0x0
	s_mov_b32 s27, 0
	s_waitcnt lgkmcnt(0)
	s_mul_i32 s1, s15, s6
	s_mul_hi_u32 s2, s14, s6
	s_mul_i32 s0, s14, s6
	s_add_i32 s1, s2, s1
	v_cmp_lt_i64_e64 s7, 0x7ffffffe, s[14:15]
	s_lshl_b64 s[20:21], s[0:1], 2
	s_mov_b64 s[16:17], s[14:15]
	s_add_u32 s2, s12, s20
	s_addc_u32 s3, s13, s21
	s_bfe_u32 s26, s2, 0x20002
	s_cmp_lg_u32 s26, 0
	s_cselect_b32 s28, -1, 0
	s_and_b32 vcc_lo, exec_lo, s7
	s_cbranch_vccz .LBB569_16
; %bb.1:
	v_mov_b32_e32 v1, 0
	s_add_u32 s0, s4, 32
	s_addc_u32 s1, s5, 0
	s_and_b32 vcc_lo, exec_lo, s28
	s_cbranch_vccz .LBB569_39
; %bb.2:
	s_lshl_b32 s0, s26, 2
	v_mov_b32_e32 v6, v1
	s_sub_u32 s22, s2, s0
	s_mov_b32 s24, 0
	s_subb_u32 s23, s3, 0
	s_mov_b32 s0, exec_lo
	v_cmpx_le_u64_e64 s[26:27], v[0:1]
	s_cbranch_execz .LBB569_4
; %bb.3:
	v_lshlrev_b32_e32 v2, 2, v0
	global_load_dword v2, v2, s[22:23]
	s_waitcnt vmcnt(0)
	v_add_f32_e32 v6, 0, v2
.LBB569_4:
	s_or_b32 exec_lo, exec_lo, s0
	s_load_dword s18, s[4:5], 0x2c
	s_add_u32 s19, s26, s14
	s_addc_u32 s25, 0, s15
	s_add_u32 s0, s4, 32
	s_addc_u32 s1, s5, 0
	s_waitcnt lgkmcnt(0)
	s_and_b32 s29, s18, 0xffff
	s_sub_u32 s18, s19, s29
	s_subb_u32 s19, s25, 0
	s_lshl_b32 s25, s29, 2
	s_add_u32 s22, s22, s25
	s_addc_u32 s23, s23, 0
	s_and_b32 vcc_lo, exec_lo, s24
	s_cbranch_vccz .LBB569_6
.LBB569_5:
	v_mov_b32_e32 v6, 0
	s_mov_b64 s[18:19], s[16:17]
	s_mov_b64 s[22:23], s[2:3]
.LBB569_6:
	s_load_dword s24, s[0:1], 0x0
	v_mov_b32_e32 v2, 0
	s_waitcnt lgkmcnt(0)
	s_cmp_lt_u32 s6, s24
	s_cselect_b32 s24, 12, 18
	s_add_u32 s0, s0, s24
	s_addc_u32 s1, s1, 0
	global_load_ushort v2, v2, s[0:1]
	s_mov_b32 s0, 0
	s_waitcnt vmcnt(0)
	v_readfirstlane_b32 s1, v2
	v_and_b32_e32 v7, 0xffff, v2
	s_and_b32 s24, 0xffff, s1
	s_mov_b32 s1, s19
	s_lshl_b32 s29, s24, 2
	s_cmp_lg_u64 s[0:1], 0
	s_cbranch_scc0 .LBB569_40
; %bb.7:
	v_cvt_f32_u32_e32 v2, s29
	s_sub_u32 s25, 0, s29
	s_subb_u32 s30, 0, 0
	v_fmamk_f32 v2, 0, 0x4f800000, v2
	v_rcp_f32_e32 v2, v2
	v_mul_f32_e32 v2, 0x5f7ffffc, v2
	v_mul_f32_e32 v3, 0x2f800000, v2
	v_trunc_f32_e32 v3, v3
	v_fmamk_f32 v2, v3, 0xcf800000, v2
	v_cvt_u32_f32_e32 v3, v3
	v_cvt_u32_f32_e32 v2, v2
	v_readfirstlane_b32 s1, v3
	v_readfirstlane_b32 s24, v2
	s_mul_i32 s31, s25, s1
	s_mul_hi_u32 s34, s25, s24
	s_mul_i32 s33, s30, s24
	s_add_i32 s31, s34, s31
	s_mul_i32 s35, s25, s24
	s_add_i32 s31, s31, s33
	s_mul_hi_u32 s34, s24, s35
	s_mul_i32 s37, s24, s31
	s_mul_hi_u32 s36, s1, s35
	s_mul_i32 s33, s1, s35
	s_mul_hi_u32 s35, s24, s31
	s_add_u32 s34, s34, s37
	s_addc_u32 s35, 0, s35
	s_mul_hi_u32 s38, s1, s31
	s_add_u32 s33, s34, s33
	s_mul_i32 s31, s1, s31
	s_addc_u32 s33, s35, s36
	s_addc_u32 s34, s38, 0
	s_add_u32 s31, s33, s31
	s_addc_u32 s33, 0, s34
	s_add_u32 s24, s24, s31
	s_cselect_b32 s31, -1, 0
	s_mul_hi_u32 s34, s25, s24
	s_cmp_lg_u32 s31, 0
	s_mul_i32 s31, s25, s24
	s_addc_u32 s1, s1, s33
	s_mul_i32 s30, s30, s24
	s_mul_i32 s25, s25, s1
	s_mul_hi_u32 s33, s24, s31
	s_add_i32 s25, s34, s25
	s_mul_hi_u32 s34, s1, s31
	s_add_i32 s25, s25, s30
	s_mul_i32 s30, s1, s31
	s_mul_i32 s36, s24, s25
	s_mul_hi_u32 s35, s24, s25
	s_add_u32 s33, s33, s36
	s_addc_u32 s35, 0, s35
	s_mul_hi_u32 s31, s1, s25
	s_add_u32 s30, s33, s30
	s_mul_i32 s25, s1, s25
	s_addc_u32 s30, s35, s34
	s_addc_u32 s31, s31, 0
	s_add_u32 s25, s30, s25
	s_addc_u32 s30, 0, s31
	s_add_u32 s24, s24, s25
	s_cselect_b32 s25, -1, 0
	s_mul_hi_u32 s31, s18, s24
	s_cmp_lg_u32 s25, 0
	s_mul_hi_u32 s25, s19, s24
	s_addc_u32 s1, s1, s30
	s_mul_i32 s24, s19, s24
	s_mul_i32 s33, s18, s1
	s_mul_hi_u32 s30, s18, s1
	s_add_u32 s31, s31, s33
	s_addc_u32 s30, 0, s30
	s_mul_hi_u32 s34, s19, s1
	s_add_u32 s24, s31, s24
	s_mul_i32 s1, s19, s1
	s_addc_u32 s24, s30, s25
	s_addc_u32 s25, s34, 0
	s_add_u32 s1, s24, s1
	s_addc_u32 s24, 0, s25
	s_mul_hi_u32 s25, s29, s1
	s_mul_i32 s24, s29, s24
	s_mul_i32 s1, s29, s1
	s_add_i32 s25, s25, s24
	s_sub_u32 s1, s18, s1
	s_cselect_b32 s24, -1, 0
	s_cmp_lg_u32 s24, 0
	s_subb_u32 s24, s19, s25
	s_sub_u32 s25, s1, s29
	s_cselect_b32 s30, -1, 0
	s_cmp_lg_u32 s30, 0
	s_subb_u32 s30, s24, 0
	;; [unrolled: 4-line block ×3, first 2 shown]
	s_cmp_ge_u32 s25, s29
	s_cselect_b32 s34, -1, 0
	s_cmp_eq_u32 s30, 0
	s_cselect_b32 s34, s34, -1
	s_cmp_lg_u32 s34, 0
	s_cselect_b32 s30, s33, s30
	s_cselect_b32 s31, s31, s25
	s_cmp_ge_u32 s1, s29
	s_cselect_b32 s25, -1, 0
	s_cmp_eq_u32 s24, 0
	s_cselect_b32 s25, s25, -1
	s_cmp_lg_u32 s25, 0
	s_cselect_b32 s25, s30, s24
	s_cselect_b32 s24, s31, s1
	s_andn2_b32 vcc_lo, exec_lo, s0
	s_cbranch_vccnz .LBB569_9
.LBB569_8:
	v_cvt_f32_u32_e32 v2, s29
	s_sub_i32 s1, 0, s29
	s_mov_b32 s25, 0
	v_rcp_iflag_f32_e32 v2, v2
	v_mul_f32_e32 v2, 0x4f7ffffe, v2
	v_cvt_u32_f32_e32 v2, v2
	v_readfirstlane_b32 s0, v2
	s_mul_i32 s1, s1, s0
	s_mul_hi_u32 s1, s0, s1
	s_add_i32 s0, s0, s1
	s_mul_hi_u32 s0, s18, s0
	s_mul_i32 s0, s0, s29
	s_sub_i32 s0, s18, s0
	s_sub_i32 s1, s0, s29
	s_cmp_ge_u32 s0, s29
	s_cselect_b32 s0, s1, s0
	s_sub_i32 s1, s0, s29
	s_cmp_ge_u32 s0, s29
	s_cselect_b32 s24, s1, s0
.LBB569_9:
	v_lshlrev_b32_e32 v2, 4, v0
	v_mov_b32_e32 v5, v1
	v_lshlrev_b32_e32 v8, 4, v7
	v_mov_b32_e32 v4, v0
	s_sub_u32 s24, s18, s24
	v_add_co_u32 v2, s0, s22, v2
	v_add_co_ci_u32_e64 v3, null, s23, 0, s0
	s_subb_u32 s25, s19, s25
	v_add_co_u32 v2, vcc_lo, v2, 8
	v_add_co_ci_u32_e64 v3, null, 0, v3, vcc_lo
	s_mov_b32 s1, 0
	.p2align	6
.LBB569_10:                             ; =>This Inner Loop Header: Depth=1
	global_load_dwordx4 v[9:12], v[2:3], off offset:-8
	v_add_co_u32 v4, vcc_lo, v4, v7
	v_add_co_ci_u32_e64 v5, null, 0, v5, vcc_lo
	v_add_co_u32 v2, s0, v2, v8
	v_add_co_ci_u32_e64 v3, null, 0, v3, s0
	v_lshlrev_b64 v[13:14], 2, v[4:5]
	v_cmp_le_i64_e32 vcc_lo, s[24:25], v[13:14]
	s_or_b32 s1, vcc_lo, s1
	s_waitcnt vmcnt(0)
	v_add_f32_e32 v1, v6, v9
	v_add_f32_e32 v1, v1, v10
	;; [unrolled: 1-line block ×4, first 2 shown]
	s_andn2_b32 exec_lo, exec_lo, s1
	s_cbranch_execnz .LBB569_10
; %bb.11:
	s_or_b32 exec_lo, exec_lo, s1
	v_add_co_u32 v1, s0, s24, v0
	v_add_co_ci_u32_e64 v2, null, s25, 0, s0
	s_mov_b32 s0, exec_lo
	v_cmpx_gt_u64_e64 s[18:19], v[1:2]
	s_cbranch_execz .LBB569_15
; %bb.12:
	s_mov_b32 s1, 0
	.p2align	6
.LBB569_13:                             ; =>This Inner Loop Header: Depth=1
	v_lshlrev_b64 v[3:4], 2, v[1:2]
	v_add_co_u32 v3, vcc_lo, s22, v3
	v_add_co_ci_u32_e64 v4, null, s23, v4, vcc_lo
	v_add_co_u32 v1, vcc_lo, v1, v7
	v_add_co_ci_u32_e64 v2, null, 0, v2, vcc_lo
	global_load_dword v3, v[3:4], off
	v_cmp_le_i64_e32 vcc_lo, s[18:19], v[1:2]
	s_or_b32 s1, vcc_lo, s1
	s_waitcnt vmcnt(0)
	v_add_f32_e32 v6, v6, v3
	s_andn2_b32 exec_lo, exec_lo, s1
	s_cbranch_execnz .LBB569_13
; %bb.14:
	s_or_b32 exec_lo, exec_lo, s1
.LBB569_15:
	s_or_b32 exec_lo, exec_lo, s0
	s_branch .LBB569_31
.LBB569_16:
                                        ; implicit-def: $vgpr6
	s_cbranch_execz .LBB569_31
; %bb.17:
	s_add_u32 s18, s4, 32
	s_addc_u32 s19, s5, 0
	s_and_b32 vcc_lo, exec_lo, s28
	s_cbranch_vccz .LBB569_41
; %bb.18:
	s_lshl_b64 s[0:1], s[26:27], 2
	v_cmp_le_u32_e32 vcc_lo, s26, v0
	s_sub_u32 s22, s2, s0
	s_subb_u32 s23, s3, s1
	s_add_i32 s1, s26, s14
	v_mov_b32_e32 v6, 0
	v_cmp_gt_i32_e64 s0, s1, v0
	s_and_b32 s18, vcc_lo, s0
	s_and_saveexec_b32 s0, s18
	s_cbranch_execz .LBB569_20
; %bb.19:
	v_lshlrev_b32_e32 v1, 2, v0
	global_load_dword v1, v1, s[22:23]
	s_waitcnt vmcnt(0)
	v_add_f32_e32 v6, 0, v1
.LBB569_20:
	s_or_b32 exec_lo, exec_lo, s0
	s_load_dword s0, s[4:5], 0x2c
	s_add_u32 s18, s4, 32
	s_addc_u32 s19, s5, 0
	s_waitcnt lgkmcnt(0)
	s_and_b32 s0, s0, 0xffff
	v_sub_nc_u32_e64 v1, s1, s0 clamp
	s_lshl_b32 s0, s0, 2
	s_add_u32 s0, s22, s0
	s_addc_u32 s1, s23, 0
	v_readfirstlane_b32 s24, v1
	s_branch .LBB569_22
.LBB569_21:
	v_mov_b32_e32 v6, 0
	s_mov_b32 s24, s14
	s_mov_b64 s[0:1], s[2:3]
.LBB569_22:
	s_load_dword s22, s[18:19], 0x0
	v_mov_b32_e32 v1, 0
	s_waitcnt lgkmcnt(0)
	s_cmp_lt_u32 s6, s22
	s_cselect_b32 s22, 12, 18
	s_add_u32 s18, s18, s22
	s_addc_u32 s19, s19, 0
	global_load_ushort v3, v1, s[18:19]
	s_waitcnt vmcnt(0)
	v_readfirstlane_b32 s18, v3
	s_lshl_b32 s18, s18, 2
	v_cvt_f32_u32_e32 v1, s18
	s_sub_i32 s22, 0, s18
	v_rcp_iflag_f32_e32 v1, v1
	v_mul_f32_e32 v1, 0x4f7ffffe, v1
	v_cvt_u32_f32_e32 v1, v1
	v_readfirstlane_b32 s19, v1
	v_lshlrev_b32_e32 v1, 2, v0
	s_mul_i32 s22, s22, s19
	s_mul_hi_u32 s22, s19, s22
	s_add_i32 s19, s19, s22
	s_mul_hi_u32 s19, s24, s19
	s_mul_i32 s19, s19, s18
	s_sub_i32 s19, s24, s19
	s_sub_i32 s22, s19, s18
	s_cmp_ge_u32 s19, s18
	s_cselect_b32 s19, s22, s19
	s_sub_i32 s22, s19, s18
	s_cmp_ge_u32 s19, s18
	s_cselect_b32 s18, s22, s19
	s_mov_b32 s22, 0
	s_sub_i32 s18, s24, s18
	s_mov_b32 s19, exec_lo
	v_cmpx_gt_i32_e64 s18, v1
	s_cbranch_execz .LBB569_26
; %bb.23:
	v_mov_b32_e32 v1, v0
	.p2align	6
.LBB569_24:                             ; =>This Inner Loop Header: Depth=1
	v_ashrrev_i32_e32 v2, 31, v1
	v_lshlrev_b64 v[4:5], 4, v[1:2]
	v_add_nc_u32_e32 v1, v1, v3
	v_add_co_u32 v4, vcc_lo, s0, v4
	v_add_co_ci_u32_e64 v5, null, s1, v5, vcc_lo
	global_load_dwordx4 v[7:10], v[4:5], off
	v_lshlrev_b32_e32 v4, 2, v1
	v_cmp_le_i32_e32 vcc_lo, s18, v4
	s_or_b32 s22, vcc_lo, s22
	s_waitcnt vmcnt(0)
	v_add_f32_e32 v2, v6, v7
	v_add_f32_e32 v2, v2, v8
	;; [unrolled: 1-line block ×4, first 2 shown]
	s_andn2_b32 exec_lo, exec_lo, s22
	s_cbranch_execnz .LBB569_24
; %bb.25:
	s_or_b32 exec_lo, exec_lo, s22
.LBB569_26:
	s_or_b32 exec_lo, exec_lo, s19
	v_add_nc_u32_e32 v1, s18, v0
	s_mov_b32 s18, exec_lo
	v_cmpx_gt_i32_e64 s24, v1
	s_cbranch_execz .LBB569_30
; %bb.27:
	s_mov_b32 s19, 0
.LBB569_28:                             ; =>This Inner Loop Header: Depth=1
	v_ashrrev_i32_e32 v2, 31, v1
	v_lshlrev_b64 v[4:5], 2, v[1:2]
	v_add_nc_u32_e32 v1, v1, v3
	v_add_co_u32 v4, vcc_lo, s0, v4
	v_add_co_ci_u32_e64 v5, null, s1, v5, vcc_lo
	v_cmp_le_i32_e32 vcc_lo, s24, v1
	global_load_dword v2, v[4:5], off
	s_or_b32 s19, vcc_lo, s19
	s_waitcnt vmcnt(0)
	v_add_f32_e32 v6, v6, v2
	s_andn2_b32 exec_lo, exec_lo, s19
	s_cbranch_execnz .LBB569_28
; %bb.29:
	s_or_b32 exec_lo, exec_lo, s19
.LBB569_30:
	s_or_b32 exec_lo, exec_lo, s18
.LBB569_31:
	v_lshl_add_u32 v1, v0, 2, 0
	s_barrier
	buffer_gl0_inv
	ds_write_b32 v1, v6
	s_waitcnt lgkmcnt(0)
	s_barrier
	buffer_gl0_inv
	s_load_dword s1, s[4:5], 0x2c
	s_add_u32 s4, s4, 32
	s_addc_u32 s5, s5, 0
	s_waitcnt lgkmcnt(0)
	s_bfe_u32 s0, s1, 0xb0005
	s_and_b32 s0, s0, 0xffff
	s_min_u32 s18, s0, 32
	v_cmp_gt_u32_e32 vcc_lo, s18, v0
	s_and_saveexec_b32 s18, vcc_lo
	s_cbranch_execz .LBB569_33
; %bb.32:
	v_mad_u32_u24 v10, 0x7c, v0, v1
	ds_read2_b32 v[2:3], v10 offset1:1
	ds_read2_b32 v[4:5], v10 offset0:2 offset1:3
	ds_read2_b32 v[6:7], v10 offset0:4 offset1:5
	;; [unrolled: 1-line block ×3, first 2 shown]
	s_waitcnt lgkmcnt(3)
	v_add_f32_e32 v2, 0, v2
	v_add_f32_e32 v2, v2, v3
	s_waitcnt lgkmcnt(2)
	v_add_f32_e32 v2, v2, v4
	v_add_f32_e32 v4, v2, v5
	ds_read2_b32 v[2:3], v10 offset0:8 offset1:9
	s_waitcnt lgkmcnt(2)
	v_add_f32_e32 v4, v4, v6
	v_add_f32_e32 v6, v4, v7
	ds_read2_b32 v[4:5], v10 offset0:10 offset1:11
	;; [unrolled: 4-line block ×3, first 2 shown]
	ds_read2_b32 v[8:9], v10 offset0:14 offset1:15
	s_waitcnt lgkmcnt(3)
	v_add_f32_e32 v2, v11, v2
	v_add_f32_e32 v2, v2, v3
	s_waitcnt lgkmcnt(2)
	v_add_f32_e32 v2, v2, v4
	v_add_f32_e32 v4, v2, v5
	ds_read2_b32 v[2:3], v10 offset0:16 offset1:17
	s_waitcnt lgkmcnt(2)
	v_add_f32_e32 v4, v4, v6
	v_add_f32_e32 v6, v4, v7
	ds_read2_b32 v[4:5], v10 offset0:18 offset1:19
	;; [unrolled: 4-line block ×3, first 2 shown]
	ds_read2_b32 v[8:9], v10 offset0:22 offset1:23
	s_waitcnt lgkmcnt(3)
	v_add_f32_e32 v2, v11, v2
	v_add_f32_e32 v2, v2, v3
	s_waitcnt lgkmcnt(2)
	v_add_f32_e32 v2, v2, v4
	v_add_f32_e32 v2, v2, v5
	s_waitcnt lgkmcnt(1)
	v_add_f32_e32 v4, v2, v6
	ds_read2_b32 v[2:3], v10 offset0:24 offset1:25
	v_add_f32_e32 v4, v4, v7
	s_waitcnt lgkmcnt(1)
	v_add_f32_e32 v6, v4, v8
	ds_read2_b32 v[4:5], v10 offset0:26 offset1:27
	v_add_f32_e32 v11, v6, v9
	ds_read2_b32 v[6:7], v10 offset0:28 offset1:29
	ds_read2_b32 v[8:9], v10 offset0:30 offset1:31
	s_waitcnt lgkmcnt(3)
	v_add_f32_e32 v2, v11, v2
	v_add_f32_e32 v2, v2, v3
	s_waitcnt lgkmcnt(2)
	v_add_f32_e32 v2, v2, v4
	v_add_f32_e32 v2, v2, v5
	;; [unrolled: 3-line block ×4, first 2 shown]
	ds_write_b32 v1, v2
.LBB569_33:
	s_or_b32 exec_lo, exec_lo, s18
	s_and_b32 s33, 0xffff, s1
	s_mov_b32 s1, exec_lo
	s_waitcnt lgkmcnt(0)
	s_barrier
	buffer_gl0_inv
	v_cmpx_eq_u32_e32 0, v0
	s_cbranch_execz .LBB569_46
; %bb.34:
	v_mov_b32_e32 v1, 0
	s_cmp_lt_u32 s33, 32
	s_cbranch_scc1 .LBB569_45
; %bb.35:
	s_add_i32 s18, s0, -1
	v_mov_b32_e32 v1, 0
	s_and_b32 s18, s18, 0xffff
	s_cmp_lt_u32 s18, 7
	s_cbranch_scc1 .LBB569_42
; %bb.36:
	s_and_b32 s18, s0, 0x7f8
	s_mov_b32 s19, 0
	s_mov_b32 s22, 0
	.p2align	6
.LBB569_37:                             ; =>This Inner Loop Header: Depth=1
	v_mov_b32_e32 v8, s22
	s_add_i32 s19, s19, 8
	s_add_i32 s22, s22, 32
	s_cmp_eq_u32 s18, s19
	ds_read2_b32 v[2:3], v8 offset1:1
	ds_read2_b32 v[4:5], v8 offset0:2 offset1:3
	ds_read2_b32 v[6:7], v8 offset0:4 offset1:5
	;; [unrolled: 1-line block ×3, first 2 shown]
	s_waitcnt lgkmcnt(3)
	v_add_f32_e32 v1, v1, v2
	v_add_f32_e32 v1, v1, v3
	s_waitcnt lgkmcnt(2)
	v_add_f32_e32 v1, v1, v4
	v_add_f32_e32 v1, v1, v5
	;; [unrolled: 3-line block ×4, first 2 shown]
	s_cbranch_scc0 .LBB569_37
; %bb.38:
	s_and_b32 s0, s0, 7
	s_cmp_eq_u32 s0, 0
	s_cbranch_scc0 .LBB569_43
	s_branch .LBB569_45
.LBB569_39:
                                        ; implicit-def: $sgpr22_sgpr23
                                        ; implicit-def: $sgpr18_sgpr19
                                        ; implicit-def: $vgpr6
	s_cbranch_execnz .LBB569_5
	s_branch .LBB569_6
.LBB569_40:
                                        ; implicit-def: $sgpr24_sgpr25
	s_branch .LBB569_8
.LBB569_41:
                                        ; implicit-def: $sgpr0_sgpr1
                                        ; implicit-def: $sgpr24
                                        ; implicit-def: $vgpr6
	s_cbranch_execnz .LBB569_21
	s_branch .LBB569_22
.LBB569_42:
	s_mov_b32 s18, 0
	s_and_b32 s0, s0, 7
	s_cmp_eq_u32 s0, 0
	s_cbranch_scc1 .LBB569_45
.LBB569_43:
	s_lshl_b32 s18, s18, 2
	s_add_i32 s18, s18, 0
.LBB569_44:                             ; =>This Inner Loop Header: Depth=1
	v_mov_b32_e32 v2, s18
	s_add_i32 s0, s0, -1
	s_add_i32 s18, s18, 4
	s_cmp_lg_u32 s0, 0
	ds_read_b32 v2, v2
	s_waitcnt lgkmcnt(0)
	v_add_f32_e32 v1, v1, v2
	s_cbranch_scc1 .LBB569_44
.LBB569_45:
	v_mov_b32_e32 v2, 0
	ds_write_b32 v2, v1
.LBB569_46:
	s_or_b32 exec_lo, exec_lo, s1
	v_mov_b32_e32 v1, 0
	s_waitcnt lgkmcnt(0)
	s_barrier
	buffer_gl0_inv
	s_add_u32 s18, s8, s20
	ds_read_b32 v6, v1
	s_addc_u32 s19, s9, s21
	s_add_u32 s22, s10, s20
	s_addc_u32 s23, s11, s21
	s_lshr_b64 s[0:1], s[18:19], 2
	s_mov_b32 s25, 0
	s_and_b32 s24, s0, 3
	s_bfe_u32 s0, s22, 0x20002
	s_mov_b32 s1, s25
	s_cmp_eq_u64 s[24:25], s[0:1]
	s_cselect_b32 s0, -1, 0
	s_cmp_eq_u64 s[24:25], s[26:27]
	s_cselect_b32 s1, -1, 0
	s_and_b32 s0, s0, s1
	s_andn2_b32 vcc_lo, exec_lo, s0
	s_mov_b32 s0, -1
	s_cbranch_vccz .LBB569_65
; %bb.47:
	s_and_b32 vcc_lo, exec_lo, s7
	s_cbranch_vccz .LBB569_56
; %bb.48:
	s_lshl_b32 s36, s33, 2
	s_mov_b32 s38, 0
	v_cvt_f32_u32_e32 v1, s36
	s_sub_i32 s1, 0, s36
	s_mov_b32 s37, exec_lo
	v_rcp_iflag_f32_e32 v1, v1
	v_mul_f32_e32 v1, 0x4f7ffffe, v1
	v_cvt_u32_f32_e32 v1, v1
	v_readfirstlane_b32 s0, v1
	v_mov_b32_e32 v1, 0
	s_mul_i32 s1, s1, s0
	v_mov_b32_e32 v3, v1
	s_mul_hi_u32 s1, s0, s1
	v_mov_b32_e32 v2, v0
	s_add_i32 s0, s0, s1
	s_mul_hi_u32 s0, s14, s0
	s_mul_i32 s0, s0, s36
	s_sub_i32 s0, s14, s0
	s_sub_i32 s1, s0, s36
	s_cmp_ge_u32 s0, s36
	s_cselect_b32 s0, s1, s0
	s_sub_i32 s1, s0, s36
	s_cmp_ge_u32 s0, s36
	s_cselect_b32 s0, s1, s0
	s_bfe_i64 s[26:27], s[14:15], 0x200000
	s_sub_u32 s0, s26, s0
	s_subb_u32 s1, s27, 0
	v_cmpx_gt_i64_e64 s[0:1], v[0:1]
	s_cbranch_execz .LBB569_52
; %bb.49:
	s_lshl_b32 s39, s33, 4
	s_add_u32 s28, s20, s36
	s_addc_u32 s29, s21, 0
	s_add_u32 s40, s10, s28
	s_addc_u32 s41, s11, s29
	s_lshl_b32 s30, s33, 3
	s_mul_i32 s34, s33, 12
	s_add_u32 s30, s20, s30
	s_addc_u32 s31, s21, 0
	s_add_u32 s42, s10, s30
	s_addc_u32 s43, s11, s31
	;; [unrolled: 2-line block ×7, first 2 shown]
	s_add_u32 s52, s8, s28
	v_lshlrev_b64 v[4:5], 2, v[0:1]
	s_addc_u32 s53, s9, s29
	v_mov_b32_e32 v3, v1
	s_add_u32 s54, s8, s30
	v_mov_b32_e32 v2, v0
	s_addc_u32 s55, s9, s31
	s_add_u32 s56, s8, s34
	s_addc_u32 s57, s9, s35
	s_mov_b64 s[28:29], s[18:19]
	s_mov_b64 s[30:31], s[2:3]
	;; [unrolled: 1-line block ×3, first 2 shown]
.LBB569_50:                             ; =>This Inner Loop Header: Depth=1
	v_add_co_u32 v7, vcc_lo, s34, v4
	v_add_co_ci_u32_e64 v8, null, s35, v5, vcc_lo
	v_add_co_u32 v9, vcc_lo, s30, v4
	v_add_co_ci_u32_e64 v10, null, s31, v5, vcc_lo
	;; [unrolled: 2-line block ×8, first 2 shown]
	global_load_dword v1, v[7:8], off
	global_load_dword v23, v[9:10], off
	;; [unrolled: 1-line block ×8, first 2 shown]
	s_add_u32 s34, s34, s39
	s_addc_u32 s35, s35, 0
	s_add_u32 s40, s40, s39
	v_add_co_u32 v7, vcc_lo, s28, v4
	s_addc_u32 s41, s41, 0
	s_add_u32 s42, s42, s39
	v_add_co_ci_u32_e64 v8, null, s29, v5, vcc_lo
	v_add_co_u32 v9, vcc_lo, s52, v4
	s_addc_u32 s43, s43, 0
	s_add_u32 s44, s44, s39
	v_add_co_ci_u32_e64 v10, null, s53, v5, vcc_lo
	v_add_co_u32 v11, vcc_lo, s54, v4
	s_addc_u32 s45, s45, 0
	s_add_u32 s30, s30, s39
	v_add_co_ci_u32_e64 v12, null, s55, v5, vcc_lo
	v_add_co_u32 v13, vcc_lo, s56, v4
	s_addc_u32 s31, s31, 0
	s_add_u32 s46, s46, s39
	v_add_co_ci_u32_e64 v14, null, s57, v5, vcc_lo
	v_add_co_u32 v2, vcc_lo, v2, s36
	s_addc_u32 s47, s47, 0
	s_add_u32 s48, s48, s39
	v_add_co_ci_u32_e64 v3, null, 0, v3, vcc_lo
	s_addc_u32 s49, s49, 0
	s_add_u32 s50, s50, s39
	s_addc_u32 s51, s51, 0
	s_add_u32 s28, s28, s39
	s_addc_u32 s29, s29, 0
	v_cmp_le_i64_e32 vcc_lo, s[0:1], v[2:3]
	s_add_u32 s52, s52, s39
	s_addc_u32 s53, s53, 0
	s_add_u32 s54, s54, s39
	s_addc_u32 s55, s55, 0
	;; [unrolled: 2-line block ×3, first 2 shown]
	s_or_b32 s38, vcc_lo, s38
	s_waitcnt vmcnt(6) lgkmcnt(0)
	v_fma_f32 v1, -v6, v1, v23
	s_waitcnt vmcnt(4)
	v_fma_f32 v19, -v6, v24, v25
	s_waitcnt vmcnt(2)
	;; [unrolled: 2-line block ×3, first 2 shown]
	v_fma_f32 v16, -v6, v17, v18
	global_store_dword v[7:8], v1, off
	global_store_dword v[9:10], v19, off
	global_store_dword v[11:12], v15, off
	global_store_dword v[13:14], v16, off
	s_andn2_b32 exec_lo, exec_lo, s38
	s_cbranch_execnz .LBB569_50
; %bb.51:
	s_or_b32 exec_lo, exec_lo, s38
.LBB569_52:
	s_or_b32 exec_lo, exec_lo, s37
	s_mov_b32 s1, exec_lo
	v_cmpx_gt_i64_e64 s[26:27], v[2:3]
	s_cbranch_execz .LBB569_55
; %bb.53:
	v_lshlrev_b64 v[4:5], 2, v[2:3]
	v_add_co_u32 v1, vcc_lo, s20, v4
	v_add_co_ci_u32_e64 v4, null, s21, v5, vcc_lo
	s_mov_b32 s20, 0
	.p2align	6
.LBB569_54:                             ; =>This Inner Loop Header: Depth=1
	v_add_co_u32 v7, vcc_lo, s12, v1
	v_add_co_ci_u32_e64 v8, null, s13, v4, vcc_lo
	v_add_co_u32 v9, vcc_lo, s10, v1
	v_add_co_ci_u32_e64 v10, null, s11, v4, vcc_lo
	global_load_dword v5, v[7:8], off
	global_load_dword v9, v[9:10], off
	v_add_co_u32 v2, vcc_lo, v2, s33
	v_add_co_ci_u32_e64 v3, null, 0, v3, vcc_lo
	v_add_co_u32 v7, vcc_lo, s8, v1
	v_add_co_ci_u32_e64 v8, null, s9, v4, vcc_lo
	v_cmp_le_i64_e32 vcc_lo, s[26:27], v[2:3]
	v_add_co_u32 v1, s0, v1, s36
	v_add_co_ci_u32_e64 v4, null, 0, v4, s0
	s_or_b32 s20, vcc_lo, s20
	s_waitcnt vmcnt(0) lgkmcnt(0)
	v_fma_f32 v5, -v6, v9, v5
	global_store_dword v[7:8], v5, off
	s_andn2_b32 exec_lo, exec_lo, s20
	s_cbranch_execnz .LBB569_54
.LBB569_55:
	s_or_b32 exec_lo, exec_lo, s1
	s_mov_b32 s0, 0
.LBB569_56:
	s_and_b32 vcc_lo, exec_lo, s0
	s_cbranch_vccz .LBB569_91
; %bb.57:
	s_lshl_b32 s0, s33, 2
	s_mov_b32 s9, 0
	v_cvt_f32_u32_e32 v1, s0
	s_sub_i32 s8, 0, s0
	v_rcp_iflag_f32_e32 v1, v1
	v_mul_f32_e32 v1, 0x4f7ffffe, v1
	v_cvt_u32_f32_e32 v1, v1
	v_readfirstlane_b32 s1, v1
	v_mov_b32_e32 v1, v0
	s_mul_i32 s8, s8, s1
	s_mul_hi_u32 s8, s1, s8
	s_add_i32 s1, s1, s8
	s_mul_hi_u32 s1, s14, s1
	s_mul_i32 s1, s1, s0
	s_sub_i32 s1, s14, s1
	s_sub_i32 s8, s1, s0
	s_cmp_ge_u32 s1, s0
	s_cselect_b32 s1, s8, s1
	s_sub_i32 s8, s1, s0
	s_cmp_ge_u32 s1, s0
	s_cselect_b32 s0, s8, s1
	s_mov_b32 s1, exec_lo
	s_sub_i32 s8, s14, s0
	v_cmpx_gt_i32_e64 s8, v0
	s_cbranch_execz .LBB569_61
; %bb.58:
	v_mov_b32_e32 v2, 0
	v_mov_b32_e32 v1, v0
	s_lshl_b32 s10, s33, 1
	s_mul_i32 s11, s33, 3
	s_add_i32 s12, s33, s33
.LBB569_59:                             ; =>This Inner Loop Header: Depth=1
	v_lshlrev_b64 v[3:4], 2, v[1:2]
	v_add_nc_u32_e32 v7, s33, v1
	v_mov_b32_e32 v8, v2
	v_add_nc_u32_e32 v9, s10, v1
	v_mov_b32_e32 v10, v2
	v_add_nc_u32_e32 v1, s11, v1
	v_add_co_u32 v15, vcc_lo, s22, v3
	v_lshlrev_b64 v[11:12], 2, v[7:8]
	v_add_co_ci_u32_e64 v16, null, s23, v4, vcc_lo
	v_add_co_u32 v17, vcc_lo, s2, v3
	v_add_co_ci_u32_e64 v18, null, s3, v4, vcc_lo
	v_lshlrev_b64 v[8:9], 2, v[9:10]
	global_load_dword v5, v[15:16], off
	global_load_dword v27, v[17:18], off
	v_add_co_u32 v15, vcc_lo, s22, v11
	v_lshlrev_b64 v[13:14], 2, v[1:2]
	v_add_co_ci_u32_e64 v16, null, s23, v12, vcc_lo
	v_add_co_u32 v17, vcc_lo, s2, v11
	v_add_co_ci_u32_e64 v18, null, s3, v12, vcc_lo
	v_add_co_u32 v19, vcc_lo, s22, v8
	;; [unrolled: 2-line block ×5, first 2 shown]
	v_add_co_ci_u32_e64 v26, null, s3, v14, vcc_lo
	global_load_dword v15, v[15:16], off
	global_load_dword v16, v[17:18], off
	;; [unrolled: 1-line block ×6, first 2 shown]
	v_add3_u32 v1, s12, s33, v7
	v_add_co_u32 v3, vcc_lo, s18, v3
	v_add_co_u32 v10, s0, s18, v11
	v_add_co_ci_u32_e64 v4, null, s19, v4, vcc_lo
	v_cmp_le_i32_e32 vcc_lo, s8, v1
	v_add_co_ci_u32_e64 v11, null, s19, v12, s0
	v_add_co_u32 v7, s0, s18, v8
	v_add_co_ci_u32_e64 v8, null, s19, v9, s0
	v_add_co_u32 v12, s0, s18, v13
	v_add_co_ci_u32_e64 v13, null, s19, v14, s0
	s_or_b32 s9, vcc_lo, s9
	s_waitcnt vmcnt(6) lgkmcnt(0)
	v_fma_f32 v5, -v6, v5, v27
	s_waitcnt vmcnt(4)
	v_fma_f32 v9, -v6, v15, v16
	s_waitcnt vmcnt(2)
	;; [unrolled: 2-line block ×3, first 2 shown]
	v_fma_f32 v15, -v6, v19, v20
	global_store_dword v[3:4], v5, off
	global_store_dword v[10:11], v9, off
	;; [unrolled: 1-line block ×4, first 2 shown]
	s_andn2_b32 exec_lo, exec_lo, s9
	s_cbranch_execnz .LBB569_59
; %bb.60:
	s_or_b32 exec_lo, exec_lo, s9
.LBB569_61:
	s_or_b32 exec_lo, exec_lo, s1
	s_mov_b32 s1, exec_lo
	v_cmpx_gt_i32_e64 s14, v1
	s_cbranch_execz .LBB569_64
; %bb.62:
	s_mov_b32 s8, 0
	.p2align	6
.LBB569_63:                             ; =>This Inner Loop Header: Depth=1
	v_ashrrev_i32_e32 v2, 31, v1
	v_lshlrev_b64 v[2:3], 2, v[1:2]
	v_add_nc_u32_e32 v1, s33, v1
	v_add_co_u32 v4, vcc_lo, s2, v2
	v_add_co_ci_u32_e64 v5, null, s3, v3, vcc_lo
	v_add_co_u32 v7, vcc_lo, s22, v2
	v_add_co_ci_u32_e64 v8, null, s23, v3, vcc_lo
	global_load_dword v4, v[4:5], off
	global_load_dword v5, v[7:8], off
	v_cmp_le_i32_e32 vcc_lo, s14, v1
	v_add_co_u32 v2, s0, s18, v2
	v_add_co_ci_u32_e64 v3, null, s19, v3, s0
	s_or_b32 s8, vcc_lo, s8
	s_waitcnt vmcnt(0) lgkmcnt(0)
	v_fma_f32 v4, -v6, v5, v4
	global_store_dword v[2:3], v4, off
	s_andn2_b32 exec_lo, exec_lo, s8
	s_cbranch_execnz .LBB569_63
.LBB569_64:
	s_or_b32 exec_lo, exec_lo, s1
	s_mov_b32 s0, 0
.LBB569_65:
	s_andn2_b32 vcc_lo, exec_lo, s0
	s_cbranch_vccnz .LBB569_92
.LBB569_66:
	s_cmp_lg_u64 s[24:25], 0
	s_mov_b32 s1, -1
	s_cselect_b32 s30, -1, 0
	s_and_b32 vcc_lo, exec_lo, s7
	v_cndmask_b32_e64 v1, 0, 1, s30
	v_cmp_ne_u32_e64 s0, 1, v1
	s_cbranch_vccz .LBB569_80
; %bb.67:
	v_mov_b32_e32 v1, 0
	s_and_b32 vcc_lo, exec_lo, s0
	s_mov_b64 s[8:9], s[18:19]
	s_mov_b64 s[10:11], s[22:23]
	;; [unrolled: 1-line block ×3, first 2 shown]
	s_cbranch_vccnz .LBB569_71
; %bb.68:
	s_lshl_b32 s7, s24, 2
	s_mov_b32 s8, exec_lo
	s_sub_u32 s0, s18, s7
	s_subb_u32 s1, s19, 0
	s_sub_u32 s10, s22, s7
	s_subb_u32 s11, s23, 0
	;; [unrolled: 2-line block ×3, first 2 shown]
	v_cmpx_le_u64_e64 s[24:25], v[0:1]
	s_cbranch_execz .LBB569_70
; %bb.69:
	v_lshlrev_b64 v[2:3], 2, v[0:1]
	v_add_co_u32 v4, vcc_lo, s7, v2
	v_add_co_ci_u32_e64 v5, null, s13, v3, vcc_lo
	v_add_co_u32 v7, vcc_lo, s10, v2
	v_add_co_ci_u32_e64 v8, null, s11, v3, vcc_lo
	global_load_dword v4, v[4:5], off
	global_load_dword v5, v[7:8], off
	v_add_co_u32 v2, vcc_lo, s0, v2
	v_add_co_ci_u32_e64 v3, null, s1, v3, vcc_lo
	s_waitcnt vmcnt(0) lgkmcnt(0)
	v_fma_f32 v4, -v6, v5, v4
	global_store_dword v[2:3], v4, off
.LBB569_70:
	s_or_b32 exec_lo, exec_lo, s8
	s_add_u32 s8, s24, s14
	s_addc_u32 s9, 0, s15
	s_sub_u32 s16, s8, s33
	s_subb_u32 s17, s9, 0
	s_lshl_b32 s12, s33, 2
	s_add_u32 s8, s0, s12
	s_addc_u32 s9, s1, 0
	s_add_u32 s10, s10, s12
	s_addc_u32 s11, s11, 0
	;; [unrolled: 2-line block ×3, first 2 shown]
.LBB569_71:
	s_load_dword s0, s[4:5], 0x0
	v_mov_b32_e32 v2, 0
	s_waitcnt lgkmcnt(0)
	s_cmp_lt_u32 s6, s0
	s_cselect_b32 s0, 12, 18
	s_add_u32 s0, s4, s0
	s_addc_u32 s1, s5, 0
	global_load_ushort v2, v2, s[0:1]
	s_mov_b32 s0, 0
	s_waitcnt vmcnt(0)
	v_readfirstlane_b32 s1, v2
	s_and_b32 s7, s1, 0xffff
	s_mov_b32 s1, s17
	s_lshl_b32 s15, s7, 2
	s_cmp_lg_u64 s[0:1], 0
	s_cbranch_scc0 .LBB569_93
; %bb.72:
	v_cvt_f32_u32_e32 v2, s15
	s_sub_u32 s21, 0, s15
	s_subb_u32 s25, 0, 0
	v_fmamk_f32 v2, 0, 0x4f800000, v2
	v_rcp_f32_e32 v2, v2
	v_mul_f32_e32 v2, 0x5f7ffffc, v2
	v_mul_f32_e32 v3, 0x2f800000, v2
	v_trunc_f32_e32 v3, v3
	v_fmamk_f32 v2, v3, 0xcf800000, v2
	v_cvt_u32_f32_e32 v3, v3
	v_cvt_u32_f32_e32 v2, v2
	v_readfirstlane_b32 s1, v3
	v_readfirstlane_b32 s20, v2
	s_mul_i32 s26, s21, s1
	s_mul_hi_u32 s28, s21, s20
	s_mul_i32 s27, s25, s20
	s_add_i32 s26, s28, s26
	s_mul_i32 s29, s21, s20
	s_add_i32 s26, s26, s27
	s_mul_hi_u32 s28, s20, s29
	s_mul_i32 s34, s20, s26
	s_mul_hi_u32 s31, s1, s29
	s_mul_i32 s27, s1, s29
	s_mul_hi_u32 s29, s20, s26
	s_add_u32 s28, s28, s34
	s_addc_u32 s29, 0, s29
	s_mul_hi_u32 s35, s1, s26
	s_add_u32 s27, s28, s27
	s_mul_i32 s26, s1, s26
	s_addc_u32 s27, s29, s31
	s_addc_u32 s28, s35, 0
	s_add_u32 s26, s27, s26
	s_addc_u32 s27, 0, s28
	s_add_u32 s20, s20, s26
	s_cselect_b32 s26, -1, 0
	s_mul_hi_u32 s28, s21, s20
	s_cmp_lg_u32 s26, 0
	s_mul_i32 s26, s21, s20
	s_addc_u32 s1, s1, s27
	s_mul_i32 s25, s25, s20
	s_mul_i32 s21, s21, s1
	s_mul_hi_u32 s27, s20, s26
	s_add_i32 s21, s28, s21
	s_mul_hi_u32 s28, s1, s26
	s_add_i32 s21, s21, s25
	s_mul_i32 s25, s1, s26
	s_mul_i32 s31, s20, s21
	s_mul_hi_u32 s29, s20, s21
	s_add_u32 s27, s27, s31
	s_addc_u32 s29, 0, s29
	s_mul_hi_u32 s26, s1, s21
	s_add_u32 s25, s27, s25
	s_mul_i32 s21, s1, s21
	s_addc_u32 s25, s29, s28
	s_addc_u32 s26, s26, 0
	s_add_u32 s21, s25, s21
	s_addc_u32 s25, 0, s26
	s_add_u32 s20, s20, s21
	s_cselect_b32 s21, -1, 0
	s_mul_hi_u32 s26, s16, s20
	s_cmp_lg_u32 s21, 0
	s_mul_hi_u32 s21, s17, s20
	s_addc_u32 s1, s1, s25
	s_mul_i32 s20, s17, s20
	s_mul_i32 s27, s16, s1
	s_mul_hi_u32 s25, s16, s1
	s_add_u32 s26, s26, s27
	s_addc_u32 s25, 0, s25
	s_mul_hi_u32 s28, s17, s1
	s_add_u32 s20, s26, s20
	s_mul_i32 s1, s17, s1
	s_addc_u32 s20, s25, s21
	s_addc_u32 s21, s28, 0
	s_add_u32 s1, s20, s1
	s_addc_u32 s20, 0, s21
	s_mul_hi_u32 s21, s15, s1
	s_mul_i32 s20, s15, s20
	s_mul_i32 s1, s15, s1
	s_add_i32 s21, s21, s20
	s_sub_u32 s1, s16, s1
	s_cselect_b32 s20, -1, 0
	s_cmp_lg_u32 s20, 0
	s_subb_u32 s20, s17, s21
	s_sub_u32 s21, s1, s15
	s_cselect_b32 s25, -1, 0
	s_cmp_lg_u32 s25, 0
	s_subb_u32 s25, s20, 0
	;; [unrolled: 4-line block ×3, first 2 shown]
	s_cmp_ge_u32 s21, s15
	s_cselect_b32 s28, -1, 0
	s_cmp_eq_u32 s25, 0
	s_cselect_b32 s28, s28, -1
	s_cmp_lg_u32 s28, 0
	s_cselect_b32 s25, s27, s25
	s_cselect_b32 s26, s26, s21
	s_cmp_ge_u32 s1, s15
	s_cselect_b32 s21, -1, 0
	s_cmp_eq_u32 s20, 0
	s_cselect_b32 s21, s21, -1
	s_cmp_lg_u32 s21, 0
	s_cselect_b32 s21, s25, s20
	s_cselect_b32 s20, s26, s1
	s_andn2_b32 vcc_lo, exec_lo, s0
	s_cbranch_vccnz .LBB569_74
.LBB569_73:
	v_cvt_f32_u32_e32 v2, s15
	s_sub_i32 s1, 0, s15
	s_mov_b32 s21, 0
	v_rcp_iflag_f32_e32 v2, v2
	v_mul_f32_e32 v2, 0x4f7ffffe, v2
	v_cvt_u32_f32_e32 v2, v2
	v_readfirstlane_b32 s0, v2
	s_mul_i32 s1, s1, s0
	s_mul_hi_u32 s1, s0, s1
	s_add_i32 s0, s0, s1
	s_mul_hi_u32 s0, s16, s0
	s_mul_i32 s0, s0, s15
	s_sub_i32 s0, s16, s0
	s_sub_i32 s1, s0, s15
	s_cmp_ge_u32 s0, s15
	s_cselect_b32 s0, s1, s0
	s_sub_i32 s1, s0, s15
	s_cmp_ge_u32 s0, s15
	s_cselect_b32 s20, s1, s0
.LBB569_74:
	v_lshlrev_b64 v[2:3], 4, v[0:1]
	v_mov_b32_e32 v5, v1
	v_mov_b32_e32 v4, v0
	s_sub_u32 s0, s16, s20
	s_subb_u32 s1, s17, s21
	s_lshl_b32 s25, s7, 4
	s_mov_b32 s15, 0
	s_mov_b64 s[20:21], s[12:13]
	s_mov_b64 s[26:27], s[10:11]
	;; [unrolled: 1-line block ×3, first 2 shown]
	s_inst_prefetch 0x1
	.p2align	6
.LBB569_75:                             ; =>This Inner Loop Header: Depth=1
	v_add_co_u32 v7, vcc_lo, s26, v2
	v_add_co_ci_u32_e64 v8, null, s27, v3, vcc_lo
	v_add_co_u32 v11, vcc_lo, s20, v2
	v_add_co_ci_u32_e64 v12, null, s21, v3, vcc_lo
	global_load_dwordx4 v[7:10], v[7:8], off
	global_load_dwordx4 v[11:14], v[11:12], off
	v_add_co_u32 v4, vcc_lo, v4, s7
	v_add_co_ci_u32_e64 v5, null, 0, v5, vcc_lo
	v_add_co_u32 v15, vcc_lo, s28, v2
	v_add_co_ci_u32_e64 v16, null, s29, v3, vcc_lo
	v_lshlrev_b64 v[17:18], 2, v[4:5]
	s_add_u32 s28, s28, s25
	s_addc_u32 s29, s29, 0
	s_add_u32 s26, s26, s25
	s_addc_u32 s27, s27, 0
	s_add_u32 s20, s20, s25
	v_cmp_le_i64_e32 vcc_lo, s[0:1], v[17:18]
	s_addc_u32 s21, s21, 0
	s_or_b32 s15, vcc_lo, s15
	s_waitcnt vmcnt(0)
	v_fma_f32 v7, -v6, v7, v11
	v_fma_f32 v8, -v6, v8, v12
	v_fma_f32 v9, -v6, v9, v13
	v_fma_f32 v10, -v6, v10, v14
	global_store_dwordx4 v[15:16], v[7:10], off
	s_andn2_b32 exec_lo, exec_lo, s15
	s_cbranch_execnz .LBB569_75
; %bb.76:
	s_inst_prefetch 0x2
	s_or_b32 exec_lo, exec_lo, s15
	v_add_co_u32 v1, s0, s0, v0
	v_add_co_ci_u32_e64 v2, null, s1, 0, s0
	s_mov_b32 s1, exec_lo
	v_cmpx_gt_u64_e64 s[16:17], v[1:2]
	s_cbranch_execz .LBB569_79
; %bb.77:
	s_mov_b32 s15, 0
	.p2align	6
.LBB569_78:                             ; =>This Inner Loop Header: Depth=1
	v_lshlrev_b64 v[3:4], 2, v[1:2]
	v_add_co_u32 v7, vcc_lo, s12, v3
	v_add_co_ci_u32_e64 v8, null, s13, v4, vcc_lo
	v_add_co_u32 v9, vcc_lo, s10, v3
	v_add_co_ci_u32_e64 v10, null, s11, v4, vcc_lo
	global_load_dword v5, v[7:8], off
	global_load_dword v7, v[9:10], off
	v_add_co_u32 v1, vcc_lo, v1, s7
	v_add_co_ci_u32_e64 v2, null, 0, v2, vcc_lo
	v_add_co_u32 v3, s0, s8, v3
	v_add_co_ci_u32_e64 v4, null, s9, v4, s0
	v_cmp_le_i64_e32 vcc_lo, s[16:17], v[1:2]
	s_or_b32 s15, vcc_lo, s15
	s_waitcnt vmcnt(0)
	v_fma_f32 v5, -v6, v7, v5
	global_store_dword v[3:4], v5, off
	s_andn2_b32 exec_lo, exec_lo, s15
	s_cbranch_execnz .LBB569_78
.LBB569_79:
	s_or_b32 exec_lo, exec_lo, s1
	s_mov_b32 s1, 0
.LBB569_80:
	s_and_b32 vcc_lo, exec_lo, s1
	s_cbranch_vccz .LBB569_92
; %bb.81:
	s_andn2_b32 vcc_lo, exec_lo, s30
	s_cbranch_vccnz .LBB569_85
; %bb.82:
	s_lshl_b32 s1, s24, 2
	s_sub_u32 s7, s18, s1
	s_subb_u32 s8, s19, 0
	s_sub_u32 s0, s22, s1
	s_subb_u32 s9, s23, 0
	;; [unrolled: 2-line block ×3, first 2 shown]
	s_mov_b32 s2, exec_lo
	v_cmpx_le_u32_e64 s24, v0
	s_cbranch_execz .LBB569_84
; %bb.83:
	v_mov_b32_e32 v1, 0
	v_lshlrev_b64 v[1:2], 2, v[0:1]
	v_add_co_u32 v3, vcc_lo, s1, v1
	v_add_co_ci_u32_e64 v4, null, s3, v2, vcc_lo
	v_add_co_u32 v7, vcc_lo, s0, v1
	v_add_co_ci_u32_e64 v8, null, s9, v2, vcc_lo
	global_load_dword v3, v[3:4], off
	global_load_dword v4, v[7:8], off
	v_add_co_u32 v1, vcc_lo, s7, v1
	v_add_co_ci_u32_e64 v2, null, s8, v2, vcc_lo
	s_waitcnt vmcnt(0) lgkmcnt(0)
	v_fma_f32 v3, -v6, v4, v3
	global_store_dword v[1:2], v3, off
.LBB569_84:
	s_or_b32 exec_lo, exec_lo, s2
	s_add_i32 s2, s24, s14
	v_sub_nc_u32_e64 v1, s2, s33 clamp
	s_lshl_b32 s2, s33, 2
	s_add_u32 s18, s7, s2
	s_addc_u32 s19, s8, 0
	v_readfirstlane_b32 s14, v1
	s_add_u32 s22, s0, s2
	s_addc_u32 s23, s9, 0
	s_add_u32 s2, s1, s2
	s_addc_u32 s3, s3, 0
.LBB569_85:
	s_load_dword s0, s[4:5], 0x0
	v_mov_b32_e32 v1, 0
	s_waitcnt lgkmcnt(0)
	s_cmp_lt_u32 s6, s0
	s_cselect_b32 s0, 12, 18
	s_add_u32 s0, s4, s0
	s_addc_u32 s1, s5, 0
	s_mov_b32 s5, 0
	global_load_ushort v3, v1, s[0:1]
	s_waitcnt vmcnt(0)
	v_readfirstlane_b32 s0, v3
	s_lshl_b32 s0, s0, 2
	v_cvt_f32_u32_e32 v1, s0
	s_sub_i32 s4, 0, s0
	v_rcp_iflag_f32_e32 v1, v1
	v_mul_f32_e32 v1, 0x4f7ffffe, v1
	v_cvt_u32_f32_e32 v1, v1
	v_readfirstlane_b32 s1, v1
	v_lshlrev_b32_e32 v1, 2, v0
	s_mul_i32 s4, s4, s1
	s_mul_hi_u32 s4, s1, s4
	s_add_i32 s1, s1, s4
	s_mul_hi_u32 s1, s14, s1
	s_mul_i32 s1, s1, s0
	s_sub_i32 s1, s14, s1
	s_sub_i32 s4, s1, s0
	s_cmp_ge_u32 s1, s0
	s_cselect_b32 s1, s4, s1
	s_sub_i32 s4, s1, s0
	s_cmp_ge_u32 s1, s0
	s_cselect_b32 s0, s4, s1
	s_mov_b32 s4, exec_lo
	s_sub_i32 s1, s14, s0
	v_cmpx_gt_i32_e64 s1, v1
	s_cbranch_execz .LBB569_88
; %bb.86:
	v_mov_b32_e32 v1, v0
	s_inst_prefetch 0x1
	.p2align	6
.LBB569_87:                             ; =>This Inner Loop Header: Depth=1
	v_ashrrev_i32_e32 v2, 31, v1
	v_lshlrev_b64 v[4:5], 4, v[1:2]
	v_add_nc_u32_e32 v1, v1, v3
	v_lshlrev_b32_e32 v2, 2, v1
	v_add_co_u32 v7, vcc_lo, s22, v4
	v_add_co_ci_u32_e64 v8, null, s23, v5, vcc_lo
	v_add_co_u32 v11, vcc_lo, s2, v4
	v_add_co_ci_u32_e64 v12, null, s3, v5, vcc_lo
	global_load_dwordx4 v[7:10], v[7:8], off
	global_load_dwordx4 v[11:14], v[11:12], off
	v_cmp_le_i32_e32 vcc_lo, s1, v2
	v_add_co_u32 v4, s0, s18, v4
	v_add_co_ci_u32_e64 v5, null, s19, v5, s0
	s_or_b32 s5, vcc_lo, s5
	s_waitcnt vmcnt(0)
	v_fma_f32 v7, -v6, v7, v11
	v_fma_f32 v8, -v6, v8, v12
	;; [unrolled: 1-line block ×4, first 2 shown]
	global_store_dwordx4 v[4:5], v[7:10], off
	s_andn2_b32 exec_lo, exec_lo, s5
	s_cbranch_execnz .LBB569_87
.LBB569_88:
	s_inst_prefetch 0x2
	s_or_b32 exec_lo, exec_lo, s4
	v_add_nc_u32_e32 v0, s1, v0
	s_mov_b32 s0, exec_lo
	v_cmpx_gt_i32_e64 s14, v0
	s_cbranch_execz .LBB569_92
; %bb.89:
	s_mov_b32 s1, 0
	.p2align	6
.LBB569_90:                             ; =>This Inner Loop Header: Depth=1
	v_ashrrev_i32_e32 v1, 31, v0
	v_lshlrev_b64 v[1:2], 2, v[0:1]
	v_add_nc_u32_e32 v0, v0, v3
	v_add_co_u32 v4, vcc_lo, s2, v1
	v_add_co_ci_u32_e64 v5, null, s3, v2, vcc_lo
	v_add_co_u32 v7, vcc_lo, s22, v1
	v_add_co_ci_u32_e64 v8, null, s23, v2, vcc_lo
	global_load_dword v4, v[4:5], off
	global_load_dword v5, v[7:8], off
	v_cmp_le_i32_e32 vcc_lo, s14, v0
	v_add_co_u32 v1, s0, s18, v1
	v_add_co_ci_u32_e64 v2, null, s19, v2, s0
	s_or_b32 s1, vcc_lo, s1
	s_waitcnt vmcnt(0)
	v_fma_f32 v4, -v6, v5, v4
	global_store_dword v[1:2], v4, off
	s_andn2_b32 exec_lo, exec_lo, s1
	s_cbranch_execnz .LBB569_90
	s_branch .LBB569_92
.LBB569_91:
	s_cbranch_execz .LBB569_66
.LBB569_92:
	s_endpgm
.LBB569_93:
                                        ; implicit-def: $sgpr20_sgpr21
	s_branch .LBB569_73
	.section	.rodata,"a",@progbits
	.p2align	6, 0x0
	.amdhsa_kernel _ZN2at6native12_GLOBAL__N_120cunn_SoftMaxBackwardILi4EfffNS1_23SoftMaxBackwardEpilogueEEEvPT0_PKT2_S8_l
		.amdhsa_group_segment_fixed_size 0
		.amdhsa_private_segment_fixed_size 0
		.amdhsa_kernarg_size 288
		.amdhsa_user_sgpr_count 6
		.amdhsa_user_sgpr_private_segment_buffer 1
		.amdhsa_user_sgpr_dispatch_ptr 0
		.amdhsa_user_sgpr_queue_ptr 0
		.amdhsa_user_sgpr_kernarg_segment_ptr 1
		.amdhsa_user_sgpr_dispatch_id 0
		.amdhsa_user_sgpr_flat_scratch_init 0
		.amdhsa_user_sgpr_private_segment_size 0
		.amdhsa_wavefront_size32 1
		.amdhsa_uses_dynamic_stack 0
		.amdhsa_system_sgpr_private_segment_wavefront_offset 0
		.amdhsa_system_sgpr_workgroup_id_x 1
		.amdhsa_system_sgpr_workgroup_id_y 0
		.amdhsa_system_sgpr_workgroup_id_z 0
		.amdhsa_system_sgpr_workgroup_info 0
		.amdhsa_system_vgpr_workitem_id 0
		.amdhsa_next_free_vgpr 28
		.amdhsa_next_free_sgpr 58
		.amdhsa_reserve_vcc 1
		.amdhsa_reserve_flat_scratch 0
		.amdhsa_float_round_mode_32 0
		.amdhsa_float_round_mode_16_64 0
		.amdhsa_float_denorm_mode_32 3
		.amdhsa_float_denorm_mode_16_64 3
		.amdhsa_dx10_clamp 1
		.amdhsa_ieee_mode 1
		.amdhsa_fp16_overflow 0
		.amdhsa_workgroup_processor_mode 1
		.amdhsa_memory_ordered 1
		.amdhsa_forward_progress 1
		.amdhsa_shared_vgpr_count 0
		.amdhsa_exception_fp_ieee_invalid_op 0
		.amdhsa_exception_fp_denorm_src 0
		.amdhsa_exception_fp_ieee_div_zero 0
		.amdhsa_exception_fp_ieee_overflow 0
		.amdhsa_exception_fp_ieee_underflow 0
		.amdhsa_exception_fp_ieee_inexact 0
		.amdhsa_exception_int_div_zero 0
	.end_amdhsa_kernel
	.section	.text._ZN2at6native12_GLOBAL__N_120cunn_SoftMaxBackwardILi4EfffNS1_23SoftMaxBackwardEpilogueEEEvPT0_PKT2_S8_l,"axG",@progbits,_ZN2at6native12_GLOBAL__N_120cunn_SoftMaxBackwardILi4EfffNS1_23SoftMaxBackwardEpilogueEEEvPT0_PKT2_S8_l,comdat
.Lfunc_end569:
	.size	_ZN2at6native12_GLOBAL__N_120cunn_SoftMaxBackwardILi4EfffNS1_23SoftMaxBackwardEpilogueEEEvPT0_PKT2_S8_l, .Lfunc_end569-_ZN2at6native12_GLOBAL__N_120cunn_SoftMaxBackwardILi4EfffNS1_23SoftMaxBackwardEpilogueEEEvPT0_PKT2_S8_l
                                        ; -- End function
	.set _ZN2at6native12_GLOBAL__N_120cunn_SoftMaxBackwardILi4EfffNS1_23SoftMaxBackwardEpilogueEEEvPT0_PKT2_S8_l.num_vgpr, 28
	.set _ZN2at6native12_GLOBAL__N_120cunn_SoftMaxBackwardILi4EfffNS1_23SoftMaxBackwardEpilogueEEEvPT0_PKT2_S8_l.num_agpr, 0
	.set _ZN2at6native12_GLOBAL__N_120cunn_SoftMaxBackwardILi4EfffNS1_23SoftMaxBackwardEpilogueEEEvPT0_PKT2_S8_l.numbered_sgpr, 58
	.set _ZN2at6native12_GLOBAL__N_120cunn_SoftMaxBackwardILi4EfffNS1_23SoftMaxBackwardEpilogueEEEvPT0_PKT2_S8_l.num_named_barrier, 0
	.set _ZN2at6native12_GLOBAL__N_120cunn_SoftMaxBackwardILi4EfffNS1_23SoftMaxBackwardEpilogueEEEvPT0_PKT2_S8_l.private_seg_size, 0
	.set _ZN2at6native12_GLOBAL__N_120cunn_SoftMaxBackwardILi4EfffNS1_23SoftMaxBackwardEpilogueEEEvPT0_PKT2_S8_l.uses_vcc, 1
	.set _ZN2at6native12_GLOBAL__N_120cunn_SoftMaxBackwardILi4EfffNS1_23SoftMaxBackwardEpilogueEEEvPT0_PKT2_S8_l.uses_flat_scratch, 0
	.set _ZN2at6native12_GLOBAL__N_120cunn_SoftMaxBackwardILi4EfffNS1_23SoftMaxBackwardEpilogueEEEvPT0_PKT2_S8_l.has_dyn_sized_stack, 0
	.set _ZN2at6native12_GLOBAL__N_120cunn_SoftMaxBackwardILi4EfffNS1_23SoftMaxBackwardEpilogueEEEvPT0_PKT2_S8_l.has_recursion, 0
	.set _ZN2at6native12_GLOBAL__N_120cunn_SoftMaxBackwardILi4EfffNS1_23SoftMaxBackwardEpilogueEEEvPT0_PKT2_S8_l.has_indirect_call, 0
	.section	.AMDGPU.csdata,"",@progbits
; Kernel info:
; codeLenInByte = 6340
; TotalNumSgprs: 60
; NumVgprs: 28
; ScratchSize: 0
; MemoryBound: 0
; FloatMode: 240
; IeeeMode: 1
; LDSByteSize: 0 bytes/workgroup (compile time only)
; SGPRBlocks: 0
; VGPRBlocks: 3
; NumSGPRsForWavesPerEU: 60
; NumVGPRsForWavesPerEU: 28
; Occupancy: 16
; WaveLimiterHint : 0
; COMPUTE_PGM_RSRC2:SCRATCH_EN: 0
; COMPUTE_PGM_RSRC2:USER_SGPR: 6
; COMPUTE_PGM_RSRC2:TRAP_HANDLER: 0
; COMPUTE_PGM_RSRC2:TGID_X_EN: 1
; COMPUTE_PGM_RSRC2:TGID_Y_EN: 0
; COMPUTE_PGM_RSRC2:TGID_Z_EN: 0
; COMPUTE_PGM_RSRC2:TIDIG_COMP_CNT: 0
	.section	.text._ZN12_GLOBAL__N_121softmax_warp_backwardIN3c104HalfES2_fLi0ELb0ELb0ELi64EEEvPT0_PKT_S7_iiiPKb,"axG",@progbits,_ZN12_GLOBAL__N_121softmax_warp_backwardIN3c104HalfES2_fLi0ELb0ELb0ELi64EEEvPT0_PKT_S7_iiiPKb,comdat
	.globl	_ZN12_GLOBAL__N_121softmax_warp_backwardIN3c104HalfES2_fLi0ELb0ELb0ELi64EEEvPT0_PKT_S7_iiiPKb ; -- Begin function _ZN12_GLOBAL__N_121softmax_warp_backwardIN3c104HalfES2_fLi0ELb0ELb0ELi64EEEvPT0_PKT_S7_iiiPKb
	.p2align	8
	.type	_ZN12_GLOBAL__N_121softmax_warp_backwardIN3c104HalfES2_fLi0ELb0ELb0ELi64EEEvPT0_PKT_S7_iiiPKb,@function
_ZN12_GLOBAL__N_121softmax_warp_backwardIN3c104HalfES2_fLi0ELb0ELb0ELi64EEEvPT0_PKT_S7_iiiPKb: ; @_ZN12_GLOBAL__N_121softmax_warp_backwardIN3c104HalfES2_fLi0ELb0ELb0ELi64EEEvPT0_PKT_S7_iiiPKb
; %bb.0:
	s_clause 0x3
	s_load_dword s7, s[4:5], 0x3c
	s_load_dwordx4 s[0:3], s[4:5], 0x18
	s_load_dwordx4 s[8:11], s[4:5], 0x0
	s_load_dwordx2 s[4:5], s[4:5], 0x10
	v_mov_b32_e32 v7, 0
	v_mov_b32_e32 v8, 0
	s_waitcnt lgkmcnt(0)
	s_lshr_b32 s3, s7, 16
	s_and_b32 s3, s3, 0xffff
	s_cmp_gt_i32 s2, 0
	s_mul_i32 s6, s6, s3
	v_add_lshl_u32 v2, s6, v1, 1
	v_mul_lo_u32 v0, v2, s1
	v_sub_nc_u32_e32 v6, s0, v2
	s_cselect_b32 s1, -1, 0
	v_cmp_lt_i32_e32 vcc_lo, 0, v6
	v_ashrrev_i32_e32 v1, 31, v0
	s_and_b32 s3, s1, vcc_lo
	v_lshlrev_b64 v[0:1], 1, v[0:1]
	v_add_co_u32 v4, s0, s10, v0
	v_add_co_ci_u32_e64 v5, null, s11, v1, s0
	v_add_co_u32 v2, s0, s4, v0
	v_add_co_ci_u32_e64 v3, null, s5, v1, s0
	s_and_saveexec_b32 s0, s3
	s_cbranch_execz .LBB570_2
; %bb.1:
	global_load_ushort v7, v[4:5], off
	global_load_ushort v9, v[2:3], off
	s_waitcnt vmcnt(1)
	v_cvt_f32_f16_e32 v8, v7
	s_waitcnt vmcnt(0)
	v_cvt_f32_f16_e32 v7, v9
.LBB570_2:
	s_or_b32 exec_lo, exec_lo, s0
	v_cmp_gt_i32_e64 s0, 2, v6
	s_xor_b32 s3, s1, -1
	s_or_b32 s0, s3, s0
	s_and_saveexec_b32 s3, s0
	s_xor_b32 s0, exec_lo, s3
                                        ; implicit-def: $vgpr9
	s_cbranch_execnz .LBB570_6
; %bb.3:
	s_or_saveexec_b32 s4, s0
	v_mov_b32_e32 v10, 0
	s_xor_b32 exec_lo, exec_lo, s4
	s_cbranch_execnz .LBB570_7
.LBB570_4:
	s_or_b32 exec_lo, exec_lo, s4
	s_and_saveexec_b32 s0, vcc_lo
	s_cbranch_execnz .LBB570_8
.LBB570_5:
	s_endpgm
.LBB570_6:
	v_mov_b32_e32 v9, 0
                                        ; implicit-def: $vgpr2
                                        ; implicit-def: $vgpr4
	s_or_saveexec_b32 s4, s0
	v_mov_b32_e32 v10, 0
	s_xor_b32 exec_lo, exec_lo, s4
	s_cbranch_execz .LBB570_4
.LBB570_7:
	s_mov_b32 s3, 0
	s_lshl_b64 s[6:7], s[2:3], 1
	v_add_co_u32 v4, s0, v4, s6
	v_add_co_ci_u32_e64 v5, null, s7, v5, s0
	v_add_co_u32 v2, s0, v2, s6
	v_add_co_ci_u32_e64 v3, null, s7, v3, s0
	global_load_ushort v4, v[4:5], off
	global_load_ushort v2, v[2:3], off
	s_waitcnt vmcnt(1)
	v_cvt_f32_f16_e32 v9, v4
	s_waitcnt vmcnt(0)
	v_cvt_f32_f16_e32 v10, v2
	s_or_b32 exec_lo, exec_lo, s4
	s_and_saveexec_b32 s0, vcc_lo
	s_cbranch_execz .LBB570_5
.LBB570_8:
	v_add_co_u32 v0, vcc_lo, s8, v0
	v_add_co_ci_u32_e64 v1, null, s9, v1, vcc_lo
	s_andn2_b32 vcc_lo, exec_lo, s1
	s_cbranch_vccnz .LBB570_10
; %bb.9:
	v_add_f32_e32 v2, 0, v8
	v_fma_mixlo_f16 v2, -v7, v2, v8
	global_store_short v[0:1], v2, off
.LBB570_10:
	v_cmp_ne_u32_e32 vcc_lo, 1, v6
	s_and_b32 s0, vcc_lo, s1
	s_and_b32 exec_lo, exec_lo, s0
	s_cbranch_execz .LBB570_5
; %bb.11:
	s_mov_b32 s3, 0
	v_add_f32_e32 v2, 0, v9
	s_lshl_b64 s[0:1], s[2:3], 1
	v_add_co_u32 v0, vcc_lo, v0, s0
	v_add_co_ci_u32_e64 v1, null, s1, v1, vcc_lo
	v_fma_mixlo_f16 v2, -v10, v2, v9
	global_store_short v[0:1], v2, off
	s_endpgm
	.section	.rodata,"a",@progbits
	.p2align	6, 0x0
	.amdhsa_kernel _ZN12_GLOBAL__N_121softmax_warp_backwardIN3c104HalfES2_fLi0ELb0ELb0ELi64EEEvPT0_PKT_S7_iiiPKb
		.amdhsa_group_segment_fixed_size 0
		.amdhsa_private_segment_fixed_size 0
		.amdhsa_kernarg_size 304
		.amdhsa_user_sgpr_count 6
		.amdhsa_user_sgpr_private_segment_buffer 1
		.amdhsa_user_sgpr_dispatch_ptr 0
		.amdhsa_user_sgpr_queue_ptr 0
		.amdhsa_user_sgpr_kernarg_segment_ptr 1
		.amdhsa_user_sgpr_dispatch_id 0
		.amdhsa_user_sgpr_flat_scratch_init 0
		.amdhsa_user_sgpr_private_segment_size 0
		.amdhsa_wavefront_size32 1
		.amdhsa_uses_dynamic_stack 0
		.amdhsa_system_sgpr_private_segment_wavefront_offset 0
		.amdhsa_system_sgpr_workgroup_id_x 1
		.amdhsa_system_sgpr_workgroup_id_y 0
		.amdhsa_system_sgpr_workgroup_id_z 0
		.amdhsa_system_sgpr_workgroup_info 0
		.amdhsa_system_vgpr_workitem_id 1
		.amdhsa_next_free_vgpr 11
		.amdhsa_next_free_sgpr 12
		.amdhsa_reserve_vcc 1
		.amdhsa_reserve_flat_scratch 0
		.amdhsa_float_round_mode_32 0
		.amdhsa_float_round_mode_16_64 0
		.amdhsa_float_denorm_mode_32 3
		.amdhsa_float_denorm_mode_16_64 3
		.amdhsa_dx10_clamp 1
		.amdhsa_ieee_mode 1
		.amdhsa_fp16_overflow 0
		.amdhsa_workgroup_processor_mode 1
		.amdhsa_memory_ordered 1
		.amdhsa_forward_progress 1
		.amdhsa_shared_vgpr_count 0
		.amdhsa_exception_fp_ieee_invalid_op 0
		.amdhsa_exception_fp_denorm_src 0
		.amdhsa_exception_fp_ieee_div_zero 0
		.amdhsa_exception_fp_ieee_overflow 0
		.amdhsa_exception_fp_ieee_underflow 0
		.amdhsa_exception_fp_ieee_inexact 0
		.amdhsa_exception_int_div_zero 0
	.end_amdhsa_kernel
	.section	.text._ZN12_GLOBAL__N_121softmax_warp_backwardIN3c104HalfES2_fLi0ELb0ELb0ELi64EEEvPT0_PKT_S7_iiiPKb,"axG",@progbits,_ZN12_GLOBAL__N_121softmax_warp_backwardIN3c104HalfES2_fLi0ELb0ELb0ELi64EEEvPT0_PKT_S7_iiiPKb,comdat
.Lfunc_end570:
	.size	_ZN12_GLOBAL__N_121softmax_warp_backwardIN3c104HalfES2_fLi0ELb0ELb0ELi64EEEvPT0_PKT_S7_iiiPKb, .Lfunc_end570-_ZN12_GLOBAL__N_121softmax_warp_backwardIN3c104HalfES2_fLi0ELb0ELb0ELi64EEEvPT0_PKT_S7_iiiPKb
                                        ; -- End function
	.set _ZN12_GLOBAL__N_121softmax_warp_backwardIN3c104HalfES2_fLi0ELb0ELb0ELi64EEEvPT0_PKT_S7_iiiPKb.num_vgpr, 11
	.set _ZN12_GLOBAL__N_121softmax_warp_backwardIN3c104HalfES2_fLi0ELb0ELb0ELi64EEEvPT0_PKT_S7_iiiPKb.num_agpr, 0
	.set _ZN12_GLOBAL__N_121softmax_warp_backwardIN3c104HalfES2_fLi0ELb0ELb0ELi64EEEvPT0_PKT_S7_iiiPKb.numbered_sgpr, 12
	.set _ZN12_GLOBAL__N_121softmax_warp_backwardIN3c104HalfES2_fLi0ELb0ELb0ELi64EEEvPT0_PKT_S7_iiiPKb.num_named_barrier, 0
	.set _ZN12_GLOBAL__N_121softmax_warp_backwardIN3c104HalfES2_fLi0ELb0ELb0ELi64EEEvPT0_PKT_S7_iiiPKb.private_seg_size, 0
	.set _ZN12_GLOBAL__N_121softmax_warp_backwardIN3c104HalfES2_fLi0ELb0ELb0ELi64EEEvPT0_PKT_S7_iiiPKb.uses_vcc, 1
	.set _ZN12_GLOBAL__N_121softmax_warp_backwardIN3c104HalfES2_fLi0ELb0ELb0ELi64EEEvPT0_PKT_S7_iiiPKb.uses_flat_scratch, 0
	.set _ZN12_GLOBAL__N_121softmax_warp_backwardIN3c104HalfES2_fLi0ELb0ELb0ELi64EEEvPT0_PKT_S7_iiiPKb.has_dyn_sized_stack, 0
	.set _ZN12_GLOBAL__N_121softmax_warp_backwardIN3c104HalfES2_fLi0ELb0ELb0ELi64EEEvPT0_PKT_S7_iiiPKb.has_recursion, 0
	.set _ZN12_GLOBAL__N_121softmax_warp_backwardIN3c104HalfES2_fLi0ELb0ELb0ELi64EEEvPT0_PKT_S7_iiiPKb.has_indirect_call, 0
	.section	.AMDGPU.csdata,"",@progbits
; Kernel info:
; codeLenInByte = 460
; TotalNumSgprs: 14
; NumVgprs: 11
; ScratchSize: 0
; MemoryBound: 0
; FloatMode: 240
; IeeeMode: 1
; LDSByteSize: 0 bytes/workgroup (compile time only)
; SGPRBlocks: 0
; VGPRBlocks: 1
; NumSGPRsForWavesPerEU: 14
; NumVGPRsForWavesPerEU: 11
; Occupancy: 16
; WaveLimiterHint : 0
; COMPUTE_PGM_RSRC2:SCRATCH_EN: 0
; COMPUTE_PGM_RSRC2:USER_SGPR: 6
; COMPUTE_PGM_RSRC2:TRAP_HANDLER: 0
; COMPUTE_PGM_RSRC2:TGID_X_EN: 1
; COMPUTE_PGM_RSRC2:TGID_Y_EN: 0
; COMPUTE_PGM_RSRC2:TGID_Z_EN: 0
; COMPUTE_PGM_RSRC2:TIDIG_COMP_CNT: 1
	.section	.text._ZN12_GLOBAL__N_121softmax_warp_backwardIN3c104HalfES2_fLi0ELb0ELb0ELi32EEEvPT0_PKT_S7_iiiPKb,"axG",@progbits,_ZN12_GLOBAL__N_121softmax_warp_backwardIN3c104HalfES2_fLi0ELb0ELb0ELi32EEEvPT0_PKT_S7_iiiPKb,comdat
	.globl	_ZN12_GLOBAL__N_121softmax_warp_backwardIN3c104HalfES2_fLi0ELb0ELb0ELi32EEEvPT0_PKT_S7_iiiPKb ; -- Begin function _ZN12_GLOBAL__N_121softmax_warp_backwardIN3c104HalfES2_fLi0ELb0ELb0ELi32EEEvPT0_PKT_S7_iiiPKb
	.p2align	8
	.type	_ZN12_GLOBAL__N_121softmax_warp_backwardIN3c104HalfES2_fLi0ELb0ELb0ELi32EEEvPT0_PKT_S7_iiiPKb,@function
_ZN12_GLOBAL__N_121softmax_warp_backwardIN3c104HalfES2_fLi0ELb0ELb0ELi32EEEvPT0_PKT_S7_iiiPKb: ; @_ZN12_GLOBAL__N_121softmax_warp_backwardIN3c104HalfES2_fLi0ELb0ELb0ELi32EEEvPT0_PKT_S7_iiiPKb
; %bb.0:
	s_clause 0x3
	s_load_dword s7, s[4:5], 0x3c
	s_load_dwordx4 s[0:3], s[4:5], 0x18
	s_load_dwordx4 s[8:11], s[4:5], 0x0
	s_load_dwordx2 s[4:5], s[4:5], 0x10
	v_mov_b32_e32 v7, 0
	v_mov_b32_e32 v8, 0
	s_waitcnt lgkmcnt(0)
	s_lshr_b32 s3, s7, 16
	s_and_b32 s3, s3, 0xffff
	s_cmp_gt_i32 s2, 0
	s_mul_i32 s6, s6, s3
	v_add_lshl_u32 v2, s6, v1, 1
	v_mul_lo_u32 v0, v2, s1
	v_sub_nc_u32_e32 v6, s0, v2
	s_cselect_b32 s1, -1, 0
	v_cmp_lt_i32_e32 vcc_lo, 0, v6
	v_ashrrev_i32_e32 v1, 31, v0
	s_and_b32 s3, s1, vcc_lo
	v_lshlrev_b64 v[0:1], 1, v[0:1]
	v_add_co_u32 v4, s0, s10, v0
	v_add_co_ci_u32_e64 v5, null, s11, v1, s0
	v_add_co_u32 v2, s0, s4, v0
	v_add_co_ci_u32_e64 v3, null, s5, v1, s0
	s_and_saveexec_b32 s0, s3
	s_cbranch_execz .LBB571_2
; %bb.1:
	global_load_ushort v7, v[4:5], off
	global_load_ushort v9, v[2:3], off
	s_waitcnt vmcnt(1)
	v_cvt_f32_f16_e32 v8, v7
	s_waitcnt vmcnt(0)
	v_cvt_f32_f16_e32 v7, v9
.LBB571_2:
	s_or_b32 exec_lo, exec_lo, s0
	v_cmp_gt_i32_e64 s0, 2, v6
	s_xor_b32 s3, s1, -1
	s_or_b32 s0, s3, s0
	s_and_saveexec_b32 s3, s0
	s_xor_b32 s0, exec_lo, s3
                                        ; implicit-def: $vgpr9
	s_cbranch_execnz .LBB571_6
; %bb.3:
	s_or_saveexec_b32 s4, s0
	v_mov_b32_e32 v10, 0
	s_xor_b32 exec_lo, exec_lo, s4
	s_cbranch_execnz .LBB571_7
.LBB571_4:
	s_or_b32 exec_lo, exec_lo, s4
	s_and_saveexec_b32 s0, vcc_lo
	s_cbranch_execnz .LBB571_8
.LBB571_5:
	s_endpgm
.LBB571_6:
	v_mov_b32_e32 v9, 0
                                        ; implicit-def: $vgpr2
                                        ; implicit-def: $vgpr4
	s_or_saveexec_b32 s4, s0
	v_mov_b32_e32 v10, 0
	s_xor_b32 exec_lo, exec_lo, s4
	s_cbranch_execz .LBB571_4
.LBB571_7:
	s_mov_b32 s3, 0
	s_lshl_b64 s[6:7], s[2:3], 1
	v_add_co_u32 v4, s0, v4, s6
	v_add_co_ci_u32_e64 v5, null, s7, v5, s0
	v_add_co_u32 v2, s0, v2, s6
	v_add_co_ci_u32_e64 v3, null, s7, v3, s0
	global_load_ushort v4, v[4:5], off
	global_load_ushort v2, v[2:3], off
	s_waitcnt vmcnt(1)
	v_cvt_f32_f16_e32 v9, v4
	s_waitcnt vmcnt(0)
	v_cvt_f32_f16_e32 v10, v2
	s_or_b32 exec_lo, exec_lo, s4
	s_and_saveexec_b32 s0, vcc_lo
	s_cbranch_execz .LBB571_5
.LBB571_8:
	v_add_co_u32 v0, vcc_lo, s8, v0
	v_add_co_ci_u32_e64 v1, null, s9, v1, vcc_lo
	s_andn2_b32 vcc_lo, exec_lo, s1
	s_cbranch_vccnz .LBB571_10
; %bb.9:
	v_add_f32_e32 v2, 0, v8
	v_fma_mixlo_f16 v2, -v7, v2, v8
	global_store_short v[0:1], v2, off
.LBB571_10:
	v_cmp_ne_u32_e32 vcc_lo, 1, v6
	s_and_b32 s0, vcc_lo, s1
	s_and_b32 exec_lo, exec_lo, s0
	s_cbranch_execz .LBB571_5
; %bb.11:
	s_mov_b32 s3, 0
	v_add_f32_e32 v2, 0, v9
	s_lshl_b64 s[0:1], s[2:3], 1
	v_add_co_u32 v0, vcc_lo, v0, s0
	v_add_co_ci_u32_e64 v1, null, s1, v1, vcc_lo
	v_fma_mixlo_f16 v2, -v10, v2, v9
	global_store_short v[0:1], v2, off
	s_endpgm
	.section	.rodata,"a",@progbits
	.p2align	6, 0x0
	.amdhsa_kernel _ZN12_GLOBAL__N_121softmax_warp_backwardIN3c104HalfES2_fLi0ELb0ELb0ELi32EEEvPT0_PKT_S7_iiiPKb
		.amdhsa_group_segment_fixed_size 0
		.amdhsa_private_segment_fixed_size 0
		.amdhsa_kernarg_size 304
		.amdhsa_user_sgpr_count 6
		.amdhsa_user_sgpr_private_segment_buffer 1
		.amdhsa_user_sgpr_dispatch_ptr 0
		.amdhsa_user_sgpr_queue_ptr 0
		.amdhsa_user_sgpr_kernarg_segment_ptr 1
		.amdhsa_user_sgpr_dispatch_id 0
		.amdhsa_user_sgpr_flat_scratch_init 0
		.amdhsa_user_sgpr_private_segment_size 0
		.amdhsa_wavefront_size32 1
		.amdhsa_uses_dynamic_stack 0
		.amdhsa_system_sgpr_private_segment_wavefront_offset 0
		.amdhsa_system_sgpr_workgroup_id_x 1
		.amdhsa_system_sgpr_workgroup_id_y 0
		.amdhsa_system_sgpr_workgroup_id_z 0
		.amdhsa_system_sgpr_workgroup_info 0
		.amdhsa_system_vgpr_workitem_id 1
		.amdhsa_next_free_vgpr 11
		.amdhsa_next_free_sgpr 12
		.amdhsa_reserve_vcc 1
		.amdhsa_reserve_flat_scratch 0
		.amdhsa_float_round_mode_32 0
		.amdhsa_float_round_mode_16_64 0
		.amdhsa_float_denorm_mode_32 3
		.amdhsa_float_denorm_mode_16_64 3
		.amdhsa_dx10_clamp 1
		.amdhsa_ieee_mode 1
		.amdhsa_fp16_overflow 0
		.amdhsa_workgroup_processor_mode 1
		.amdhsa_memory_ordered 1
		.amdhsa_forward_progress 1
		.amdhsa_shared_vgpr_count 0
		.amdhsa_exception_fp_ieee_invalid_op 0
		.amdhsa_exception_fp_denorm_src 0
		.amdhsa_exception_fp_ieee_div_zero 0
		.amdhsa_exception_fp_ieee_overflow 0
		.amdhsa_exception_fp_ieee_underflow 0
		.amdhsa_exception_fp_ieee_inexact 0
		.amdhsa_exception_int_div_zero 0
	.end_amdhsa_kernel
	.section	.text._ZN12_GLOBAL__N_121softmax_warp_backwardIN3c104HalfES2_fLi0ELb0ELb0ELi32EEEvPT0_PKT_S7_iiiPKb,"axG",@progbits,_ZN12_GLOBAL__N_121softmax_warp_backwardIN3c104HalfES2_fLi0ELb0ELb0ELi32EEEvPT0_PKT_S7_iiiPKb,comdat
.Lfunc_end571:
	.size	_ZN12_GLOBAL__N_121softmax_warp_backwardIN3c104HalfES2_fLi0ELb0ELb0ELi32EEEvPT0_PKT_S7_iiiPKb, .Lfunc_end571-_ZN12_GLOBAL__N_121softmax_warp_backwardIN3c104HalfES2_fLi0ELb0ELb0ELi32EEEvPT0_PKT_S7_iiiPKb
                                        ; -- End function
	.set _ZN12_GLOBAL__N_121softmax_warp_backwardIN3c104HalfES2_fLi0ELb0ELb0ELi32EEEvPT0_PKT_S7_iiiPKb.num_vgpr, 11
	.set _ZN12_GLOBAL__N_121softmax_warp_backwardIN3c104HalfES2_fLi0ELb0ELb0ELi32EEEvPT0_PKT_S7_iiiPKb.num_agpr, 0
	.set _ZN12_GLOBAL__N_121softmax_warp_backwardIN3c104HalfES2_fLi0ELb0ELb0ELi32EEEvPT0_PKT_S7_iiiPKb.numbered_sgpr, 12
	.set _ZN12_GLOBAL__N_121softmax_warp_backwardIN3c104HalfES2_fLi0ELb0ELb0ELi32EEEvPT0_PKT_S7_iiiPKb.num_named_barrier, 0
	.set _ZN12_GLOBAL__N_121softmax_warp_backwardIN3c104HalfES2_fLi0ELb0ELb0ELi32EEEvPT0_PKT_S7_iiiPKb.private_seg_size, 0
	.set _ZN12_GLOBAL__N_121softmax_warp_backwardIN3c104HalfES2_fLi0ELb0ELb0ELi32EEEvPT0_PKT_S7_iiiPKb.uses_vcc, 1
	.set _ZN12_GLOBAL__N_121softmax_warp_backwardIN3c104HalfES2_fLi0ELb0ELb0ELi32EEEvPT0_PKT_S7_iiiPKb.uses_flat_scratch, 0
	.set _ZN12_GLOBAL__N_121softmax_warp_backwardIN3c104HalfES2_fLi0ELb0ELb0ELi32EEEvPT0_PKT_S7_iiiPKb.has_dyn_sized_stack, 0
	.set _ZN12_GLOBAL__N_121softmax_warp_backwardIN3c104HalfES2_fLi0ELb0ELb0ELi32EEEvPT0_PKT_S7_iiiPKb.has_recursion, 0
	.set _ZN12_GLOBAL__N_121softmax_warp_backwardIN3c104HalfES2_fLi0ELb0ELb0ELi32EEEvPT0_PKT_S7_iiiPKb.has_indirect_call, 0
	.section	.AMDGPU.csdata,"",@progbits
; Kernel info:
; codeLenInByte = 460
; TotalNumSgprs: 14
; NumVgprs: 11
; ScratchSize: 0
; MemoryBound: 0
; FloatMode: 240
; IeeeMode: 1
; LDSByteSize: 0 bytes/workgroup (compile time only)
; SGPRBlocks: 0
; VGPRBlocks: 1
; NumSGPRsForWavesPerEU: 14
; NumVGPRsForWavesPerEU: 11
; Occupancy: 16
; WaveLimiterHint : 0
; COMPUTE_PGM_RSRC2:SCRATCH_EN: 0
; COMPUTE_PGM_RSRC2:USER_SGPR: 6
; COMPUTE_PGM_RSRC2:TRAP_HANDLER: 0
; COMPUTE_PGM_RSRC2:TGID_X_EN: 1
; COMPUTE_PGM_RSRC2:TGID_Y_EN: 0
; COMPUTE_PGM_RSRC2:TGID_Z_EN: 0
; COMPUTE_PGM_RSRC2:TIDIG_COMP_CNT: 1
	.section	.text._ZN12_GLOBAL__N_121softmax_warp_backwardIN3c104HalfES2_fLi1ELb0ELb0ELi64EEEvPT0_PKT_S7_iiiPKb,"axG",@progbits,_ZN12_GLOBAL__N_121softmax_warp_backwardIN3c104HalfES2_fLi1ELb0ELb0ELi64EEEvPT0_PKT_S7_iiiPKb,comdat
	.globl	_ZN12_GLOBAL__N_121softmax_warp_backwardIN3c104HalfES2_fLi1ELb0ELb0ELi64EEEvPT0_PKT_S7_iiiPKb ; -- Begin function _ZN12_GLOBAL__N_121softmax_warp_backwardIN3c104HalfES2_fLi1ELb0ELb0ELi64EEEvPT0_PKT_S7_iiiPKb
	.p2align	8
	.type	_ZN12_GLOBAL__N_121softmax_warp_backwardIN3c104HalfES2_fLi1ELb0ELb0ELi64EEEvPT0_PKT_S7_iiiPKb,@function
_ZN12_GLOBAL__N_121softmax_warp_backwardIN3c104HalfES2_fLi1ELb0ELb0ELi64EEEvPT0_PKT_S7_iiiPKb: ; @_ZN12_GLOBAL__N_121softmax_warp_backwardIN3c104HalfES2_fLi1ELb0ELb0ELi64EEEvPT0_PKT_S7_iiiPKb
; %bb.0:
	s_clause 0x1
	s_load_dword s7, s[4:5], 0x3c
	s_load_dwordx4 s[0:3], s[4:5], 0x18
	v_and_b32_e32 v3, 1, v0
	s_clause 0x1
	s_load_dwordx4 s[8:11], s[4:5], 0x0
	s_load_dwordx2 s[4:5], s[4:5], 0x10
	v_mov_b32_e32 v7, 0
	v_mov_b32_e32 v8, 0
	s_waitcnt lgkmcnt(0)
	s_lshr_b32 s3, s7, 16
	v_cmp_gt_i32_e32 vcc_lo, s2, v3
	s_and_b32 s3, s3, 0xffff
	s_mul_i32 s6, s6, s3
	v_add_lshl_u32 v2, s6, v1, 1
	v_mul_lo_u32 v1, v2, s1
	v_sub_nc_u32_e32 v6, s0, v2
	v_cmp_lt_i32_e64 s0, 0, v6
	v_or_b32_e32 v0, v1, v3
	s_and_b32 s3, vcc_lo, s0
	v_ashrrev_i32_e32 v1, 31, v0
	v_lshlrev_b64 v[0:1], 1, v[0:1]
	v_add_co_u32 v4, s1, s10, v0
	v_add_co_ci_u32_e64 v5, null, s11, v1, s1
	v_add_co_u32 v2, s1, s4, v0
	v_add_co_ci_u32_e64 v3, null, s5, v1, s1
	s_and_saveexec_b32 s1, s3
	s_cbranch_execz .LBB572_2
; %bb.1:
	global_load_ushort v7, v[4:5], off
	global_load_ushort v9, v[2:3], off
	s_waitcnt vmcnt(1)
	v_cvt_f32_f16_e32 v8, v7
	s_waitcnt vmcnt(0)
	v_cvt_f32_f16_e32 v7, v9
.LBB572_2:
	s_or_b32 exec_lo, exec_lo, s1
	v_cmp_gt_i32_e64 s1, 2, v6
	s_xor_b32 s3, vcc_lo, -1
	s_or_b32 s1, s3, s1
	s_and_saveexec_b32 s3, s1
	s_xor_b32 s1, exec_lo, s3
                                        ; implicit-def: $vgpr9
; %bb.3:
	v_mov_b32_e32 v9, 0
                                        ; implicit-def: $vgpr2
                                        ; implicit-def: $vgpr4
; %bb.4:
	s_or_saveexec_b32 s4, s1
	v_mov_b32_e32 v10, 0
	s_xor_b32 exec_lo, exec_lo, s4
	s_cbranch_execz .LBB572_6
; %bb.5:
	s_mov_b32 s3, 0
	s_lshl_b64 s[6:7], s[2:3], 1
	v_add_co_u32 v4, s1, v4, s6
	v_add_co_ci_u32_e64 v5, null, s7, v5, s1
	v_add_co_u32 v2, s1, v2, s6
	v_add_co_ci_u32_e64 v3, null, s7, v3, s1
	global_load_ushort v4, v[4:5], off
	global_load_ushort v2, v[2:3], off
	s_waitcnt vmcnt(1)
	v_cvt_f32_f16_e32 v9, v4
	s_waitcnt vmcnt(0)
	v_cvt_f32_f16_e32 v10, v2
.LBB572_6:
	s_or_b32 exec_lo, exec_lo, s4
	v_mbcnt_lo_u32_b32 v2, -1, 0
	v_and_b32_e32 v3, 30, v2
	v_xor_b32_e32 v4, 1, v2
	v_add_nc_u32_e32 v3, 2, v3
	v_cmp_lt_i32_e64 s1, v4, v3
	v_cndmask_b32_e64 v2, v2, v4, s1
	v_add_f32_e32 v4, 0, v8
	v_lshlrev_b32_e32 v3, 2, v2
	v_add_f32_e32 v2, 0, v9
	ds_bpermute_b32 v5, v3, v4
	ds_bpermute_b32 v3, v3, v2
	s_and_saveexec_b32 s1, s0
	s_cbranch_execz .LBB572_11
; %bb.7:
	v_add_co_u32 v0, s0, s8, v0
	v_add_co_ci_u32_e64 v1, null, s9, v1, s0
	s_and_saveexec_b32 s0, vcc_lo
	s_cbranch_execz .LBB572_9
; %bb.8:
	s_waitcnt lgkmcnt(1)
	v_add_f32_e32 v4, v4, v5
	v_fma_mixlo_f16 v4, -v7, v4, v8
	global_store_short v[0:1], v4, off
.LBB572_9:
	s_or_b32 exec_lo, exec_lo, s0
	v_cmp_ne_u32_e64 s0, 1, v6
	s_and_b32 s0, s0, vcc_lo
	s_and_b32 exec_lo, exec_lo, s0
	s_cbranch_execz .LBB572_11
; %bb.10:
	s_mov_b32 s3, 0
	s_waitcnt lgkmcnt(0)
	v_add_f32_e32 v2, v2, v3
	s_lshl_b64 s[0:1], s[2:3], 1
	v_add_co_u32 v0, vcc_lo, v0, s0
	v_add_co_ci_u32_e64 v1, null, s1, v1, vcc_lo
	v_fma_mixlo_f16 v2, -v10, v2, v9
	global_store_short v[0:1], v2, off
.LBB572_11:
	s_endpgm
	.section	.rodata,"a",@progbits
	.p2align	6, 0x0
	.amdhsa_kernel _ZN12_GLOBAL__N_121softmax_warp_backwardIN3c104HalfES2_fLi1ELb0ELb0ELi64EEEvPT0_PKT_S7_iiiPKb
		.amdhsa_group_segment_fixed_size 0
		.amdhsa_private_segment_fixed_size 0
		.amdhsa_kernarg_size 304
		.amdhsa_user_sgpr_count 6
		.amdhsa_user_sgpr_private_segment_buffer 1
		.amdhsa_user_sgpr_dispatch_ptr 0
		.amdhsa_user_sgpr_queue_ptr 0
		.amdhsa_user_sgpr_kernarg_segment_ptr 1
		.amdhsa_user_sgpr_dispatch_id 0
		.amdhsa_user_sgpr_flat_scratch_init 0
		.amdhsa_user_sgpr_private_segment_size 0
		.amdhsa_wavefront_size32 1
		.amdhsa_uses_dynamic_stack 0
		.amdhsa_system_sgpr_private_segment_wavefront_offset 0
		.amdhsa_system_sgpr_workgroup_id_x 1
		.amdhsa_system_sgpr_workgroup_id_y 0
		.amdhsa_system_sgpr_workgroup_id_z 0
		.amdhsa_system_sgpr_workgroup_info 0
		.amdhsa_system_vgpr_workitem_id 1
		.amdhsa_next_free_vgpr 11
		.amdhsa_next_free_sgpr 12
		.amdhsa_reserve_vcc 1
		.amdhsa_reserve_flat_scratch 0
		.amdhsa_float_round_mode_32 0
		.amdhsa_float_round_mode_16_64 0
		.amdhsa_float_denorm_mode_32 3
		.amdhsa_float_denorm_mode_16_64 3
		.amdhsa_dx10_clamp 1
		.amdhsa_ieee_mode 1
		.amdhsa_fp16_overflow 0
		.amdhsa_workgroup_processor_mode 1
		.amdhsa_memory_ordered 1
		.amdhsa_forward_progress 1
		.amdhsa_shared_vgpr_count 0
		.amdhsa_exception_fp_ieee_invalid_op 0
		.amdhsa_exception_fp_denorm_src 0
		.amdhsa_exception_fp_ieee_div_zero 0
		.amdhsa_exception_fp_ieee_overflow 0
		.amdhsa_exception_fp_ieee_underflow 0
		.amdhsa_exception_fp_ieee_inexact 0
		.amdhsa_exception_int_div_zero 0
	.end_amdhsa_kernel
	.section	.text._ZN12_GLOBAL__N_121softmax_warp_backwardIN3c104HalfES2_fLi1ELb0ELb0ELi64EEEvPT0_PKT_S7_iiiPKb,"axG",@progbits,_ZN12_GLOBAL__N_121softmax_warp_backwardIN3c104HalfES2_fLi1ELb0ELb0ELi64EEEvPT0_PKT_S7_iiiPKb,comdat
.Lfunc_end572:
	.size	_ZN12_GLOBAL__N_121softmax_warp_backwardIN3c104HalfES2_fLi1ELb0ELb0ELi64EEEvPT0_PKT_S7_iiiPKb, .Lfunc_end572-_ZN12_GLOBAL__N_121softmax_warp_backwardIN3c104HalfES2_fLi1ELb0ELb0ELi64EEEvPT0_PKT_S7_iiiPKb
                                        ; -- End function
	.set _ZN12_GLOBAL__N_121softmax_warp_backwardIN3c104HalfES2_fLi1ELb0ELb0ELi64EEEvPT0_PKT_S7_iiiPKb.num_vgpr, 11
	.set _ZN12_GLOBAL__N_121softmax_warp_backwardIN3c104HalfES2_fLi1ELb0ELb0ELi64EEEvPT0_PKT_S7_iiiPKb.num_agpr, 0
	.set _ZN12_GLOBAL__N_121softmax_warp_backwardIN3c104HalfES2_fLi1ELb0ELb0ELi64EEEvPT0_PKT_S7_iiiPKb.numbered_sgpr, 12
	.set _ZN12_GLOBAL__N_121softmax_warp_backwardIN3c104HalfES2_fLi1ELb0ELb0ELi64EEEvPT0_PKT_S7_iiiPKb.num_named_barrier, 0
	.set _ZN12_GLOBAL__N_121softmax_warp_backwardIN3c104HalfES2_fLi1ELb0ELb0ELi64EEEvPT0_PKT_S7_iiiPKb.private_seg_size, 0
	.set _ZN12_GLOBAL__N_121softmax_warp_backwardIN3c104HalfES2_fLi1ELb0ELb0ELi64EEEvPT0_PKT_S7_iiiPKb.uses_vcc, 1
	.set _ZN12_GLOBAL__N_121softmax_warp_backwardIN3c104HalfES2_fLi1ELb0ELb0ELi64EEEvPT0_PKT_S7_iiiPKb.uses_flat_scratch, 0
	.set _ZN12_GLOBAL__N_121softmax_warp_backwardIN3c104HalfES2_fLi1ELb0ELb0ELi64EEEvPT0_PKT_S7_iiiPKb.has_dyn_sized_stack, 0
	.set _ZN12_GLOBAL__N_121softmax_warp_backwardIN3c104HalfES2_fLi1ELb0ELb0ELi64EEEvPT0_PKT_S7_iiiPKb.has_recursion, 0
	.set _ZN12_GLOBAL__N_121softmax_warp_backwardIN3c104HalfES2_fLi1ELb0ELb0ELi64EEEvPT0_PKT_S7_iiiPKb.has_indirect_call, 0
	.section	.AMDGPU.csdata,"",@progbits
; Kernel info:
; codeLenInByte = 516
; TotalNumSgprs: 14
; NumVgprs: 11
; ScratchSize: 0
; MemoryBound: 0
; FloatMode: 240
; IeeeMode: 1
; LDSByteSize: 0 bytes/workgroup (compile time only)
; SGPRBlocks: 0
; VGPRBlocks: 1
; NumSGPRsForWavesPerEU: 14
; NumVGPRsForWavesPerEU: 11
; Occupancy: 16
; WaveLimiterHint : 0
; COMPUTE_PGM_RSRC2:SCRATCH_EN: 0
; COMPUTE_PGM_RSRC2:USER_SGPR: 6
; COMPUTE_PGM_RSRC2:TRAP_HANDLER: 0
; COMPUTE_PGM_RSRC2:TGID_X_EN: 1
; COMPUTE_PGM_RSRC2:TGID_Y_EN: 0
; COMPUTE_PGM_RSRC2:TGID_Z_EN: 0
; COMPUTE_PGM_RSRC2:TIDIG_COMP_CNT: 1
	.section	.text._ZN12_GLOBAL__N_121softmax_warp_backwardIN3c104HalfES2_fLi1ELb0ELb0ELi32EEEvPT0_PKT_S7_iiiPKb,"axG",@progbits,_ZN12_GLOBAL__N_121softmax_warp_backwardIN3c104HalfES2_fLi1ELb0ELb0ELi32EEEvPT0_PKT_S7_iiiPKb,comdat
	.globl	_ZN12_GLOBAL__N_121softmax_warp_backwardIN3c104HalfES2_fLi1ELb0ELb0ELi32EEEvPT0_PKT_S7_iiiPKb ; -- Begin function _ZN12_GLOBAL__N_121softmax_warp_backwardIN3c104HalfES2_fLi1ELb0ELb0ELi32EEEvPT0_PKT_S7_iiiPKb
	.p2align	8
	.type	_ZN12_GLOBAL__N_121softmax_warp_backwardIN3c104HalfES2_fLi1ELb0ELb0ELi32EEEvPT0_PKT_S7_iiiPKb,@function
_ZN12_GLOBAL__N_121softmax_warp_backwardIN3c104HalfES2_fLi1ELb0ELb0ELi32EEEvPT0_PKT_S7_iiiPKb: ; @_ZN12_GLOBAL__N_121softmax_warp_backwardIN3c104HalfES2_fLi1ELb0ELb0ELi32EEEvPT0_PKT_S7_iiiPKb
; %bb.0:
	s_clause 0x1
	s_load_dword s7, s[4:5], 0x3c
	s_load_dwordx4 s[0:3], s[4:5], 0x18
	v_and_b32_e32 v3, 1, v0
	s_clause 0x1
	s_load_dwordx4 s[8:11], s[4:5], 0x0
	s_load_dwordx2 s[4:5], s[4:5], 0x10
	v_mov_b32_e32 v7, 0
	v_mov_b32_e32 v8, 0
	s_waitcnt lgkmcnt(0)
	s_lshr_b32 s3, s7, 16
	v_cmp_gt_i32_e32 vcc_lo, s2, v3
	s_and_b32 s3, s3, 0xffff
	s_mul_i32 s6, s6, s3
	v_add_lshl_u32 v2, s6, v1, 1
	v_mul_lo_u32 v1, v2, s1
	v_sub_nc_u32_e32 v6, s0, v2
	v_cmp_lt_i32_e64 s0, 0, v6
	v_or_b32_e32 v0, v1, v3
	s_and_b32 s3, vcc_lo, s0
	v_ashrrev_i32_e32 v1, 31, v0
	v_lshlrev_b64 v[0:1], 1, v[0:1]
	v_add_co_u32 v4, s1, s10, v0
	v_add_co_ci_u32_e64 v5, null, s11, v1, s1
	v_add_co_u32 v2, s1, s4, v0
	v_add_co_ci_u32_e64 v3, null, s5, v1, s1
	s_and_saveexec_b32 s1, s3
	s_cbranch_execz .LBB573_2
; %bb.1:
	global_load_ushort v7, v[4:5], off
	global_load_ushort v9, v[2:3], off
	s_waitcnt vmcnt(1)
	v_cvt_f32_f16_e32 v8, v7
	s_waitcnt vmcnt(0)
	v_cvt_f32_f16_e32 v7, v9
.LBB573_2:
	s_or_b32 exec_lo, exec_lo, s1
	v_cmp_gt_i32_e64 s1, 2, v6
	s_xor_b32 s3, vcc_lo, -1
	s_or_b32 s1, s3, s1
	s_and_saveexec_b32 s3, s1
	s_xor_b32 s1, exec_lo, s3
                                        ; implicit-def: $vgpr9
; %bb.3:
	v_mov_b32_e32 v9, 0
                                        ; implicit-def: $vgpr2
                                        ; implicit-def: $vgpr4
; %bb.4:
	s_or_saveexec_b32 s4, s1
	v_mov_b32_e32 v10, 0
	s_xor_b32 exec_lo, exec_lo, s4
	s_cbranch_execz .LBB573_6
; %bb.5:
	s_mov_b32 s3, 0
	s_lshl_b64 s[6:7], s[2:3], 1
	v_add_co_u32 v4, s1, v4, s6
	v_add_co_ci_u32_e64 v5, null, s7, v5, s1
	v_add_co_u32 v2, s1, v2, s6
	v_add_co_ci_u32_e64 v3, null, s7, v3, s1
	global_load_ushort v4, v[4:5], off
	global_load_ushort v2, v[2:3], off
	s_waitcnt vmcnt(1)
	v_cvt_f32_f16_e32 v9, v4
	s_waitcnt vmcnt(0)
	v_cvt_f32_f16_e32 v10, v2
.LBB573_6:
	s_or_b32 exec_lo, exec_lo, s4
	v_mbcnt_lo_u32_b32 v2, -1, 0
	v_and_b32_e32 v3, 30, v2
	v_xor_b32_e32 v4, 1, v2
	v_add_nc_u32_e32 v3, 2, v3
	v_cmp_lt_i32_e64 s1, v4, v3
	v_cndmask_b32_e64 v2, v2, v4, s1
	v_add_f32_e32 v4, 0, v8
	v_lshlrev_b32_e32 v3, 2, v2
	v_add_f32_e32 v2, 0, v9
	ds_bpermute_b32 v5, v3, v4
	ds_bpermute_b32 v3, v3, v2
	s_and_saveexec_b32 s1, s0
	s_cbranch_execz .LBB573_11
; %bb.7:
	v_add_co_u32 v0, s0, s8, v0
	v_add_co_ci_u32_e64 v1, null, s9, v1, s0
	s_and_saveexec_b32 s0, vcc_lo
	s_cbranch_execz .LBB573_9
; %bb.8:
	s_waitcnt lgkmcnt(1)
	v_add_f32_e32 v4, v4, v5
	v_fma_mixlo_f16 v4, -v7, v4, v8
	global_store_short v[0:1], v4, off
.LBB573_9:
	s_or_b32 exec_lo, exec_lo, s0
	v_cmp_ne_u32_e64 s0, 1, v6
	s_and_b32 s0, s0, vcc_lo
	s_and_b32 exec_lo, exec_lo, s0
	s_cbranch_execz .LBB573_11
; %bb.10:
	s_mov_b32 s3, 0
	s_waitcnt lgkmcnt(0)
	v_add_f32_e32 v2, v2, v3
	s_lshl_b64 s[0:1], s[2:3], 1
	v_add_co_u32 v0, vcc_lo, v0, s0
	v_add_co_ci_u32_e64 v1, null, s1, v1, vcc_lo
	v_fma_mixlo_f16 v2, -v10, v2, v9
	global_store_short v[0:1], v2, off
.LBB573_11:
	s_endpgm
	.section	.rodata,"a",@progbits
	.p2align	6, 0x0
	.amdhsa_kernel _ZN12_GLOBAL__N_121softmax_warp_backwardIN3c104HalfES2_fLi1ELb0ELb0ELi32EEEvPT0_PKT_S7_iiiPKb
		.amdhsa_group_segment_fixed_size 0
		.amdhsa_private_segment_fixed_size 0
		.amdhsa_kernarg_size 304
		.amdhsa_user_sgpr_count 6
		.amdhsa_user_sgpr_private_segment_buffer 1
		.amdhsa_user_sgpr_dispatch_ptr 0
		.amdhsa_user_sgpr_queue_ptr 0
		.amdhsa_user_sgpr_kernarg_segment_ptr 1
		.amdhsa_user_sgpr_dispatch_id 0
		.amdhsa_user_sgpr_flat_scratch_init 0
		.amdhsa_user_sgpr_private_segment_size 0
		.amdhsa_wavefront_size32 1
		.amdhsa_uses_dynamic_stack 0
		.amdhsa_system_sgpr_private_segment_wavefront_offset 0
		.amdhsa_system_sgpr_workgroup_id_x 1
		.amdhsa_system_sgpr_workgroup_id_y 0
		.amdhsa_system_sgpr_workgroup_id_z 0
		.amdhsa_system_sgpr_workgroup_info 0
		.amdhsa_system_vgpr_workitem_id 1
		.amdhsa_next_free_vgpr 11
		.amdhsa_next_free_sgpr 12
		.amdhsa_reserve_vcc 1
		.amdhsa_reserve_flat_scratch 0
		.amdhsa_float_round_mode_32 0
		.amdhsa_float_round_mode_16_64 0
		.amdhsa_float_denorm_mode_32 3
		.amdhsa_float_denorm_mode_16_64 3
		.amdhsa_dx10_clamp 1
		.amdhsa_ieee_mode 1
		.amdhsa_fp16_overflow 0
		.amdhsa_workgroup_processor_mode 1
		.amdhsa_memory_ordered 1
		.amdhsa_forward_progress 1
		.amdhsa_shared_vgpr_count 0
		.amdhsa_exception_fp_ieee_invalid_op 0
		.amdhsa_exception_fp_denorm_src 0
		.amdhsa_exception_fp_ieee_div_zero 0
		.amdhsa_exception_fp_ieee_overflow 0
		.amdhsa_exception_fp_ieee_underflow 0
		.amdhsa_exception_fp_ieee_inexact 0
		.amdhsa_exception_int_div_zero 0
	.end_amdhsa_kernel
	.section	.text._ZN12_GLOBAL__N_121softmax_warp_backwardIN3c104HalfES2_fLi1ELb0ELb0ELi32EEEvPT0_PKT_S7_iiiPKb,"axG",@progbits,_ZN12_GLOBAL__N_121softmax_warp_backwardIN3c104HalfES2_fLi1ELb0ELb0ELi32EEEvPT0_PKT_S7_iiiPKb,comdat
.Lfunc_end573:
	.size	_ZN12_GLOBAL__N_121softmax_warp_backwardIN3c104HalfES2_fLi1ELb0ELb0ELi32EEEvPT0_PKT_S7_iiiPKb, .Lfunc_end573-_ZN12_GLOBAL__N_121softmax_warp_backwardIN3c104HalfES2_fLi1ELb0ELb0ELi32EEEvPT0_PKT_S7_iiiPKb
                                        ; -- End function
	.set _ZN12_GLOBAL__N_121softmax_warp_backwardIN3c104HalfES2_fLi1ELb0ELb0ELi32EEEvPT0_PKT_S7_iiiPKb.num_vgpr, 11
	.set _ZN12_GLOBAL__N_121softmax_warp_backwardIN3c104HalfES2_fLi1ELb0ELb0ELi32EEEvPT0_PKT_S7_iiiPKb.num_agpr, 0
	.set _ZN12_GLOBAL__N_121softmax_warp_backwardIN3c104HalfES2_fLi1ELb0ELb0ELi32EEEvPT0_PKT_S7_iiiPKb.numbered_sgpr, 12
	.set _ZN12_GLOBAL__N_121softmax_warp_backwardIN3c104HalfES2_fLi1ELb0ELb0ELi32EEEvPT0_PKT_S7_iiiPKb.num_named_barrier, 0
	.set _ZN12_GLOBAL__N_121softmax_warp_backwardIN3c104HalfES2_fLi1ELb0ELb0ELi32EEEvPT0_PKT_S7_iiiPKb.private_seg_size, 0
	.set _ZN12_GLOBAL__N_121softmax_warp_backwardIN3c104HalfES2_fLi1ELb0ELb0ELi32EEEvPT0_PKT_S7_iiiPKb.uses_vcc, 1
	.set _ZN12_GLOBAL__N_121softmax_warp_backwardIN3c104HalfES2_fLi1ELb0ELb0ELi32EEEvPT0_PKT_S7_iiiPKb.uses_flat_scratch, 0
	.set _ZN12_GLOBAL__N_121softmax_warp_backwardIN3c104HalfES2_fLi1ELb0ELb0ELi32EEEvPT0_PKT_S7_iiiPKb.has_dyn_sized_stack, 0
	.set _ZN12_GLOBAL__N_121softmax_warp_backwardIN3c104HalfES2_fLi1ELb0ELb0ELi32EEEvPT0_PKT_S7_iiiPKb.has_recursion, 0
	.set _ZN12_GLOBAL__N_121softmax_warp_backwardIN3c104HalfES2_fLi1ELb0ELb0ELi32EEEvPT0_PKT_S7_iiiPKb.has_indirect_call, 0
	.section	.AMDGPU.csdata,"",@progbits
; Kernel info:
; codeLenInByte = 516
; TotalNumSgprs: 14
; NumVgprs: 11
; ScratchSize: 0
; MemoryBound: 0
; FloatMode: 240
; IeeeMode: 1
; LDSByteSize: 0 bytes/workgroup (compile time only)
; SGPRBlocks: 0
; VGPRBlocks: 1
; NumSGPRsForWavesPerEU: 14
; NumVGPRsForWavesPerEU: 11
; Occupancy: 16
; WaveLimiterHint : 0
; COMPUTE_PGM_RSRC2:SCRATCH_EN: 0
; COMPUTE_PGM_RSRC2:USER_SGPR: 6
; COMPUTE_PGM_RSRC2:TRAP_HANDLER: 0
; COMPUTE_PGM_RSRC2:TGID_X_EN: 1
; COMPUTE_PGM_RSRC2:TGID_Y_EN: 0
; COMPUTE_PGM_RSRC2:TGID_Z_EN: 0
; COMPUTE_PGM_RSRC2:TIDIG_COMP_CNT: 1
	.section	.text._ZN12_GLOBAL__N_121softmax_warp_backwardIN3c104HalfES2_fLi2ELb0ELb0ELi64EEEvPT0_PKT_S7_iiiPKb,"axG",@progbits,_ZN12_GLOBAL__N_121softmax_warp_backwardIN3c104HalfES2_fLi2ELb0ELb0ELi64EEEvPT0_PKT_S7_iiiPKb,comdat
	.globl	_ZN12_GLOBAL__N_121softmax_warp_backwardIN3c104HalfES2_fLi2ELb0ELb0ELi64EEEvPT0_PKT_S7_iiiPKb ; -- Begin function _ZN12_GLOBAL__N_121softmax_warp_backwardIN3c104HalfES2_fLi2ELb0ELb0ELi64EEEvPT0_PKT_S7_iiiPKb
	.p2align	8
	.type	_ZN12_GLOBAL__N_121softmax_warp_backwardIN3c104HalfES2_fLi2ELb0ELb0ELi64EEEvPT0_PKT_S7_iiiPKb,@function
_ZN12_GLOBAL__N_121softmax_warp_backwardIN3c104HalfES2_fLi2ELb0ELb0ELi64EEEvPT0_PKT_S7_iiiPKb: ; @_ZN12_GLOBAL__N_121softmax_warp_backwardIN3c104HalfES2_fLi2ELb0ELb0ELi64EEEvPT0_PKT_S7_iiiPKb
; %bb.0:
	s_clause 0x1
	s_load_dword s7, s[4:5], 0x3c
	s_load_dwordx4 s[0:3], s[4:5], 0x18
	v_and_b32_e32 v2, 3, v0
	s_clause 0x1
	s_load_dwordx4 s[8:11], s[4:5], 0x0
	s_load_dwordx2 s[4:5], s[4:5], 0x10
	v_mov_b32_e32 v7, 0
	v_mov_b32_e32 v8, 0
	s_waitcnt lgkmcnt(0)
	s_lshr_b32 s3, s7, 16
	v_cmp_gt_i32_e32 vcc_lo, s2, v2
	s_and_b32 s3, s3, 0xffff
	s_mul_i32 s6, s6, s3
	v_add_lshl_u32 v3, s6, v1, 1
	v_mad_u64_u32 v[0:1], null, v3, s1, v[2:3]
	v_sub_nc_u32_e32 v6, s0, v3
	v_cmp_lt_i32_e64 s0, 0, v6
	v_ashrrev_i32_e32 v1, 31, v0
	s_and_b32 s3, vcc_lo, s0
	v_lshlrev_b64 v[0:1], 1, v[0:1]
	v_add_co_u32 v4, s1, s10, v0
	v_add_co_ci_u32_e64 v5, null, s11, v1, s1
	v_add_co_u32 v2, s1, s4, v0
	v_add_co_ci_u32_e64 v3, null, s5, v1, s1
	s_and_saveexec_b32 s1, s3
	s_cbranch_execz .LBB574_2
; %bb.1:
	global_load_ushort v7, v[4:5], off
	global_load_ushort v9, v[2:3], off
	s_waitcnt vmcnt(1)
	v_cvt_f32_f16_e32 v8, v7
	s_waitcnt vmcnt(0)
	v_cvt_f32_f16_e32 v7, v9
.LBB574_2:
	s_or_b32 exec_lo, exec_lo, s1
	v_cmp_gt_i32_e64 s1, 2, v6
	s_xor_b32 s3, vcc_lo, -1
	s_or_b32 s1, s3, s1
	s_and_saveexec_b32 s3, s1
	s_xor_b32 s1, exec_lo, s3
                                        ; implicit-def: $vgpr9
; %bb.3:
	v_mov_b32_e32 v9, 0
                                        ; implicit-def: $vgpr2
                                        ; implicit-def: $vgpr4
; %bb.4:
	s_or_saveexec_b32 s4, s1
	v_mov_b32_e32 v10, 0
	s_xor_b32 exec_lo, exec_lo, s4
	s_cbranch_execz .LBB574_6
; %bb.5:
	s_mov_b32 s3, 0
	s_lshl_b64 s[6:7], s[2:3], 1
	v_add_co_u32 v4, s1, v4, s6
	v_add_co_ci_u32_e64 v5, null, s7, v5, s1
	v_add_co_u32 v2, s1, v2, s6
	v_add_co_ci_u32_e64 v3, null, s7, v3, s1
	global_load_ushort v4, v[4:5], off
	global_load_ushort v2, v[2:3], off
	s_waitcnt vmcnt(1)
	v_cvt_f32_f16_e32 v9, v4
	s_waitcnt vmcnt(0)
	v_cvt_f32_f16_e32 v10, v2
.LBB574_6:
	s_or_b32 exec_lo, exec_lo, s4
	v_mbcnt_lo_u32_b32 v2, -1, 0
	v_add_f32_e32 v5, 0, v8
	v_add_f32_e32 v11, 0, v9
	v_and_b32_e32 v3, 28, v2
	v_xor_b32_e32 v4, 2, v2
	v_add_nc_u32_e32 v3, 4, v3
	v_cmp_lt_i32_e64 s1, v4, v3
	v_cndmask_b32_e64 v4, v2, v4, s1
	v_lshlrev_b32_e32 v4, 2, v4
	ds_bpermute_b32 v12, v4, v5
	ds_bpermute_b32 v13, v4, v11
	v_xor_b32_e32 v4, 1, v2
	v_cmp_lt_i32_e64 s1, v4, v3
	v_cndmask_b32_e64 v2, v2, v4, s1
	v_lshlrev_b32_e32 v3, 2, v2
	s_waitcnt lgkmcnt(1)
	v_add_f32_e32 v4, v5, v12
	s_waitcnt lgkmcnt(0)
	v_add_f32_e32 v2, v11, v13
	ds_bpermute_b32 v5, v3, v4
	ds_bpermute_b32 v3, v3, v2
	s_and_saveexec_b32 s1, s0
	s_cbranch_execz .LBB574_11
; %bb.7:
	v_add_co_u32 v0, s0, s8, v0
	v_add_co_ci_u32_e64 v1, null, s9, v1, s0
	s_and_saveexec_b32 s0, vcc_lo
	s_cbranch_execz .LBB574_9
; %bb.8:
	s_waitcnt lgkmcnt(1)
	v_add_f32_e32 v4, v4, v5
	v_fma_mixlo_f16 v4, -v7, v4, v8
	global_store_short v[0:1], v4, off
.LBB574_9:
	s_or_b32 exec_lo, exec_lo, s0
	v_cmp_ne_u32_e64 s0, 1, v6
	s_and_b32 s0, s0, vcc_lo
	s_and_b32 exec_lo, exec_lo, s0
	s_cbranch_execz .LBB574_11
; %bb.10:
	s_mov_b32 s3, 0
	s_waitcnt lgkmcnt(0)
	v_add_f32_e32 v2, v2, v3
	s_lshl_b64 s[0:1], s[2:3], 1
	v_add_co_u32 v0, vcc_lo, v0, s0
	v_add_co_ci_u32_e64 v1, null, s1, v1, vcc_lo
	v_fma_mixlo_f16 v2, -v10, v2, v9
	global_store_short v[0:1], v2, off
.LBB574_11:
	s_endpgm
	.section	.rodata,"a",@progbits
	.p2align	6, 0x0
	.amdhsa_kernel _ZN12_GLOBAL__N_121softmax_warp_backwardIN3c104HalfES2_fLi2ELb0ELb0ELi64EEEvPT0_PKT_S7_iiiPKb
		.amdhsa_group_segment_fixed_size 0
		.amdhsa_private_segment_fixed_size 0
		.amdhsa_kernarg_size 304
		.amdhsa_user_sgpr_count 6
		.amdhsa_user_sgpr_private_segment_buffer 1
		.amdhsa_user_sgpr_dispatch_ptr 0
		.amdhsa_user_sgpr_queue_ptr 0
		.amdhsa_user_sgpr_kernarg_segment_ptr 1
		.amdhsa_user_sgpr_dispatch_id 0
		.amdhsa_user_sgpr_flat_scratch_init 0
		.amdhsa_user_sgpr_private_segment_size 0
		.amdhsa_wavefront_size32 1
		.amdhsa_uses_dynamic_stack 0
		.amdhsa_system_sgpr_private_segment_wavefront_offset 0
		.amdhsa_system_sgpr_workgroup_id_x 1
		.amdhsa_system_sgpr_workgroup_id_y 0
		.amdhsa_system_sgpr_workgroup_id_z 0
		.amdhsa_system_sgpr_workgroup_info 0
		.amdhsa_system_vgpr_workitem_id 1
		.amdhsa_next_free_vgpr 14
		.amdhsa_next_free_sgpr 12
		.amdhsa_reserve_vcc 1
		.amdhsa_reserve_flat_scratch 0
		.amdhsa_float_round_mode_32 0
		.amdhsa_float_round_mode_16_64 0
		.amdhsa_float_denorm_mode_32 3
		.amdhsa_float_denorm_mode_16_64 3
		.amdhsa_dx10_clamp 1
		.amdhsa_ieee_mode 1
		.amdhsa_fp16_overflow 0
		.amdhsa_workgroup_processor_mode 1
		.amdhsa_memory_ordered 1
		.amdhsa_forward_progress 1
		.amdhsa_shared_vgpr_count 0
		.amdhsa_exception_fp_ieee_invalid_op 0
		.amdhsa_exception_fp_denorm_src 0
		.amdhsa_exception_fp_ieee_div_zero 0
		.amdhsa_exception_fp_ieee_overflow 0
		.amdhsa_exception_fp_ieee_underflow 0
		.amdhsa_exception_fp_ieee_inexact 0
		.amdhsa_exception_int_div_zero 0
	.end_amdhsa_kernel
	.section	.text._ZN12_GLOBAL__N_121softmax_warp_backwardIN3c104HalfES2_fLi2ELb0ELb0ELi64EEEvPT0_PKT_S7_iiiPKb,"axG",@progbits,_ZN12_GLOBAL__N_121softmax_warp_backwardIN3c104HalfES2_fLi2ELb0ELb0ELi64EEEvPT0_PKT_S7_iiiPKb,comdat
.Lfunc_end574:
	.size	_ZN12_GLOBAL__N_121softmax_warp_backwardIN3c104HalfES2_fLi2ELb0ELb0ELi64EEEvPT0_PKT_S7_iiiPKb, .Lfunc_end574-_ZN12_GLOBAL__N_121softmax_warp_backwardIN3c104HalfES2_fLi2ELb0ELb0ELi64EEEvPT0_PKT_S7_iiiPKb
                                        ; -- End function
	.set _ZN12_GLOBAL__N_121softmax_warp_backwardIN3c104HalfES2_fLi2ELb0ELb0ELi64EEEvPT0_PKT_S7_iiiPKb.num_vgpr, 14
	.set _ZN12_GLOBAL__N_121softmax_warp_backwardIN3c104HalfES2_fLi2ELb0ELb0ELi64EEEvPT0_PKT_S7_iiiPKb.num_agpr, 0
	.set _ZN12_GLOBAL__N_121softmax_warp_backwardIN3c104HalfES2_fLi2ELb0ELb0ELi64EEEvPT0_PKT_S7_iiiPKb.numbered_sgpr, 12
	.set _ZN12_GLOBAL__N_121softmax_warp_backwardIN3c104HalfES2_fLi2ELb0ELb0ELi64EEEvPT0_PKT_S7_iiiPKb.num_named_barrier, 0
	.set _ZN12_GLOBAL__N_121softmax_warp_backwardIN3c104HalfES2_fLi2ELb0ELb0ELi64EEEvPT0_PKT_S7_iiiPKb.private_seg_size, 0
	.set _ZN12_GLOBAL__N_121softmax_warp_backwardIN3c104HalfES2_fLi2ELb0ELb0ELi64EEEvPT0_PKT_S7_iiiPKb.uses_vcc, 1
	.set _ZN12_GLOBAL__N_121softmax_warp_backwardIN3c104HalfES2_fLi2ELb0ELb0ELi64EEEvPT0_PKT_S7_iiiPKb.uses_flat_scratch, 0
	.set _ZN12_GLOBAL__N_121softmax_warp_backwardIN3c104HalfES2_fLi2ELb0ELb0ELi64EEEvPT0_PKT_S7_iiiPKb.has_dyn_sized_stack, 0
	.set _ZN12_GLOBAL__N_121softmax_warp_backwardIN3c104HalfES2_fLi2ELb0ELb0ELi64EEEvPT0_PKT_S7_iiiPKb.has_recursion, 0
	.set _ZN12_GLOBAL__N_121softmax_warp_backwardIN3c104HalfES2_fLi2ELb0ELb0ELi64EEEvPT0_PKT_S7_iiiPKb.has_indirect_call, 0
	.section	.AMDGPU.csdata,"",@progbits
; Kernel info:
; codeLenInByte = 568
; TotalNumSgprs: 14
; NumVgprs: 14
; ScratchSize: 0
; MemoryBound: 0
; FloatMode: 240
; IeeeMode: 1
; LDSByteSize: 0 bytes/workgroup (compile time only)
; SGPRBlocks: 0
; VGPRBlocks: 1
; NumSGPRsForWavesPerEU: 14
; NumVGPRsForWavesPerEU: 14
; Occupancy: 16
; WaveLimiterHint : 0
; COMPUTE_PGM_RSRC2:SCRATCH_EN: 0
; COMPUTE_PGM_RSRC2:USER_SGPR: 6
; COMPUTE_PGM_RSRC2:TRAP_HANDLER: 0
; COMPUTE_PGM_RSRC2:TGID_X_EN: 1
; COMPUTE_PGM_RSRC2:TGID_Y_EN: 0
; COMPUTE_PGM_RSRC2:TGID_Z_EN: 0
; COMPUTE_PGM_RSRC2:TIDIG_COMP_CNT: 1
	.section	.text._ZN12_GLOBAL__N_121softmax_warp_backwardIN3c104HalfES2_fLi2ELb0ELb0ELi32EEEvPT0_PKT_S7_iiiPKb,"axG",@progbits,_ZN12_GLOBAL__N_121softmax_warp_backwardIN3c104HalfES2_fLi2ELb0ELb0ELi32EEEvPT0_PKT_S7_iiiPKb,comdat
	.globl	_ZN12_GLOBAL__N_121softmax_warp_backwardIN3c104HalfES2_fLi2ELb0ELb0ELi32EEEvPT0_PKT_S7_iiiPKb ; -- Begin function _ZN12_GLOBAL__N_121softmax_warp_backwardIN3c104HalfES2_fLi2ELb0ELb0ELi32EEEvPT0_PKT_S7_iiiPKb
	.p2align	8
	.type	_ZN12_GLOBAL__N_121softmax_warp_backwardIN3c104HalfES2_fLi2ELb0ELb0ELi32EEEvPT0_PKT_S7_iiiPKb,@function
_ZN12_GLOBAL__N_121softmax_warp_backwardIN3c104HalfES2_fLi2ELb0ELb0ELi32EEEvPT0_PKT_S7_iiiPKb: ; @_ZN12_GLOBAL__N_121softmax_warp_backwardIN3c104HalfES2_fLi2ELb0ELb0ELi32EEEvPT0_PKT_S7_iiiPKb
; %bb.0:
	s_clause 0x1
	s_load_dword s7, s[4:5], 0x3c
	s_load_dwordx4 s[0:3], s[4:5], 0x18
	v_and_b32_e32 v2, 3, v0
	s_clause 0x1
	s_load_dwordx4 s[8:11], s[4:5], 0x0
	s_load_dwordx2 s[4:5], s[4:5], 0x10
	v_mov_b32_e32 v7, 0
	v_mov_b32_e32 v8, 0
	s_waitcnt lgkmcnt(0)
	s_lshr_b32 s3, s7, 16
	v_cmp_gt_i32_e32 vcc_lo, s2, v2
	s_and_b32 s3, s3, 0xffff
	s_mul_i32 s6, s6, s3
	v_add_lshl_u32 v3, s6, v1, 1
	v_mad_u64_u32 v[0:1], null, v3, s1, v[2:3]
	v_sub_nc_u32_e32 v6, s0, v3
	v_cmp_lt_i32_e64 s0, 0, v6
	v_ashrrev_i32_e32 v1, 31, v0
	s_and_b32 s3, vcc_lo, s0
	v_lshlrev_b64 v[0:1], 1, v[0:1]
	v_add_co_u32 v4, s1, s10, v0
	v_add_co_ci_u32_e64 v5, null, s11, v1, s1
	v_add_co_u32 v2, s1, s4, v0
	v_add_co_ci_u32_e64 v3, null, s5, v1, s1
	s_and_saveexec_b32 s1, s3
	s_cbranch_execz .LBB575_2
; %bb.1:
	global_load_ushort v7, v[4:5], off
	global_load_ushort v9, v[2:3], off
	s_waitcnt vmcnt(1)
	v_cvt_f32_f16_e32 v8, v7
	s_waitcnt vmcnt(0)
	v_cvt_f32_f16_e32 v7, v9
.LBB575_2:
	s_or_b32 exec_lo, exec_lo, s1
	v_cmp_gt_i32_e64 s1, 2, v6
	s_xor_b32 s3, vcc_lo, -1
	s_or_b32 s1, s3, s1
	s_and_saveexec_b32 s3, s1
	s_xor_b32 s1, exec_lo, s3
                                        ; implicit-def: $vgpr9
; %bb.3:
	v_mov_b32_e32 v9, 0
                                        ; implicit-def: $vgpr2
                                        ; implicit-def: $vgpr4
; %bb.4:
	s_or_saveexec_b32 s4, s1
	v_mov_b32_e32 v10, 0
	s_xor_b32 exec_lo, exec_lo, s4
	s_cbranch_execz .LBB575_6
; %bb.5:
	s_mov_b32 s3, 0
	s_lshl_b64 s[6:7], s[2:3], 1
	v_add_co_u32 v4, s1, v4, s6
	v_add_co_ci_u32_e64 v5, null, s7, v5, s1
	v_add_co_u32 v2, s1, v2, s6
	v_add_co_ci_u32_e64 v3, null, s7, v3, s1
	global_load_ushort v4, v[4:5], off
	global_load_ushort v2, v[2:3], off
	s_waitcnt vmcnt(1)
	v_cvt_f32_f16_e32 v9, v4
	s_waitcnt vmcnt(0)
	v_cvt_f32_f16_e32 v10, v2
.LBB575_6:
	s_or_b32 exec_lo, exec_lo, s4
	v_mbcnt_lo_u32_b32 v2, -1, 0
	v_add_f32_e32 v5, 0, v8
	v_add_f32_e32 v11, 0, v9
	v_and_b32_e32 v3, 28, v2
	v_xor_b32_e32 v4, 2, v2
	v_add_nc_u32_e32 v3, 4, v3
	v_cmp_lt_i32_e64 s1, v4, v3
	v_cndmask_b32_e64 v4, v2, v4, s1
	v_lshlrev_b32_e32 v4, 2, v4
	ds_bpermute_b32 v12, v4, v5
	ds_bpermute_b32 v13, v4, v11
	v_xor_b32_e32 v4, 1, v2
	v_cmp_lt_i32_e64 s1, v4, v3
	v_cndmask_b32_e64 v2, v2, v4, s1
	v_lshlrev_b32_e32 v3, 2, v2
	s_waitcnt lgkmcnt(1)
	v_add_f32_e32 v4, v5, v12
	s_waitcnt lgkmcnt(0)
	v_add_f32_e32 v2, v11, v13
	ds_bpermute_b32 v5, v3, v4
	ds_bpermute_b32 v3, v3, v2
	s_and_saveexec_b32 s1, s0
	s_cbranch_execz .LBB575_11
; %bb.7:
	v_add_co_u32 v0, s0, s8, v0
	v_add_co_ci_u32_e64 v1, null, s9, v1, s0
	s_and_saveexec_b32 s0, vcc_lo
	s_cbranch_execz .LBB575_9
; %bb.8:
	s_waitcnt lgkmcnt(1)
	v_add_f32_e32 v4, v4, v5
	v_fma_mixlo_f16 v4, -v7, v4, v8
	global_store_short v[0:1], v4, off
.LBB575_9:
	s_or_b32 exec_lo, exec_lo, s0
	v_cmp_ne_u32_e64 s0, 1, v6
	s_and_b32 s0, s0, vcc_lo
	s_and_b32 exec_lo, exec_lo, s0
	s_cbranch_execz .LBB575_11
; %bb.10:
	s_mov_b32 s3, 0
	s_waitcnt lgkmcnt(0)
	v_add_f32_e32 v2, v2, v3
	s_lshl_b64 s[0:1], s[2:3], 1
	v_add_co_u32 v0, vcc_lo, v0, s0
	v_add_co_ci_u32_e64 v1, null, s1, v1, vcc_lo
	v_fma_mixlo_f16 v2, -v10, v2, v9
	global_store_short v[0:1], v2, off
.LBB575_11:
	s_endpgm
	.section	.rodata,"a",@progbits
	.p2align	6, 0x0
	.amdhsa_kernel _ZN12_GLOBAL__N_121softmax_warp_backwardIN3c104HalfES2_fLi2ELb0ELb0ELi32EEEvPT0_PKT_S7_iiiPKb
		.amdhsa_group_segment_fixed_size 0
		.amdhsa_private_segment_fixed_size 0
		.amdhsa_kernarg_size 304
		.amdhsa_user_sgpr_count 6
		.amdhsa_user_sgpr_private_segment_buffer 1
		.amdhsa_user_sgpr_dispatch_ptr 0
		.amdhsa_user_sgpr_queue_ptr 0
		.amdhsa_user_sgpr_kernarg_segment_ptr 1
		.amdhsa_user_sgpr_dispatch_id 0
		.amdhsa_user_sgpr_flat_scratch_init 0
		.amdhsa_user_sgpr_private_segment_size 0
		.amdhsa_wavefront_size32 1
		.amdhsa_uses_dynamic_stack 0
		.amdhsa_system_sgpr_private_segment_wavefront_offset 0
		.amdhsa_system_sgpr_workgroup_id_x 1
		.amdhsa_system_sgpr_workgroup_id_y 0
		.amdhsa_system_sgpr_workgroup_id_z 0
		.amdhsa_system_sgpr_workgroup_info 0
		.amdhsa_system_vgpr_workitem_id 1
		.amdhsa_next_free_vgpr 14
		.amdhsa_next_free_sgpr 12
		.amdhsa_reserve_vcc 1
		.amdhsa_reserve_flat_scratch 0
		.amdhsa_float_round_mode_32 0
		.amdhsa_float_round_mode_16_64 0
		.amdhsa_float_denorm_mode_32 3
		.amdhsa_float_denorm_mode_16_64 3
		.amdhsa_dx10_clamp 1
		.amdhsa_ieee_mode 1
		.amdhsa_fp16_overflow 0
		.amdhsa_workgroup_processor_mode 1
		.amdhsa_memory_ordered 1
		.amdhsa_forward_progress 1
		.amdhsa_shared_vgpr_count 0
		.amdhsa_exception_fp_ieee_invalid_op 0
		.amdhsa_exception_fp_denorm_src 0
		.amdhsa_exception_fp_ieee_div_zero 0
		.amdhsa_exception_fp_ieee_overflow 0
		.amdhsa_exception_fp_ieee_underflow 0
		.amdhsa_exception_fp_ieee_inexact 0
		.amdhsa_exception_int_div_zero 0
	.end_amdhsa_kernel
	.section	.text._ZN12_GLOBAL__N_121softmax_warp_backwardIN3c104HalfES2_fLi2ELb0ELb0ELi32EEEvPT0_PKT_S7_iiiPKb,"axG",@progbits,_ZN12_GLOBAL__N_121softmax_warp_backwardIN3c104HalfES2_fLi2ELb0ELb0ELi32EEEvPT0_PKT_S7_iiiPKb,comdat
.Lfunc_end575:
	.size	_ZN12_GLOBAL__N_121softmax_warp_backwardIN3c104HalfES2_fLi2ELb0ELb0ELi32EEEvPT0_PKT_S7_iiiPKb, .Lfunc_end575-_ZN12_GLOBAL__N_121softmax_warp_backwardIN3c104HalfES2_fLi2ELb0ELb0ELi32EEEvPT0_PKT_S7_iiiPKb
                                        ; -- End function
	.set _ZN12_GLOBAL__N_121softmax_warp_backwardIN3c104HalfES2_fLi2ELb0ELb0ELi32EEEvPT0_PKT_S7_iiiPKb.num_vgpr, 14
	.set _ZN12_GLOBAL__N_121softmax_warp_backwardIN3c104HalfES2_fLi2ELb0ELb0ELi32EEEvPT0_PKT_S7_iiiPKb.num_agpr, 0
	.set _ZN12_GLOBAL__N_121softmax_warp_backwardIN3c104HalfES2_fLi2ELb0ELb0ELi32EEEvPT0_PKT_S7_iiiPKb.numbered_sgpr, 12
	.set _ZN12_GLOBAL__N_121softmax_warp_backwardIN3c104HalfES2_fLi2ELb0ELb0ELi32EEEvPT0_PKT_S7_iiiPKb.num_named_barrier, 0
	.set _ZN12_GLOBAL__N_121softmax_warp_backwardIN3c104HalfES2_fLi2ELb0ELb0ELi32EEEvPT0_PKT_S7_iiiPKb.private_seg_size, 0
	.set _ZN12_GLOBAL__N_121softmax_warp_backwardIN3c104HalfES2_fLi2ELb0ELb0ELi32EEEvPT0_PKT_S7_iiiPKb.uses_vcc, 1
	.set _ZN12_GLOBAL__N_121softmax_warp_backwardIN3c104HalfES2_fLi2ELb0ELb0ELi32EEEvPT0_PKT_S7_iiiPKb.uses_flat_scratch, 0
	.set _ZN12_GLOBAL__N_121softmax_warp_backwardIN3c104HalfES2_fLi2ELb0ELb0ELi32EEEvPT0_PKT_S7_iiiPKb.has_dyn_sized_stack, 0
	.set _ZN12_GLOBAL__N_121softmax_warp_backwardIN3c104HalfES2_fLi2ELb0ELb0ELi32EEEvPT0_PKT_S7_iiiPKb.has_recursion, 0
	.set _ZN12_GLOBAL__N_121softmax_warp_backwardIN3c104HalfES2_fLi2ELb0ELb0ELi32EEEvPT0_PKT_S7_iiiPKb.has_indirect_call, 0
	.section	.AMDGPU.csdata,"",@progbits
; Kernel info:
; codeLenInByte = 568
; TotalNumSgprs: 14
; NumVgprs: 14
; ScratchSize: 0
; MemoryBound: 0
; FloatMode: 240
; IeeeMode: 1
; LDSByteSize: 0 bytes/workgroup (compile time only)
; SGPRBlocks: 0
; VGPRBlocks: 1
; NumSGPRsForWavesPerEU: 14
; NumVGPRsForWavesPerEU: 14
; Occupancy: 16
; WaveLimiterHint : 0
; COMPUTE_PGM_RSRC2:SCRATCH_EN: 0
; COMPUTE_PGM_RSRC2:USER_SGPR: 6
; COMPUTE_PGM_RSRC2:TRAP_HANDLER: 0
; COMPUTE_PGM_RSRC2:TGID_X_EN: 1
; COMPUTE_PGM_RSRC2:TGID_Y_EN: 0
; COMPUTE_PGM_RSRC2:TGID_Z_EN: 0
; COMPUTE_PGM_RSRC2:TIDIG_COMP_CNT: 1
	.section	.text._ZN12_GLOBAL__N_121softmax_warp_backwardIN3c104HalfES2_fLi3ELb0ELb0ELi64EEEvPT0_PKT_S7_iiiPKb,"axG",@progbits,_ZN12_GLOBAL__N_121softmax_warp_backwardIN3c104HalfES2_fLi3ELb0ELb0ELi64EEEvPT0_PKT_S7_iiiPKb,comdat
	.globl	_ZN12_GLOBAL__N_121softmax_warp_backwardIN3c104HalfES2_fLi3ELb0ELb0ELi64EEEvPT0_PKT_S7_iiiPKb ; -- Begin function _ZN12_GLOBAL__N_121softmax_warp_backwardIN3c104HalfES2_fLi3ELb0ELb0ELi64EEEvPT0_PKT_S7_iiiPKb
	.p2align	8
	.type	_ZN12_GLOBAL__N_121softmax_warp_backwardIN3c104HalfES2_fLi3ELb0ELb0ELi64EEEvPT0_PKT_S7_iiiPKb,@function
_ZN12_GLOBAL__N_121softmax_warp_backwardIN3c104HalfES2_fLi3ELb0ELb0ELi64EEEvPT0_PKT_S7_iiiPKb: ; @_ZN12_GLOBAL__N_121softmax_warp_backwardIN3c104HalfES2_fLi3ELb0ELb0ELi64EEEvPT0_PKT_S7_iiiPKb
; %bb.0:
	s_clause 0x1
	s_load_dword s7, s[4:5], 0x3c
	s_load_dwordx4 s[0:3], s[4:5], 0x18
	v_and_b32_e32 v2, 7, v0
	s_clause 0x1
	s_load_dwordx4 s[8:11], s[4:5], 0x0
	s_load_dwordx2 s[4:5], s[4:5], 0x10
	v_mov_b32_e32 v7, 0
	v_mov_b32_e32 v8, 0
	s_waitcnt lgkmcnt(0)
	s_lshr_b32 s3, s7, 16
	v_cmp_gt_i32_e32 vcc_lo, s2, v2
	s_and_b32 s3, s3, 0xffff
	s_mul_i32 s6, s6, s3
	v_add_lshl_u32 v3, s6, v1, 1
	v_mad_u64_u32 v[0:1], null, v3, s1, v[2:3]
	v_sub_nc_u32_e32 v6, s0, v3
	v_cmp_lt_i32_e64 s0, 0, v6
	v_ashrrev_i32_e32 v1, 31, v0
	s_and_b32 s3, vcc_lo, s0
	v_lshlrev_b64 v[0:1], 1, v[0:1]
	v_add_co_u32 v4, s1, s10, v0
	v_add_co_ci_u32_e64 v5, null, s11, v1, s1
	v_add_co_u32 v2, s1, s4, v0
	v_add_co_ci_u32_e64 v3, null, s5, v1, s1
	s_and_saveexec_b32 s1, s3
	s_cbranch_execz .LBB576_2
; %bb.1:
	global_load_ushort v7, v[4:5], off
	global_load_ushort v9, v[2:3], off
	s_waitcnt vmcnt(1)
	v_cvt_f32_f16_e32 v8, v7
	s_waitcnt vmcnt(0)
	v_cvt_f32_f16_e32 v7, v9
.LBB576_2:
	s_or_b32 exec_lo, exec_lo, s1
	v_cmp_gt_i32_e64 s1, 2, v6
	s_xor_b32 s3, vcc_lo, -1
	s_or_b32 s1, s3, s1
	s_and_saveexec_b32 s3, s1
	s_xor_b32 s1, exec_lo, s3
                                        ; implicit-def: $vgpr9
; %bb.3:
	v_mov_b32_e32 v9, 0
                                        ; implicit-def: $vgpr2
                                        ; implicit-def: $vgpr4
; %bb.4:
	s_or_saveexec_b32 s4, s1
	v_mov_b32_e32 v10, 0
	s_xor_b32 exec_lo, exec_lo, s4
	s_cbranch_execz .LBB576_6
; %bb.5:
	s_mov_b32 s3, 0
	s_lshl_b64 s[6:7], s[2:3], 1
	v_add_co_u32 v4, s1, v4, s6
	v_add_co_ci_u32_e64 v5, null, s7, v5, s1
	v_add_co_u32 v2, s1, v2, s6
	v_add_co_ci_u32_e64 v3, null, s7, v3, s1
	global_load_ushort v4, v[4:5], off
	global_load_ushort v2, v[2:3], off
	s_waitcnt vmcnt(1)
	v_cvt_f32_f16_e32 v9, v4
	s_waitcnt vmcnt(0)
	v_cvt_f32_f16_e32 v10, v2
.LBB576_6:
	s_or_b32 exec_lo, exec_lo, s4
	v_mbcnt_lo_u32_b32 v2, -1, 0
	v_add_f32_e32 v5, 0, v8
	v_add_f32_e32 v11, 0, v9
	v_and_b32_e32 v3, 24, v2
	v_xor_b32_e32 v4, 4, v2
	v_xor_b32_e32 v13, 2, v2
	v_add_nc_u32_e32 v3, 8, v3
	v_cmp_lt_i32_e64 s1, v4, v3
	v_cndmask_b32_e64 v4, v2, v4, s1
	v_cmp_lt_i32_e64 s1, v13, v3
	v_lshlrev_b32_e32 v4, 2, v4
	v_cndmask_b32_e64 v13, v2, v13, s1
	ds_bpermute_b32 v12, v4, v5
	ds_bpermute_b32 v4, v4, v11
	v_lshlrev_b32_e32 v13, 2, v13
	s_waitcnt lgkmcnt(1)
	v_add_f32_e32 v5, v5, v12
	s_waitcnt lgkmcnt(0)
	v_add_f32_e32 v11, v11, v4
	ds_bpermute_b32 v4, v13, v5
	ds_bpermute_b32 v12, v13, v11
	v_xor_b32_e32 v13, 1, v2
	v_cmp_lt_i32_e64 s1, v13, v3
	v_cndmask_b32_e64 v2, v2, v13, s1
	v_lshlrev_b32_e32 v3, 2, v2
	s_waitcnt lgkmcnt(1)
	v_add_f32_e32 v4, v5, v4
	s_waitcnt lgkmcnt(0)
	v_add_f32_e32 v2, v11, v12
	ds_bpermute_b32 v5, v3, v4
	ds_bpermute_b32 v3, v3, v2
	s_and_saveexec_b32 s1, s0
	s_cbranch_execz .LBB576_11
; %bb.7:
	v_add_co_u32 v0, s0, s8, v0
	v_add_co_ci_u32_e64 v1, null, s9, v1, s0
	s_and_saveexec_b32 s0, vcc_lo
	s_cbranch_execz .LBB576_9
; %bb.8:
	s_waitcnt lgkmcnt(1)
	v_add_f32_e32 v4, v4, v5
	v_fma_mixlo_f16 v4, -v7, v4, v8
	global_store_short v[0:1], v4, off
.LBB576_9:
	s_or_b32 exec_lo, exec_lo, s0
	v_cmp_ne_u32_e64 s0, 1, v6
	s_and_b32 s0, s0, vcc_lo
	s_and_b32 exec_lo, exec_lo, s0
	s_cbranch_execz .LBB576_11
; %bb.10:
	s_mov_b32 s3, 0
	s_waitcnt lgkmcnt(0)
	v_add_f32_e32 v2, v2, v3
	s_lshl_b64 s[0:1], s[2:3], 1
	v_add_co_u32 v0, vcc_lo, v0, s0
	v_add_co_ci_u32_e64 v1, null, s1, v1, vcc_lo
	v_fma_mixlo_f16 v2, -v10, v2, v9
	global_store_short v[0:1], v2, off
.LBB576_11:
	s_endpgm
	.section	.rodata,"a",@progbits
	.p2align	6, 0x0
	.amdhsa_kernel _ZN12_GLOBAL__N_121softmax_warp_backwardIN3c104HalfES2_fLi3ELb0ELb0ELi64EEEvPT0_PKT_S7_iiiPKb
		.amdhsa_group_segment_fixed_size 0
		.amdhsa_private_segment_fixed_size 0
		.amdhsa_kernarg_size 304
		.amdhsa_user_sgpr_count 6
		.amdhsa_user_sgpr_private_segment_buffer 1
		.amdhsa_user_sgpr_dispatch_ptr 0
		.amdhsa_user_sgpr_queue_ptr 0
		.amdhsa_user_sgpr_kernarg_segment_ptr 1
		.amdhsa_user_sgpr_dispatch_id 0
		.amdhsa_user_sgpr_flat_scratch_init 0
		.amdhsa_user_sgpr_private_segment_size 0
		.amdhsa_wavefront_size32 1
		.amdhsa_uses_dynamic_stack 0
		.amdhsa_system_sgpr_private_segment_wavefront_offset 0
		.amdhsa_system_sgpr_workgroup_id_x 1
		.amdhsa_system_sgpr_workgroup_id_y 0
		.amdhsa_system_sgpr_workgroup_id_z 0
		.amdhsa_system_sgpr_workgroup_info 0
		.amdhsa_system_vgpr_workitem_id 1
		.amdhsa_next_free_vgpr 14
		.amdhsa_next_free_sgpr 12
		.amdhsa_reserve_vcc 1
		.amdhsa_reserve_flat_scratch 0
		.amdhsa_float_round_mode_32 0
		.amdhsa_float_round_mode_16_64 0
		.amdhsa_float_denorm_mode_32 3
		.amdhsa_float_denorm_mode_16_64 3
		.amdhsa_dx10_clamp 1
		.amdhsa_ieee_mode 1
		.amdhsa_fp16_overflow 0
		.amdhsa_workgroup_processor_mode 1
		.amdhsa_memory_ordered 1
		.amdhsa_forward_progress 1
		.amdhsa_shared_vgpr_count 0
		.amdhsa_exception_fp_ieee_invalid_op 0
		.amdhsa_exception_fp_denorm_src 0
		.amdhsa_exception_fp_ieee_div_zero 0
		.amdhsa_exception_fp_ieee_overflow 0
		.amdhsa_exception_fp_ieee_underflow 0
		.amdhsa_exception_fp_ieee_inexact 0
		.amdhsa_exception_int_div_zero 0
	.end_amdhsa_kernel
	.section	.text._ZN12_GLOBAL__N_121softmax_warp_backwardIN3c104HalfES2_fLi3ELb0ELb0ELi64EEEvPT0_PKT_S7_iiiPKb,"axG",@progbits,_ZN12_GLOBAL__N_121softmax_warp_backwardIN3c104HalfES2_fLi3ELb0ELb0ELi64EEEvPT0_PKT_S7_iiiPKb,comdat
.Lfunc_end576:
	.size	_ZN12_GLOBAL__N_121softmax_warp_backwardIN3c104HalfES2_fLi3ELb0ELb0ELi64EEEvPT0_PKT_S7_iiiPKb, .Lfunc_end576-_ZN12_GLOBAL__N_121softmax_warp_backwardIN3c104HalfES2_fLi3ELb0ELb0ELi64EEEvPT0_PKT_S7_iiiPKb
                                        ; -- End function
	.set _ZN12_GLOBAL__N_121softmax_warp_backwardIN3c104HalfES2_fLi3ELb0ELb0ELi64EEEvPT0_PKT_S7_iiiPKb.num_vgpr, 14
	.set _ZN12_GLOBAL__N_121softmax_warp_backwardIN3c104HalfES2_fLi3ELb0ELb0ELi64EEEvPT0_PKT_S7_iiiPKb.num_agpr, 0
	.set _ZN12_GLOBAL__N_121softmax_warp_backwardIN3c104HalfES2_fLi3ELb0ELb0ELi64EEEvPT0_PKT_S7_iiiPKb.numbered_sgpr, 12
	.set _ZN12_GLOBAL__N_121softmax_warp_backwardIN3c104HalfES2_fLi3ELb0ELb0ELi64EEEvPT0_PKT_S7_iiiPKb.num_named_barrier, 0
	.set _ZN12_GLOBAL__N_121softmax_warp_backwardIN3c104HalfES2_fLi3ELb0ELb0ELi64EEEvPT0_PKT_S7_iiiPKb.private_seg_size, 0
	.set _ZN12_GLOBAL__N_121softmax_warp_backwardIN3c104HalfES2_fLi3ELb0ELb0ELi64EEEvPT0_PKT_S7_iiiPKb.uses_vcc, 1
	.set _ZN12_GLOBAL__N_121softmax_warp_backwardIN3c104HalfES2_fLi3ELb0ELb0ELi64EEEvPT0_PKT_S7_iiiPKb.uses_flat_scratch, 0
	.set _ZN12_GLOBAL__N_121softmax_warp_backwardIN3c104HalfES2_fLi3ELb0ELb0ELi64EEEvPT0_PKT_S7_iiiPKb.has_dyn_sized_stack, 0
	.set _ZN12_GLOBAL__N_121softmax_warp_backwardIN3c104HalfES2_fLi3ELb0ELb0ELi64EEEvPT0_PKT_S7_iiiPKb.has_recursion, 0
	.set _ZN12_GLOBAL__N_121softmax_warp_backwardIN3c104HalfES2_fLi3ELb0ELb0ELi64EEEvPT0_PKT_S7_iiiPKb.has_indirect_call, 0
	.section	.AMDGPU.csdata,"",@progbits
; Kernel info:
; codeLenInByte = 624
; TotalNumSgprs: 14
; NumVgprs: 14
; ScratchSize: 0
; MemoryBound: 0
; FloatMode: 240
; IeeeMode: 1
; LDSByteSize: 0 bytes/workgroup (compile time only)
; SGPRBlocks: 0
; VGPRBlocks: 1
; NumSGPRsForWavesPerEU: 14
; NumVGPRsForWavesPerEU: 14
; Occupancy: 16
; WaveLimiterHint : 0
; COMPUTE_PGM_RSRC2:SCRATCH_EN: 0
; COMPUTE_PGM_RSRC2:USER_SGPR: 6
; COMPUTE_PGM_RSRC2:TRAP_HANDLER: 0
; COMPUTE_PGM_RSRC2:TGID_X_EN: 1
; COMPUTE_PGM_RSRC2:TGID_Y_EN: 0
; COMPUTE_PGM_RSRC2:TGID_Z_EN: 0
; COMPUTE_PGM_RSRC2:TIDIG_COMP_CNT: 1
	.section	.text._ZN12_GLOBAL__N_121softmax_warp_backwardIN3c104HalfES2_fLi3ELb0ELb0ELi32EEEvPT0_PKT_S7_iiiPKb,"axG",@progbits,_ZN12_GLOBAL__N_121softmax_warp_backwardIN3c104HalfES2_fLi3ELb0ELb0ELi32EEEvPT0_PKT_S7_iiiPKb,comdat
	.globl	_ZN12_GLOBAL__N_121softmax_warp_backwardIN3c104HalfES2_fLi3ELb0ELb0ELi32EEEvPT0_PKT_S7_iiiPKb ; -- Begin function _ZN12_GLOBAL__N_121softmax_warp_backwardIN3c104HalfES2_fLi3ELb0ELb0ELi32EEEvPT0_PKT_S7_iiiPKb
	.p2align	8
	.type	_ZN12_GLOBAL__N_121softmax_warp_backwardIN3c104HalfES2_fLi3ELb0ELb0ELi32EEEvPT0_PKT_S7_iiiPKb,@function
_ZN12_GLOBAL__N_121softmax_warp_backwardIN3c104HalfES2_fLi3ELb0ELb0ELi32EEEvPT0_PKT_S7_iiiPKb: ; @_ZN12_GLOBAL__N_121softmax_warp_backwardIN3c104HalfES2_fLi3ELb0ELb0ELi32EEEvPT0_PKT_S7_iiiPKb
; %bb.0:
	s_clause 0x1
	s_load_dword s7, s[4:5], 0x3c
	s_load_dwordx4 s[0:3], s[4:5], 0x18
	v_and_b32_e32 v2, 7, v0
	s_clause 0x1
	s_load_dwordx4 s[8:11], s[4:5], 0x0
	s_load_dwordx2 s[4:5], s[4:5], 0x10
	v_mov_b32_e32 v7, 0
	v_mov_b32_e32 v8, 0
	s_waitcnt lgkmcnt(0)
	s_lshr_b32 s3, s7, 16
	v_cmp_gt_i32_e32 vcc_lo, s2, v2
	s_and_b32 s3, s3, 0xffff
	s_mul_i32 s6, s6, s3
	v_add_lshl_u32 v3, s6, v1, 1
	v_mad_u64_u32 v[0:1], null, v3, s1, v[2:3]
	v_sub_nc_u32_e32 v6, s0, v3
	v_cmp_lt_i32_e64 s0, 0, v6
	v_ashrrev_i32_e32 v1, 31, v0
	s_and_b32 s3, vcc_lo, s0
	v_lshlrev_b64 v[0:1], 1, v[0:1]
	v_add_co_u32 v4, s1, s10, v0
	v_add_co_ci_u32_e64 v5, null, s11, v1, s1
	v_add_co_u32 v2, s1, s4, v0
	v_add_co_ci_u32_e64 v3, null, s5, v1, s1
	s_and_saveexec_b32 s1, s3
	s_cbranch_execz .LBB577_2
; %bb.1:
	global_load_ushort v7, v[4:5], off
	global_load_ushort v9, v[2:3], off
	s_waitcnt vmcnt(1)
	v_cvt_f32_f16_e32 v8, v7
	s_waitcnt vmcnt(0)
	v_cvt_f32_f16_e32 v7, v9
.LBB577_2:
	s_or_b32 exec_lo, exec_lo, s1
	v_cmp_gt_i32_e64 s1, 2, v6
	s_xor_b32 s3, vcc_lo, -1
	s_or_b32 s1, s3, s1
	s_and_saveexec_b32 s3, s1
	s_xor_b32 s1, exec_lo, s3
                                        ; implicit-def: $vgpr9
; %bb.3:
	v_mov_b32_e32 v9, 0
                                        ; implicit-def: $vgpr2
                                        ; implicit-def: $vgpr4
; %bb.4:
	s_or_saveexec_b32 s4, s1
	v_mov_b32_e32 v10, 0
	s_xor_b32 exec_lo, exec_lo, s4
	s_cbranch_execz .LBB577_6
; %bb.5:
	s_mov_b32 s3, 0
	s_lshl_b64 s[6:7], s[2:3], 1
	v_add_co_u32 v4, s1, v4, s6
	v_add_co_ci_u32_e64 v5, null, s7, v5, s1
	v_add_co_u32 v2, s1, v2, s6
	v_add_co_ci_u32_e64 v3, null, s7, v3, s1
	global_load_ushort v4, v[4:5], off
	global_load_ushort v2, v[2:3], off
	s_waitcnt vmcnt(1)
	v_cvt_f32_f16_e32 v9, v4
	s_waitcnt vmcnt(0)
	v_cvt_f32_f16_e32 v10, v2
.LBB577_6:
	s_or_b32 exec_lo, exec_lo, s4
	v_mbcnt_lo_u32_b32 v2, -1, 0
	v_add_f32_e32 v5, 0, v8
	v_add_f32_e32 v11, 0, v9
	v_and_b32_e32 v3, 24, v2
	v_xor_b32_e32 v4, 4, v2
	v_xor_b32_e32 v13, 2, v2
	v_add_nc_u32_e32 v3, 8, v3
	v_cmp_lt_i32_e64 s1, v4, v3
	v_cndmask_b32_e64 v4, v2, v4, s1
	v_cmp_lt_i32_e64 s1, v13, v3
	v_lshlrev_b32_e32 v4, 2, v4
	v_cndmask_b32_e64 v13, v2, v13, s1
	ds_bpermute_b32 v12, v4, v5
	ds_bpermute_b32 v4, v4, v11
	v_lshlrev_b32_e32 v13, 2, v13
	s_waitcnt lgkmcnt(1)
	v_add_f32_e32 v5, v5, v12
	s_waitcnt lgkmcnt(0)
	v_add_f32_e32 v11, v11, v4
	ds_bpermute_b32 v4, v13, v5
	ds_bpermute_b32 v12, v13, v11
	v_xor_b32_e32 v13, 1, v2
	v_cmp_lt_i32_e64 s1, v13, v3
	v_cndmask_b32_e64 v2, v2, v13, s1
	v_lshlrev_b32_e32 v3, 2, v2
	s_waitcnt lgkmcnt(1)
	v_add_f32_e32 v4, v5, v4
	s_waitcnt lgkmcnt(0)
	v_add_f32_e32 v2, v11, v12
	ds_bpermute_b32 v5, v3, v4
	ds_bpermute_b32 v3, v3, v2
	s_and_saveexec_b32 s1, s0
	s_cbranch_execz .LBB577_11
; %bb.7:
	v_add_co_u32 v0, s0, s8, v0
	v_add_co_ci_u32_e64 v1, null, s9, v1, s0
	s_and_saveexec_b32 s0, vcc_lo
	s_cbranch_execz .LBB577_9
; %bb.8:
	s_waitcnt lgkmcnt(1)
	v_add_f32_e32 v4, v4, v5
	v_fma_mixlo_f16 v4, -v7, v4, v8
	global_store_short v[0:1], v4, off
.LBB577_9:
	s_or_b32 exec_lo, exec_lo, s0
	v_cmp_ne_u32_e64 s0, 1, v6
	s_and_b32 s0, s0, vcc_lo
	s_and_b32 exec_lo, exec_lo, s0
	s_cbranch_execz .LBB577_11
; %bb.10:
	s_mov_b32 s3, 0
	s_waitcnt lgkmcnt(0)
	v_add_f32_e32 v2, v2, v3
	s_lshl_b64 s[0:1], s[2:3], 1
	v_add_co_u32 v0, vcc_lo, v0, s0
	v_add_co_ci_u32_e64 v1, null, s1, v1, vcc_lo
	v_fma_mixlo_f16 v2, -v10, v2, v9
	global_store_short v[0:1], v2, off
.LBB577_11:
	s_endpgm
	.section	.rodata,"a",@progbits
	.p2align	6, 0x0
	.amdhsa_kernel _ZN12_GLOBAL__N_121softmax_warp_backwardIN3c104HalfES2_fLi3ELb0ELb0ELi32EEEvPT0_PKT_S7_iiiPKb
		.amdhsa_group_segment_fixed_size 0
		.amdhsa_private_segment_fixed_size 0
		.amdhsa_kernarg_size 304
		.amdhsa_user_sgpr_count 6
		.amdhsa_user_sgpr_private_segment_buffer 1
		.amdhsa_user_sgpr_dispatch_ptr 0
		.amdhsa_user_sgpr_queue_ptr 0
		.amdhsa_user_sgpr_kernarg_segment_ptr 1
		.amdhsa_user_sgpr_dispatch_id 0
		.amdhsa_user_sgpr_flat_scratch_init 0
		.amdhsa_user_sgpr_private_segment_size 0
		.amdhsa_wavefront_size32 1
		.amdhsa_uses_dynamic_stack 0
		.amdhsa_system_sgpr_private_segment_wavefront_offset 0
		.amdhsa_system_sgpr_workgroup_id_x 1
		.amdhsa_system_sgpr_workgroup_id_y 0
		.amdhsa_system_sgpr_workgroup_id_z 0
		.amdhsa_system_sgpr_workgroup_info 0
		.amdhsa_system_vgpr_workitem_id 1
		.amdhsa_next_free_vgpr 14
		.amdhsa_next_free_sgpr 12
		.amdhsa_reserve_vcc 1
		.amdhsa_reserve_flat_scratch 0
		.amdhsa_float_round_mode_32 0
		.amdhsa_float_round_mode_16_64 0
		.amdhsa_float_denorm_mode_32 3
		.amdhsa_float_denorm_mode_16_64 3
		.amdhsa_dx10_clamp 1
		.amdhsa_ieee_mode 1
		.amdhsa_fp16_overflow 0
		.amdhsa_workgroup_processor_mode 1
		.amdhsa_memory_ordered 1
		.amdhsa_forward_progress 1
		.amdhsa_shared_vgpr_count 0
		.amdhsa_exception_fp_ieee_invalid_op 0
		.amdhsa_exception_fp_denorm_src 0
		.amdhsa_exception_fp_ieee_div_zero 0
		.amdhsa_exception_fp_ieee_overflow 0
		.amdhsa_exception_fp_ieee_underflow 0
		.amdhsa_exception_fp_ieee_inexact 0
		.amdhsa_exception_int_div_zero 0
	.end_amdhsa_kernel
	.section	.text._ZN12_GLOBAL__N_121softmax_warp_backwardIN3c104HalfES2_fLi3ELb0ELb0ELi32EEEvPT0_PKT_S7_iiiPKb,"axG",@progbits,_ZN12_GLOBAL__N_121softmax_warp_backwardIN3c104HalfES2_fLi3ELb0ELb0ELi32EEEvPT0_PKT_S7_iiiPKb,comdat
.Lfunc_end577:
	.size	_ZN12_GLOBAL__N_121softmax_warp_backwardIN3c104HalfES2_fLi3ELb0ELb0ELi32EEEvPT0_PKT_S7_iiiPKb, .Lfunc_end577-_ZN12_GLOBAL__N_121softmax_warp_backwardIN3c104HalfES2_fLi3ELb0ELb0ELi32EEEvPT0_PKT_S7_iiiPKb
                                        ; -- End function
	.set _ZN12_GLOBAL__N_121softmax_warp_backwardIN3c104HalfES2_fLi3ELb0ELb0ELi32EEEvPT0_PKT_S7_iiiPKb.num_vgpr, 14
	.set _ZN12_GLOBAL__N_121softmax_warp_backwardIN3c104HalfES2_fLi3ELb0ELb0ELi32EEEvPT0_PKT_S7_iiiPKb.num_agpr, 0
	.set _ZN12_GLOBAL__N_121softmax_warp_backwardIN3c104HalfES2_fLi3ELb0ELb0ELi32EEEvPT0_PKT_S7_iiiPKb.numbered_sgpr, 12
	.set _ZN12_GLOBAL__N_121softmax_warp_backwardIN3c104HalfES2_fLi3ELb0ELb0ELi32EEEvPT0_PKT_S7_iiiPKb.num_named_barrier, 0
	.set _ZN12_GLOBAL__N_121softmax_warp_backwardIN3c104HalfES2_fLi3ELb0ELb0ELi32EEEvPT0_PKT_S7_iiiPKb.private_seg_size, 0
	.set _ZN12_GLOBAL__N_121softmax_warp_backwardIN3c104HalfES2_fLi3ELb0ELb0ELi32EEEvPT0_PKT_S7_iiiPKb.uses_vcc, 1
	.set _ZN12_GLOBAL__N_121softmax_warp_backwardIN3c104HalfES2_fLi3ELb0ELb0ELi32EEEvPT0_PKT_S7_iiiPKb.uses_flat_scratch, 0
	.set _ZN12_GLOBAL__N_121softmax_warp_backwardIN3c104HalfES2_fLi3ELb0ELb0ELi32EEEvPT0_PKT_S7_iiiPKb.has_dyn_sized_stack, 0
	.set _ZN12_GLOBAL__N_121softmax_warp_backwardIN3c104HalfES2_fLi3ELb0ELb0ELi32EEEvPT0_PKT_S7_iiiPKb.has_recursion, 0
	.set _ZN12_GLOBAL__N_121softmax_warp_backwardIN3c104HalfES2_fLi3ELb0ELb0ELi32EEEvPT0_PKT_S7_iiiPKb.has_indirect_call, 0
	.section	.AMDGPU.csdata,"",@progbits
; Kernel info:
; codeLenInByte = 624
; TotalNumSgprs: 14
; NumVgprs: 14
; ScratchSize: 0
; MemoryBound: 0
; FloatMode: 240
; IeeeMode: 1
; LDSByteSize: 0 bytes/workgroup (compile time only)
; SGPRBlocks: 0
; VGPRBlocks: 1
; NumSGPRsForWavesPerEU: 14
; NumVGPRsForWavesPerEU: 14
; Occupancy: 16
; WaveLimiterHint : 0
; COMPUTE_PGM_RSRC2:SCRATCH_EN: 0
; COMPUTE_PGM_RSRC2:USER_SGPR: 6
; COMPUTE_PGM_RSRC2:TRAP_HANDLER: 0
; COMPUTE_PGM_RSRC2:TGID_X_EN: 1
; COMPUTE_PGM_RSRC2:TGID_Y_EN: 0
; COMPUTE_PGM_RSRC2:TGID_Z_EN: 0
; COMPUTE_PGM_RSRC2:TIDIG_COMP_CNT: 1
	.section	.text._ZN12_GLOBAL__N_121softmax_warp_backwardIN3c104HalfES2_fLi4ELb0ELb0ELi64EEEvPT0_PKT_S7_iiiPKb,"axG",@progbits,_ZN12_GLOBAL__N_121softmax_warp_backwardIN3c104HalfES2_fLi4ELb0ELb0ELi64EEEvPT0_PKT_S7_iiiPKb,comdat
	.globl	_ZN12_GLOBAL__N_121softmax_warp_backwardIN3c104HalfES2_fLi4ELb0ELb0ELi64EEEvPT0_PKT_S7_iiiPKb ; -- Begin function _ZN12_GLOBAL__N_121softmax_warp_backwardIN3c104HalfES2_fLi4ELb0ELb0ELi64EEEvPT0_PKT_S7_iiiPKb
	.p2align	8
	.type	_ZN12_GLOBAL__N_121softmax_warp_backwardIN3c104HalfES2_fLi4ELb0ELb0ELi64EEEvPT0_PKT_S7_iiiPKb,@function
_ZN12_GLOBAL__N_121softmax_warp_backwardIN3c104HalfES2_fLi4ELb0ELb0ELi64EEEvPT0_PKT_S7_iiiPKb: ; @_ZN12_GLOBAL__N_121softmax_warp_backwardIN3c104HalfES2_fLi4ELb0ELb0ELi64EEEvPT0_PKT_S7_iiiPKb
; %bb.0:
	s_clause 0x1
	s_load_dword s7, s[4:5], 0x3c
	s_load_dwordx4 s[0:3], s[4:5], 0x18
	v_and_b32_e32 v2, 15, v0
	s_clause 0x1
	s_load_dwordx4 s[8:11], s[4:5], 0x0
	s_load_dwordx2 s[4:5], s[4:5], 0x10
	v_mov_b32_e32 v7, 0
	v_mov_b32_e32 v8, 0
	s_waitcnt lgkmcnt(0)
	s_lshr_b32 s3, s7, 16
	v_cmp_gt_i32_e32 vcc_lo, s2, v2
	s_and_b32 s3, s3, 0xffff
	s_mul_i32 s6, s6, s3
	v_add_lshl_u32 v3, s6, v1, 1
	v_mad_u64_u32 v[0:1], null, v3, s1, v[2:3]
	v_sub_nc_u32_e32 v6, s0, v3
	v_cmp_lt_i32_e64 s0, 0, v6
	v_ashrrev_i32_e32 v1, 31, v0
	s_and_b32 s3, vcc_lo, s0
	v_lshlrev_b64 v[0:1], 1, v[0:1]
	v_add_co_u32 v4, s1, s10, v0
	v_add_co_ci_u32_e64 v5, null, s11, v1, s1
	v_add_co_u32 v2, s1, s4, v0
	v_add_co_ci_u32_e64 v3, null, s5, v1, s1
	s_and_saveexec_b32 s1, s3
	s_cbranch_execz .LBB578_2
; %bb.1:
	global_load_ushort v7, v[4:5], off
	global_load_ushort v9, v[2:3], off
	s_waitcnt vmcnt(1)
	v_cvt_f32_f16_e32 v8, v7
	s_waitcnt vmcnt(0)
	v_cvt_f32_f16_e32 v7, v9
.LBB578_2:
	s_or_b32 exec_lo, exec_lo, s1
	v_cmp_gt_i32_e64 s1, 2, v6
	s_xor_b32 s3, vcc_lo, -1
	s_or_b32 s1, s3, s1
	s_and_saveexec_b32 s3, s1
	s_xor_b32 s1, exec_lo, s3
                                        ; implicit-def: $vgpr9
; %bb.3:
	v_mov_b32_e32 v9, 0
                                        ; implicit-def: $vgpr2
                                        ; implicit-def: $vgpr4
; %bb.4:
	s_or_saveexec_b32 s4, s1
	v_mov_b32_e32 v10, 0
	s_xor_b32 exec_lo, exec_lo, s4
	s_cbranch_execz .LBB578_6
; %bb.5:
	s_mov_b32 s3, 0
	s_lshl_b64 s[6:7], s[2:3], 1
	v_add_co_u32 v4, s1, v4, s6
	v_add_co_ci_u32_e64 v5, null, s7, v5, s1
	v_add_co_u32 v2, s1, v2, s6
	v_add_co_ci_u32_e64 v3, null, s7, v3, s1
	global_load_ushort v4, v[4:5], off
	global_load_ushort v2, v[2:3], off
	s_waitcnt vmcnt(1)
	v_cvt_f32_f16_e32 v9, v4
	s_waitcnt vmcnt(0)
	v_cvt_f32_f16_e32 v10, v2
.LBB578_6:
	s_or_b32 exec_lo, exec_lo, s4
	v_mbcnt_lo_u32_b32 v2, -1, 0
	v_add_f32_e32 v5, 0, v8
	v_add_f32_e32 v11, 0, v9
	v_and_b32_e32 v3, 16, v2
	v_xor_b32_e32 v4, 8, v2
	v_xor_b32_e32 v13, 4, v2
	v_add_nc_u32_e32 v3, 16, v3
	v_cmp_lt_i32_e64 s1, v4, v3
	v_cndmask_b32_e64 v4, v2, v4, s1
	v_cmp_lt_i32_e64 s1, v13, v3
	v_lshlrev_b32_e32 v4, 2, v4
	v_cndmask_b32_e64 v13, v2, v13, s1
	ds_bpermute_b32 v12, v4, v5
	ds_bpermute_b32 v4, v4, v11
	v_lshlrev_b32_e32 v13, 2, v13
	s_waitcnt lgkmcnt(1)
	v_add_f32_e32 v5, v5, v12
	s_waitcnt lgkmcnt(0)
	v_add_f32_e32 v4, v11, v4
	ds_bpermute_b32 v11, v13, v5
	ds_bpermute_b32 v12, v13, v4
	v_xor_b32_e32 v13, 2, v2
	v_cmp_lt_i32_e64 s1, v13, v3
	v_cndmask_b32_e64 v13, v2, v13, s1
	v_lshlrev_b32_e32 v13, 2, v13
	s_waitcnt lgkmcnt(1)
	v_add_f32_e32 v5, v5, v11
	s_waitcnt lgkmcnt(0)
	v_add_f32_e32 v11, v4, v12
	ds_bpermute_b32 v4, v13, v5
	ds_bpermute_b32 v12, v13, v11
	v_xor_b32_e32 v13, 1, v2
	v_cmp_lt_i32_e64 s1, v13, v3
	v_cndmask_b32_e64 v2, v2, v13, s1
	v_lshlrev_b32_e32 v3, 2, v2
	s_waitcnt lgkmcnt(1)
	v_add_f32_e32 v4, v5, v4
	s_waitcnt lgkmcnt(0)
	v_add_f32_e32 v2, v11, v12
	ds_bpermute_b32 v5, v3, v4
	ds_bpermute_b32 v3, v3, v2
	s_and_saveexec_b32 s1, s0
	s_cbranch_execz .LBB578_11
; %bb.7:
	v_add_co_u32 v0, s0, s8, v0
	v_add_co_ci_u32_e64 v1, null, s9, v1, s0
	s_and_saveexec_b32 s0, vcc_lo
	s_cbranch_execz .LBB578_9
; %bb.8:
	s_waitcnt lgkmcnt(1)
	v_add_f32_e32 v4, v4, v5
	v_fma_mixlo_f16 v4, -v7, v4, v8
	global_store_short v[0:1], v4, off
.LBB578_9:
	s_or_b32 exec_lo, exec_lo, s0
	v_cmp_ne_u32_e64 s0, 1, v6
	s_and_b32 s0, s0, vcc_lo
	s_and_b32 exec_lo, exec_lo, s0
	s_cbranch_execz .LBB578_11
; %bb.10:
	s_mov_b32 s3, 0
	s_waitcnt lgkmcnt(0)
	v_add_f32_e32 v2, v2, v3
	s_lshl_b64 s[0:1], s[2:3], 1
	v_add_co_u32 v0, vcc_lo, v0, s0
	v_add_co_ci_u32_e64 v1, null, s1, v1, vcc_lo
	v_fma_mixlo_f16 v2, -v10, v2, v9
	global_store_short v[0:1], v2, off
.LBB578_11:
	s_endpgm
	.section	.rodata,"a",@progbits
	.p2align	6, 0x0
	.amdhsa_kernel _ZN12_GLOBAL__N_121softmax_warp_backwardIN3c104HalfES2_fLi4ELb0ELb0ELi64EEEvPT0_PKT_S7_iiiPKb
		.amdhsa_group_segment_fixed_size 0
		.amdhsa_private_segment_fixed_size 0
		.amdhsa_kernarg_size 304
		.amdhsa_user_sgpr_count 6
		.amdhsa_user_sgpr_private_segment_buffer 1
		.amdhsa_user_sgpr_dispatch_ptr 0
		.amdhsa_user_sgpr_queue_ptr 0
		.amdhsa_user_sgpr_kernarg_segment_ptr 1
		.amdhsa_user_sgpr_dispatch_id 0
		.amdhsa_user_sgpr_flat_scratch_init 0
		.amdhsa_user_sgpr_private_segment_size 0
		.amdhsa_wavefront_size32 1
		.amdhsa_uses_dynamic_stack 0
		.amdhsa_system_sgpr_private_segment_wavefront_offset 0
		.amdhsa_system_sgpr_workgroup_id_x 1
		.amdhsa_system_sgpr_workgroup_id_y 0
		.amdhsa_system_sgpr_workgroup_id_z 0
		.amdhsa_system_sgpr_workgroup_info 0
		.amdhsa_system_vgpr_workitem_id 1
		.amdhsa_next_free_vgpr 14
		.amdhsa_next_free_sgpr 12
		.amdhsa_reserve_vcc 1
		.amdhsa_reserve_flat_scratch 0
		.amdhsa_float_round_mode_32 0
		.amdhsa_float_round_mode_16_64 0
		.amdhsa_float_denorm_mode_32 3
		.amdhsa_float_denorm_mode_16_64 3
		.amdhsa_dx10_clamp 1
		.amdhsa_ieee_mode 1
		.amdhsa_fp16_overflow 0
		.amdhsa_workgroup_processor_mode 1
		.amdhsa_memory_ordered 1
		.amdhsa_forward_progress 1
		.amdhsa_shared_vgpr_count 0
		.amdhsa_exception_fp_ieee_invalid_op 0
		.amdhsa_exception_fp_denorm_src 0
		.amdhsa_exception_fp_ieee_div_zero 0
		.amdhsa_exception_fp_ieee_overflow 0
		.amdhsa_exception_fp_ieee_underflow 0
		.amdhsa_exception_fp_ieee_inexact 0
		.amdhsa_exception_int_div_zero 0
	.end_amdhsa_kernel
	.section	.text._ZN12_GLOBAL__N_121softmax_warp_backwardIN3c104HalfES2_fLi4ELb0ELb0ELi64EEEvPT0_PKT_S7_iiiPKb,"axG",@progbits,_ZN12_GLOBAL__N_121softmax_warp_backwardIN3c104HalfES2_fLi4ELb0ELb0ELi64EEEvPT0_PKT_S7_iiiPKb,comdat
.Lfunc_end578:
	.size	_ZN12_GLOBAL__N_121softmax_warp_backwardIN3c104HalfES2_fLi4ELb0ELb0ELi64EEEvPT0_PKT_S7_iiiPKb, .Lfunc_end578-_ZN12_GLOBAL__N_121softmax_warp_backwardIN3c104HalfES2_fLi4ELb0ELb0ELi64EEEvPT0_PKT_S7_iiiPKb
                                        ; -- End function
	.set _ZN12_GLOBAL__N_121softmax_warp_backwardIN3c104HalfES2_fLi4ELb0ELb0ELi64EEEvPT0_PKT_S7_iiiPKb.num_vgpr, 14
	.set _ZN12_GLOBAL__N_121softmax_warp_backwardIN3c104HalfES2_fLi4ELb0ELb0ELi64EEEvPT0_PKT_S7_iiiPKb.num_agpr, 0
	.set _ZN12_GLOBAL__N_121softmax_warp_backwardIN3c104HalfES2_fLi4ELb0ELb0ELi64EEEvPT0_PKT_S7_iiiPKb.numbered_sgpr, 12
	.set _ZN12_GLOBAL__N_121softmax_warp_backwardIN3c104HalfES2_fLi4ELb0ELb0ELi64EEEvPT0_PKT_S7_iiiPKb.num_named_barrier, 0
	.set _ZN12_GLOBAL__N_121softmax_warp_backwardIN3c104HalfES2_fLi4ELb0ELb0ELi64EEEvPT0_PKT_S7_iiiPKb.private_seg_size, 0
	.set _ZN12_GLOBAL__N_121softmax_warp_backwardIN3c104HalfES2_fLi4ELb0ELb0ELi64EEEvPT0_PKT_S7_iiiPKb.uses_vcc, 1
	.set _ZN12_GLOBAL__N_121softmax_warp_backwardIN3c104HalfES2_fLi4ELb0ELb0ELi64EEEvPT0_PKT_S7_iiiPKb.uses_flat_scratch, 0
	.set _ZN12_GLOBAL__N_121softmax_warp_backwardIN3c104HalfES2_fLi4ELb0ELb0ELi64EEEvPT0_PKT_S7_iiiPKb.has_dyn_sized_stack, 0
	.set _ZN12_GLOBAL__N_121softmax_warp_backwardIN3c104HalfES2_fLi4ELb0ELb0ELi64EEEvPT0_PKT_S7_iiiPKb.has_recursion, 0
	.set _ZN12_GLOBAL__N_121softmax_warp_backwardIN3c104HalfES2_fLi4ELb0ELb0ELi64EEEvPT0_PKT_S7_iiiPKb.has_indirect_call, 0
	.section	.AMDGPU.csdata,"",@progbits
; Kernel info:
; codeLenInByte = 680
; TotalNumSgprs: 14
; NumVgprs: 14
; ScratchSize: 0
; MemoryBound: 0
; FloatMode: 240
; IeeeMode: 1
; LDSByteSize: 0 bytes/workgroup (compile time only)
; SGPRBlocks: 0
; VGPRBlocks: 1
; NumSGPRsForWavesPerEU: 14
; NumVGPRsForWavesPerEU: 14
; Occupancy: 16
; WaveLimiterHint : 0
; COMPUTE_PGM_RSRC2:SCRATCH_EN: 0
; COMPUTE_PGM_RSRC2:USER_SGPR: 6
; COMPUTE_PGM_RSRC2:TRAP_HANDLER: 0
; COMPUTE_PGM_RSRC2:TGID_X_EN: 1
; COMPUTE_PGM_RSRC2:TGID_Y_EN: 0
; COMPUTE_PGM_RSRC2:TGID_Z_EN: 0
; COMPUTE_PGM_RSRC2:TIDIG_COMP_CNT: 1
	.section	.text._ZN12_GLOBAL__N_121softmax_warp_backwardIN3c104HalfES2_fLi4ELb0ELb0ELi32EEEvPT0_PKT_S7_iiiPKb,"axG",@progbits,_ZN12_GLOBAL__N_121softmax_warp_backwardIN3c104HalfES2_fLi4ELb0ELb0ELi32EEEvPT0_PKT_S7_iiiPKb,comdat
	.globl	_ZN12_GLOBAL__N_121softmax_warp_backwardIN3c104HalfES2_fLi4ELb0ELb0ELi32EEEvPT0_PKT_S7_iiiPKb ; -- Begin function _ZN12_GLOBAL__N_121softmax_warp_backwardIN3c104HalfES2_fLi4ELb0ELb0ELi32EEEvPT0_PKT_S7_iiiPKb
	.p2align	8
	.type	_ZN12_GLOBAL__N_121softmax_warp_backwardIN3c104HalfES2_fLi4ELb0ELb0ELi32EEEvPT0_PKT_S7_iiiPKb,@function
_ZN12_GLOBAL__N_121softmax_warp_backwardIN3c104HalfES2_fLi4ELb0ELb0ELi32EEEvPT0_PKT_S7_iiiPKb: ; @_ZN12_GLOBAL__N_121softmax_warp_backwardIN3c104HalfES2_fLi4ELb0ELb0ELi32EEEvPT0_PKT_S7_iiiPKb
; %bb.0:
	s_clause 0x1
	s_load_dword s7, s[4:5], 0x3c
	s_load_dwordx4 s[0:3], s[4:5], 0x18
	v_and_b32_e32 v2, 15, v0
	s_clause 0x1
	s_load_dwordx4 s[8:11], s[4:5], 0x0
	s_load_dwordx2 s[4:5], s[4:5], 0x10
	v_mov_b32_e32 v7, 0
	v_mov_b32_e32 v8, 0
	s_waitcnt lgkmcnt(0)
	s_lshr_b32 s3, s7, 16
	v_cmp_gt_i32_e32 vcc_lo, s2, v2
	s_and_b32 s3, s3, 0xffff
	s_mul_i32 s6, s6, s3
	v_add_lshl_u32 v3, s6, v1, 1
	v_mad_u64_u32 v[0:1], null, v3, s1, v[2:3]
	v_sub_nc_u32_e32 v6, s0, v3
	v_cmp_lt_i32_e64 s0, 0, v6
	v_ashrrev_i32_e32 v1, 31, v0
	s_and_b32 s3, vcc_lo, s0
	v_lshlrev_b64 v[0:1], 1, v[0:1]
	v_add_co_u32 v4, s1, s10, v0
	v_add_co_ci_u32_e64 v5, null, s11, v1, s1
	v_add_co_u32 v2, s1, s4, v0
	v_add_co_ci_u32_e64 v3, null, s5, v1, s1
	s_and_saveexec_b32 s1, s3
	s_cbranch_execz .LBB579_2
; %bb.1:
	global_load_ushort v7, v[4:5], off
	global_load_ushort v9, v[2:3], off
	s_waitcnt vmcnt(1)
	v_cvt_f32_f16_e32 v8, v7
	s_waitcnt vmcnt(0)
	v_cvt_f32_f16_e32 v7, v9
.LBB579_2:
	s_or_b32 exec_lo, exec_lo, s1
	v_cmp_gt_i32_e64 s1, 2, v6
	s_xor_b32 s3, vcc_lo, -1
	s_or_b32 s1, s3, s1
	s_and_saveexec_b32 s3, s1
	s_xor_b32 s1, exec_lo, s3
                                        ; implicit-def: $vgpr9
; %bb.3:
	v_mov_b32_e32 v9, 0
                                        ; implicit-def: $vgpr2
                                        ; implicit-def: $vgpr4
; %bb.4:
	s_or_saveexec_b32 s4, s1
	v_mov_b32_e32 v10, 0
	s_xor_b32 exec_lo, exec_lo, s4
	s_cbranch_execz .LBB579_6
; %bb.5:
	s_mov_b32 s3, 0
	s_lshl_b64 s[6:7], s[2:3], 1
	v_add_co_u32 v4, s1, v4, s6
	v_add_co_ci_u32_e64 v5, null, s7, v5, s1
	v_add_co_u32 v2, s1, v2, s6
	v_add_co_ci_u32_e64 v3, null, s7, v3, s1
	global_load_ushort v4, v[4:5], off
	global_load_ushort v2, v[2:3], off
	s_waitcnt vmcnt(1)
	v_cvt_f32_f16_e32 v9, v4
	s_waitcnt vmcnt(0)
	v_cvt_f32_f16_e32 v10, v2
.LBB579_6:
	s_or_b32 exec_lo, exec_lo, s4
	v_mbcnt_lo_u32_b32 v2, -1, 0
	v_add_f32_e32 v5, 0, v8
	v_add_f32_e32 v11, 0, v9
	v_and_b32_e32 v3, 16, v2
	v_xor_b32_e32 v4, 8, v2
	v_xor_b32_e32 v13, 4, v2
	v_add_nc_u32_e32 v3, 16, v3
	v_cmp_lt_i32_e64 s1, v4, v3
	v_cndmask_b32_e64 v4, v2, v4, s1
	v_cmp_lt_i32_e64 s1, v13, v3
	v_lshlrev_b32_e32 v4, 2, v4
	v_cndmask_b32_e64 v13, v2, v13, s1
	ds_bpermute_b32 v12, v4, v5
	ds_bpermute_b32 v4, v4, v11
	v_lshlrev_b32_e32 v13, 2, v13
	s_waitcnt lgkmcnt(1)
	v_add_f32_e32 v5, v5, v12
	s_waitcnt lgkmcnt(0)
	v_add_f32_e32 v4, v11, v4
	ds_bpermute_b32 v11, v13, v5
	ds_bpermute_b32 v12, v13, v4
	v_xor_b32_e32 v13, 2, v2
	v_cmp_lt_i32_e64 s1, v13, v3
	v_cndmask_b32_e64 v13, v2, v13, s1
	v_lshlrev_b32_e32 v13, 2, v13
	s_waitcnt lgkmcnt(1)
	v_add_f32_e32 v5, v5, v11
	s_waitcnt lgkmcnt(0)
	v_add_f32_e32 v11, v4, v12
	ds_bpermute_b32 v4, v13, v5
	ds_bpermute_b32 v12, v13, v11
	v_xor_b32_e32 v13, 1, v2
	v_cmp_lt_i32_e64 s1, v13, v3
	v_cndmask_b32_e64 v2, v2, v13, s1
	v_lshlrev_b32_e32 v3, 2, v2
	s_waitcnt lgkmcnt(1)
	v_add_f32_e32 v4, v5, v4
	s_waitcnt lgkmcnt(0)
	v_add_f32_e32 v2, v11, v12
	ds_bpermute_b32 v5, v3, v4
	ds_bpermute_b32 v3, v3, v2
	s_and_saveexec_b32 s1, s0
	s_cbranch_execz .LBB579_11
; %bb.7:
	v_add_co_u32 v0, s0, s8, v0
	v_add_co_ci_u32_e64 v1, null, s9, v1, s0
	s_and_saveexec_b32 s0, vcc_lo
	s_cbranch_execz .LBB579_9
; %bb.8:
	s_waitcnt lgkmcnt(1)
	v_add_f32_e32 v4, v4, v5
	v_fma_mixlo_f16 v4, -v7, v4, v8
	global_store_short v[0:1], v4, off
.LBB579_9:
	s_or_b32 exec_lo, exec_lo, s0
	v_cmp_ne_u32_e64 s0, 1, v6
	s_and_b32 s0, s0, vcc_lo
	s_and_b32 exec_lo, exec_lo, s0
	s_cbranch_execz .LBB579_11
; %bb.10:
	s_mov_b32 s3, 0
	s_waitcnt lgkmcnt(0)
	v_add_f32_e32 v2, v2, v3
	s_lshl_b64 s[0:1], s[2:3], 1
	v_add_co_u32 v0, vcc_lo, v0, s0
	v_add_co_ci_u32_e64 v1, null, s1, v1, vcc_lo
	v_fma_mixlo_f16 v2, -v10, v2, v9
	global_store_short v[0:1], v2, off
.LBB579_11:
	s_endpgm
	.section	.rodata,"a",@progbits
	.p2align	6, 0x0
	.amdhsa_kernel _ZN12_GLOBAL__N_121softmax_warp_backwardIN3c104HalfES2_fLi4ELb0ELb0ELi32EEEvPT0_PKT_S7_iiiPKb
		.amdhsa_group_segment_fixed_size 0
		.amdhsa_private_segment_fixed_size 0
		.amdhsa_kernarg_size 304
		.amdhsa_user_sgpr_count 6
		.amdhsa_user_sgpr_private_segment_buffer 1
		.amdhsa_user_sgpr_dispatch_ptr 0
		.amdhsa_user_sgpr_queue_ptr 0
		.amdhsa_user_sgpr_kernarg_segment_ptr 1
		.amdhsa_user_sgpr_dispatch_id 0
		.amdhsa_user_sgpr_flat_scratch_init 0
		.amdhsa_user_sgpr_private_segment_size 0
		.amdhsa_wavefront_size32 1
		.amdhsa_uses_dynamic_stack 0
		.amdhsa_system_sgpr_private_segment_wavefront_offset 0
		.amdhsa_system_sgpr_workgroup_id_x 1
		.amdhsa_system_sgpr_workgroup_id_y 0
		.amdhsa_system_sgpr_workgroup_id_z 0
		.amdhsa_system_sgpr_workgroup_info 0
		.amdhsa_system_vgpr_workitem_id 1
		.amdhsa_next_free_vgpr 14
		.amdhsa_next_free_sgpr 12
		.amdhsa_reserve_vcc 1
		.amdhsa_reserve_flat_scratch 0
		.amdhsa_float_round_mode_32 0
		.amdhsa_float_round_mode_16_64 0
		.amdhsa_float_denorm_mode_32 3
		.amdhsa_float_denorm_mode_16_64 3
		.amdhsa_dx10_clamp 1
		.amdhsa_ieee_mode 1
		.amdhsa_fp16_overflow 0
		.amdhsa_workgroup_processor_mode 1
		.amdhsa_memory_ordered 1
		.amdhsa_forward_progress 1
		.amdhsa_shared_vgpr_count 0
		.amdhsa_exception_fp_ieee_invalid_op 0
		.amdhsa_exception_fp_denorm_src 0
		.amdhsa_exception_fp_ieee_div_zero 0
		.amdhsa_exception_fp_ieee_overflow 0
		.amdhsa_exception_fp_ieee_underflow 0
		.amdhsa_exception_fp_ieee_inexact 0
		.amdhsa_exception_int_div_zero 0
	.end_amdhsa_kernel
	.section	.text._ZN12_GLOBAL__N_121softmax_warp_backwardIN3c104HalfES2_fLi4ELb0ELb0ELi32EEEvPT0_PKT_S7_iiiPKb,"axG",@progbits,_ZN12_GLOBAL__N_121softmax_warp_backwardIN3c104HalfES2_fLi4ELb0ELb0ELi32EEEvPT0_PKT_S7_iiiPKb,comdat
.Lfunc_end579:
	.size	_ZN12_GLOBAL__N_121softmax_warp_backwardIN3c104HalfES2_fLi4ELb0ELb0ELi32EEEvPT0_PKT_S7_iiiPKb, .Lfunc_end579-_ZN12_GLOBAL__N_121softmax_warp_backwardIN3c104HalfES2_fLi4ELb0ELb0ELi32EEEvPT0_PKT_S7_iiiPKb
                                        ; -- End function
	.set _ZN12_GLOBAL__N_121softmax_warp_backwardIN3c104HalfES2_fLi4ELb0ELb0ELi32EEEvPT0_PKT_S7_iiiPKb.num_vgpr, 14
	.set _ZN12_GLOBAL__N_121softmax_warp_backwardIN3c104HalfES2_fLi4ELb0ELb0ELi32EEEvPT0_PKT_S7_iiiPKb.num_agpr, 0
	.set _ZN12_GLOBAL__N_121softmax_warp_backwardIN3c104HalfES2_fLi4ELb0ELb0ELi32EEEvPT0_PKT_S7_iiiPKb.numbered_sgpr, 12
	.set _ZN12_GLOBAL__N_121softmax_warp_backwardIN3c104HalfES2_fLi4ELb0ELb0ELi32EEEvPT0_PKT_S7_iiiPKb.num_named_barrier, 0
	.set _ZN12_GLOBAL__N_121softmax_warp_backwardIN3c104HalfES2_fLi4ELb0ELb0ELi32EEEvPT0_PKT_S7_iiiPKb.private_seg_size, 0
	.set _ZN12_GLOBAL__N_121softmax_warp_backwardIN3c104HalfES2_fLi4ELb0ELb0ELi32EEEvPT0_PKT_S7_iiiPKb.uses_vcc, 1
	.set _ZN12_GLOBAL__N_121softmax_warp_backwardIN3c104HalfES2_fLi4ELb0ELb0ELi32EEEvPT0_PKT_S7_iiiPKb.uses_flat_scratch, 0
	.set _ZN12_GLOBAL__N_121softmax_warp_backwardIN3c104HalfES2_fLi4ELb0ELb0ELi32EEEvPT0_PKT_S7_iiiPKb.has_dyn_sized_stack, 0
	.set _ZN12_GLOBAL__N_121softmax_warp_backwardIN3c104HalfES2_fLi4ELb0ELb0ELi32EEEvPT0_PKT_S7_iiiPKb.has_recursion, 0
	.set _ZN12_GLOBAL__N_121softmax_warp_backwardIN3c104HalfES2_fLi4ELb0ELb0ELi32EEEvPT0_PKT_S7_iiiPKb.has_indirect_call, 0
	.section	.AMDGPU.csdata,"",@progbits
; Kernel info:
; codeLenInByte = 680
; TotalNumSgprs: 14
; NumVgprs: 14
; ScratchSize: 0
; MemoryBound: 0
; FloatMode: 240
; IeeeMode: 1
; LDSByteSize: 0 bytes/workgroup (compile time only)
; SGPRBlocks: 0
; VGPRBlocks: 1
; NumSGPRsForWavesPerEU: 14
; NumVGPRsForWavesPerEU: 14
; Occupancy: 16
; WaveLimiterHint : 0
; COMPUTE_PGM_RSRC2:SCRATCH_EN: 0
; COMPUTE_PGM_RSRC2:USER_SGPR: 6
; COMPUTE_PGM_RSRC2:TRAP_HANDLER: 0
; COMPUTE_PGM_RSRC2:TGID_X_EN: 1
; COMPUTE_PGM_RSRC2:TGID_Y_EN: 0
; COMPUTE_PGM_RSRC2:TGID_Z_EN: 0
; COMPUTE_PGM_RSRC2:TIDIG_COMP_CNT: 1
	.section	.text._ZN12_GLOBAL__N_121softmax_warp_backwardIN3c104HalfES2_fLi5ELb0ELb0ELi64EEEvPT0_PKT_S7_iiiPKb,"axG",@progbits,_ZN12_GLOBAL__N_121softmax_warp_backwardIN3c104HalfES2_fLi5ELb0ELb0ELi64EEEvPT0_PKT_S7_iiiPKb,comdat
	.globl	_ZN12_GLOBAL__N_121softmax_warp_backwardIN3c104HalfES2_fLi5ELb0ELb0ELi64EEEvPT0_PKT_S7_iiiPKb ; -- Begin function _ZN12_GLOBAL__N_121softmax_warp_backwardIN3c104HalfES2_fLi5ELb0ELb0ELi64EEEvPT0_PKT_S7_iiiPKb
	.p2align	8
	.type	_ZN12_GLOBAL__N_121softmax_warp_backwardIN3c104HalfES2_fLi5ELb0ELb0ELi64EEEvPT0_PKT_S7_iiiPKb,@function
_ZN12_GLOBAL__N_121softmax_warp_backwardIN3c104HalfES2_fLi5ELb0ELb0ELi64EEEvPT0_PKT_S7_iiiPKb: ; @_ZN12_GLOBAL__N_121softmax_warp_backwardIN3c104HalfES2_fLi5ELb0ELb0ELi64EEEvPT0_PKT_S7_iiiPKb
; %bb.0:
	s_clause 0x1
	s_load_dword s7, s[4:5], 0x3c
	s_load_dwordx4 s[0:3], s[4:5], 0x18
	v_and_b32_e32 v2, 31, v0
	s_clause 0x1
	s_load_dwordx4 s[8:11], s[4:5], 0x0
	s_load_dwordx2 s[4:5], s[4:5], 0x10
	v_mov_b32_e32 v7, 0
	v_mov_b32_e32 v8, 0
	s_waitcnt lgkmcnt(0)
	s_lshr_b32 s3, s7, 16
	v_cmp_gt_i32_e32 vcc_lo, s2, v2
	s_and_b32 s3, s3, 0xffff
	s_mul_i32 s6, s6, s3
	v_add_lshl_u32 v3, s6, v1, 1
	v_mad_u64_u32 v[0:1], null, v3, s1, v[2:3]
	v_sub_nc_u32_e32 v6, s0, v3
	v_cmp_lt_i32_e64 s0, 0, v6
	v_ashrrev_i32_e32 v1, 31, v0
	s_and_b32 s3, vcc_lo, s0
	v_lshlrev_b64 v[0:1], 1, v[0:1]
	v_add_co_u32 v4, s1, s10, v0
	v_add_co_ci_u32_e64 v5, null, s11, v1, s1
	v_add_co_u32 v2, s1, s4, v0
	v_add_co_ci_u32_e64 v3, null, s5, v1, s1
	s_and_saveexec_b32 s1, s3
	s_cbranch_execz .LBB580_2
; %bb.1:
	global_load_ushort v7, v[4:5], off
	global_load_ushort v9, v[2:3], off
	s_waitcnt vmcnt(1)
	v_cvt_f32_f16_e32 v8, v7
	s_waitcnt vmcnt(0)
	v_cvt_f32_f16_e32 v7, v9
.LBB580_2:
	s_or_b32 exec_lo, exec_lo, s1
	v_cmp_gt_i32_e64 s1, 2, v6
	s_xor_b32 s3, vcc_lo, -1
	s_or_b32 s1, s3, s1
	s_and_saveexec_b32 s3, s1
	s_xor_b32 s1, exec_lo, s3
                                        ; implicit-def: $vgpr9
; %bb.3:
	v_mov_b32_e32 v9, 0
                                        ; implicit-def: $vgpr2
                                        ; implicit-def: $vgpr4
; %bb.4:
	s_or_saveexec_b32 s4, s1
	v_mov_b32_e32 v10, 0
	s_xor_b32 exec_lo, exec_lo, s4
	s_cbranch_execz .LBB580_6
; %bb.5:
	s_mov_b32 s3, 0
	s_lshl_b64 s[6:7], s[2:3], 1
	v_add_co_u32 v4, s1, v4, s6
	v_add_co_ci_u32_e64 v5, null, s7, v5, s1
	v_add_co_u32 v2, s1, v2, s6
	v_add_co_ci_u32_e64 v3, null, s7, v3, s1
	global_load_ushort v4, v[4:5], off
	global_load_ushort v2, v[2:3], off
	s_waitcnt vmcnt(1)
	v_cvt_f32_f16_e32 v9, v4
	s_waitcnt vmcnt(0)
	v_cvt_f32_f16_e32 v10, v2
.LBB580_6:
	s_or_b32 exec_lo, exec_lo, s4
	v_mbcnt_lo_u32_b32 v2, -1, 0
	v_add_f32_e32 v4, 0, v8
	v_add_f32_e32 v5, 0, v9
	v_xor_b32_e32 v3, 16, v2
	v_xor_b32_e32 v12, 8, v2
	v_cmp_gt_i32_e64 s1, 32, v3
	v_cndmask_b32_e64 v3, v2, v3, s1
	v_cmp_gt_i32_e64 s1, 32, v12
	v_lshlrev_b32_e32 v3, 2, v3
	v_cndmask_b32_e64 v12, v2, v12, s1
	ds_bpermute_b32 v11, v3, v4
	ds_bpermute_b32 v3, v3, v5
	v_lshlrev_b32_e32 v12, 2, v12
	s_waitcnt lgkmcnt(1)
	v_add_f32_e32 v4, v4, v11
	s_waitcnt lgkmcnt(0)
	v_add_f32_e32 v3, v5, v3
	ds_bpermute_b32 v5, v12, v4
	ds_bpermute_b32 v11, v12, v3
	v_xor_b32_e32 v12, 4, v2
	v_cmp_gt_i32_e64 s1, 32, v12
	v_cndmask_b32_e64 v12, v2, v12, s1
	v_lshlrev_b32_e32 v12, 2, v12
	s_waitcnt lgkmcnt(1)
	v_add_f32_e32 v4, v4, v5
	s_waitcnt lgkmcnt(0)
	v_add_f32_e32 v3, v3, v11
	ds_bpermute_b32 v5, v12, v4
	ds_bpermute_b32 v11, v12, v3
	v_xor_b32_e32 v12, 2, v2
	v_cmp_gt_i32_e64 s1, 32, v12
	v_cndmask_b32_e64 v12, v2, v12, s1
	;; [unrolled: 10-line block ×3, first 2 shown]
	v_lshlrev_b32_e32 v12, 2, v2
	s_waitcnt lgkmcnt(1)
	v_add_f32_e32 v4, v4, v5
	s_waitcnt lgkmcnt(0)
	v_add_f32_e32 v2, v3, v11
	ds_bpermute_b32 v5, v12, v4
	ds_bpermute_b32 v3, v12, v2
	s_and_saveexec_b32 s1, s0
	s_cbranch_execz .LBB580_11
; %bb.7:
	v_add_co_u32 v0, s0, s8, v0
	v_add_co_ci_u32_e64 v1, null, s9, v1, s0
	s_and_saveexec_b32 s0, vcc_lo
	s_cbranch_execz .LBB580_9
; %bb.8:
	s_waitcnt lgkmcnt(1)
	v_add_f32_e32 v4, v4, v5
	v_fma_mixlo_f16 v4, -v7, v4, v8
	global_store_short v[0:1], v4, off
.LBB580_9:
	s_or_b32 exec_lo, exec_lo, s0
	v_cmp_ne_u32_e64 s0, 1, v6
	s_and_b32 s0, s0, vcc_lo
	s_and_b32 exec_lo, exec_lo, s0
	s_cbranch_execz .LBB580_11
; %bb.10:
	s_mov_b32 s3, 0
	s_waitcnt lgkmcnt(0)
	v_add_f32_e32 v2, v2, v3
	s_lshl_b64 s[0:1], s[2:3], 1
	v_add_co_u32 v0, vcc_lo, v0, s0
	v_add_co_ci_u32_e64 v1, null, s1, v1, vcc_lo
	v_fma_mixlo_f16 v2, -v10, v2, v9
	global_store_short v[0:1], v2, off
.LBB580_11:
	s_endpgm
	.section	.rodata,"a",@progbits
	.p2align	6, 0x0
	.amdhsa_kernel _ZN12_GLOBAL__N_121softmax_warp_backwardIN3c104HalfES2_fLi5ELb0ELb0ELi64EEEvPT0_PKT_S7_iiiPKb
		.amdhsa_group_segment_fixed_size 0
		.amdhsa_private_segment_fixed_size 0
		.amdhsa_kernarg_size 304
		.amdhsa_user_sgpr_count 6
		.amdhsa_user_sgpr_private_segment_buffer 1
		.amdhsa_user_sgpr_dispatch_ptr 0
		.amdhsa_user_sgpr_queue_ptr 0
		.amdhsa_user_sgpr_kernarg_segment_ptr 1
		.amdhsa_user_sgpr_dispatch_id 0
		.amdhsa_user_sgpr_flat_scratch_init 0
		.amdhsa_user_sgpr_private_segment_size 0
		.amdhsa_wavefront_size32 1
		.amdhsa_uses_dynamic_stack 0
		.amdhsa_system_sgpr_private_segment_wavefront_offset 0
		.amdhsa_system_sgpr_workgroup_id_x 1
		.amdhsa_system_sgpr_workgroup_id_y 0
		.amdhsa_system_sgpr_workgroup_id_z 0
		.amdhsa_system_sgpr_workgroup_info 0
		.amdhsa_system_vgpr_workitem_id 1
		.amdhsa_next_free_vgpr 13
		.amdhsa_next_free_sgpr 12
		.amdhsa_reserve_vcc 1
		.amdhsa_reserve_flat_scratch 0
		.amdhsa_float_round_mode_32 0
		.amdhsa_float_round_mode_16_64 0
		.amdhsa_float_denorm_mode_32 3
		.amdhsa_float_denorm_mode_16_64 3
		.amdhsa_dx10_clamp 1
		.amdhsa_ieee_mode 1
		.amdhsa_fp16_overflow 0
		.amdhsa_workgroup_processor_mode 1
		.amdhsa_memory_ordered 1
		.amdhsa_forward_progress 1
		.amdhsa_shared_vgpr_count 0
		.amdhsa_exception_fp_ieee_invalid_op 0
		.amdhsa_exception_fp_denorm_src 0
		.amdhsa_exception_fp_ieee_div_zero 0
		.amdhsa_exception_fp_ieee_overflow 0
		.amdhsa_exception_fp_ieee_underflow 0
		.amdhsa_exception_fp_ieee_inexact 0
		.amdhsa_exception_int_div_zero 0
	.end_amdhsa_kernel
	.section	.text._ZN12_GLOBAL__N_121softmax_warp_backwardIN3c104HalfES2_fLi5ELb0ELb0ELi64EEEvPT0_PKT_S7_iiiPKb,"axG",@progbits,_ZN12_GLOBAL__N_121softmax_warp_backwardIN3c104HalfES2_fLi5ELb0ELb0ELi64EEEvPT0_PKT_S7_iiiPKb,comdat
.Lfunc_end580:
	.size	_ZN12_GLOBAL__N_121softmax_warp_backwardIN3c104HalfES2_fLi5ELb0ELb0ELi64EEEvPT0_PKT_S7_iiiPKb, .Lfunc_end580-_ZN12_GLOBAL__N_121softmax_warp_backwardIN3c104HalfES2_fLi5ELb0ELb0ELi64EEEvPT0_PKT_S7_iiiPKb
                                        ; -- End function
	.set _ZN12_GLOBAL__N_121softmax_warp_backwardIN3c104HalfES2_fLi5ELb0ELb0ELi64EEEvPT0_PKT_S7_iiiPKb.num_vgpr, 13
	.set _ZN12_GLOBAL__N_121softmax_warp_backwardIN3c104HalfES2_fLi5ELb0ELb0ELi64EEEvPT0_PKT_S7_iiiPKb.num_agpr, 0
	.set _ZN12_GLOBAL__N_121softmax_warp_backwardIN3c104HalfES2_fLi5ELb0ELb0ELi64EEEvPT0_PKT_S7_iiiPKb.numbered_sgpr, 12
	.set _ZN12_GLOBAL__N_121softmax_warp_backwardIN3c104HalfES2_fLi5ELb0ELb0ELi64EEEvPT0_PKT_S7_iiiPKb.num_named_barrier, 0
	.set _ZN12_GLOBAL__N_121softmax_warp_backwardIN3c104HalfES2_fLi5ELb0ELb0ELi64EEEvPT0_PKT_S7_iiiPKb.private_seg_size, 0
	.set _ZN12_GLOBAL__N_121softmax_warp_backwardIN3c104HalfES2_fLi5ELb0ELb0ELi64EEEvPT0_PKT_S7_iiiPKb.uses_vcc, 1
	.set _ZN12_GLOBAL__N_121softmax_warp_backwardIN3c104HalfES2_fLi5ELb0ELb0ELi64EEEvPT0_PKT_S7_iiiPKb.uses_flat_scratch, 0
	.set _ZN12_GLOBAL__N_121softmax_warp_backwardIN3c104HalfES2_fLi5ELb0ELb0ELi64EEEvPT0_PKT_S7_iiiPKb.has_dyn_sized_stack, 0
	.set _ZN12_GLOBAL__N_121softmax_warp_backwardIN3c104HalfES2_fLi5ELb0ELb0ELi64EEEvPT0_PKT_S7_iiiPKb.has_recursion, 0
	.set _ZN12_GLOBAL__N_121softmax_warp_backwardIN3c104HalfES2_fLi5ELb0ELb0ELi64EEEvPT0_PKT_S7_iiiPKb.has_indirect_call, 0
	.section	.AMDGPU.csdata,"",@progbits
; Kernel info:
; codeLenInByte = 728
; TotalNumSgprs: 14
; NumVgprs: 13
; ScratchSize: 0
; MemoryBound: 0
; FloatMode: 240
; IeeeMode: 1
; LDSByteSize: 0 bytes/workgroup (compile time only)
; SGPRBlocks: 0
; VGPRBlocks: 1
; NumSGPRsForWavesPerEU: 14
; NumVGPRsForWavesPerEU: 13
; Occupancy: 16
; WaveLimiterHint : 0
; COMPUTE_PGM_RSRC2:SCRATCH_EN: 0
; COMPUTE_PGM_RSRC2:USER_SGPR: 6
; COMPUTE_PGM_RSRC2:TRAP_HANDLER: 0
; COMPUTE_PGM_RSRC2:TGID_X_EN: 1
; COMPUTE_PGM_RSRC2:TGID_Y_EN: 0
; COMPUTE_PGM_RSRC2:TGID_Z_EN: 0
; COMPUTE_PGM_RSRC2:TIDIG_COMP_CNT: 1
	.section	.text._ZN12_GLOBAL__N_121softmax_warp_backwardIN3c104HalfES2_fLi5ELb0ELb0ELi32EEEvPT0_PKT_S7_iiiPKb,"axG",@progbits,_ZN12_GLOBAL__N_121softmax_warp_backwardIN3c104HalfES2_fLi5ELb0ELb0ELi32EEEvPT0_PKT_S7_iiiPKb,comdat
	.globl	_ZN12_GLOBAL__N_121softmax_warp_backwardIN3c104HalfES2_fLi5ELb0ELb0ELi32EEEvPT0_PKT_S7_iiiPKb ; -- Begin function _ZN12_GLOBAL__N_121softmax_warp_backwardIN3c104HalfES2_fLi5ELb0ELb0ELi32EEEvPT0_PKT_S7_iiiPKb
	.p2align	8
	.type	_ZN12_GLOBAL__N_121softmax_warp_backwardIN3c104HalfES2_fLi5ELb0ELb0ELi32EEEvPT0_PKT_S7_iiiPKb,@function
_ZN12_GLOBAL__N_121softmax_warp_backwardIN3c104HalfES2_fLi5ELb0ELb0ELi32EEEvPT0_PKT_S7_iiiPKb: ; @_ZN12_GLOBAL__N_121softmax_warp_backwardIN3c104HalfES2_fLi5ELb0ELb0ELi32EEEvPT0_PKT_S7_iiiPKb
; %bb.0:
	s_clause 0x1
	s_load_dword s7, s[4:5], 0x3c
	s_load_dwordx4 s[0:3], s[4:5], 0x18
	v_and_b32_e32 v2, 31, v0
	s_clause 0x1
	s_load_dwordx4 s[8:11], s[4:5], 0x0
	s_load_dwordx2 s[4:5], s[4:5], 0x10
	v_mov_b32_e32 v7, 0
	v_mov_b32_e32 v8, 0
	s_waitcnt lgkmcnt(0)
	s_lshr_b32 s3, s7, 16
	v_cmp_gt_i32_e32 vcc_lo, s2, v2
	s_and_b32 s3, s3, 0xffff
	s_mul_i32 s6, s6, s3
	v_add_lshl_u32 v3, s6, v1, 1
	v_mad_u64_u32 v[0:1], null, v3, s1, v[2:3]
	v_sub_nc_u32_e32 v6, s0, v3
	v_cmp_lt_i32_e64 s0, 0, v6
	v_ashrrev_i32_e32 v1, 31, v0
	s_and_b32 s3, vcc_lo, s0
	v_lshlrev_b64 v[0:1], 1, v[0:1]
	v_add_co_u32 v4, s1, s10, v0
	v_add_co_ci_u32_e64 v5, null, s11, v1, s1
	v_add_co_u32 v2, s1, s4, v0
	v_add_co_ci_u32_e64 v3, null, s5, v1, s1
	s_and_saveexec_b32 s1, s3
	s_cbranch_execz .LBB581_2
; %bb.1:
	global_load_ushort v7, v[4:5], off
	global_load_ushort v9, v[2:3], off
	s_waitcnt vmcnt(1)
	v_cvt_f32_f16_e32 v8, v7
	s_waitcnt vmcnt(0)
	v_cvt_f32_f16_e32 v7, v9
.LBB581_2:
	s_or_b32 exec_lo, exec_lo, s1
	v_cmp_gt_i32_e64 s1, 2, v6
	s_xor_b32 s3, vcc_lo, -1
	s_or_b32 s1, s3, s1
	s_and_saveexec_b32 s3, s1
	s_xor_b32 s1, exec_lo, s3
                                        ; implicit-def: $vgpr9
; %bb.3:
	v_mov_b32_e32 v9, 0
                                        ; implicit-def: $vgpr2
                                        ; implicit-def: $vgpr4
; %bb.4:
	s_or_saveexec_b32 s4, s1
	v_mov_b32_e32 v10, 0
	s_xor_b32 exec_lo, exec_lo, s4
	s_cbranch_execz .LBB581_6
; %bb.5:
	s_mov_b32 s3, 0
	s_lshl_b64 s[6:7], s[2:3], 1
	v_add_co_u32 v4, s1, v4, s6
	v_add_co_ci_u32_e64 v5, null, s7, v5, s1
	v_add_co_u32 v2, s1, v2, s6
	v_add_co_ci_u32_e64 v3, null, s7, v3, s1
	global_load_ushort v4, v[4:5], off
	global_load_ushort v2, v[2:3], off
	s_waitcnt vmcnt(1)
	v_cvt_f32_f16_e32 v9, v4
	s_waitcnt vmcnt(0)
	v_cvt_f32_f16_e32 v10, v2
.LBB581_6:
	s_or_b32 exec_lo, exec_lo, s4
	v_mbcnt_lo_u32_b32 v2, -1, 0
	v_add_f32_e32 v4, 0, v8
	v_add_f32_e32 v5, 0, v9
	v_xor_b32_e32 v3, 16, v2
	v_xor_b32_e32 v12, 8, v2
	v_cmp_gt_i32_e64 s1, 32, v3
	v_cndmask_b32_e64 v3, v2, v3, s1
	v_cmp_gt_i32_e64 s1, 32, v12
	v_lshlrev_b32_e32 v3, 2, v3
	v_cndmask_b32_e64 v12, v2, v12, s1
	ds_bpermute_b32 v11, v3, v4
	ds_bpermute_b32 v3, v3, v5
	v_lshlrev_b32_e32 v12, 2, v12
	s_waitcnt lgkmcnt(1)
	v_add_f32_e32 v4, v4, v11
	s_waitcnt lgkmcnt(0)
	v_add_f32_e32 v3, v5, v3
	ds_bpermute_b32 v5, v12, v4
	ds_bpermute_b32 v11, v12, v3
	v_xor_b32_e32 v12, 4, v2
	v_cmp_gt_i32_e64 s1, 32, v12
	v_cndmask_b32_e64 v12, v2, v12, s1
	v_lshlrev_b32_e32 v12, 2, v12
	s_waitcnt lgkmcnt(1)
	v_add_f32_e32 v4, v4, v5
	s_waitcnt lgkmcnt(0)
	v_add_f32_e32 v3, v3, v11
	ds_bpermute_b32 v5, v12, v4
	ds_bpermute_b32 v11, v12, v3
	v_xor_b32_e32 v12, 2, v2
	v_cmp_gt_i32_e64 s1, 32, v12
	v_cndmask_b32_e64 v12, v2, v12, s1
	;; [unrolled: 10-line block ×3, first 2 shown]
	v_lshlrev_b32_e32 v12, 2, v2
	s_waitcnt lgkmcnt(1)
	v_add_f32_e32 v4, v4, v5
	s_waitcnt lgkmcnt(0)
	v_add_f32_e32 v2, v3, v11
	ds_bpermute_b32 v5, v12, v4
	ds_bpermute_b32 v3, v12, v2
	s_and_saveexec_b32 s1, s0
	s_cbranch_execz .LBB581_11
; %bb.7:
	v_add_co_u32 v0, s0, s8, v0
	v_add_co_ci_u32_e64 v1, null, s9, v1, s0
	s_and_saveexec_b32 s0, vcc_lo
	s_cbranch_execz .LBB581_9
; %bb.8:
	s_waitcnt lgkmcnt(1)
	v_add_f32_e32 v4, v4, v5
	v_fma_mixlo_f16 v4, -v7, v4, v8
	global_store_short v[0:1], v4, off
.LBB581_9:
	s_or_b32 exec_lo, exec_lo, s0
	v_cmp_ne_u32_e64 s0, 1, v6
	s_and_b32 s0, s0, vcc_lo
	s_and_b32 exec_lo, exec_lo, s0
	s_cbranch_execz .LBB581_11
; %bb.10:
	s_mov_b32 s3, 0
	s_waitcnt lgkmcnt(0)
	v_add_f32_e32 v2, v2, v3
	s_lshl_b64 s[0:1], s[2:3], 1
	v_add_co_u32 v0, vcc_lo, v0, s0
	v_add_co_ci_u32_e64 v1, null, s1, v1, vcc_lo
	v_fma_mixlo_f16 v2, -v10, v2, v9
	global_store_short v[0:1], v2, off
.LBB581_11:
	s_endpgm
	.section	.rodata,"a",@progbits
	.p2align	6, 0x0
	.amdhsa_kernel _ZN12_GLOBAL__N_121softmax_warp_backwardIN3c104HalfES2_fLi5ELb0ELb0ELi32EEEvPT0_PKT_S7_iiiPKb
		.amdhsa_group_segment_fixed_size 0
		.amdhsa_private_segment_fixed_size 0
		.amdhsa_kernarg_size 304
		.amdhsa_user_sgpr_count 6
		.amdhsa_user_sgpr_private_segment_buffer 1
		.amdhsa_user_sgpr_dispatch_ptr 0
		.amdhsa_user_sgpr_queue_ptr 0
		.amdhsa_user_sgpr_kernarg_segment_ptr 1
		.amdhsa_user_sgpr_dispatch_id 0
		.amdhsa_user_sgpr_flat_scratch_init 0
		.amdhsa_user_sgpr_private_segment_size 0
		.amdhsa_wavefront_size32 1
		.amdhsa_uses_dynamic_stack 0
		.amdhsa_system_sgpr_private_segment_wavefront_offset 0
		.amdhsa_system_sgpr_workgroup_id_x 1
		.amdhsa_system_sgpr_workgroup_id_y 0
		.amdhsa_system_sgpr_workgroup_id_z 0
		.amdhsa_system_sgpr_workgroup_info 0
		.amdhsa_system_vgpr_workitem_id 1
		.amdhsa_next_free_vgpr 13
		.amdhsa_next_free_sgpr 12
		.amdhsa_reserve_vcc 1
		.amdhsa_reserve_flat_scratch 0
		.amdhsa_float_round_mode_32 0
		.amdhsa_float_round_mode_16_64 0
		.amdhsa_float_denorm_mode_32 3
		.amdhsa_float_denorm_mode_16_64 3
		.amdhsa_dx10_clamp 1
		.amdhsa_ieee_mode 1
		.amdhsa_fp16_overflow 0
		.amdhsa_workgroup_processor_mode 1
		.amdhsa_memory_ordered 1
		.amdhsa_forward_progress 1
		.amdhsa_shared_vgpr_count 0
		.amdhsa_exception_fp_ieee_invalid_op 0
		.amdhsa_exception_fp_denorm_src 0
		.amdhsa_exception_fp_ieee_div_zero 0
		.amdhsa_exception_fp_ieee_overflow 0
		.amdhsa_exception_fp_ieee_underflow 0
		.amdhsa_exception_fp_ieee_inexact 0
		.amdhsa_exception_int_div_zero 0
	.end_amdhsa_kernel
	.section	.text._ZN12_GLOBAL__N_121softmax_warp_backwardIN3c104HalfES2_fLi5ELb0ELb0ELi32EEEvPT0_PKT_S7_iiiPKb,"axG",@progbits,_ZN12_GLOBAL__N_121softmax_warp_backwardIN3c104HalfES2_fLi5ELb0ELb0ELi32EEEvPT0_PKT_S7_iiiPKb,comdat
.Lfunc_end581:
	.size	_ZN12_GLOBAL__N_121softmax_warp_backwardIN3c104HalfES2_fLi5ELb0ELb0ELi32EEEvPT0_PKT_S7_iiiPKb, .Lfunc_end581-_ZN12_GLOBAL__N_121softmax_warp_backwardIN3c104HalfES2_fLi5ELb0ELb0ELi32EEEvPT0_PKT_S7_iiiPKb
                                        ; -- End function
	.set _ZN12_GLOBAL__N_121softmax_warp_backwardIN3c104HalfES2_fLi5ELb0ELb0ELi32EEEvPT0_PKT_S7_iiiPKb.num_vgpr, 13
	.set _ZN12_GLOBAL__N_121softmax_warp_backwardIN3c104HalfES2_fLi5ELb0ELb0ELi32EEEvPT0_PKT_S7_iiiPKb.num_agpr, 0
	.set _ZN12_GLOBAL__N_121softmax_warp_backwardIN3c104HalfES2_fLi5ELb0ELb0ELi32EEEvPT0_PKT_S7_iiiPKb.numbered_sgpr, 12
	.set _ZN12_GLOBAL__N_121softmax_warp_backwardIN3c104HalfES2_fLi5ELb0ELb0ELi32EEEvPT0_PKT_S7_iiiPKb.num_named_barrier, 0
	.set _ZN12_GLOBAL__N_121softmax_warp_backwardIN3c104HalfES2_fLi5ELb0ELb0ELi32EEEvPT0_PKT_S7_iiiPKb.private_seg_size, 0
	.set _ZN12_GLOBAL__N_121softmax_warp_backwardIN3c104HalfES2_fLi5ELb0ELb0ELi32EEEvPT0_PKT_S7_iiiPKb.uses_vcc, 1
	.set _ZN12_GLOBAL__N_121softmax_warp_backwardIN3c104HalfES2_fLi5ELb0ELb0ELi32EEEvPT0_PKT_S7_iiiPKb.uses_flat_scratch, 0
	.set _ZN12_GLOBAL__N_121softmax_warp_backwardIN3c104HalfES2_fLi5ELb0ELb0ELi32EEEvPT0_PKT_S7_iiiPKb.has_dyn_sized_stack, 0
	.set _ZN12_GLOBAL__N_121softmax_warp_backwardIN3c104HalfES2_fLi5ELb0ELb0ELi32EEEvPT0_PKT_S7_iiiPKb.has_recursion, 0
	.set _ZN12_GLOBAL__N_121softmax_warp_backwardIN3c104HalfES2_fLi5ELb0ELb0ELi32EEEvPT0_PKT_S7_iiiPKb.has_indirect_call, 0
	.section	.AMDGPU.csdata,"",@progbits
; Kernel info:
; codeLenInByte = 728
; TotalNumSgprs: 14
; NumVgprs: 13
; ScratchSize: 0
; MemoryBound: 0
; FloatMode: 240
; IeeeMode: 1
; LDSByteSize: 0 bytes/workgroup (compile time only)
; SGPRBlocks: 0
; VGPRBlocks: 1
; NumSGPRsForWavesPerEU: 14
; NumVGPRsForWavesPerEU: 13
; Occupancy: 16
; WaveLimiterHint : 0
; COMPUTE_PGM_RSRC2:SCRATCH_EN: 0
; COMPUTE_PGM_RSRC2:USER_SGPR: 6
; COMPUTE_PGM_RSRC2:TRAP_HANDLER: 0
; COMPUTE_PGM_RSRC2:TGID_X_EN: 1
; COMPUTE_PGM_RSRC2:TGID_Y_EN: 0
; COMPUTE_PGM_RSRC2:TGID_Z_EN: 0
; COMPUTE_PGM_RSRC2:TIDIG_COMP_CNT: 1
	.section	.text._ZN12_GLOBAL__N_121softmax_warp_backwardIN3c104HalfES2_fLi6ELb0ELb0ELi64EEEvPT0_PKT_S7_iiiPKb,"axG",@progbits,_ZN12_GLOBAL__N_121softmax_warp_backwardIN3c104HalfES2_fLi6ELb0ELb0ELi64EEEvPT0_PKT_S7_iiiPKb,comdat
	.globl	_ZN12_GLOBAL__N_121softmax_warp_backwardIN3c104HalfES2_fLi6ELb0ELb0ELi64EEEvPT0_PKT_S7_iiiPKb ; -- Begin function _ZN12_GLOBAL__N_121softmax_warp_backwardIN3c104HalfES2_fLi6ELb0ELb0ELi64EEEvPT0_PKT_S7_iiiPKb
	.p2align	8
	.type	_ZN12_GLOBAL__N_121softmax_warp_backwardIN3c104HalfES2_fLi6ELb0ELb0ELi64EEEvPT0_PKT_S7_iiiPKb,@function
_ZN12_GLOBAL__N_121softmax_warp_backwardIN3c104HalfES2_fLi6ELb0ELb0ELi64EEEvPT0_PKT_S7_iiiPKb: ; @_ZN12_GLOBAL__N_121softmax_warp_backwardIN3c104HalfES2_fLi6ELb0ELb0ELi64EEEvPT0_PKT_S7_iiiPKb
; %bb.0:
	s_clause 0x1
	s_load_dword s7, s[4:5], 0x3c
	s_load_dwordx4 s[0:3], s[4:5], 0x18
	v_and_b32_e32 v2, 63, v0
	s_clause 0x1
	s_load_dwordx4 s[8:11], s[4:5], 0x0
	s_load_dwordx2 s[4:5], s[4:5], 0x10
	v_mov_b32_e32 v7, 0
	v_mov_b32_e32 v8, 0
	s_waitcnt lgkmcnt(0)
	s_lshr_b32 s3, s7, 16
	v_cmp_gt_i32_e32 vcc_lo, s2, v2
	s_and_b32 s3, s3, 0xffff
	s_mul_i32 s6, s6, s3
	v_add_lshl_u32 v3, s6, v1, 1
	v_mad_u64_u32 v[0:1], null, v3, s1, v[2:3]
	v_sub_nc_u32_e32 v6, s0, v3
	v_cmp_lt_i32_e64 s0, 0, v6
	v_ashrrev_i32_e32 v1, 31, v0
	s_and_b32 s3, vcc_lo, s0
	v_lshlrev_b64 v[0:1], 1, v[0:1]
	v_add_co_u32 v4, s1, s10, v0
	v_add_co_ci_u32_e64 v5, null, s11, v1, s1
	v_add_co_u32 v2, s1, s4, v0
	v_add_co_ci_u32_e64 v3, null, s5, v1, s1
	s_and_saveexec_b32 s1, s3
	s_cbranch_execz .LBB582_2
; %bb.1:
	global_load_ushort v7, v[4:5], off
	global_load_ushort v9, v[2:3], off
	s_waitcnt vmcnt(1)
	v_cvt_f32_f16_e32 v8, v7
	s_waitcnt vmcnt(0)
	v_cvt_f32_f16_e32 v7, v9
.LBB582_2:
	s_or_b32 exec_lo, exec_lo, s1
	v_cmp_gt_i32_e64 s1, 2, v6
	s_xor_b32 s3, vcc_lo, -1
	s_or_b32 s1, s3, s1
	s_and_saveexec_b32 s3, s1
	s_xor_b32 s1, exec_lo, s3
                                        ; implicit-def: $vgpr9
; %bb.3:
	v_mov_b32_e32 v9, 0
                                        ; implicit-def: $vgpr2
                                        ; implicit-def: $vgpr4
; %bb.4:
	s_or_saveexec_b32 s4, s1
	v_mov_b32_e32 v10, 0
	s_xor_b32 exec_lo, exec_lo, s4
	s_cbranch_execz .LBB582_6
; %bb.5:
	s_mov_b32 s3, 0
	s_lshl_b64 s[6:7], s[2:3], 1
	v_add_co_u32 v4, s1, v4, s6
	v_add_co_ci_u32_e64 v5, null, s7, v5, s1
	v_add_co_u32 v2, s1, v2, s6
	v_add_co_ci_u32_e64 v3, null, s7, v3, s1
	global_load_ushort v4, v[4:5], off
	global_load_ushort v2, v[2:3], off
	s_waitcnt vmcnt(1)
	v_cvt_f32_f16_e32 v9, v4
	s_waitcnt vmcnt(0)
	v_cvt_f32_f16_e32 v10, v2
.LBB582_6:
	s_or_b32 exec_lo, exec_lo, s4
	v_mbcnt_lo_u32_b32 v2, -1, 0
	v_add_f32_e32 v4, 0, v8
	v_add_f32_e32 v5, 0, v9
	v_or_b32_e32 v3, 32, v2
	v_xor_b32_e32 v12, 16, v2
	v_cmp_gt_i32_e64 s1, 64, v3
	v_cndmask_b32_e64 v3, v2, v3, s1
	v_cmp_gt_i32_e64 s1, 64, v12
	v_lshlrev_b32_e32 v3, 2, v3
	v_cndmask_b32_e64 v12, v2, v12, s1
	ds_bpermute_b32 v11, v3, v4
	ds_bpermute_b32 v3, v3, v5
	v_lshlrev_b32_e32 v12, 2, v12
	s_waitcnt lgkmcnt(1)
	v_add_f32_e32 v4, v4, v11
	s_waitcnt lgkmcnt(0)
	v_add_f32_e32 v3, v5, v3
	ds_bpermute_b32 v5, v12, v4
	ds_bpermute_b32 v11, v12, v3
	v_xor_b32_e32 v12, 8, v2
	v_cmp_gt_i32_e64 s1, 64, v12
	v_cndmask_b32_e64 v12, v2, v12, s1
	v_lshlrev_b32_e32 v12, 2, v12
	s_waitcnt lgkmcnt(1)
	v_add_f32_e32 v4, v4, v5
	s_waitcnt lgkmcnt(0)
	v_add_f32_e32 v3, v3, v11
	ds_bpermute_b32 v5, v12, v4
	ds_bpermute_b32 v11, v12, v3
	v_xor_b32_e32 v12, 4, v2
	v_cmp_gt_i32_e64 s1, 64, v12
	v_cndmask_b32_e64 v12, v2, v12, s1
	;; [unrolled: 10-line block ×4, first 2 shown]
	v_lshlrev_b32_e32 v12, 2, v2
	s_waitcnt lgkmcnt(1)
	v_add_f32_e32 v4, v4, v5
	s_waitcnt lgkmcnt(0)
	v_add_f32_e32 v2, v3, v11
	ds_bpermute_b32 v5, v12, v4
	ds_bpermute_b32 v3, v12, v2
	s_and_saveexec_b32 s1, s0
	s_cbranch_execz .LBB582_11
; %bb.7:
	v_add_co_u32 v0, s0, s8, v0
	v_add_co_ci_u32_e64 v1, null, s9, v1, s0
	s_and_saveexec_b32 s0, vcc_lo
	s_cbranch_execz .LBB582_9
; %bb.8:
	s_waitcnt lgkmcnt(1)
	v_add_f32_e32 v4, v4, v5
	v_fma_mixlo_f16 v4, -v7, v4, v8
	global_store_short v[0:1], v4, off
.LBB582_9:
	s_or_b32 exec_lo, exec_lo, s0
	v_cmp_ne_u32_e64 s0, 1, v6
	s_and_b32 s0, s0, vcc_lo
	s_and_b32 exec_lo, exec_lo, s0
	s_cbranch_execz .LBB582_11
; %bb.10:
	s_mov_b32 s3, 0
	s_waitcnt lgkmcnt(0)
	v_add_f32_e32 v2, v2, v3
	s_lshl_b64 s[0:1], s[2:3], 1
	v_add_co_u32 v0, vcc_lo, v0, s0
	v_add_co_ci_u32_e64 v1, null, s1, v1, vcc_lo
	v_fma_mixlo_f16 v2, -v10, v2, v9
	global_store_short v[0:1], v2, off
.LBB582_11:
	s_endpgm
	.section	.rodata,"a",@progbits
	.p2align	6, 0x0
	.amdhsa_kernel _ZN12_GLOBAL__N_121softmax_warp_backwardIN3c104HalfES2_fLi6ELb0ELb0ELi64EEEvPT0_PKT_S7_iiiPKb
		.amdhsa_group_segment_fixed_size 0
		.amdhsa_private_segment_fixed_size 0
		.amdhsa_kernarg_size 304
		.amdhsa_user_sgpr_count 6
		.amdhsa_user_sgpr_private_segment_buffer 1
		.amdhsa_user_sgpr_dispatch_ptr 0
		.amdhsa_user_sgpr_queue_ptr 0
		.amdhsa_user_sgpr_kernarg_segment_ptr 1
		.amdhsa_user_sgpr_dispatch_id 0
		.amdhsa_user_sgpr_flat_scratch_init 0
		.amdhsa_user_sgpr_private_segment_size 0
		.amdhsa_wavefront_size32 1
		.amdhsa_uses_dynamic_stack 0
		.amdhsa_system_sgpr_private_segment_wavefront_offset 0
		.amdhsa_system_sgpr_workgroup_id_x 1
		.amdhsa_system_sgpr_workgroup_id_y 0
		.amdhsa_system_sgpr_workgroup_id_z 0
		.amdhsa_system_sgpr_workgroup_info 0
		.amdhsa_system_vgpr_workitem_id 1
		.amdhsa_next_free_vgpr 13
		.amdhsa_next_free_sgpr 12
		.amdhsa_reserve_vcc 1
		.amdhsa_reserve_flat_scratch 0
		.amdhsa_float_round_mode_32 0
		.amdhsa_float_round_mode_16_64 0
		.amdhsa_float_denorm_mode_32 3
		.amdhsa_float_denorm_mode_16_64 3
		.amdhsa_dx10_clamp 1
		.amdhsa_ieee_mode 1
		.amdhsa_fp16_overflow 0
		.amdhsa_workgroup_processor_mode 1
		.amdhsa_memory_ordered 1
		.amdhsa_forward_progress 1
		.amdhsa_shared_vgpr_count 0
		.amdhsa_exception_fp_ieee_invalid_op 0
		.amdhsa_exception_fp_denorm_src 0
		.amdhsa_exception_fp_ieee_div_zero 0
		.amdhsa_exception_fp_ieee_overflow 0
		.amdhsa_exception_fp_ieee_underflow 0
		.amdhsa_exception_fp_ieee_inexact 0
		.amdhsa_exception_int_div_zero 0
	.end_amdhsa_kernel
	.section	.text._ZN12_GLOBAL__N_121softmax_warp_backwardIN3c104HalfES2_fLi6ELb0ELb0ELi64EEEvPT0_PKT_S7_iiiPKb,"axG",@progbits,_ZN12_GLOBAL__N_121softmax_warp_backwardIN3c104HalfES2_fLi6ELb0ELb0ELi64EEEvPT0_PKT_S7_iiiPKb,comdat
.Lfunc_end582:
	.size	_ZN12_GLOBAL__N_121softmax_warp_backwardIN3c104HalfES2_fLi6ELb0ELb0ELi64EEEvPT0_PKT_S7_iiiPKb, .Lfunc_end582-_ZN12_GLOBAL__N_121softmax_warp_backwardIN3c104HalfES2_fLi6ELb0ELb0ELi64EEEvPT0_PKT_S7_iiiPKb
                                        ; -- End function
	.set _ZN12_GLOBAL__N_121softmax_warp_backwardIN3c104HalfES2_fLi6ELb0ELb0ELi64EEEvPT0_PKT_S7_iiiPKb.num_vgpr, 13
	.set _ZN12_GLOBAL__N_121softmax_warp_backwardIN3c104HalfES2_fLi6ELb0ELb0ELi64EEEvPT0_PKT_S7_iiiPKb.num_agpr, 0
	.set _ZN12_GLOBAL__N_121softmax_warp_backwardIN3c104HalfES2_fLi6ELb0ELb0ELi64EEEvPT0_PKT_S7_iiiPKb.numbered_sgpr, 12
	.set _ZN12_GLOBAL__N_121softmax_warp_backwardIN3c104HalfES2_fLi6ELb0ELb0ELi64EEEvPT0_PKT_S7_iiiPKb.num_named_barrier, 0
	.set _ZN12_GLOBAL__N_121softmax_warp_backwardIN3c104HalfES2_fLi6ELb0ELb0ELi64EEEvPT0_PKT_S7_iiiPKb.private_seg_size, 0
	.set _ZN12_GLOBAL__N_121softmax_warp_backwardIN3c104HalfES2_fLi6ELb0ELb0ELi64EEEvPT0_PKT_S7_iiiPKb.uses_vcc, 1
	.set _ZN12_GLOBAL__N_121softmax_warp_backwardIN3c104HalfES2_fLi6ELb0ELb0ELi64EEEvPT0_PKT_S7_iiiPKb.uses_flat_scratch, 0
	.set _ZN12_GLOBAL__N_121softmax_warp_backwardIN3c104HalfES2_fLi6ELb0ELb0ELi64EEEvPT0_PKT_S7_iiiPKb.has_dyn_sized_stack, 0
	.set _ZN12_GLOBAL__N_121softmax_warp_backwardIN3c104HalfES2_fLi6ELb0ELb0ELi64EEEvPT0_PKT_S7_iiiPKb.has_recursion, 0
	.set _ZN12_GLOBAL__N_121softmax_warp_backwardIN3c104HalfES2_fLi6ELb0ELb0ELi64EEEvPT0_PKT_S7_iiiPKb.has_indirect_call, 0
	.section	.AMDGPU.csdata,"",@progbits
; Kernel info:
; codeLenInByte = 784
; TotalNumSgprs: 14
; NumVgprs: 13
; ScratchSize: 0
; MemoryBound: 0
; FloatMode: 240
; IeeeMode: 1
; LDSByteSize: 0 bytes/workgroup (compile time only)
; SGPRBlocks: 0
; VGPRBlocks: 1
; NumSGPRsForWavesPerEU: 14
; NumVGPRsForWavesPerEU: 13
; Occupancy: 16
; WaveLimiterHint : 0
; COMPUTE_PGM_RSRC2:SCRATCH_EN: 0
; COMPUTE_PGM_RSRC2:USER_SGPR: 6
; COMPUTE_PGM_RSRC2:TRAP_HANDLER: 0
; COMPUTE_PGM_RSRC2:TGID_X_EN: 1
; COMPUTE_PGM_RSRC2:TGID_Y_EN: 0
; COMPUTE_PGM_RSRC2:TGID_Z_EN: 0
; COMPUTE_PGM_RSRC2:TIDIG_COMP_CNT: 1
	.section	.text._ZN12_GLOBAL__N_121softmax_warp_backwardIN3c104HalfES2_fLi6ELb0ELb0ELi32EEEvPT0_PKT_S7_iiiPKb,"axG",@progbits,_ZN12_GLOBAL__N_121softmax_warp_backwardIN3c104HalfES2_fLi6ELb0ELb0ELi32EEEvPT0_PKT_S7_iiiPKb,comdat
	.globl	_ZN12_GLOBAL__N_121softmax_warp_backwardIN3c104HalfES2_fLi6ELb0ELb0ELi32EEEvPT0_PKT_S7_iiiPKb ; -- Begin function _ZN12_GLOBAL__N_121softmax_warp_backwardIN3c104HalfES2_fLi6ELb0ELb0ELi32EEEvPT0_PKT_S7_iiiPKb
	.p2align	8
	.type	_ZN12_GLOBAL__N_121softmax_warp_backwardIN3c104HalfES2_fLi6ELb0ELb0ELi32EEEvPT0_PKT_S7_iiiPKb,@function
_ZN12_GLOBAL__N_121softmax_warp_backwardIN3c104HalfES2_fLi6ELb0ELb0ELi32EEEvPT0_PKT_S7_iiiPKb: ; @_ZN12_GLOBAL__N_121softmax_warp_backwardIN3c104HalfES2_fLi6ELb0ELb0ELi32EEEvPT0_PKT_S7_iiiPKb
; %bb.0:
	s_clause 0x1
	s_load_dword s0, s[4:5], 0x3c
	s_load_dwordx4 s[8:11], s[4:5], 0x18
	v_and_b32_e32 v6, 31, v0
	s_clause 0x1
	s_load_dwordx4 s[12:15], s[4:5], 0x0
	s_load_dwordx2 s[2:3], s[4:5], 0x10
	v_mov_b32_e32 v8, 0
	v_mov_b32_e32 v9, 0
	;; [unrolled: 1-line block ×3, first 2 shown]
	s_waitcnt lgkmcnt(0)
	s_lshr_b32 s0, s0, 16
	v_cmp_gt_i32_e32 vcc_lo, s10, v6
	s_and_b32 s0, s0, 0xffff
	s_mul_i32 s6, s6, s0
	v_add_lshl_u32 v2, s6, v1, 1
	v_mad_u64_u32 v[0:1], null, v2, s9, v[6:7]
	v_sub_nc_u32_e32 v7, s8, v2
	v_cmp_lt_i32_e64 s1, 0, v7
	v_ashrrev_i32_e32 v1, 31, v0
	v_lshlrev_b64 v[0:1], 1, v[0:1]
	v_add_co_u32 v4, s0, s14, v0
	v_add_co_ci_u32_e64 v5, null, s15, v1, s0
	v_add_co_u32 v2, s0, s2, v0
	v_add_co_ci_u32_e64 v3, null, s3, v1, s0
	s_and_b32 s2, s1, vcc_lo
	s_and_saveexec_b32 s0, s2
	s_cbranch_execz .LBB583_2
; %bb.1:
	global_load_ushort v9, v[4:5], off
	global_load_ushort v10, v[2:3], off
	s_waitcnt vmcnt(1)
	v_cvt_f32_f16_e32 v9, v9
	s_waitcnt vmcnt(0)
	v_cvt_f32_f16_e32 v10, v10
.LBB583_2:
	s_or_b32 exec_lo, exec_lo, s0
	v_or_b32_e32 v6, 32, v6
	v_mov_b32_e32 v11, 0
	v_cmp_gt_i32_e64 s0, s10, v6
	s_and_b32 s3, s1, s0
	s_and_saveexec_b32 s2, s3
	s_cbranch_execz .LBB583_4
; %bb.3:
	global_load_ushort v6, v[4:5], off offset:64
	global_load_ushort v11, v[2:3], off offset:64
	s_waitcnt vmcnt(1)
	v_cvt_f32_f16_e32 v8, v6
	s_waitcnt vmcnt(0)
	v_cvt_f32_f16_e32 v11, v11
.LBB583_4:
	s_or_b32 exec_lo, exec_lo, s2
	v_cmp_lt_i32_e64 s2, 1, v7
	v_mov_b32_e32 v6, 0
	v_mov_b32_e32 v12, 0
	;; [unrolled: 1-line block ×3, first 2 shown]
	s_and_b32 s3, s2, vcc_lo
	s_and_saveexec_b32 s4, s3
	s_cbranch_execz .LBB583_6
; %bb.5:
	s_mov_b32 s11, 0
	s_lshl_b64 s[6:7], s[10:11], 1
	v_add_co_u32 v12, s3, v4, s6
	v_add_co_ci_u32_e64 v13, null, s7, v5, s3
	v_add_co_u32 v14, s3, v2, s6
	v_add_co_ci_u32_e64 v15, null, s7, v3, s3
	global_load_ushort v12, v[12:13], off
	global_load_ushort v13, v[14:15], off
	s_waitcnt vmcnt(1)
	v_cvt_f32_f16_e32 v12, v12
	s_waitcnt vmcnt(0)
	v_cvt_f32_f16_e32 v13, v13
.LBB583_6:
	s_or_b32 exec_lo, exec_lo, s4
	v_mov_b32_e32 v14, 0
	s_and_b32 s2, s2, s0
	s_and_saveexec_b32 s3, s2
	s_cbranch_execz .LBB583_8
; %bb.7:
	s_mov_b32 s11, 0
	s_lshl_b64 s[4:5], s[10:11], 1
	v_add_co_u32 v4, s2, v4, s4
	v_add_co_ci_u32_e64 v5, null, s5, v5, s2
	v_add_co_u32 v2, s2, v2, s4
	v_add_co_ci_u32_e64 v3, null, s5, v3, s2
	global_load_ushort v4, v[4:5], off offset:64
	global_load_ushort v2, v[2:3], off offset:64
	s_waitcnt vmcnt(1)
	v_cvt_f32_f16_e32 v6, v4
	s_waitcnt vmcnt(0)
	v_cvt_f32_f16_e32 v14, v2
.LBB583_8:
	s_or_b32 exec_lo, exec_lo, s3
	v_mbcnt_lo_u32_b32 v2, -1, 0
	v_add_f32_e32 v4, 0, v9
	v_add_f32_e32 v5, 0, v12
	v_xor_b32_e32 v3, 16, v2
	v_add_f32_e32 v4, v4, v8
	v_add_f32_e32 v5, v5, v6
	v_xor_b32_e32 v16, 8, v2
	v_cmp_gt_i32_e64 s2, 32, v3
	v_cndmask_b32_e64 v3, v2, v3, s2
	v_cmp_gt_i32_e64 s2, 32, v16
	v_lshlrev_b32_e32 v3, 2, v3
	v_cndmask_b32_e64 v16, v2, v16, s2
	ds_bpermute_b32 v15, v3, v4
	ds_bpermute_b32 v3, v3, v5
	v_lshlrev_b32_e32 v16, 2, v16
	s_waitcnt lgkmcnt(1)
	v_add_f32_e32 v4, v4, v15
	s_waitcnt lgkmcnt(0)
	v_add_f32_e32 v3, v5, v3
	ds_bpermute_b32 v5, v16, v4
	ds_bpermute_b32 v15, v16, v3
	v_xor_b32_e32 v16, 4, v2
	v_cmp_gt_i32_e64 s2, 32, v16
	v_cndmask_b32_e64 v16, v2, v16, s2
	v_lshlrev_b32_e32 v16, 2, v16
	s_waitcnt lgkmcnt(1)
	v_add_f32_e32 v4, v4, v5
	s_waitcnt lgkmcnt(0)
	v_add_f32_e32 v3, v3, v15
	ds_bpermute_b32 v5, v16, v4
	ds_bpermute_b32 v15, v16, v3
	v_xor_b32_e32 v16, 2, v2
	v_cmp_gt_i32_e64 s2, 32, v16
	v_cndmask_b32_e64 v16, v2, v16, s2
	;; [unrolled: 10-line block ×3, first 2 shown]
	v_lshlrev_b32_e32 v16, 2, v2
	s_waitcnt lgkmcnt(1)
	v_add_f32_e32 v4, v4, v5
	s_waitcnt lgkmcnt(0)
	v_add_f32_e32 v2, v3, v15
	ds_bpermute_b32 v5, v16, v4
	ds_bpermute_b32 v3, v16, v2
	s_and_saveexec_b32 s2, s1
	s_cbranch_execz .LBB583_12
; %bb.9:
	v_add_co_u32 v0, s1, s12, v0
	v_add_co_ci_u32_e64 v1, null, s13, v1, s1
	s_waitcnt lgkmcnt(1)
	v_add_f32_e32 v4, v4, v5
	s_and_saveexec_b32 s1, vcc_lo
	s_cbranch_execnz .LBB583_13
; %bb.10:
	s_or_b32 exec_lo, exec_lo, s1
	s_and_saveexec_b32 s1, s0
	s_cbranch_execnz .LBB583_14
.LBB583_11:
	s_or_b32 exec_lo, exec_lo, s1
	v_cmp_ne_u32_e64 s1, 1, v7
	s_and_b32 exec_lo, exec_lo, s1
	s_cbranch_execnz .LBB583_15
.LBB583_12:
	s_endpgm
.LBB583_13:
	v_fma_mixlo_f16 v5, -v4, v10, v9
	global_store_short v[0:1], v5, off
	s_or_b32 exec_lo, exec_lo, s1
	s_and_saveexec_b32 s1, s0
	s_cbranch_execz .LBB583_11
.LBB583_14:
	v_fma_mixlo_f16 v4, -v4, v11, v8
	global_store_short v[0:1], v4, off offset:64
	s_or_b32 exec_lo, exec_lo, s1
	v_cmp_ne_u32_e64 s1, 1, v7
	s_and_b32 exec_lo, exec_lo, s1
	s_cbranch_execz .LBB583_12
.LBB583_15:
	s_waitcnt lgkmcnt(0)
	v_add_f32_e32 v2, v2, v3
	s_and_saveexec_b32 s1, vcc_lo
	s_cbranch_execz .LBB583_17
; %bb.16:
	s_mov_b32 s11, 0
	v_fma_mixlo_f16 v5, -v2, v13, v12
	s_lshl_b64 s[2:3], s[10:11], 1
	v_add_co_u32 v3, vcc_lo, v0, s2
	v_add_co_ci_u32_e64 v4, null, s3, v1, vcc_lo
	global_store_short v[3:4], v5, off
.LBB583_17:
	s_or_b32 exec_lo, exec_lo, s1
	s_and_b32 exec_lo, exec_lo, s0
	s_cbranch_execz .LBB583_12
; %bb.18:
	s_mov_b32 s11, 0
	v_fma_mixlo_f16 v2, -v2, v14, v6
	s_lshl_b64 s[0:1], s[10:11], 1
	v_add_co_u32 v0, vcc_lo, v0, s0
	v_add_co_ci_u32_e64 v1, null, s1, v1, vcc_lo
	global_store_short v[0:1], v2, off offset:64
	s_endpgm
	.section	.rodata,"a",@progbits
	.p2align	6, 0x0
	.amdhsa_kernel _ZN12_GLOBAL__N_121softmax_warp_backwardIN3c104HalfES2_fLi6ELb0ELb0ELi32EEEvPT0_PKT_S7_iiiPKb
		.amdhsa_group_segment_fixed_size 0
		.amdhsa_private_segment_fixed_size 0
		.amdhsa_kernarg_size 304
		.amdhsa_user_sgpr_count 6
		.amdhsa_user_sgpr_private_segment_buffer 1
		.amdhsa_user_sgpr_dispatch_ptr 0
		.amdhsa_user_sgpr_queue_ptr 0
		.amdhsa_user_sgpr_kernarg_segment_ptr 1
		.amdhsa_user_sgpr_dispatch_id 0
		.amdhsa_user_sgpr_flat_scratch_init 0
		.amdhsa_user_sgpr_private_segment_size 0
		.amdhsa_wavefront_size32 1
		.amdhsa_uses_dynamic_stack 0
		.amdhsa_system_sgpr_private_segment_wavefront_offset 0
		.amdhsa_system_sgpr_workgroup_id_x 1
		.amdhsa_system_sgpr_workgroup_id_y 0
		.amdhsa_system_sgpr_workgroup_id_z 0
		.amdhsa_system_sgpr_workgroup_info 0
		.amdhsa_system_vgpr_workitem_id 1
		.amdhsa_next_free_vgpr 17
		.amdhsa_next_free_sgpr 16
		.amdhsa_reserve_vcc 1
		.amdhsa_reserve_flat_scratch 0
		.amdhsa_float_round_mode_32 0
		.amdhsa_float_round_mode_16_64 0
		.amdhsa_float_denorm_mode_32 3
		.amdhsa_float_denorm_mode_16_64 3
		.amdhsa_dx10_clamp 1
		.amdhsa_ieee_mode 1
		.amdhsa_fp16_overflow 0
		.amdhsa_workgroup_processor_mode 1
		.amdhsa_memory_ordered 1
		.amdhsa_forward_progress 1
		.amdhsa_shared_vgpr_count 0
		.amdhsa_exception_fp_ieee_invalid_op 0
		.amdhsa_exception_fp_denorm_src 0
		.amdhsa_exception_fp_ieee_div_zero 0
		.amdhsa_exception_fp_ieee_overflow 0
		.amdhsa_exception_fp_ieee_underflow 0
		.amdhsa_exception_fp_ieee_inexact 0
		.amdhsa_exception_int_div_zero 0
	.end_amdhsa_kernel
	.section	.text._ZN12_GLOBAL__N_121softmax_warp_backwardIN3c104HalfES2_fLi6ELb0ELb0ELi32EEEvPT0_PKT_S7_iiiPKb,"axG",@progbits,_ZN12_GLOBAL__N_121softmax_warp_backwardIN3c104HalfES2_fLi6ELb0ELb0ELi32EEEvPT0_PKT_S7_iiiPKb,comdat
.Lfunc_end583:
	.size	_ZN12_GLOBAL__N_121softmax_warp_backwardIN3c104HalfES2_fLi6ELb0ELb0ELi32EEEvPT0_PKT_S7_iiiPKb, .Lfunc_end583-_ZN12_GLOBAL__N_121softmax_warp_backwardIN3c104HalfES2_fLi6ELb0ELb0ELi32EEEvPT0_PKT_S7_iiiPKb
                                        ; -- End function
	.set _ZN12_GLOBAL__N_121softmax_warp_backwardIN3c104HalfES2_fLi6ELb0ELb0ELi32EEEvPT0_PKT_S7_iiiPKb.num_vgpr, 17
	.set _ZN12_GLOBAL__N_121softmax_warp_backwardIN3c104HalfES2_fLi6ELb0ELb0ELi32EEEvPT0_PKT_S7_iiiPKb.num_agpr, 0
	.set _ZN12_GLOBAL__N_121softmax_warp_backwardIN3c104HalfES2_fLi6ELb0ELb0ELi32EEEvPT0_PKT_S7_iiiPKb.numbered_sgpr, 16
	.set _ZN12_GLOBAL__N_121softmax_warp_backwardIN3c104HalfES2_fLi6ELb0ELb0ELi32EEEvPT0_PKT_S7_iiiPKb.num_named_barrier, 0
	.set _ZN12_GLOBAL__N_121softmax_warp_backwardIN3c104HalfES2_fLi6ELb0ELb0ELi32EEEvPT0_PKT_S7_iiiPKb.private_seg_size, 0
	.set _ZN12_GLOBAL__N_121softmax_warp_backwardIN3c104HalfES2_fLi6ELb0ELb0ELi32EEEvPT0_PKT_S7_iiiPKb.uses_vcc, 1
	.set _ZN12_GLOBAL__N_121softmax_warp_backwardIN3c104HalfES2_fLi6ELb0ELb0ELi32EEEvPT0_PKT_S7_iiiPKb.uses_flat_scratch, 0
	.set _ZN12_GLOBAL__N_121softmax_warp_backwardIN3c104HalfES2_fLi6ELb0ELb0ELi32EEEvPT0_PKT_S7_iiiPKb.has_dyn_sized_stack, 0
	.set _ZN12_GLOBAL__N_121softmax_warp_backwardIN3c104HalfES2_fLi6ELb0ELb0ELi32EEEvPT0_PKT_S7_iiiPKb.has_recursion, 0
	.set _ZN12_GLOBAL__N_121softmax_warp_backwardIN3c104HalfES2_fLi6ELb0ELb0ELi32EEEvPT0_PKT_S7_iiiPKb.has_indirect_call, 0
	.section	.AMDGPU.csdata,"",@progbits
; Kernel info:
; codeLenInByte = 1004
; TotalNumSgprs: 18
; NumVgprs: 17
; ScratchSize: 0
; MemoryBound: 0
; FloatMode: 240
; IeeeMode: 1
; LDSByteSize: 0 bytes/workgroup (compile time only)
; SGPRBlocks: 0
; VGPRBlocks: 2
; NumSGPRsForWavesPerEU: 18
; NumVGPRsForWavesPerEU: 17
; Occupancy: 16
; WaveLimiterHint : 0
; COMPUTE_PGM_RSRC2:SCRATCH_EN: 0
; COMPUTE_PGM_RSRC2:USER_SGPR: 6
; COMPUTE_PGM_RSRC2:TRAP_HANDLER: 0
; COMPUTE_PGM_RSRC2:TGID_X_EN: 1
; COMPUTE_PGM_RSRC2:TGID_Y_EN: 0
; COMPUTE_PGM_RSRC2:TGID_Z_EN: 0
; COMPUTE_PGM_RSRC2:TIDIG_COMP_CNT: 1
	.section	.text._ZN12_GLOBAL__N_121softmax_warp_backwardIN3c104HalfES2_fLi7ELb0ELb0ELi64EEEvPT0_PKT_S7_iiiPKb,"axG",@progbits,_ZN12_GLOBAL__N_121softmax_warp_backwardIN3c104HalfES2_fLi7ELb0ELb0ELi64EEEvPT0_PKT_S7_iiiPKb,comdat
	.globl	_ZN12_GLOBAL__N_121softmax_warp_backwardIN3c104HalfES2_fLi7ELb0ELb0ELi64EEEvPT0_PKT_S7_iiiPKb ; -- Begin function _ZN12_GLOBAL__N_121softmax_warp_backwardIN3c104HalfES2_fLi7ELb0ELb0ELi64EEEvPT0_PKT_S7_iiiPKb
	.p2align	8
	.type	_ZN12_GLOBAL__N_121softmax_warp_backwardIN3c104HalfES2_fLi7ELb0ELb0ELi64EEEvPT0_PKT_S7_iiiPKb,@function
_ZN12_GLOBAL__N_121softmax_warp_backwardIN3c104HalfES2_fLi7ELb0ELb0ELi64EEEvPT0_PKT_S7_iiiPKb: ; @_ZN12_GLOBAL__N_121softmax_warp_backwardIN3c104HalfES2_fLi7ELb0ELb0ELi64EEEvPT0_PKT_S7_iiiPKb
; %bb.0:
	s_clause 0x1
	s_load_dword s0, s[4:5], 0x3c
	s_load_dwordx4 s[8:11], s[4:5], 0x18
	v_and_b32_e32 v6, 63, v0
	s_clause 0x1
	s_load_dwordx4 s[12:15], s[4:5], 0x0
	s_load_dwordx2 s[2:3], s[4:5], 0x10
	v_mov_b32_e32 v8, 0
	v_mov_b32_e32 v9, 0
	;; [unrolled: 1-line block ×3, first 2 shown]
	s_waitcnt lgkmcnt(0)
	s_lshr_b32 s0, s0, 16
	v_cmp_gt_i32_e32 vcc_lo, s10, v6
	s_and_b32 s0, s0, 0xffff
	s_mul_i32 s6, s6, s0
	v_add_lshl_u32 v2, s6, v1, 1
	v_mad_u64_u32 v[0:1], null, v2, s9, v[6:7]
	v_sub_nc_u32_e32 v7, s8, v2
	v_cmp_lt_i32_e64 s1, 0, v7
	v_ashrrev_i32_e32 v1, 31, v0
	v_lshlrev_b64 v[0:1], 1, v[0:1]
	v_add_co_u32 v4, s0, s14, v0
	v_add_co_ci_u32_e64 v5, null, s15, v1, s0
	v_add_co_u32 v2, s0, s2, v0
	v_add_co_ci_u32_e64 v3, null, s3, v1, s0
	s_and_b32 s2, s1, vcc_lo
	s_and_saveexec_b32 s0, s2
	s_cbranch_execz .LBB584_2
; %bb.1:
	global_load_ushort v9, v[4:5], off
	global_load_ushort v10, v[2:3], off
	s_waitcnt vmcnt(1)
	v_cvt_f32_f16_e32 v9, v9
	s_waitcnt vmcnt(0)
	v_cvt_f32_f16_e32 v10, v10
.LBB584_2:
	s_or_b32 exec_lo, exec_lo, s0
	v_or_b32_e32 v6, 64, v6
	v_mov_b32_e32 v11, 0
	v_cmp_gt_i32_e64 s0, s10, v6
	s_and_b32 s3, s1, s0
	s_and_saveexec_b32 s2, s3
	s_cbranch_execz .LBB584_4
; %bb.3:
	global_load_ushort v6, v[4:5], off offset:128
	global_load_ushort v11, v[2:3], off offset:128
	s_waitcnt vmcnt(1)
	v_cvt_f32_f16_e32 v8, v6
	s_waitcnt vmcnt(0)
	v_cvt_f32_f16_e32 v11, v11
.LBB584_4:
	s_or_b32 exec_lo, exec_lo, s2
	v_cmp_lt_i32_e64 s2, 1, v7
	v_mov_b32_e32 v6, 0
	v_mov_b32_e32 v12, 0
	;; [unrolled: 1-line block ×3, first 2 shown]
	s_and_b32 s3, s2, vcc_lo
	s_and_saveexec_b32 s4, s3
	s_cbranch_execz .LBB584_6
; %bb.5:
	s_mov_b32 s11, 0
	s_lshl_b64 s[6:7], s[10:11], 1
	v_add_co_u32 v12, s3, v4, s6
	v_add_co_ci_u32_e64 v13, null, s7, v5, s3
	v_add_co_u32 v14, s3, v2, s6
	v_add_co_ci_u32_e64 v15, null, s7, v3, s3
	global_load_ushort v12, v[12:13], off
	global_load_ushort v13, v[14:15], off
	s_waitcnt vmcnt(1)
	v_cvt_f32_f16_e32 v12, v12
	s_waitcnt vmcnt(0)
	v_cvt_f32_f16_e32 v13, v13
.LBB584_6:
	s_or_b32 exec_lo, exec_lo, s4
	v_mov_b32_e32 v14, 0
	s_and_b32 s2, s2, s0
	s_and_saveexec_b32 s3, s2
	s_cbranch_execz .LBB584_8
; %bb.7:
	s_mov_b32 s11, 0
	s_lshl_b64 s[4:5], s[10:11], 1
	v_add_co_u32 v4, s2, v4, s4
	v_add_co_ci_u32_e64 v5, null, s5, v5, s2
	v_add_co_u32 v2, s2, v2, s4
	v_add_co_ci_u32_e64 v3, null, s5, v3, s2
	global_load_ushort v4, v[4:5], off offset:128
	global_load_ushort v2, v[2:3], off offset:128
	s_waitcnt vmcnt(1)
	v_cvt_f32_f16_e32 v6, v4
	s_waitcnt vmcnt(0)
	v_cvt_f32_f16_e32 v14, v2
.LBB584_8:
	s_or_b32 exec_lo, exec_lo, s3
	v_mbcnt_lo_u32_b32 v2, -1, 0
	v_add_f32_e32 v4, 0, v9
	v_add_f32_e32 v5, 0, v12
	v_or_b32_e32 v3, 32, v2
	v_add_f32_e32 v4, v4, v8
	v_add_f32_e32 v5, v5, v6
	v_xor_b32_e32 v16, 16, v2
	v_cmp_gt_i32_e64 s2, 64, v3
	v_cndmask_b32_e64 v3, v2, v3, s2
	v_cmp_gt_i32_e64 s2, 64, v16
	v_lshlrev_b32_e32 v3, 2, v3
	v_cndmask_b32_e64 v16, v2, v16, s2
	ds_bpermute_b32 v15, v3, v4
	ds_bpermute_b32 v3, v3, v5
	v_lshlrev_b32_e32 v16, 2, v16
	s_waitcnt lgkmcnt(1)
	v_add_f32_e32 v4, v4, v15
	s_waitcnt lgkmcnt(0)
	v_add_f32_e32 v3, v5, v3
	ds_bpermute_b32 v5, v16, v4
	ds_bpermute_b32 v15, v16, v3
	v_xor_b32_e32 v16, 8, v2
	v_cmp_gt_i32_e64 s2, 64, v16
	v_cndmask_b32_e64 v16, v2, v16, s2
	v_lshlrev_b32_e32 v16, 2, v16
	s_waitcnt lgkmcnt(1)
	v_add_f32_e32 v4, v4, v5
	s_waitcnt lgkmcnt(0)
	v_add_f32_e32 v3, v3, v15
	ds_bpermute_b32 v5, v16, v4
	ds_bpermute_b32 v15, v16, v3
	v_xor_b32_e32 v16, 4, v2
	v_cmp_gt_i32_e64 s2, 64, v16
	v_cndmask_b32_e64 v16, v2, v16, s2
	;; [unrolled: 10-line block ×4, first 2 shown]
	v_lshlrev_b32_e32 v16, 2, v2
	s_waitcnt lgkmcnt(1)
	v_add_f32_e32 v4, v4, v5
	s_waitcnt lgkmcnt(0)
	v_add_f32_e32 v2, v3, v15
	ds_bpermute_b32 v5, v16, v4
	ds_bpermute_b32 v3, v16, v2
	s_and_saveexec_b32 s2, s1
	s_cbranch_execz .LBB584_12
; %bb.9:
	v_add_co_u32 v0, s1, s12, v0
	v_add_co_ci_u32_e64 v1, null, s13, v1, s1
	s_waitcnt lgkmcnt(1)
	v_add_f32_e32 v4, v4, v5
	s_and_saveexec_b32 s1, vcc_lo
	s_cbranch_execnz .LBB584_13
; %bb.10:
	s_or_b32 exec_lo, exec_lo, s1
	s_and_saveexec_b32 s1, s0
	s_cbranch_execnz .LBB584_14
.LBB584_11:
	s_or_b32 exec_lo, exec_lo, s1
	v_cmp_ne_u32_e64 s1, 1, v7
	s_and_b32 exec_lo, exec_lo, s1
	s_cbranch_execnz .LBB584_15
.LBB584_12:
	s_endpgm
.LBB584_13:
	v_fma_mixlo_f16 v5, -v4, v10, v9
	global_store_short v[0:1], v5, off
	s_or_b32 exec_lo, exec_lo, s1
	s_and_saveexec_b32 s1, s0
	s_cbranch_execz .LBB584_11
.LBB584_14:
	v_fma_mixlo_f16 v4, -v4, v11, v8
	global_store_short v[0:1], v4, off offset:128
	s_or_b32 exec_lo, exec_lo, s1
	v_cmp_ne_u32_e64 s1, 1, v7
	s_and_b32 exec_lo, exec_lo, s1
	s_cbranch_execz .LBB584_12
.LBB584_15:
	s_waitcnt lgkmcnt(0)
	v_add_f32_e32 v2, v2, v3
	s_and_saveexec_b32 s1, vcc_lo
	s_cbranch_execz .LBB584_17
; %bb.16:
	s_mov_b32 s11, 0
	v_fma_mixlo_f16 v5, -v2, v13, v12
	s_lshl_b64 s[2:3], s[10:11], 1
	v_add_co_u32 v3, vcc_lo, v0, s2
	v_add_co_ci_u32_e64 v4, null, s3, v1, vcc_lo
	global_store_short v[3:4], v5, off
.LBB584_17:
	s_or_b32 exec_lo, exec_lo, s1
	s_and_b32 exec_lo, exec_lo, s0
	s_cbranch_execz .LBB584_12
; %bb.18:
	s_mov_b32 s11, 0
	v_fma_mixlo_f16 v2, -v2, v14, v6
	s_lshl_b64 s[0:1], s[10:11], 1
	v_add_co_u32 v0, vcc_lo, v0, s0
	v_add_co_ci_u32_e64 v1, null, s1, v1, vcc_lo
	global_store_short v[0:1], v2, off offset:128
	s_endpgm
	.section	.rodata,"a",@progbits
	.p2align	6, 0x0
	.amdhsa_kernel _ZN12_GLOBAL__N_121softmax_warp_backwardIN3c104HalfES2_fLi7ELb0ELb0ELi64EEEvPT0_PKT_S7_iiiPKb
		.amdhsa_group_segment_fixed_size 0
		.amdhsa_private_segment_fixed_size 0
		.amdhsa_kernarg_size 304
		.amdhsa_user_sgpr_count 6
		.amdhsa_user_sgpr_private_segment_buffer 1
		.amdhsa_user_sgpr_dispatch_ptr 0
		.amdhsa_user_sgpr_queue_ptr 0
		.amdhsa_user_sgpr_kernarg_segment_ptr 1
		.amdhsa_user_sgpr_dispatch_id 0
		.amdhsa_user_sgpr_flat_scratch_init 0
		.amdhsa_user_sgpr_private_segment_size 0
		.amdhsa_wavefront_size32 1
		.amdhsa_uses_dynamic_stack 0
		.amdhsa_system_sgpr_private_segment_wavefront_offset 0
		.amdhsa_system_sgpr_workgroup_id_x 1
		.amdhsa_system_sgpr_workgroup_id_y 0
		.amdhsa_system_sgpr_workgroup_id_z 0
		.amdhsa_system_sgpr_workgroup_info 0
		.amdhsa_system_vgpr_workitem_id 1
		.amdhsa_next_free_vgpr 17
		.amdhsa_next_free_sgpr 16
		.amdhsa_reserve_vcc 1
		.amdhsa_reserve_flat_scratch 0
		.amdhsa_float_round_mode_32 0
		.amdhsa_float_round_mode_16_64 0
		.amdhsa_float_denorm_mode_32 3
		.amdhsa_float_denorm_mode_16_64 3
		.amdhsa_dx10_clamp 1
		.amdhsa_ieee_mode 1
		.amdhsa_fp16_overflow 0
		.amdhsa_workgroup_processor_mode 1
		.amdhsa_memory_ordered 1
		.amdhsa_forward_progress 1
		.amdhsa_shared_vgpr_count 0
		.amdhsa_exception_fp_ieee_invalid_op 0
		.amdhsa_exception_fp_denorm_src 0
		.amdhsa_exception_fp_ieee_div_zero 0
		.amdhsa_exception_fp_ieee_overflow 0
		.amdhsa_exception_fp_ieee_underflow 0
		.amdhsa_exception_fp_ieee_inexact 0
		.amdhsa_exception_int_div_zero 0
	.end_amdhsa_kernel
	.section	.text._ZN12_GLOBAL__N_121softmax_warp_backwardIN3c104HalfES2_fLi7ELb0ELb0ELi64EEEvPT0_PKT_S7_iiiPKb,"axG",@progbits,_ZN12_GLOBAL__N_121softmax_warp_backwardIN3c104HalfES2_fLi7ELb0ELb0ELi64EEEvPT0_PKT_S7_iiiPKb,comdat
.Lfunc_end584:
	.size	_ZN12_GLOBAL__N_121softmax_warp_backwardIN3c104HalfES2_fLi7ELb0ELb0ELi64EEEvPT0_PKT_S7_iiiPKb, .Lfunc_end584-_ZN12_GLOBAL__N_121softmax_warp_backwardIN3c104HalfES2_fLi7ELb0ELb0ELi64EEEvPT0_PKT_S7_iiiPKb
                                        ; -- End function
	.set _ZN12_GLOBAL__N_121softmax_warp_backwardIN3c104HalfES2_fLi7ELb0ELb0ELi64EEEvPT0_PKT_S7_iiiPKb.num_vgpr, 17
	.set _ZN12_GLOBAL__N_121softmax_warp_backwardIN3c104HalfES2_fLi7ELb0ELb0ELi64EEEvPT0_PKT_S7_iiiPKb.num_agpr, 0
	.set _ZN12_GLOBAL__N_121softmax_warp_backwardIN3c104HalfES2_fLi7ELb0ELb0ELi64EEEvPT0_PKT_S7_iiiPKb.numbered_sgpr, 16
	.set _ZN12_GLOBAL__N_121softmax_warp_backwardIN3c104HalfES2_fLi7ELb0ELb0ELi64EEEvPT0_PKT_S7_iiiPKb.num_named_barrier, 0
	.set _ZN12_GLOBAL__N_121softmax_warp_backwardIN3c104HalfES2_fLi7ELb0ELb0ELi64EEEvPT0_PKT_S7_iiiPKb.private_seg_size, 0
	.set _ZN12_GLOBAL__N_121softmax_warp_backwardIN3c104HalfES2_fLi7ELb0ELb0ELi64EEEvPT0_PKT_S7_iiiPKb.uses_vcc, 1
	.set _ZN12_GLOBAL__N_121softmax_warp_backwardIN3c104HalfES2_fLi7ELb0ELb0ELi64EEEvPT0_PKT_S7_iiiPKb.uses_flat_scratch, 0
	.set _ZN12_GLOBAL__N_121softmax_warp_backwardIN3c104HalfES2_fLi7ELb0ELb0ELi64EEEvPT0_PKT_S7_iiiPKb.has_dyn_sized_stack, 0
	.set _ZN12_GLOBAL__N_121softmax_warp_backwardIN3c104HalfES2_fLi7ELb0ELb0ELi64EEEvPT0_PKT_S7_iiiPKb.has_recursion, 0
	.set _ZN12_GLOBAL__N_121softmax_warp_backwardIN3c104HalfES2_fLi7ELb0ELb0ELi64EEEvPT0_PKT_S7_iiiPKb.has_indirect_call, 0
	.section	.AMDGPU.csdata,"",@progbits
; Kernel info:
; codeLenInByte = 1060
; TotalNumSgprs: 18
; NumVgprs: 17
; ScratchSize: 0
; MemoryBound: 0
; FloatMode: 240
; IeeeMode: 1
; LDSByteSize: 0 bytes/workgroup (compile time only)
; SGPRBlocks: 0
; VGPRBlocks: 2
; NumSGPRsForWavesPerEU: 18
; NumVGPRsForWavesPerEU: 17
; Occupancy: 16
; WaveLimiterHint : 0
; COMPUTE_PGM_RSRC2:SCRATCH_EN: 0
; COMPUTE_PGM_RSRC2:USER_SGPR: 6
; COMPUTE_PGM_RSRC2:TRAP_HANDLER: 0
; COMPUTE_PGM_RSRC2:TGID_X_EN: 1
; COMPUTE_PGM_RSRC2:TGID_Y_EN: 0
; COMPUTE_PGM_RSRC2:TGID_Z_EN: 0
; COMPUTE_PGM_RSRC2:TIDIG_COMP_CNT: 1
	.section	.text._ZN12_GLOBAL__N_121softmax_warp_backwardIN3c104HalfES2_fLi7ELb0ELb0ELi32EEEvPT0_PKT_S7_iiiPKb,"axG",@progbits,_ZN12_GLOBAL__N_121softmax_warp_backwardIN3c104HalfES2_fLi7ELb0ELb0ELi32EEEvPT0_PKT_S7_iiiPKb,comdat
	.globl	_ZN12_GLOBAL__N_121softmax_warp_backwardIN3c104HalfES2_fLi7ELb0ELb0ELi32EEEvPT0_PKT_S7_iiiPKb ; -- Begin function _ZN12_GLOBAL__N_121softmax_warp_backwardIN3c104HalfES2_fLi7ELb0ELb0ELi32EEEvPT0_PKT_S7_iiiPKb
	.p2align	8
	.type	_ZN12_GLOBAL__N_121softmax_warp_backwardIN3c104HalfES2_fLi7ELb0ELb0ELi32EEEvPT0_PKT_S7_iiiPKb,@function
_ZN12_GLOBAL__N_121softmax_warp_backwardIN3c104HalfES2_fLi7ELb0ELb0ELi32EEEvPT0_PKT_S7_iiiPKb: ; @_ZN12_GLOBAL__N_121softmax_warp_backwardIN3c104HalfES2_fLi7ELb0ELb0ELi32EEEvPT0_PKT_S7_iiiPKb
; %bb.0:
	s_clause 0x1
	s_load_dword s0, s[4:5], 0x3c
	s_load_dwordx4 s[8:11], s[4:5], 0x18
	v_and_b32_e32 v6, 31, v0
	s_clause 0x1
	s_load_dwordx4 s[12:15], s[4:5], 0x0
	s_load_dwordx2 s[4:5], s[4:5], 0x10
	v_mov_b32_e32 v8, 0
	v_mov_b32_e32 v9, 0
	;; [unrolled: 1-line block ×3, first 2 shown]
	s_waitcnt lgkmcnt(0)
	s_lshr_b32 s0, s0, 16
	v_cmp_gt_i32_e32 vcc_lo, s10, v6
	s_and_b32 s0, s0, 0xffff
	s_mul_i32 s6, s6, s0
	v_add_lshl_u32 v2, s6, v1, 1
	v_mad_u64_u32 v[0:1], null, v2, s9, v[6:7]
	v_sub_nc_u32_e32 v7, s8, v2
	v_cmp_lt_i32_e64 s3, 0, v7
	v_ashrrev_i32_e32 v1, 31, v0
	s_and_b32 s1, s3, vcc_lo
	v_lshlrev_b64 v[0:1], 1, v[0:1]
	v_add_co_u32 v4, s0, s14, v0
	v_add_co_ci_u32_e64 v5, null, s15, v1, s0
	v_add_co_u32 v2, s0, s4, v0
	v_add_co_ci_u32_e64 v3, null, s5, v1, s0
	s_and_saveexec_b32 s0, s1
	s_cbranch_execz .LBB585_2
; %bb.1:
	global_load_ushort v9, v[4:5], off
	global_load_ushort v10, v[2:3], off
	s_waitcnt vmcnt(1)
	v_cvt_f32_f16_e32 v9, v9
	s_waitcnt vmcnt(0)
	v_cvt_f32_f16_e32 v10, v10
.LBB585_2:
	s_or_b32 exec_lo, exec_lo, s0
	v_or_b32_e32 v11, 32, v6
	v_cmp_gt_i32_e64 s0, s10, v11
	v_mov_b32_e32 v11, 0
	s_and_b32 s2, s3, s0
	s_and_saveexec_b32 s1, s2
	s_cbranch_execz .LBB585_4
; %bb.3:
	global_load_ushort v8, v[4:5], off offset:64
	global_load_ushort v11, v[2:3], off offset:64
	s_waitcnt vmcnt(1)
	v_cvt_f32_f16_e32 v8, v8
	s_waitcnt vmcnt(0)
	v_cvt_f32_f16_e32 v11, v11
.LBB585_4:
	s_or_b32 exec_lo, exec_lo, s1
	v_or_b32_e32 v12, 64, v6
	v_mov_b32_e32 v13, 0
	v_mov_b32_e32 v14, 0
	v_cmp_gt_i32_e64 s1, s10, v12
	v_mov_b32_e32 v12, 0
	s_and_b32 s4, s3, s1
	s_and_saveexec_b32 s2, s4
	s_cbranch_execz .LBB585_6
; %bb.5:
	global_load_ushort v13, v[4:5], off offset:128
	global_load_ushort v14, v[2:3], off offset:128
	s_waitcnt vmcnt(1)
	v_cvt_f32_f16_e32 v13, v13
	s_waitcnt vmcnt(0)
	v_cvt_f32_f16_e32 v14, v14
.LBB585_6:
	s_or_b32 exec_lo, exec_lo, s2
	v_or_b32_e32 v6, 0x60, v6
	v_mov_b32_e32 v15, 0
	v_cmp_gt_i32_e64 s2, s10, v6
	s_and_b32 s5, s3, s2
	s_and_saveexec_b32 s4, s5
	s_cbranch_execz .LBB585_8
; %bb.7:
	global_load_ushort v6, v[4:5], off offset:192
	global_load_ushort v15, v[2:3], off offset:192
	s_waitcnt vmcnt(1)
	v_cvt_f32_f16_e32 v12, v6
	s_waitcnt vmcnt(0)
	v_cvt_f32_f16_e32 v15, v15
.LBB585_8:
	s_or_b32 exec_lo, exec_lo, s4
	v_cmp_lt_i32_e64 s4, 1, v7
	v_mov_b32_e32 v6, 0
	v_mov_b32_e32 v16, 0
	;; [unrolled: 1-line block ×3, first 2 shown]
	s_and_b32 s5, s4, vcc_lo
	s_and_saveexec_b32 s6, s5
	s_cbranch_execz .LBB585_10
; %bb.9:
	s_mov_b32 s11, 0
	s_lshl_b64 s[8:9], s[10:11], 1
	v_add_co_u32 v16, s5, v4, s8
	v_add_co_ci_u32_e64 v17, null, s9, v5, s5
	v_add_co_u32 v18, s5, v2, s8
	v_add_co_ci_u32_e64 v19, null, s9, v3, s5
	global_load_ushort v16, v[16:17], off
	global_load_ushort v17, v[18:19], off
	s_waitcnt vmcnt(1)
	v_cvt_f32_f16_e32 v16, v16
	s_waitcnt vmcnt(0)
	v_cvt_f32_f16_e32 v17, v17
.LBB585_10:
	s_or_b32 exec_lo, exec_lo, s6
	v_mov_b32_e32 v19, 0
	s_and_b32 s5, s4, s0
	s_and_saveexec_b32 s6, s5
	s_cbranch_execz .LBB585_12
; %bb.11:
	s_mov_b32 s11, 0
	s_lshl_b64 s[8:9], s[10:11], 1
	v_add_co_u32 v18, s5, v4, s8
	v_add_co_ci_u32_e64 v19, null, s9, v5, s5
	v_add_co_u32 v20, s5, v2, s8
	v_add_co_ci_u32_e64 v21, null, s9, v3, s5
	global_load_ushort v6, v[18:19], off offset:64
	global_load_ushort v18, v[20:21], off offset:64
	s_waitcnt vmcnt(1)
	v_cvt_f32_f16_e32 v6, v6
	s_waitcnt vmcnt(0)
	v_cvt_f32_f16_e32 v19, v18
.LBB585_12:
	s_or_b32 exec_lo, exec_lo, s6
	v_mov_b32_e32 v18, 0
	v_mov_b32_e32 v20, 0
	;; [unrolled: 1-line block ×3, first 2 shown]
	s_and_b32 s5, s4, s1
	s_and_saveexec_b32 s6, s5
	s_cbranch_execz .LBB585_14
; %bb.13:
	s_mov_b32 s11, 0
	s_lshl_b64 s[8:9], s[10:11], 1
	v_add_co_u32 v20, s5, v4, s8
	v_add_co_ci_u32_e64 v21, null, s9, v5, s5
	v_add_co_u32 v22, s5, v2, s8
	v_add_co_ci_u32_e64 v23, null, s9, v3, s5
	global_load_ushort v20, v[20:21], off offset:128
	global_load_ushort v21, v[22:23], off offset:128
	s_waitcnt vmcnt(1)
	v_cvt_f32_f16_e32 v20, v20
	s_waitcnt vmcnt(0)
	v_cvt_f32_f16_e32 v21, v21
.LBB585_14:
	s_or_b32 exec_lo, exec_lo, s6
	v_mov_b32_e32 v22, 0
	s_and_b32 s4, s4, s2
	s_and_saveexec_b32 s5, s4
	s_cbranch_execz .LBB585_16
; %bb.15:
	s_mov_b32 s11, 0
	s_lshl_b64 s[6:7], s[10:11], 1
	v_add_co_u32 v4, s4, v4, s6
	v_add_co_ci_u32_e64 v5, null, s7, v5, s4
	v_add_co_u32 v2, s4, v2, s6
	v_add_co_ci_u32_e64 v3, null, s7, v3, s4
	global_load_ushort v4, v[4:5], off offset:192
	global_load_ushort v2, v[2:3], off offset:192
	s_waitcnt vmcnt(1)
	v_cvt_f32_f16_e32 v18, v4
	s_waitcnt vmcnt(0)
	v_cvt_f32_f16_e32 v22, v2
.LBB585_16:
	s_or_b32 exec_lo, exec_lo, s5
	v_mbcnt_lo_u32_b32 v3, -1, 0
	v_add_f32_e32 v2, 0, v9
	v_add_f32_e32 v4, 0, v16
	v_xor_b32_e32 v5, 16, v3
	v_add_f32_e32 v2, v2, v8
	v_add_f32_e32 v4, v4, v6
	v_xor_b32_e32 v24, 8, v3
	v_cmp_gt_i32_e64 s4, 32, v5
	v_add_f32_e32 v2, v2, v13
	v_add_f32_e32 v4, v4, v20
	v_cndmask_b32_e64 v5, v3, v5, s4
	v_add_f32_e32 v2, v2, v12
	v_add_f32_e32 v4, v4, v18
	v_cmp_gt_i32_e64 s4, 32, v24
	v_lshlrev_b32_e32 v5, 2, v5
	v_cndmask_b32_e64 v24, v3, v24, s4
	ds_bpermute_b32 v23, v5, v2
	ds_bpermute_b32 v5, v5, v4
	v_lshlrev_b32_e32 v24, 2, v24
	s_waitcnt lgkmcnt(1)
	v_add_f32_e32 v2, v2, v23
	s_waitcnt lgkmcnt(0)
	v_add_f32_e32 v4, v4, v5
	ds_bpermute_b32 v5, v24, v2
	ds_bpermute_b32 v23, v24, v4
	v_xor_b32_e32 v24, 4, v3
	v_cmp_gt_i32_e64 s4, 32, v24
	v_cndmask_b32_e64 v24, v3, v24, s4
	v_lshlrev_b32_e32 v24, 2, v24
	s_waitcnt lgkmcnt(1)
	v_add_f32_e32 v2, v2, v5
	s_waitcnt lgkmcnt(0)
	v_add_f32_e32 v4, v4, v23
	ds_bpermute_b32 v5, v24, v2
	ds_bpermute_b32 v23, v24, v4
	v_xor_b32_e32 v24, 2, v3
	v_cmp_gt_i32_e64 s4, 32, v24
	v_cndmask_b32_e64 v24, v3, v24, s4
	;; [unrolled: 10-line block ×3, first 2 shown]
	v_lshlrev_b32_e32 v3, 2, v3
	s_waitcnt lgkmcnt(1)
	v_add_f32_e32 v4, v2, v4
	s_waitcnt lgkmcnt(0)
	v_add_f32_e32 v2, v5, v23
	ds_bpermute_b32 v5, v3, v4
	ds_bpermute_b32 v3, v3, v2
	s_and_saveexec_b32 s4, s3
	s_cbranch_execz .LBB585_22
; %bb.17:
	v_add_co_u32 v0, s3, s12, v0
	v_add_co_ci_u32_e64 v1, null, s13, v1, s3
	s_waitcnt lgkmcnt(1)
	v_add_f32_e32 v4, v4, v5
	s_and_saveexec_b32 s3, vcc_lo
	s_cbranch_execnz .LBB585_23
; %bb.18:
	s_or_b32 exec_lo, exec_lo, s3
	s_and_saveexec_b32 s3, s0
	s_cbranch_execnz .LBB585_24
.LBB585_19:
	s_or_b32 exec_lo, exec_lo, s3
	s_and_saveexec_b32 s3, s1
	s_cbranch_execnz .LBB585_25
.LBB585_20:
	s_or_b32 exec_lo, exec_lo, s3
	s_and_saveexec_b32 s3, s2
	s_cbranch_execnz .LBB585_26
.LBB585_21:
	s_or_b32 exec_lo, exec_lo, s3
	v_cmp_ne_u32_e64 s3, 1, v7
	s_and_b32 exec_lo, exec_lo, s3
	s_cbranch_execnz .LBB585_27
.LBB585_22:
	s_endpgm
.LBB585_23:
	v_fma_mixlo_f16 v5, -v4, v10, v9
	global_store_short v[0:1], v5, off
	s_or_b32 exec_lo, exec_lo, s3
	s_and_saveexec_b32 s3, s0
	s_cbranch_execz .LBB585_19
.LBB585_24:
	v_fma_mixlo_f16 v5, -v4, v11, v8
	global_store_short v[0:1], v5, off offset:64
	s_or_b32 exec_lo, exec_lo, s3
	s_and_saveexec_b32 s3, s1
	s_cbranch_execz .LBB585_20
.LBB585_25:
	v_fma_mixlo_f16 v5, -v4, v14, v13
	global_store_short v[0:1], v5, off offset:128
	s_or_b32 exec_lo, exec_lo, s3
	s_and_saveexec_b32 s3, s2
	s_cbranch_execz .LBB585_21
.LBB585_26:
	v_fma_mixlo_f16 v4, -v4, v15, v12
	global_store_short v[0:1], v4, off offset:192
	s_or_b32 exec_lo, exec_lo, s3
	v_cmp_ne_u32_e64 s3, 1, v7
	s_and_b32 exec_lo, exec_lo, s3
	s_cbranch_execz .LBB585_22
.LBB585_27:
	s_waitcnt lgkmcnt(0)
	v_add_f32_e32 v2, v2, v3
	s_and_saveexec_b32 s3, vcc_lo
	s_cbranch_execnz .LBB585_31
; %bb.28:
	s_or_b32 exec_lo, exec_lo, s3
	s_and_saveexec_b32 s3, s0
	s_cbranch_execnz .LBB585_32
.LBB585_29:
	s_or_b32 exec_lo, exec_lo, s3
	s_and_saveexec_b32 s0, s1
	s_cbranch_execnz .LBB585_33
.LBB585_30:
	s_or_b32 exec_lo, exec_lo, s0
	s_and_b32 exec_lo, exec_lo, s2
	s_cbranch_execz .LBB585_22
	s_branch .LBB585_34
.LBB585_31:
	s_mov_b32 s11, 0
	v_fma_mixlo_f16 v5, -v2, v17, v16
	s_lshl_b64 s[4:5], s[10:11], 1
	v_add_co_u32 v3, vcc_lo, v0, s4
	v_add_co_ci_u32_e64 v4, null, s5, v1, vcc_lo
	global_store_short v[3:4], v5, off
	s_or_b32 exec_lo, exec_lo, s3
	s_and_saveexec_b32 s3, s0
	s_cbranch_execz .LBB585_29
.LBB585_32:
	s_mov_b32 s11, 0
	v_fma_mixlo_f16 v5, -v2, v19, v6
	s_lshl_b64 s[4:5], s[10:11], 1
	v_add_co_u32 v3, vcc_lo, v0, s4
	v_add_co_ci_u32_e64 v4, null, s5, v1, vcc_lo
	global_store_short v[3:4], v5, off offset:64
	s_or_b32 exec_lo, exec_lo, s3
	s_and_saveexec_b32 s0, s1
	s_cbranch_execz .LBB585_30
.LBB585_33:
	s_mov_b32 s11, 0
	v_fma_mixlo_f16 v5, -v2, v21, v20
	s_lshl_b64 s[4:5], s[10:11], 1
	v_add_co_u32 v3, vcc_lo, v0, s4
	v_add_co_ci_u32_e64 v4, null, s5, v1, vcc_lo
	global_store_short v[3:4], v5, off offset:128
	s_or_b32 exec_lo, exec_lo, s0
	s_and_b32 exec_lo, exec_lo, s2
	s_cbranch_execz .LBB585_22
.LBB585_34:
	s_mov_b32 s11, 0
	v_fma_mixlo_f16 v2, -v2, v22, v18
	s_lshl_b64 s[0:1], s[10:11], 1
	v_add_co_u32 v0, vcc_lo, v0, s0
	v_add_co_ci_u32_e64 v1, null, s1, v1, vcc_lo
	global_store_short v[0:1], v2, off offset:192
	s_endpgm
	.section	.rodata,"a",@progbits
	.p2align	6, 0x0
	.amdhsa_kernel _ZN12_GLOBAL__N_121softmax_warp_backwardIN3c104HalfES2_fLi7ELb0ELb0ELi32EEEvPT0_PKT_S7_iiiPKb
		.amdhsa_group_segment_fixed_size 0
		.amdhsa_private_segment_fixed_size 0
		.amdhsa_kernarg_size 304
		.amdhsa_user_sgpr_count 6
		.amdhsa_user_sgpr_private_segment_buffer 1
		.amdhsa_user_sgpr_dispatch_ptr 0
		.amdhsa_user_sgpr_queue_ptr 0
		.amdhsa_user_sgpr_kernarg_segment_ptr 1
		.amdhsa_user_sgpr_dispatch_id 0
		.amdhsa_user_sgpr_flat_scratch_init 0
		.amdhsa_user_sgpr_private_segment_size 0
		.amdhsa_wavefront_size32 1
		.amdhsa_uses_dynamic_stack 0
		.amdhsa_system_sgpr_private_segment_wavefront_offset 0
		.amdhsa_system_sgpr_workgroup_id_x 1
		.amdhsa_system_sgpr_workgroup_id_y 0
		.amdhsa_system_sgpr_workgroup_id_z 0
		.amdhsa_system_sgpr_workgroup_info 0
		.amdhsa_system_vgpr_workitem_id 1
		.amdhsa_next_free_vgpr 25
		.amdhsa_next_free_sgpr 16
		.amdhsa_reserve_vcc 1
		.amdhsa_reserve_flat_scratch 0
		.amdhsa_float_round_mode_32 0
		.amdhsa_float_round_mode_16_64 0
		.amdhsa_float_denorm_mode_32 3
		.amdhsa_float_denorm_mode_16_64 3
		.amdhsa_dx10_clamp 1
		.amdhsa_ieee_mode 1
		.amdhsa_fp16_overflow 0
		.amdhsa_workgroup_processor_mode 1
		.amdhsa_memory_ordered 1
		.amdhsa_forward_progress 1
		.amdhsa_shared_vgpr_count 0
		.amdhsa_exception_fp_ieee_invalid_op 0
		.amdhsa_exception_fp_denorm_src 0
		.amdhsa_exception_fp_ieee_div_zero 0
		.amdhsa_exception_fp_ieee_overflow 0
		.amdhsa_exception_fp_ieee_underflow 0
		.amdhsa_exception_fp_ieee_inexact 0
		.amdhsa_exception_int_div_zero 0
	.end_amdhsa_kernel
	.section	.text._ZN12_GLOBAL__N_121softmax_warp_backwardIN3c104HalfES2_fLi7ELb0ELb0ELi32EEEvPT0_PKT_S7_iiiPKb,"axG",@progbits,_ZN12_GLOBAL__N_121softmax_warp_backwardIN3c104HalfES2_fLi7ELb0ELb0ELi32EEEvPT0_PKT_S7_iiiPKb,comdat
.Lfunc_end585:
	.size	_ZN12_GLOBAL__N_121softmax_warp_backwardIN3c104HalfES2_fLi7ELb0ELb0ELi32EEEvPT0_PKT_S7_iiiPKb, .Lfunc_end585-_ZN12_GLOBAL__N_121softmax_warp_backwardIN3c104HalfES2_fLi7ELb0ELb0ELi32EEEvPT0_PKT_S7_iiiPKb
                                        ; -- End function
	.set _ZN12_GLOBAL__N_121softmax_warp_backwardIN3c104HalfES2_fLi7ELb0ELb0ELi32EEEvPT0_PKT_S7_iiiPKb.num_vgpr, 25
	.set _ZN12_GLOBAL__N_121softmax_warp_backwardIN3c104HalfES2_fLi7ELb0ELb0ELi32EEEvPT0_PKT_S7_iiiPKb.num_agpr, 0
	.set _ZN12_GLOBAL__N_121softmax_warp_backwardIN3c104HalfES2_fLi7ELb0ELb0ELi32EEEvPT0_PKT_S7_iiiPKb.numbered_sgpr, 16
	.set _ZN12_GLOBAL__N_121softmax_warp_backwardIN3c104HalfES2_fLi7ELb0ELb0ELi32EEEvPT0_PKT_S7_iiiPKb.num_named_barrier, 0
	.set _ZN12_GLOBAL__N_121softmax_warp_backwardIN3c104HalfES2_fLi7ELb0ELb0ELi32EEEvPT0_PKT_S7_iiiPKb.private_seg_size, 0
	.set _ZN12_GLOBAL__N_121softmax_warp_backwardIN3c104HalfES2_fLi7ELb0ELb0ELi32EEEvPT0_PKT_S7_iiiPKb.uses_vcc, 1
	.set _ZN12_GLOBAL__N_121softmax_warp_backwardIN3c104HalfES2_fLi7ELb0ELb0ELi32EEEvPT0_PKT_S7_iiiPKb.uses_flat_scratch, 0
	.set _ZN12_GLOBAL__N_121softmax_warp_backwardIN3c104HalfES2_fLi7ELb0ELb0ELi32EEEvPT0_PKT_S7_iiiPKb.has_dyn_sized_stack, 0
	.set _ZN12_GLOBAL__N_121softmax_warp_backwardIN3c104HalfES2_fLi7ELb0ELb0ELi32EEEvPT0_PKT_S7_iiiPKb.has_recursion, 0
	.set _ZN12_GLOBAL__N_121softmax_warp_backwardIN3c104HalfES2_fLi7ELb0ELb0ELi32EEEvPT0_PKT_S7_iiiPKb.has_indirect_call, 0
	.section	.AMDGPU.csdata,"",@progbits
; Kernel info:
; codeLenInByte = 1576
; TotalNumSgprs: 18
; NumVgprs: 25
; ScratchSize: 0
; MemoryBound: 0
; FloatMode: 240
; IeeeMode: 1
; LDSByteSize: 0 bytes/workgroup (compile time only)
; SGPRBlocks: 0
; VGPRBlocks: 3
; NumSGPRsForWavesPerEU: 18
; NumVGPRsForWavesPerEU: 25
; Occupancy: 16
; WaveLimiterHint : 0
; COMPUTE_PGM_RSRC2:SCRATCH_EN: 0
; COMPUTE_PGM_RSRC2:USER_SGPR: 6
; COMPUTE_PGM_RSRC2:TRAP_HANDLER: 0
; COMPUTE_PGM_RSRC2:TGID_X_EN: 1
; COMPUTE_PGM_RSRC2:TGID_Y_EN: 0
; COMPUTE_PGM_RSRC2:TGID_Z_EN: 0
; COMPUTE_PGM_RSRC2:TIDIG_COMP_CNT: 1
	.section	.text._ZN12_GLOBAL__N_121softmax_warp_backwardIN3c104HalfES2_fLi8ELb0ELb0ELi64EEEvPT0_PKT_S7_iiiPKb,"axG",@progbits,_ZN12_GLOBAL__N_121softmax_warp_backwardIN3c104HalfES2_fLi8ELb0ELb0ELi64EEEvPT0_PKT_S7_iiiPKb,comdat
	.globl	_ZN12_GLOBAL__N_121softmax_warp_backwardIN3c104HalfES2_fLi8ELb0ELb0ELi64EEEvPT0_PKT_S7_iiiPKb ; -- Begin function _ZN12_GLOBAL__N_121softmax_warp_backwardIN3c104HalfES2_fLi8ELb0ELb0ELi64EEEvPT0_PKT_S7_iiiPKb
	.p2align	8
	.type	_ZN12_GLOBAL__N_121softmax_warp_backwardIN3c104HalfES2_fLi8ELb0ELb0ELi64EEEvPT0_PKT_S7_iiiPKb,@function
_ZN12_GLOBAL__N_121softmax_warp_backwardIN3c104HalfES2_fLi8ELb0ELb0ELi64EEEvPT0_PKT_S7_iiiPKb: ; @_ZN12_GLOBAL__N_121softmax_warp_backwardIN3c104HalfES2_fLi8ELb0ELb0ELi64EEEvPT0_PKT_S7_iiiPKb
; %bb.0:
	s_clause 0x1
	s_load_dword s7, s[4:5], 0x3c
	s_load_dwordx4 s[0:3], s[4:5], 0x18
	v_and_b32_e32 v6, 63, v0
	s_clause 0x1
	s_load_dwordx4 s[8:11], s[4:5], 0x0
	s_load_dwordx2 s[4:5], s[4:5], 0x10
	v_mov_b32_e32 v8, 0
	v_mov_b32_e32 v9, 0
	s_waitcnt lgkmcnt(0)
	s_lshr_b32 s3, s7, 16
	v_cmp_gt_i32_e32 vcc_lo, s2, v6
	v_mad_u64_u32 v[1:2], null, s6, s3, v[1:2]
	v_mad_u64_u32 v[2:3], null, v1, s1, v[6:7]
	v_sub_nc_u32_e32 v7, s0, v1
	v_cmp_lt_i32_e64 s3, 0, v7
	v_ashrrev_i32_e32 v3, 31, v2
	s_and_b32 s1, s3, vcc_lo
	v_lshlrev_b64 v[0:1], 1, v[2:3]
	v_add_co_u32 v2, s0, s10, v0
	v_add_co_ci_u32_e64 v3, null, s11, v1, s0
	v_add_co_u32 v4, s0, s4, v0
	v_add_co_ci_u32_e64 v5, null, s5, v1, s0
	s_and_saveexec_b32 s0, s1
	s_cbranch_execz .LBB586_2
; %bb.1:
	global_load_ushort v8, v[2:3], off
	global_load_ushort v10, v[4:5], off
	s_waitcnt vmcnt(1)
	v_cvt_f32_f16_e32 v9, v8
	s_waitcnt vmcnt(0)
	v_cvt_f32_f16_e32 v8, v10
.LBB586_2:
	s_or_b32 exec_lo, exec_lo, s0
	v_or_b32_e32 v10, 64, v6
	v_cmp_gt_i32_e64 s0, s2, v10
	s_and_b32 s1, s3, s0
	s_xor_b32 s1, s1, -1
	s_and_saveexec_b32 s4, s1
	s_xor_b32 s1, exec_lo, s4
                                        ; implicit-def: $vgpr11
                                        ; implicit-def: $vgpr12
                                        ; implicit-def: $vgpr10
; %bb.3:
	s_mov_b32 s4, 0
                                        ; implicit-def: $vgpr11
                                        ; implicit-def: $vgpr10
	v_mov_b32_e32 v12, s4
; %bb.4:
	s_or_saveexec_b32 s1, s1
	v_mov_b32_e32 v13, 0
	s_xor_b32 exec_lo, exec_lo, s1
	s_cbranch_execz .LBB586_6
; %bb.5:
	global_load_ushort v12, v[2:3], off offset:128
	global_load_ushort v13, v[4:5], off offset:128
	s_waitcnt vmcnt(1)
	v_cvt_f32_f16_e32 v12, v12
	s_waitcnt vmcnt(0)
	v_cvt_f32_f16_e32 v13, v13
.LBB586_6:
	s_or_b32 exec_lo, exec_lo, s1
	v_or_b32_e32 v14, 0x80, v6
	v_cmp_gt_i32_e64 s1, s2, v14
	s_and_b32 s4, s3, s1
	s_xor_b32 s4, s4, -1
	s_and_saveexec_b32 s5, s4
	s_xor_b32 s4, exec_lo, s5
; %bb.7:
	s_mov_b32 s5, 0
	v_mov_b32_e32 v11, s5
; %bb.8:
	s_or_saveexec_b32 s4, s4
	v_mov_b32_e32 v14, 0
	s_xor_b32 exec_lo, exec_lo, s4
	s_cbranch_execz .LBB586_10
; %bb.9:
	global_load_ushort v11, v[2:3], off offset:256
	global_load_ushort v14, v[4:5], off offset:256
	s_waitcnt vmcnt(1)
	v_cvt_f32_f16_e32 v11, v11
	s_waitcnt vmcnt(0)
	v_cvt_f32_f16_e32 v14, v14
.LBB586_10:
	s_or_b32 exec_lo, exec_lo, s4
	v_or_b32_e32 v6, 0xc0, v6
	v_cmp_gt_i32_e64 s2, s2, v6
	s_and_b32 s3, s3, s2
	s_xor_b32 s3, s3, -1
	s_and_saveexec_b32 s4, s3
	s_xor_b32 s3, exec_lo, s4
; %bb.11:
	s_mov_b32 s4, 0
                                        ; implicit-def: $vgpr2_vgpr3
                                        ; implicit-def: $vgpr4_vgpr5
	v_mov_b32_e32 v10, s4
; %bb.12:
	s_or_saveexec_b32 s3, s3
	v_mov_b32_e32 v6, 0
	s_xor_b32 exec_lo, exec_lo, s3
	s_cbranch_execz .LBB586_14
; %bb.13:
	global_load_ushort v2, v[2:3], off offset:384
	global_load_ushort v3, v[4:5], off offset:384
	s_waitcnt vmcnt(1)
	v_cvt_f32_f16_e32 v10, v2
	s_waitcnt vmcnt(0)
	v_cvt_f32_f16_e32 v6, v3
.LBB586_14:
	s_or_b32 exec_lo, exec_lo, s3
	v_mbcnt_lo_u32_b32 v3, -1, 0
	v_add_f32_e32 v2, 0, v9
	s_mov_b32 s4, exec_lo
	v_or_b32_e32 v4, 32, v3
	v_add_f32_e32 v2, v2, v12
	v_xor_b32_e32 v5, 16, v3
	v_cmp_gt_i32_e64 s3, 64, v4
	v_add_f32_e32 v2, v2, v11
	v_cndmask_b32_e64 v4, v3, v4, s3
	v_add_f32_e32 v2, v2, v10
	v_cmp_gt_i32_e64 s3, 64, v5
	v_lshlrev_b32_e32 v4, 2, v4
	v_cndmask_b32_e64 v5, v3, v5, s3
	ds_bpermute_b32 v4, v4, v2
	v_lshlrev_b32_e32 v5, 2, v5
	s_waitcnt lgkmcnt(0)
	v_add_f32_e32 v2, v2, v4
	ds_bpermute_b32 v4, v5, v2
	v_xor_b32_e32 v5, 8, v3
	v_cmp_gt_i32_e64 s3, 64, v5
	v_cndmask_b32_e64 v5, v3, v5, s3
	v_lshlrev_b32_e32 v5, 2, v5
	s_waitcnt lgkmcnt(0)
	v_add_f32_e32 v2, v2, v4
	ds_bpermute_b32 v4, v5, v2
	v_xor_b32_e32 v5, 4, v3
	v_cmp_gt_i32_e64 s3, 64, v5
	v_cndmask_b32_e64 v5, v3, v5, s3
	;; [unrolled: 7-line block ×4, first 2 shown]
	v_lshlrev_b32_e32 v3, 2, v3
	s_waitcnt lgkmcnt(0)
	v_add_f32_e32 v2, v2, v4
	ds_bpermute_b32 v3, v3, v2
	v_cmpx_lt_i32_e32 0, v7
	s_cbranch_execz .LBB586_20
; %bb.15:
	v_add_co_u32 v0, s3, s8, v0
	v_add_co_ci_u32_e64 v1, null, s9, v1, s3
	s_waitcnt lgkmcnt(0)
	v_add_f32_e32 v2, v2, v3
	s_and_saveexec_b32 s3, vcc_lo
	s_cbranch_execnz .LBB586_21
; %bb.16:
	s_or_b32 exec_lo, exec_lo, s3
	s_and_saveexec_b32 s3, s0
	s_cbranch_execnz .LBB586_22
.LBB586_17:
	s_or_b32 exec_lo, exec_lo, s3
	s_and_saveexec_b32 s0, s1
	s_cbranch_execnz .LBB586_23
.LBB586_18:
	s_or_b32 exec_lo, exec_lo, s0
	s_and_b32 exec_lo, exec_lo, s2
	s_cbranch_execz .LBB586_20
.LBB586_19:
	v_fma_mixlo_f16 v2, -v2, v6, v10
	global_store_short v[0:1], v2, off offset:384
.LBB586_20:
	s_endpgm
.LBB586_21:
	v_fma_mixlo_f16 v3, -v2, v8, v9
	global_store_short v[0:1], v3, off
	s_or_b32 exec_lo, exec_lo, s3
	s_and_saveexec_b32 s3, s0
	s_cbranch_execz .LBB586_17
.LBB586_22:
	v_fma_mixlo_f16 v3, -v2, v13, v12
	global_store_short v[0:1], v3, off offset:128
	s_or_b32 exec_lo, exec_lo, s3
	s_and_saveexec_b32 s0, s1
	s_cbranch_execz .LBB586_18
.LBB586_23:
	v_fma_mixlo_f16 v3, -v2, v14, v11
	global_store_short v[0:1], v3, off offset:256
	s_or_b32 exec_lo, exec_lo, s0
	s_and_b32 exec_lo, exec_lo, s2
	s_cbranch_execnz .LBB586_19
	s_branch .LBB586_20
	.section	.rodata,"a",@progbits
	.p2align	6, 0x0
	.amdhsa_kernel _ZN12_GLOBAL__N_121softmax_warp_backwardIN3c104HalfES2_fLi8ELb0ELb0ELi64EEEvPT0_PKT_S7_iiiPKb
		.amdhsa_group_segment_fixed_size 0
		.amdhsa_private_segment_fixed_size 0
		.amdhsa_kernarg_size 304
		.amdhsa_user_sgpr_count 6
		.amdhsa_user_sgpr_private_segment_buffer 1
		.amdhsa_user_sgpr_dispatch_ptr 0
		.amdhsa_user_sgpr_queue_ptr 0
		.amdhsa_user_sgpr_kernarg_segment_ptr 1
		.amdhsa_user_sgpr_dispatch_id 0
		.amdhsa_user_sgpr_flat_scratch_init 0
		.amdhsa_user_sgpr_private_segment_size 0
		.amdhsa_wavefront_size32 1
		.amdhsa_uses_dynamic_stack 0
		.amdhsa_system_sgpr_private_segment_wavefront_offset 0
		.amdhsa_system_sgpr_workgroup_id_x 1
		.amdhsa_system_sgpr_workgroup_id_y 0
		.amdhsa_system_sgpr_workgroup_id_z 0
		.amdhsa_system_sgpr_workgroup_info 0
		.amdhsa_system_vgpr_workitem_id 1
		.amdhsa_next_free_vgpr 15
		.amdhsa_next_free_sgpr 12
		.amdhsa_reserve_vcc 1
		.amdhsa_reserve_flat_scratch 0
		.amdhsa_float_round_mode_32 0
		.amdhsa_float_round_mode_16_64 0
		.amdhsa_float_denorm_mode_32 3
		.amdhsa_float_denorm_mode_16_64 3
		.amdhsa_dx10_clamp 1
		.amdhsa_ieee_mode 1
		.amdhsa_fp16_overflow 0
		.amdhsa_workgroup_processor_mode 1
		.amdhsa_memory_ordered 1
		.amdhsa_forward_progress 1
		.amdhsa_shared_vgpr_count 0
		.amdhsa_exception_fp_ieee_invalid_op 0
		.amdhsa_exception_fp_denorm_src 0
		.amdhsa_exception_fp_ieee_div_zero 0
		.amdhsa_exception_fp_ieee_overflow 0
		.amdhsa_exception_fp_ieee_underflow 0
		.amdhsa_exception_fp_ieee_inexact 0
		.amdhsa_exception_int_div_zero 0
	.end_amdhsa_kernel
	.section	.text._ZN12_GLOBAL__N_121softmax_warp_backwardIN3c104HalfES2_fLi8ELb0ELb0ELi64EEEvPT0_PKT_S7_iiiPKb,"axG",@progbits,_ZN12_GLOBAL__N_121softmax_warp_backwardIN3c104HalfES2_fLi8ELb0ELb0ELi64EEEvPT0_PKT_S7_iiiPKb,comdat
.Lfunc_end586:
	.size	_ZN12_GLOBAL__N_121softmax_warp_backwardIN3c104HalfES2_fLi8ELb0ELb0ELi64EEEvPT0_PKT_S7_iiiPKb, .Lfunc_end586-_ZN12_GLOBAL__N_121softmax_warp_backwardIN3c104HalfES2_fLi8ELb0ELb0ELi64EEEvPT0_PKT_S7_iiiPKb
                                        ; -- End function
	.set _ZN12_GLOBAL__N_121softmax_warp_backwardIN3c104HalfES2_fLi8ELb0ELb0ELi64EEEvPT0_PKT_S7_iiiPKb.num_vgpr, 15
	.set _ZN12_GLOBAL__N_121softmax_warp_backwardIN3c104HalfES2_fLi8ELb0ELb0ELi64EEEvPT0_PKT_S7_iiiPKb.num_agpr, 0
	.set _ZN12_GLOBAL__N_121softmax_warp_backwardIN3c104HalfES2_fLi8ELb0ELb0ELi64EEEvPT0_PKT_S7_iiiPKb.numbered_sgpr, 12
	.set _ZN12_GLOBAL__N_121softmax_warp_backwardIN3c104HalfES2_fLi8ELb0ELb0ELi64EEEvPT0_PKT_S7_iiiPKb.num_named_barrier, 0
	.set _ZN12_GLOBAL__N_121softmax_warp_backwardIN3c104HalfES2_fLi8ELb0ELb0ELi64EEEvPT0_PKT_S7_iiiPKb.private_seg_size, 0
	.set _ZN12_GLOBAL__N_121softmax_warp_backwardIN3c104HalfES2_fLi8ELb0ELb0ELi64EEEvPT0_PKT_S7_iiiPKb.uses_vcc, 1
	.set _ZN12_GLOBAL__N_121softmax_warp_backwardIN3c104HalfES2_fLi8ELb0ELb0ELi64EEEvPT0_PKT_S7_iiiPKb.uses_flat_scratch, 0
	.set _ZN12_GLOBAL__N_121softmax_warp_backwardIN3c104HalfES2_fLi8ELb0ELb0ELi64EEEvPT0_PKT_S7_iiiPKb.has_dyn_sized_stack, 0
	.set _ZN12_GLOBAL__N_121softmax_warp_backwardIN3c104HalfES2_fLi8ELb0ELb0ELi64EEEvPT0_PKT_S7_iiiPKb.has_recursion, 0
	.set _ZN12_GLOBAL__N_121softmax_warp_backwardIN3c104HalfES2_fLi8ELb0ELb0ELi64EEEvPT0_PKT_S7_iiiPKb.has_indirect_call, 0
	.section	.AMDGPU.csdata,"",@progbits
; Kernel info:
; codeLenInByte = 900
; TotalNumSgprs: 14
; NumVgprs: 15
; ScratchSize: 0
; MemoryBound: 0
; FloatMode: 240
; IeeeMode: 1
; LDSByteSize: 0 bytes/workgroup (compile time only)
; SGPRBlocks: 0
; VGPRBlocks: 1
; NumSGPRsForWavesPerEU: 14
; NumVGPRsForWavesPerEU: 15
; Occupancy: 16
; WaveLimiterHint : 0
; COMPUTE_PGM_RSRC2:SCRATCH_EN: 0
; COMPUTE_PGM_RSRC2:USER_SGPR: 6
; COMPUTE_PGM_RSRC2:TRAP_HANDLER: 0
; COMPUTE_PGM_RSRC2:TGID_X_EN: 1
; COMPUTE_PGM_RSRC2:TGID_Y_EN: 0
; COMPUTE_PGM_RSRC2:TGID_Z_EN: 0
; COMPUTE_PGM_RSRC2:TIDIG_COMP_CNT: 1
	.section	.text._ZN12_GLOBAL__N_121softmax_warp_backwardIN3c104HalfES2_fLi8ELb0ELb0ELi32EEEvPT0_PKT_S7_iiiPKb,"axG",@progbits,_ZN12_GLOBAL__N_121softmax_warp_backwardIN3c104HalfES2_fLi8ELb0ELb0ELi32EEEvPT0_PKT_S7_iiiPKb,comdat
	.globl	_ZN12_GLOBAL__N_121softmax_warp_backwardIN3c104HalfES2_fLi8ELb0ELb0ELi32EEEvPT0_PKT_S7_iiiPKb ; -- Begin function _ZN12_GLOBAL__N_121softmax_warp_backwardIN3c104HalfES2_fLi8ELb0ELb0ELi32EEEvPT0_PKT_S7_iiiPKb
	.p2align	8
	.type	_ZN12_GLOBAL__N_121softmax_warp_backwardIN3c104HalfES2_fLi8ELb0ELb0ELi32EEEvPT0_PKT_S7_iiiPKb,@function
_ZN12_GLOBAL__N_121softmax_warp_backwardIN3c104HalfES2_fLi8ELb0ELb0ELi32EEEvPT0_PKT_S7_iiiPKb: ; @_ZN12_GLOBAL__N_121softmax_warp_backwardIN3c104HalfES2_fLi8ELb0ELb0ELi32EEEvPT0_PKT_S7_iiiPKb
; %bb.0:
	s_clause 0x1
	s_load_dword s0, s[4:5], 0x3c
	s_load_dwordx4 s[12:15], s[4:5], 0x18
	v_and_b32_e32 v6, 31, v0
	s_clause 0x1
	s_load_dwordx4 s[8:11], s[4:5], 0x0
	s_load_dwordx2 s[4:5], s[4:5], 0x10
	v_mov_b32_e32 v11, 0
	v_mov_b32_e32 v12, 0
	s_waitcnt lgkmcnt(0)
	s_lshr_b32 s0, s0, 16
	v_cmp_gt_i32_e32 vcc_lo, s14, v6
	v_mad_u64_u32 v[1:2], null, s6, s0, v[1:2]
	v_mad_u64_u32 v[2:3], null, v1, s13, v[6:7]
	v_sub_nc_u32_e32 v10, s12, v1
	v_cmp_lt_i32_e64 s3, 0, v10
	v_ashrrev_i32_e32 v3, 31, v2
	s_and_b32 s1, s3, vcc_lo
	v_lshlrev_b64 v[0:1], 1, v[2:3]
	v_add_co_u32 v2, s0, s10, v0
	v_add_co_ci_u32_e64 v3, null, s11, v1, s0
	v_add_co_u32 v4, s0, s4, v0
	v_add_co_ci_u32_e64 v5, null, s5, v1, s0
	s_and_saveexec_b32 s0, s1
	s_cbranch_execz .LBB587_2
; %bb.1:
	global_load_ushort v7, v[2:3], off
	global_load_ushort v8, v[4:5], off
	s_waitcnt vmcnt(1)
	v_cvt_f32_f16_e32 v12, v7
	s_waitcnt vmcnt(0)
	v_cvt_f32_f16_e32 v11, v8
.LBB587_2:
	s_or_b32 exec_lo, exec_lo, s0
	v_or_b32_e32 v7, 32, v6
	v_cmp_gt_i32_e64 s0, s14, v7
	s_and_b32 s1, s3, s0
	s_xor_b32 s1, s1, -1
	s_and_saveexec_b32 s2, s1
	s_xor_b32 s1, exec_lo, s2
                                        ; implicit-def: $vgpr7
                                        ; implicit-def: $vgpr9
                                        ; implicit-def: $vgpr13
                                        ; implicit-def: $vgpr14
                                        ; implicit-def: $vgpr15
                                        ; implicit-def: $vgpr16
                                        ; implicit-def: $vgpr8
; %bb.3:
	s_mov_b32 s2, 0
                                        ; implicit-def: $vgpr7
                                        ; implicit-def: $vgpr9
                                        ; implicit-def: $vgpr13
                                        ; implicit-def: $vgpr14
                                        ; implicit-def: $vgpr15
                                        ; implicit-def: $vgpr8
	v_mov_b32_e32 v16, s2
; %bb.4:
	s_or_saveexec_b32 s1, s1
	v_mov_b32_e32 v17, 0
	s_xor_b32 exec_lo, exec_lo, s1
	s_cbranch_execz .LBB587_6
; %bb.5:
	global_load_ushort v16, v[2:3], off offset:64
	global_load_ushort v17, v[4:5], off offset:64
	s_waitcnt vmcnt(1)
	v_cvt_f32_f16_e32 v16, v16
	s_waitcnt vmcnt(0)
	v_cvt_f32_f16_e32 v17, v17
.LBB587_6:
	s_or_b32 exec_lo, exec_lo, s1
	v_or_b32_e32 v18, 64, v6
	v_cmp_gt_i32_e64 s1, s14, v18
	s_and_b32 s2, s3, s1
	s_xor_b32 s2, s2, -1
	s_and_saveexec_b32 s4, s2
	s_xor_b32 s2, exec_lo, s4
; %bb.7:
	s_mov_b32 s4, 0
	v_mov_b32_e32 v15, s4
; %bb.8:
	s_or_saveexec_b32 s2, s2
	v_mov_b32_e32 v18, 0
	s_xor_b32 exec_lo, exec_lo, s2
	s_cbranch_execz .LBB587_10
; %bb.9:
	global_load_ushort v15, v[2:3], off offset:128
	global_load_ushort v18, v[4:5], off offset:128
	s_waitcnt vmcnt(1)
	v_cvt_f32_f16_e32 v15, v15
	s_waitcnt vmcnt(0)
	v_cvt_f32_f16_e32 v18, v18
.LBB587_10:
	s_or_b32 exec_lo, exec_lo, s2
	v_or_b32_e32 v19, 0x60, v6
	v_cmp_gt_i32_e64 s2, s14, v19
	s_and_b32 s4, s3, s2
	s_xor_b32 s4, s4, -1
	s_and_saveexec_b32 s5, s4
	s_xor_b32 s4, exec_lo, s5
; %bb.11:
	s_mov_b32 s5, 0
	;; [unrolled: 23-line block ×6, first 2 shown]
                                        ; implicit-def: $vgpr2_vgpr3
                                        ; implicit-def: $vgpr4_vgpr5
	v_mov_b32_e32 v8, s10
; %bb.28:
	s_or_saveexec_b32 s3, s3
	v_mov_b32_e32 v6, 0
	s_xor_b32 exec_lo, exec_lo, s3
	s_cbranch_execz .LBB587_30
; %bb.29:
	global_load_ushort v2, v[2:3], off offset:448
	global_load_ushort v3, v[4:5], off offset:448
	s_waitcnt vmcnt(1)
	v_cvt_f32_f16_e32 v8, v2
	s_waitcnt vmcnt(0)
	v_cvt_f32_f16_e32 v6, v3
.LBB587_30:
	s_or_b32 exec_lo, exec_lo, s3
	v_add_f32_e32 v2, 0, v12
	v_mbcnt_lo_u32_b32 v3, -1, 0
	s_mov_b32 s10, exec_lo
	v_add_f32_e32 v2, v2, v16
	v_xor_b32_e32 v4, 16, v3
	v_xor_b32_e32 v5, 8, v3
	v_add_f32_e32 v2, v2, v15
	v_cmp_gt_i32_e64 s3, 32, v4
	v_add_f32_e32 v2, v2, v14
	v_cndmask_b32_e64 v4, v3, v4, s3
	v_cmp_gt_i32_e64 s3, 32, v5
	v_add_f32_e32 v2, v2, v13
	v_lshlrev_b32_e32 v4, 2, v4
	v_cndmask_b32_e64 v5, v3, v5, s3
	v_add_f32_e32 v2, v2, v9
	v_lshlrev_b32_e32 v5, 2, v5
	v_add_f32_e32 v2, v2, v7
	v_add_f32_e32 v2, v2, v8
	ds_bpermute_b32 v4, v4, v2
	s_waitcnt lgkmcnt(0)
	v_add_f32_e32 v2, v2, v4
	ds_bpermute_b32 v4, v5, v2
	v_xor_b32_e32 v5, 4, v3
	v_cmp_gt_i32_e64 s3, 32, v5
	v_cndmask_b32_e64 v5, v3, v5, s3
	v_lshlrev_b32_e32 v5, 2, v5
	s_waitcnt lgkmcnt(0)
	v_add_f32_e32 v2, v2, v4
	ds_bpermute_b32 v4, v5, v2
	v_xor_b32_e32 v5, 2, v3
	v_cmp_gt_i32_e64 s3, 32, v5
	v_cndmask_b32_e64 v5, v3, v5, s3
	v_lshlrev_b32_e32 v5, 2, v5
	;; [unrolled: 7-line block ×3, first 2 shown]
	s_waitcnt lgkmcnt(0)
	v_add_f32_e32 v2, v2, v4
	ds_bpermute_b32 v3, v3, v2
	v_cmpx_lt_i32_e32 0, v10
	s_cbranch_execz .LBB587_40
; %bb.31:
	v_add_co_u32 v0, s3, s8, v0
	v_add_co_ci_u32_e64 v1, null, s9, v1, s3
	s_waitcnt lgkmcnt(0)
	v_add_f32_e32 v2, v2, v3
	s_and_saveexec_b32 s3, vcc_lo
	s_cbranch_execnz .LBB587_41
; %bb.32:
	s_or_b32 exec_lo, exec_lo, s3
	s_and_saveexec_b32 s3, s0
	s_cbranch_execnz .LBB587_42
.LBB587_33:
	s_or_b32 exec_lo, exec_lo, s3
	s_and_saveexec_b32 s0, s1
	s_cbranch_execnz .LBB587_43
.LBB587_34:
	s_or_b32 exec_lo, exec_lo, s0
	s_and_saveexec_b32 s0, s2
	s_cbranch_execnz .LBB587_44
.LBB587_35:
	s_or_b32 exec_lo, exec_lo, s0
	s_and_saveexec_b32 s0, s4
	s_cbranch_execnz .LBB587_45
.LBB587_36:
	s_or_b32 exec_lo, exec_lo, s0
	s_and_saveexec_b32 s0, s5
	s_cbranch_execnz .LBB587_46
.LBB587_37:
	s_or_b32 exec_lo, exec_lo, s0
	s_and_saveexec_b32 s0, s6
	s_cbranch_execnz .LBB587_47
.LBB587_38:
	s_or_b32 exec_lo, exec_lo, s0
	s_and_b32 exec_lo, exec_lo, s7
	s_cbranch_execz .LBB587_40
.LBB587_39:
	v_fma_mixlo_f16 v2, -v2, v6, v8
	global_store_short v[0:1], v2, off offset:448
.LBB587_40:
	s_endpgm
.LBB587_41:
	v_fma_mixlo_f16 v3, -v2, v11, v12
	global_store_short v[0:1], v3, off
	s_or_b32 exec_lo, exec_lo, s3
	s_and_saveexec_b32 s3, s0
	s_cbranch_execz .LBB587_33
.LBB587_42:
	v_fma_mixlo_f16 v3, -v2, v17, v16
	global_store_short v[0:1], v3, off offset:64
	s_or_b32 exec_lo, exec_lo, s3
	s_and_saveexec_b32 s0, s1
	s_cbranch_execz .LBB587_34
.LBB587_43:
	v_fma_mixlo_f16 v3, -v2, v18, v15
	global_store_short v[0:1], v3, off offset:128
	s_or_b32 exec_lo, exec_lo, s0
	s_and_saveexec_b32 s0, s2
	s_cbranch_execz .LBB587_35
.LBB587_44:
	v_fma_mixlo_f16 v3, -v2, v19, v14
	global_store_short v[0:1], v3, off offset:192
	s_or_b32 exec_lo, exec_lo, s0
	s_and_saveexec_b32 s0, s4
	s_cbranch_execz .LBB587_36
.LBB587_45:
	v_fma_mixlo_f16 v3, -v2, v20, v13
	global_store_short v[0:1], v3, off offset:256
	s_or_b32 exec_lo, exec_lo, s0
	s_and_saveexec_b32 s0, s5
	s_cbranch_execz .LBB587_37
.LBB587_46:
	v_fma_mixlo_f16 v3, -v2, v21, v9
	global_store_short v[0:1], v3, off offset:320
	s_or_b32 exec_lo, exec_lo, s0
	s_and_saveexec_b32 s0, s6
	s_cbranch_execz .LBB587_38
.LBB587_47:
	v_fma_mixlo_f16 v3, -v2, v22, v7
	global_store_short v[0:1], v3, off offset:384
	s_or_b32 exec_lo, exec_lo, s0
	s_and_b32 exec_lo, exec_lo, s7
	s_cbranch_execnz .LBB587_39
	s_branch .LBB587_40
	.section	.rodata,"a",@progbits
	.p2align	6, 0x0
	.amdhsa_kernel _ZN12_GLOBAL__N_121softmax_warp_backwardIN3c104HalfES2_fLi8ELb0ELb0ELi32EEEvPT0_PKT_S7_iiiPKb
		.amdhsa_group_segment_fixed_size 0
		.amdhsa_private_segment_fixed_size 0
		.amdhsa_kernarg_size 304
		.amdhsa_user_sgpr_count 6
		.amdhsa_user_sgpr_private_segment_buffer 1
		.amdhsa_user_sgpr_dispatch_ptr 0
		.amdhsa_user_sgpr_queue_ptr 0
		.amdhsa_user_sgpr_kernarg_segment_ptr 1
		.amdhsa_user_sgpr_dispatch_id 0
		.amdhsa_user_sgpr_flat_scratch_init 0
		.amdhsa_user_sgpr_private_segment_size 0
		.amdhsa_wavefront_size32 1
		.amdhsa_uses_dynamic_stack 0
		.amdhsa_system_sgpr_private_segment_wavefront_offset 0
		.amdhsa_system_sgpr_workgroup_id_x 1
		.amdhsa_system_sgpr_workgroup_id_y 0
		.amdhsa_system_sgpr_workgroup_id_z 0
		.amdhsa_system_sgpr_workgroup_info 0
		.amdhsa_system_vgpr_workitem_id 1
		.amdhsa_next_free_vgpr 23
		.amdhsa_next_free_sgpr 16
		.amdhsa_reserve_vcc 1
		.amdhsa_reserve_flat_scratch 0
		.amdhsa_float_round_mode_32 0
		.amdhsa_float_round_mode_16_64 0
		.amdhsa_float_denorm_mode_32 3
		.amdhsa_float_denorm_mode_16_64 3
		.amdhsa_dx10_clamp 1
		.amdhsa_ieee_mode 1
		.amdhsa_fp16_overflow 0
		.amdhsa_workgroup_processor_mode 1
		.amdhsa_memory_ordered 1
		.amdhsa_forward_progress 1
		.amdhsa_shared_vgpr_count 0
		.amdhsa_exception_fp_ieee_invalid_op 0
		.amdhsa_exception_fp_denorm_src 0
		.amdhsa_exception_fp_ieee_div_zero 0
		.amdhsa_exception_fp_ieee_overflow 0
		.amdhsa_exception_fp_ieee_underflow 0
		.amdhsa_exception_fp_ieee_inexact 0
		.amdhsa_exception_int_div_zero 0
	.end_amdhsa_kernel
	.section	.text._ZN12_GLOBAL__N_121softmax_warp_backwardIN3c104HalfES2_fLi8ELb0ELb0ELi32EEEvPT0_PKT_S7_iiiPKb,"axG",@progbits,_ZN12_GLOBAL__N_121softmax_warp_backwardIN3c104HalfES2_fLi8ELb0ELb0ELi32EEEvPT0_PKT_S7_iiiPKb,comdat
.Lfunc_end587:
	.size	_ZN12_GLOBAL__N_121softmax_warp_backwardIN3c104HalfES2_fLi8ELb0ELb0ELi32EEEvPT0_PKT_S7_iiiPKb, .Lfunc_end587-_ZN12_GLOBAL__N_121softmax_warp_backwardIN3c104HalfES2_fLi8ELb0ELb0ELi32EEEvPT0_PKT_S7_iiiPKb
                                        ; -- End function
	.set _ZN12_GLOBAL__N_121softmax_warp_backwardIN3c104HalfES2_fLi8ELb0ELb0ELi32EEEvPT0_PKT_S7_iiiPKb.num_vgpr, 23
	.set _ZN12_GLOBAL__N_121softmax_warp_backwardIN3c104HalfES2_fLi8ELb0ELb0ELi32EEEvPT0_PKT_S7_iiiPKb.num_agpr, 0
	.set _ZN12_GLOBAL__N_121softmax_warp_backwardIN3c104HalfES2_fLi8ELb0ELb0ELi32EEEvPT0_PKT_S7_iiiPKb.numbered_sgpr, 16
	.set _ZN12_GLOBAL__N_121softmax_warp_backwardIN3c104HalfES2_fLi8ELb0ELb0ELi32EEEvPT0_PKT_S7_iiiPKb.num_named_barrier, 0
	.set _ZN12_GLOBAL__N_121softmax_warp_backwardIN3c104HalfES2_fLi8ELb0ELb0ELi32EEEvPT0_PKT_S7_iiiPKb.private_seg_size, 0
	.set _ZN12_GLOBAL__N_121softmax_warp_backwardIN3c104HalfES2_fLi8ELb0ELb0ELi32EEEvPT0_PKT_S7_iiiPKb.uses_vcc, 1
	.set _ZN12_GLOBAL__N_121softmax_warp_backwardIN3c104HalfES2_fLi8ELb0ELb0ELi32EEEvPT0_PKT_S7_iiiPKb.uses_flat_scratch, 0
	.set _ZN12_GLOBAL__N_121softmax_warp_backwardIN3c104HalfES2_fLi8ELb0ELb0ELi32EEEvPT0_PKT_S7_iiiPKb.has_dyn_sized_stack, 0
	.set _ZN12_GLOBAL__N_121softmax_warp_backwardIN3c104HalfES2_fLi8ELb0ELb0ELi32EEEvPT0_PKT_S7_iiiPKb.has_recursion, 0
	.set _ZN12_GLOBAL__N_121softmax_warp_backwardIN3c104HalfES2_fLi8ELb0ELb0ELi32EEEvPT0_PKT_S7_iiiPKb.has_indirect_call, 0
	.section	.AMDGPU.csdata,"",@progbits
; Kernel info:
; codeLenInByte = 1400
; TotalNumSgprs: 18
; NumVgprs: 23
; ScratchSize: 0
; MemoryBound: 0
; FloatMode: 240
; IeeeMode: 1
; LDSByteSize: 0 bytes/workgroup (compile time only)
; SGPRBlocks: 0
; VGPRBlocks: 2
; NumSGPRsForWavesPerEU: 18
; NumVGPRsForWavesPerEU: 23
; Occupancy: 16
; WaveLimiterHint : 0
; COMPUTE_PGM_RSRC2:SCRATCH_EN: 0
; COMPUTE_PGM_RSRC2:USER_SGPR: 6
; COMPUTE_PGM_RSRC2:TRAP_HANDLER: 0
; COMPUTE_PGM_RSRC2:TGID_X_EN: 1
; COMPUTE_PGM_RSRC2:TGID_Y_EN: 0
; COMPUTE_PGM_RSRC2:TGID_Z_EN: 0
; COMPUTE_PGM_RSRC2:TIDIG_COMP_CNT: 1
	.section	.text._ZN12_GLOBAL__N_121softmax_warp_backwardIN3c104HalfES2_fLi9ELb0ELb0ELi64EEEvPT0_PKT_S7_iiiPKb,"axG",@progbits,_ZN12_GLOBAL__N_121softmax_warp_backwardIN3c104HalfES2_fLi9ELb0ELb0ELi64EEEvPT0_PKT_S7_iiiPKb,comdat
	.globl	_ZN12_GLOBAL__N_121softmax_warp_backwardIN3c104HalfES2_fLi9ELb0ELb0ELi64EEEvPT0_PKT_S7_iiiPKb ; -- Begin function _ZN12_GLOBAL__N_121softmax_warp_backwardIN3c104HalfES2_fLi9ELb0ELb0ELi64EEEvPT0_PKT_S7_iiiPKb
	.p2align	8
	.type	_ZN12_GLOBAL__N_121softmax_warp_backwardIN3c104HalfES2_fLi9ELb0ELb0ELi64EEEvPT0_PKT_S7_iiiPKb,@function
_ZN12_GLOBAL__N_121softmax_warp_backwardIN3c104HalfES2_fLi9ELb0ELb0ELi64EEEvPT0_PKT_S7_iiiPKb: ; @_ZN12_GLOBAL__N_121softmax_warp_backwardIN3c104HalfES2_fLi9ELb0ELb0ELi64EEEvPT0_PKT_S7_iiiPKb
; %bb.0:
	s_clause 0x1
	s_load_dword s0, s[4:5], 0x3c
	s_load_dwordx4 s[12:15], s[4:5], 0x18
	v_and_b32_e32 v6, 63, v0
	s_clause 0x1
	s_load_dwordx4 s[8:11], s[4:5], 0x0
	s_load_dwordx2 s[4:5], s[4:5], 0x10
	v_mov_b32_e32 v11, 0
	v_mov_b32_e32 v12, 0
	s_waitcnt lgkmcnt(0)
	s_lshr_b32 s0, s0, 16
	v_cmp_gt_i32_e32 vcc_lo, s14, v6
	v_mad_u64_u32 v[1:2], null, s6, s0, v[1:2]
	v_mad_u64_u32 v[2:3], null, v1, s13, v[6:7]
	v_sub_nc_u32_e32 v10, s12, v1
	v_cmp_lt_i32_e64 s3, 0, v10
	v_ashrrev_i32_e32 v3, 31, v2
	s_and_b32 s1, s3, vcc_lo
	v_lshlrev_b64 v[0:1], 1, v[2:3]
	v_add_co_u32 v2, s0, s10, v0
	v_add_co_ci_u32_e64 v3, null, s11, v1, s0
	v_add_co_u32 v4, s0, s4, v0
	v_add_co_ci_u32_e64 v5, null, s5, v1, s0
	s_and_saveexec_b32 s0, s1
	s_cbranch_execz .LBB588_2
; %bb.1:
	global_load_ushort v7, v[2:3], off
	global_load_ushort v8, v[4:5], off
	s_waitcnt vmcnt(1)
	v_cvt_f32_f16_e32 v12, v7
	s_waitcnt vmcnt(0)
	v_cvt_f32_f16_e32 v11, v8
.LBB588_2:
	s_or_b32 exec_lo, exec_lo, s0
	v_or_b32_e32 v7, 64, v6
	v_cmp_gt_i32_e64 s0, s14, v7
	s_and_b32 s1, s3, s0
	s_xor_b32 s1, s1, -1
	s_and_saveexec_b32 s2, s1
	s_xor_b32 s1, exec_lo, s2
                                        ; implicit-def: $vgpr7
                                        ; implicit-def: $vgpr9
                                        ; implicit-def: $vgpr13
                                        ; implicit-def: $vgpr14
                                        ; implicit-def: $vgpr15
                                        ; implicit-def: $vgpr16
                                        ; implicit-def: $vgpr8
; %bb.3:
	s_mov_b32 s2, 0
                                        ; implicit-def: $vgpr7
                                        ; implicit-def: $vgpr9
                                        ; implicit-def: $vgpr13
                                        ; implicit-def: $vgpr14
                                        ; implicit-def: $vgpr15
                                        ; implicit-def: $vgpr8
	v_mov_b32_e32 v16, s2
; %bb.4:
	s_or_saveexec_b32 s1, s1
	v_mov_b32_e32 v17, 0
	s_xor_b32 exec_lo, exec_lo, s1
	s_cbranch_execz .LBB588_6
; %bb.5:
	global_load_ushort v16, v[2:3], off offset:128
	global_load_ushort v17, v[4:5], off offset:128
	s_waitcnt vmcnt(1)
	v_cvt_f32_f16_e32 v16, v16
	s_waitcnt vmcnt(0)
	v_cvt_f32_f16_e32 v17, v17
.LBB588_6:
	s_or_b32 exec_lo, exec_lo, s1
	v_or_b32_e32 v18, 0x80, v6
	v_cmp_gt_i32_e64 s1, s14, v18
	s_and_b32 s2, s3, s1
	s_xor_b32 s2, s2, -1
	s_and_saveexec_b32 s4, s2
	s_xor_b32 s2, exec_lo, s4
; %bb.7:
	s_mov_b32 s4, 0
	v_mov_b32_e32 v15, s4
; %bb.8:
	s_or_saveexec_b32 s2, s2
	v_mov_b32_e32 v18, 0
	s_xor_b32 exec_lo, exec_lo, s2
	s_cbranch_execz .LBB588_10
; %bb.9:
	global_load_ushort v15, v[2:3], off offset:256
	global_load_ushort v18, v[4:5], off offset:256
	s_waitcnt vmcnt(1)
	v_cvt_f32_f16_e32 v15, v15
	s_waitcnt vmcnt(0)
	v_cvt_f32_f16_e32 v18, v18
.LBB588_10:
	s_or_b32 exec_lo, exec_lo, s2
	v_or_b32_e32 v19, 0xc0, v6
	v_cmp_gt_i32_e64 s2, s14, v19
	s_and_b32 s4, s3, s2
	s_xor_b32 s4, s4, -1
	s_and_saveexec_b32 s5, s4
	s_xor_b32 s4, exec_lo, s5
; %bb.11:
	s_mov_b32 s5, 0
	;; [unrolled: 23-line block ×6, first 2 shown]
                                        ; implicit-def: $vgpr2_vgpr3
                                        ; implicit-def: $vgpr4_vgpr5
	v_mov_b32_e32 v8, s10
; %bb.28:
	s_or_saveexec_b32 s3, s3
	v_mov_b32_e32 v6, 0
	s_xor_b32 exec_lo, exec_lo, s3
	s_cbranch_execz .LBB588_30
; %bb.29:
	global_load_ushort v2, v[2:3], off offset:896
	global_load_ushort v3, v[4:5], off offset:896
	s_waitcnt vmcnt(1)
	v_cvt_f32_f16_e32 v8, v2
	s_waitcnt vmcnt(0)
	v_cvt_f32_f16_e32 v6, v3
.LBB588_30:
	s_or_b32 exec_lo, exec_lo, s3
	v_add_f32_e32 v2, 0, v12
	v_mbcnt_lo_u32_b32 v3, -1, 0
	s_mov_b32 s10, exec_lo
	v_add_f32_e32 v2, v2, v16
	v_or_b32_e32 v4, 32, v3
	v_xor_b32_e32 v5, 16, v3
	v_add_f32_e32 v2, v2, v15
	v_cmp_gt_i32_e64 s3, 64, v4
	v_add_f32_e32 v2, v2, v14
	v_cndmask_b32_e64 v4, v3, v4, s3
	v_cmp_gt_i32_e64 s3, 64, v5
	v_add_f32_e32 v2, v2, v13
	v_lshlrev_b32_e32 v4, 2, v4
	v_cndmask_b32_e64 v5, v3, v5, s3
	v_add_f32_e32 v2, v2, v9
	v_lshlrev_b32_e32 v5, 2, v5
	v_add_f32_e32 v2, v2, v7
	v_add_f32_e32 v2, v2, v8
	ds_bpermute_b32 v4, v4, v2
	s_waitcnt lgkmcnt(0)
	v_add_f32_e32 v2, v2, v4
	ds_bpermute_b32 v4, v5, v2
	v_xor_b32_e32 v5, 8, v3
	v_cmp_gt_i32_e64 s3, 64, v5
	v_cndmask_b32_e64 v5, v3, v5, s3
	v_lshlrev_b32_e32 v5, 2, v5
	s_waitcnt lgkmcnt(0)
	v_add_f32_e32 v2, v2, v4
	ds_bpermute_b32 v4, v5, v2
	v_xor_b32_e32 v5, 4, v3
	v_cmp_gt_i32_e64 s3, 64, v5
	v_cndmask_b32_e64 v5, v3, v5, s3
	v_lshlrev_b32_e32 v5, 2, v5
	;; [unrolled: 7-line block ×4, first 2 shown]
	s_waitcnt lgkmcnt(0)
	v_add_f32_e32 v2, v2, v4
	ds_bpermute_b32 v3, v3, v2
	v_cmpx_lt_i32_e32 0, v10
	s_cbranch_execz .LBB588_40
; %bb.31:
	v_add_co_u32 v0, s3, s8, v0
	v_add_co_ci_u32_e64 v1, null, s9, v1, s3
	s_waitcnt lgkmcnt(0)
	v_add_f32_e32 v2, v2, v3
	s_and_saveexec_b32 s3, vcc_lo
	s_cbranch_execnz .LBB588_41
; %bb.32:
	s_or_b32 exec_lo, exec_lo, s3
	s_and_saveexec_b32 s3, s0
	s_cbranch_execnz .LBB588_42
.LBB588_33:
	s_or_b32 exec_lo, exec_lo, s3
	s_and_saveexec_b32 s0, s1
	s_cbranch_execnz .LBB588_43
.LBB588_34:
	s_or_b32 exec_lo, exec_lo, s0
	s_and_saveexec_b32 s0, s2
	s_cbranch_execnz .LBB588_44
.LBB588_35:
	s_or_b32 exec_lo, exec_lo, s0
	s_and_saveexec_b32 s0, s4
	s_cbranch_execnz .LBB588_45
.LBB588_36:
	s_or_b32 exec_lo, exec_lo, s0
	s_and_saveexec_b32 s0, s5
	s_cbranch_execnz .LBB588_46
.LBB588_37:
	s_or_b32 exec_lo, exec_lo, s0
	s_and_saveexec_b32 s0, s6
	s_cbranch_execnz .LBB588_47
.LBB588_38:
	s_or_b32 exec_lo, exec_lo, s0
	s_and_b32 exec_lo, exec_lo, s7
	s_cbranch_execz .LBB588_40
.LBB588_39:
	v_fma_mixlo_f16 v2, -v2, v6, v8
	global_store_short v[0:1], v2, off offset:896
.LBB588_40:
	s_endpgm
.LBB588_41:
	v_fma_mixlo_f16 v3, -v2, v11, v12
	global_store_short v[0:1], v3, off
	s_or_b32 exec_lo, exec_lo, s3
	s_and_saveexec_b32 s3, s0
	s_cbranch_execz .LBB588_33
.LBB588_42:
	v_fma_mixlo_f16 v3, -v2, v17, v16
	global_store_short v[0:1], v3, off offset:128
	s_or_b32 exec_lo, exec_lo, s3
	s_and_saveexec_b32 s0, s1
	s_cbranch_execz .LBB588_34
.LBB588_43:
	v_fma_mixlo_f16 v3, -v2, v18, v15
	global_store_short v[0:1], v3, off offset:256
	s_or_b32 exec_lo, exec_lo, s0
	s_and_saveexec_b32 s0, s2
	s_cbranch_execz .LBB588_35
.LBB588_44:
	v_fma_mixlo_f16 v3, -v2, v19, v14
	global_store_short v[0:1], v3, off offset:384
	s_or_b32 exec_lo, exec_lo, s0
	s_and_saveexec_b32 s0, s4
	s_cbranch_execz .LBB588_36
.LBB588_45:
	v_fma_mixlo_f16 v3, -v2, v20, v13
	global_store_short v[0:1], v3, off offset:512
	s_or_b32 exec_lo, exec_lo, s0
	s_and_saveexec_b32 s0, s5
	s_cbranch_execz .LBB588_37
.LBB588_46:
	v_fma_mixlo_f16 v3, -v2, v21, v9
	global_store_short v[0:1], v3, off offset:640
	s_or_b32 exec_lo, exec_lo, s0
	s_and_saveexec_b32 s0, s6
	s_cbranch_execz .LBB588_38
.LBB588_47:
	v_fma_mixlo_f16 v3, -v2, v22, v7
	global_store_short v[0:1], v3, off offset:768
	s_or_b32 exec_lo, exec_lo, s0
	s_and_b32 exec_lo, exec_lo, s7
	s_cbranch_execnz .LBB588_39
	s_branch .LBB588_40
	.section	.rodata,"a",@progbits
	.p2align	6, 0x0
	.amdhsa_kernel _ZN12_GLOBAL__N_121softmax_warp_backwardIN3c104HalfES2_fLi9ELb0ELb0ELi64EEEvPT0_PKT_S7_iiiPKb
		.amdhsa_group_segment_fixed_size 0
		.amdhsa_private_segment_fixed_size 0
		.amdhsa_kernarg_size 304
		.amdhsa_user_sgpr_count 6
		.amdhsa_user_sgpr_private_segment_buffer 1
		.amdhsa_user_sgpr_dispatch_ptr 0
		.amdhsa_user_sgpr_queue_ptr 0
		.amdhsa_user_sgpr_kernarg_segment_ptr 1
		.amdhsa_user_sgpr_dispatch_id 0
		.amdhsa_user_sgpr_flat_scratch_init 0
		.amdhsa_user_sgpr_private_segment_size 0
		.amdhsa_wavefront_size32 1
		.amdhsa_uses_dynamic_stack 0
		.amdhsa_system_sgpr_private_segment_wavefront_offset 0
		.amdhsa_system_sgpr_workgroup_id_x 1
		.amdhsa_system_sgpr_workgroup_id_y 0
		.amdhsa_system_sgpr_workgroup_id_z 0
		.amdhsa_system_sgpr_workgroup_info 0
		.amdhsa_system_vgpr_workitem_id 1
		.amdhsa_next_free_vgpr 23
		.amdhsa_next_free_sgpr 16
		.amdhsa_reserve_vcc 1
		.amdhsa_reserve_flat_scratch 0
		.amdhsa_float_round_mode_32 0
		.amdhsa_float_round_mode_16_64 0
		.amdhsa_float_denorm_mode_32 3
		.amdhsa_float_denorm_mode_16_64 3
		.amdhsa_dx10_clamp 1
		.amdhsa_ieee_mode 1
		.amdhsa_fp16_overflow 0
		.amdhsa_workgroup_processor_mode 1
		.amdhsa_memory_ordered 1
		.amdhsa_forward_progress 1
		.amdhsa_shared_vgpr_count 0
		.amdhsa_exception_fp_ieee_invalid_op 0
		.amdhsa_exception_fp_denorm_src 0
		.amdhsa_exception_fp_ieee_div_zero 0
		.amdhsa_exception_fp_ieee_overflow 0
		.amdhsa_exception_fp_ieee_underflow 0
		.amdhsa_exception_fp_ieee_inexact 0
		.amdhsa_exception_int_div_zero 0
	.end_amdhsa_kernel
	.section	.text._ZN12_GLOBAL__N_121softmax_warp_backwardIN3c104HalfES2_fLi9ELb0ELb0ELi64EEEvPT0_PKT_S7_iiiPKb,"axG",@progbits,_ZN12_GLOBAL__N_121softmax_warp_backwardIN3c104HalfES2_fLi9ELb0ELb0ELi64EEEvPT0_PKT_S7_iiiPKb,comdat
.Lfunc_end588:
	.size	_ZN12_GLOBAL__N_121softmax_warp_backwardIN3c104HalfES2_fLi9ELb0ELb0ELi64EEEvPT0_PKT_S7_iiiPKb, .Lfunc_end588-_ZN12_GLOBAL__N_121softmax_warp_backwardIN3c104HalfES2_fLi9ELb0ELb0ELi64EEEvPT0_PKT_S7_iiiPKb
                                        ; -- End function
	.set _ZN12_GLOBAL__N_121softmax_warp_backwardIN3c104HalfES2_fLi9ELb0ELb0ELi64EEEvPT0_PKT_S7_iiiPKb.num_vgpr, 23
	.set _ZN12_GLOBAL__N_121softmax_warp_backwardIN3c104HalfES2_fLi9ELb0ELb0ELi64EEEvPT0_PKT_S7_iiiPKb.num_agpr, 0
	.set _ZN12_GLOBAL__N_121softmax_warp_backwardIN3c104HalfES2_fLi9ELb0ELb0ELi64EEEvPT0_PKT_S7_iiiPKb.numbered_sgpr, 16
	.set _ZN12_GLOBAL__N_121softmax_warp_backwardIN3c104HalfES2_fLi9ELb0ELb0ELi64EEEvPT0_PKT_S7_iiiPKb.num_named_barrier, 0
	.set _ZN12_GLOBAL__N_121softmax_warp_backwardIN3c104HalfES2_fLi9ELb0ELb0ELi64EEEvPT0_PKT_S7_iiiPKb.private_seg_size, 0
	.set _ZN12_GLOBAL__N_121softmax_warp_backwardIN3c104HalfES2_fLi9ELb0ELb0ELi64EEEvPT0_PKT_S7_iiiPKb.uses_vcc, 1
	.set _ZN12_GLOBAL__N_121softmax_warp_backwardIN3c104HalfES2_fLi9ELb0ELb0ELi64EEEvPT0_PKT_S7_iiiPKb.uses_flat_scratch, 0
	.set _ZN12_GLOBAL__N_121softmax_warp_backwardIN3c104HalfES2_fLi9ELb0ELb0ELi64EEEvPT0_PKT_S7_iiiPKb.has_dyn_sized_stack, 0
	.set _ZN12_GLOBAL__N_121softmax_warp_backwardIN3c104HalfES2_fLi9ELb0ELb0ELi64EEEvPT0_PKT_S7_iiiPKb.has_recursion, 0
	.set _ZN12_GLOBAL__N_121softmax_warp_backwardIN3c104HalfES2_fLi9ELb0ELb0ELi64EEEvPT0_PKT_S7_iiiPKb.has_indirect_call, 0
	.section	.AMDGPU.csdata,"",@progbits
; Kernel info:
; codeLenInByte = 1444
; TotalNumSgprs: 18
; NumVgprs: 23
; ScratchSize: 0
; MemoryBound: 0
; FloatMode: 240
; IeeeMode: 1
; LDSByteSize: 0 bytes/workgroup (compile time only)
; SGPRBlocks: 0
; VGPRBlocks: 2
; NumSGPRsForWavesPerEU: 18
; NumVGPRsForWavesPerEU: 23
; Occupancy: 16
; WaveLimiterHint : 0
; COMPUTE_PGM_RSRC2:SCRATCH_EN: 0
; COMPUTE_PGM_RSRC2:USER_SGPR: 6
; COMPUTE_PGM_RSRC2:TRAP_HANDLER: 0
; COMPUTE_PGM_RSRC2:TGID_X_EN: 1
; COMPUTE_PGM_RSRC2:TGID_Y_EN: 0
; COMPUTE_PGM_RSRC2:TGID_Z_EN: 0
; COMPUTE_PGM_RSRC2:TIDIG_COMP_CNT: 1
	.section	.text._ZN12_GLOBAL__N_121softmax_warp_backwardIN3c104HalfES2_fLi9ELb0ELb0ELi32EEEvPT0_PKT_S7_iiiPKb,"axG",@progbits,_ZN12_GLOBAL__N_121softmax_warp_backwardIN3c104HalfES2_fLi9ELb0ELb0ELi32EEEvPT0_PKT_S7_iiiPKb,comdat
	.globl	_ZN12_GLOBAL__N_121softmax_warp_backwardIN3c104HalfES2_fLi9ELb0ELb0ELi32EEEvPT0_PKT_S7_iiiPKb ; -- Begin function _ZN12_GLOBAL__N_121softmax_warp_backwardIN3c104HalfES2_fLi9ELb0ELb0ELi32EEEvPT0_PKT_S7_iiiPKb
	.p2align	8
	.type	_ZN12_GLOBAL__N_121softmax_warp_backwardIN3c104HalfES2_fLi9ELb0ELb0ELi32EEEvPT0_PKT_S7_iiiPKb,@function
_ZN12_GLOBAL__N_121softmax_warp_backwardIN3c104HalfES2_fLi9ELb0ELb0ELi32EEEvPT0_PKT_S7_iiiPKb: ; @_ZN12_GLOBAL__N_121softmax_warp_backwardIN3c104HalfES2_fLi9ELb0ELb0ELi32EEEvPT0_PKT_S7_iiiPKb
; %bb.0:
	s_clause 0x1
	s_load_dword s0, s[4:5], 0x3c
	s_load_dwordx4 s[20:23], s[4:5], 0x18
	v_and_b32_e32 v6, 31, v0
	s_clause 0x1
	s_load_dwordx4 s[16:19], s[4:5], 0x0
	s_load_dwordx2 s[4:5], s[4:5], 0x10
	v_mov_b32_e32 v17, 0
	v_mov_b32_e32 v19, 0
	s_waitcnt lgkmcnt(0)
	s_lshr_b32 s0, s0, 16
	v_cmp_gt_i32_e32 vcc_lo, s22, v6
	v_mad_u64_u32 v[1:2], null, s6, s0, v[1:2]
	v_mad_u64_u32 v[2:3], null, v1, s21, v[6:7]
	v_sub_nc_u32_e32 v16, s20, v1
	v_cmp_lt_i32_e64 s3, 0, v16
	v_ashrrev_i32_e32 v3, 31, v2
	s_and_b32 s1, s3, vcc_lo
	v_lshlrev_b64 v[0:1], 1, v[2:3]
	v_add_co_u32 v2, s0, s18, v0
	v_add_co_ci_u32_e64 v3, null, s19, v1, s0
	v_add_co_u32 v4, s0, s4, v0
	v_add_co_ci_u32_e64 v5, null, s5, v1, s0
	s_and_saveexec_b32 s0, s1
	s_cbranch_execz .LBB589_2
; %bb.1:
	global_load_ushort v7, v[2:3], off
	global_load_ushort v8, v[4:5], off
	s_waitcnt vmcnt(1)
	v_cvt_f32_f16_e32 v19, v7
	s_waitcnt vmcnt(0)
	v_cvt_f32_f16_e32 v17, v8
.LBB589_2:
	s_or_b32 exec_lo, exec_lo, s0
	v_or_b32_e32 v7, 32, v6
	v_cmp_gt_i32_e64 s0, s22, v7
	s_and_b32 s1, s3, s0
	s_xor_b32 s1, s1, -1
	s_and_saveexec_b32 s2, s1
	s_xor_b32 s1, exec_lo, s2
                                        ; implicit-def: $vgpr7
                                        ; implicit-def: $vgpr8
                                        ; implicit-def: $vgpr10
                                        ; implicit-def: $vgpr11
                                        ; implicit-def: $vgpr12
                                        ; implicit-def: $vgpr13
                                        ; implicit-def: $vgpr14
                                        ; implicit-def: $vgpr15
                                        ; implicit-def: $vgpr18
                                        ; implicit-def: $vgpr20
                                        ; implicit-def: $vgpr21
                                        ; implicit-def: $vgpr22
                                        ; implicit-def: $vgpr24
                                        ; implicit-def: $vgpr23
                                        ; implicit-def: $vgpr9
; %bb.3:
	s_mov_b32 s2, 0
                                        ; implicit-def: $vgpr7
                                        ; implicit-def: $vgpr8
                                        ; implicit-def: $vgpr10
                                        ; implicit-def: $vgpr11
                                        ; implicit-def: $vgpr12
                                        ; implicit-def: $vgpr13
                                        ; implicit-def: $vgpr14
                                        ; implicit-def: $vgpr15
                                        ; implicit-def: $vgpr18
                                        ; implicit-def: $vgpr20
                                        ; implicit-def: $vgpr21
                                        ; implicit-def: $vgpr22
                                        ; implicit-def: $vgpr24
                                        ; implicit-def: $vgpr9
	v_mov_b32_e32 v23, s2
; %bb.4:
	s_or_saveexec_b32 s1, s1
	v_mov_b32_e32 v25, 0
	s_xor_b32 exec_lo, exec_lo, s1
	s_cbranch_execz .LBB589_6
; %bb.5:
	global_load_ushort v23, v[2:3], off offset:64
	global_load_ushort v25, v[4:5], off offset:64
	s_waitcnt vmcnt(1)
	v_cvt_f32_f16_e32 v23, v23
	s_waitcnt vmcnt(0)
	v_cvt_f32_f16_e32 v25, v25
.LBB589_6:
	s_or_b32 exec_lo, exec_lo, s1
	v_or_b32_e32 v26, 64, v6
	v_cmp_gt_i32_e64 s1, s22, v26
	s_and_b32 s2, s3, s1
	s_xor_b32 s2, s2, -1
	s_and_saveexec_b32 s4, s2
	s_xor_b32 s2, exec_lo, s4
; %bb.7:
	s_mov_b32 s4, 0
	v_mov_b32_e32 v24, s4
; %bb.8:
	s_or_saveexec_b32 s2, s2
	v_mov_b32_e32 v26, 0
	s_xor_b32 exec_lo, exec_lo, s2
	s_cbranch_execz .LBB589_10
; %bb.9:
	global_load_ushort v24, v[2:3], off offset:128
	global_load_ushort v26, v[4:5], off offset:128
	s_waitcnt vmcnt(1)
	v_cvt_f32_f16_e32 v24, v24
	s_waitcnt vmcnt(0)
	v_cvt_f32_f16_e32 v26, v26
.LBB589_10:
	s_or_b32 exec_lo, exec_lo, s2
	v_or_b32_e32 v27, 0x60, v6
	v_cmp_gt_i32_e64 s2, s22, v27
	s_and_b32 s4, s3, s2
	s_xor_b32 s4, s4, -1
	s_and_saveexec_b32 s5, s4
	s_xor_b32 s4, exec_lo, s5
; %bb.11:
	s_mov_b32 s5, 0
	;; [unrolled: 23-line block ×14, first 2 shown]
                                        ; implicit-def: $vgpr2_vgpr3
                                        ; implicit-def: $vgpr4_vgpr5
	v_mov_b32_e32 v9, s18
; %bb.60:
	s_or_saveexec_b32 s3, s3
	v_mov_b32_e32 v6, 0
	s_xor_b32 exec_lo, exec_lo, s3
	s_cbranch_execz .LBB589_62
; %bb.61:
	global_load_ushort v2, v[2:3], off offset:960
	global_load_ushort v3, v[4:5], off offset:960
	s_waitcnt vmcnt(1)
	v_cvt_f32_f16_e32 v9, v2
	s_waitcnt vmcnt(0)
	v_cvt_f32_f16_e32 v6, v3
.LBB589_62:
	s_or_b32 exec_lo, exec_lo, s3
	v_add_f32_e32 v2, 0, v19
	v_mbcnt_lo_u32_b32 v3, -1, 0
	s_mov_b32 s18, exec_lo
	v_add_f32_e32 v2, v2, v23
	v_xor_b32_e32 v4, 16, v3
	v_xor_b32_e32 v5, 8, v3
	v_add_f32_e32 v2, v2, v24
	v_cmp_gt_i32_e64 s3, 32, v4
	v_add_f32_e32 v2, v2, v22
	v_cndmask_b32_e64 v4, v3, v4, s3
	v_cmp_gt_i32_e64 s3, 32, v5
	v_add_f32_e32 v2, v2, v21
	v_lshlrev_b32_e32 v4, 2, v4
	v_cndmask_b32_e64 v5, v3, v5, s3
	v_add_f32_e32 v2, v2, v20
	v_lshlrev_b32_e32 v5, 2, v5
	v_add_f32_e32 v2, v2, v18
	v_add_f32_e32 v2, v2, v15
	;; [unrolled: 1-line block ×10, first 2 shown]
	ds_bpermute_b32 v4, v4, v2
	s_waitcnt lgkmcnt(0)
	v_add_f32_e32 v2, v2, v4
	ds_bpermute_b32 v4, v5, v2
	v_xor_b32_e32 v5, 4, v3
	v_cmp_gt_i32_e64 s3, 32, v5
	v_cndmask_b32_e64 v5, v3, v5, s3
	v_lshlrev_b32_e32 v5, 2, v5
	s_waitcnt lgkmcnt(0)
	v_add_f32_e32 v2, v2, v4
	ds_bpermute_b32 v4, v5, v2
	v_xor_b32_e32 v5, 2, v3
	v_cmp_gt_i32_e64 s3, 32, v5
	v_cndmask_b32_e64 v5, v3, v5, s3
	v_lshlrev_b32_e32 v5, 2, v5
	;; [unrolled: 7-line block ×3, first 2 shown]
	s_waitcnt lgkmcnt(0)
	v_add_f32_e32 v2, v2, v4
	ds_bpermute_b32 v3, v3, v2
	v_cmpx_lt_i32_e32 0, v16
	s_cbranch_execz .LBB589_80
; %bb.63:
	v_add_co_u32 v0, s3, s16, v0
	v_add_co_ci_u32_e64 v1, null, s17, v1, s3
	s_waitcnt lgkmcnt(0)
	v_add_f32_e32 v2, v2, v3
	s_and_saveexec_b32 s3, vcc_lo
	s_cbranch_execnz .LBB589_81
; %bb.64:
	s_or_b32 exec_lo, exec_lo, s3
	s_and_saveexec_b32 s3, s0
	s_cbranch_execnz .LBB589_82
.LBB589_65:
	s_or_b32 exec_lo, exec_lo, s3
	s_and_saveexec_b32 s0, s1
	s_cbranch_execnz .LBB589_83
.LBB589_66:
	s_or_b32 exec_lo, exec_lo, s0
	s_and_saveexec_b32 s0, s2
	s_cbranch_execnz .LBB589_84
.LBB589_67:
	s_or_b32 exec_lo, exec_lo, s0
	s_and_saveexec_b32 s0, s4
	s_cbranch_execnz .LBB589_85
.LBB589_68:
	s_or_b32 exec_lo, exec_lo, s0
	s_and_saveexec_b32 s0, s5
	s_cbranch_execnz .LBB589_86
.LBB589_69:
	s_or_b32 exec_lo, exec_lo, s0
	s_and_saveexec_b32 s0, s6
	s_cbranch_execnz .LBB589_87
.LBB589_70:
	s_or_b32 exec_lo, exec_lo, s0
	s_and_saveexec_b32 s0, s7
	s_cbranch_execnz .LBB589_88
.LBB589_71:
	s_or_b32 exec_lo, exec_lo, s0
	s_and_saveexec_b32 s0, s8
	s_cbranch_execnz .LBB589_89
.LBB589_72:
	s_or_b32 exec_lo, exec_lo, s0
	s_and_saveexec_b32 s0, s9
	s_cbranch_execnz .LBB589_90
.LBB589_73:
	s_or_b32 exec_lo, exec_lo, s0
	s_and_saveexec_b32 s0, s10
	s_cbranch_execnz .LBB589_91
.LBB589_74:
	s_or_b32 exec_lo, exec_lo, s0
	s_and_saveexec_b32 s0, s11
	s_cbranch_execnz .LBB589_92
.LBB589_75:
	s_or_b32 exec_lo, exec_lo, s0
	s_and_saveexec_b32 s0, s12
	s_cbranch_execnz .LBB589_93
.LBB589_76:
	s_or_b32 exec_lo, exec_lo, s0
	s_and_saveexec_b32 s0, s13
	s_cbranch_execnz .LBB589_94
.LBB589_77:
	s_or_b32 exec_lo, exec_lo, s0
	s_and_saveexec_b32 s0, s14
	s_cbranch_execnz .LBB589_95
.LBB589_78:
	s_or_b32 exec_lo, exec_lo, s0
	s_and_b32 exec_lo, exec_lo, s15
	s_cbranch_execz .LBB589_80
.LBB589_79:
	v_fma_mixlo_f16 v2, -v2, v6, v9
	global_store_short v[0:1], v2, off offset:960
.LBB589_80:
	s_endpgm
.LBB589_81:
	v_fma_mixlo_f16 v3, -v2, v17, v19
	global_store_short v[0:1], v3, off
	s_or_b32 exec_lo, exec_lo, s3
	s_and_saveexec_b32 s3, s0
	s_cbranch_execz .LBB589_65
.LBB589_82:
	v_fma_mixlo_f16 v3, -v2, v25, v23
	global_store_short v[0:1], v3, off offset:64
	s_or_b32 exec_lo, exec_lo, s3
	s_and_saveexec_b32 s0, s1
	s_cbranch_execz .LBB589_66
.LBB589_83:
	v_fma_mixlo_f16 v3, -v2, v26, v24
	global_store_short v[0:1], v3, off offset:128
	s_or_b32 exec_lo, exec_lo, s0
	s_and_saveexec_b32 s0, s2
	s_cbranch_execz .LBB589_67
.LBB589_84:
	v_fma_mixlo_f16 v3, -v2, v27, v22
	global_store_short v[0:1], v3, off offset:192
	s_or_b32 exec_lo, exec_lo, s0
	s_and_saveexec_b32 s0, s4
	s_cbranch_execz .LBB589_68
.LBB589_85:
	v_fma_mixlo_f16 v3, -v2, v28, v21
	global_store_short v[0:1], v3, off offset:256
	s_or_b32 exec_lo, exec_lo, s0
	s_and_saveexec_b32 s0, s5
	s_cbranch_execz .LBB589_69
.LBB589_86:
	v_fma_mixlo_f16 v3, -v2, v29, v20
	global_store_short v[0:1], v3, off offset:320
	s_or_b32 exec_lo, exec_lo, s0
	s_and_saveexec_b32 s0, s6
	s_cbranch_execz .LBB589_70
.LBB589_87:
	v_fma_mixlo_f16 v3, -v2, v30, v18
	global_store_short v[0:1], v3, off offset:384
	s_or_b32 exec_lo, exec_lo, s0
	s_and_saveexec_b32 s0, s7
	s_cbranch_execz .LBB589_71
.LBB589_88:
	v_fma_mixlo_f16 v3, -v2, v31, v15
	global_store_short v[0:1], v3, off offset:448
	s_or_b32 exec_lo, exec_lo, s0
	s_and_saveexec_b32 s0, s8
	s_cbranch_execz .LBB589_72
.LBB589_89:
	v_fma_mixlo_f16 v3, -v2, v32, v14
	global_store_short v[0:1], v3, off offset:512
	s_or_b32 exec_lo, exec_lo, s0
	s_and_saveexec_b32 s0, s9
	s_cbranch_execz .LBB589_73
.LBB589_90:
	v_fma_mixlo_f16 v3, -v2, v33, v13
	global_store_short v[0:1], v3, off offset:576
	s_or_b32 exec_lo, exec_lo, s0
	s_and_saveexec_b32 s0, s10
	s_cbranch_execz .LBB589_74
.LBB589_91:
	v_fma_mixlo_f16 v3, -v2, v34, v12
	global_store_short v[0:1], v3, off offset:640
	s_or_b32 exec_lo, exec_lo, s0
	s_and_saveexec_b32 s0, s11
	s_cbranch_execz .LBB589_75
.LBB589_92:
	v_fma_mixlo_f16 v3, -v2, v35, v11
	global_store_short v[0:1], v3, off offset:704
	s_or_b32 exec_lo, exec_lo, s0
	s_and_saveexec_b32 s0, s12
	s_cbranch_execz .LBB589_76
.LBB589_93:
	v_fma_mixlo_f16 v3, -v2, v36, v10
	global_store_short v[0:1], v3, off offset:768
	s_or_b32 exec_lo, exec_lo, s0
	s_and_saveexec_b32 s0, s13
	s_cbranch_execz .LBB589_77
.LBB589_94:
	v_fma_mixlo_f16 v3, -v2, v37, v8
	global_store_short v[0:1], v3, off offset:832
	s_or_b32 exec_lo, exec_lo, s0
	s_and_saveexec_b32 s0, s14
	s_cbranch_execz .LBB589_78
.LBB589_95:
	v_fma_mixlo_f16 v3, -v2, v38, v7
	global_store_short v[0:1], v3, off offset:896
	s_or_b32 exec_lo, exec_lo, s0
	s_and_b32 exec_lo, exec_lo, s15
	s_cbranch_execnz .LBB589_79
	s_branch .LBB589_80
	.section	.rodata,"a",@progbits
	.p2align	6, 0x0
	.amdhsa_kernel _ZN12_GLOBAL__N_121softmax_warp_backwardIN3c104HalfES2_fLi9ELb0ELb0ELi32EEEvPT0_PKT_S7_iiiPKb
		.amdhsa_group_segment_fixed_size 0
		.amdhsa_private_segment_fixed_size 0
		.amdhsa_kernarg_size 304
		.amdhsa_user_sgpr_count 6
		.amdhsa_user_sgpr_private_segment_buffer 1
		.amdhsa_user_sgpr_dispatch_ptr 0
		.amdhsa_user_sgpr_queue_ptr 0
		.amdhsa_user_sgpr_kernarg_segment_ptr 1
		.amdhsa_user_sgpr_dispatch_id 0
		.amdhsa_user_sgpr_flat_scratch_init 0
		.amdhsa_user_sgpr_private_segment_size 0
		.amdhsa_wavefront_size32 1
		.amdhsa_uses_dynamic_stack 0
		.amdhsa_system_sgpr_private_segment_wavefront_offset 0
		.amdhsa_system_sgpr_workgroup_id_x 1
		.amdhsa_system_sgpr_workgroup_id_y 0
		.amdhsa_system_sgpr_workgroup_id_z 0
		.amdhsa_system_sgpr_workgroup_info 0
		.amdhsa_system_vgpr_workitem_id 1
		.amdhsa_next_free_vgpr 39
		.amdhsa_next_free_sgpr 24
		.amdhsa_reserve_vcc 1
		.amdhsa_reserve_flat_scratch 0
		.amdhsa_float_round_mode_32 0
		.amdhsa_float_round_mode_16_64 0
		.amdhsa_float_denorm_mode_32 3
		.amdhsa_float_denorm_mode_16_64 3
		.amdhsa_dx10_clamp 1
		.amdhsa_ieee_mode 1
		.amdhsa_fp16_overflow 0
		.amdhsa_workgroup_processor_mode 1
		.amdhsa_memory_ordered 1
		.amdhsa_forward_progress 1
		.amdhsa_shared_vgpr_count 0
		.amdhsa_exception_fp_ieee_invalid_op 0
		.amdhsa_exception_fp_denorm_src 0
		.amdhsa_exception_fp_ieee_div_zero 0
		.amdhsa_exception_fp_ieee_overflow 0
		.amdhsa_exception_fp_ieee_underflow 0
		.amdhsa_exception_fp_ieee_inexact 0
		.amdhsa_exception_int_div_zero 0
	.end_amdhsa_kernel
	.section	.text._ZN12_GLOBAL__N_121softmax_warp_backwardIN3c104HalfES2_fLi9ELb0ELb0ELi32EEEvPT0_PKT_S7_iiiPKb,"axG",@progbits,_ZN12_GLOBAL__N_121softmax_warp_backwardIN3c104HalfES2_fLi9ELb0ELb0ELi32EEEvPT0_PKT_S7_iiiPKb,comdat
.Lfunc_end589:
	.size	_ZN12_GLOBAL__N_121softmax_warp_backwardIN3c104HalfES2_fLi9ELb0ELb0ELi32EEEvPT0_PKT_S7_iiiPKb, .Lfunc_end589-_ZN12_GLOBAL__N_121softmax_warp_backwardIN3c104HalfES2_fLi9ELb0ELb0ELi32EEEvPT0_PKT_S7_iiiPKb
                                        ; -- End function
	.set _ZN12_GLOBAL__N_121softmax_warp_backwardIN3c104HalfES2_fLi9ELb0ELb0ELi32EEEvPT0_PKT_S7_iiiPKb.num_vgpr, 39
	.set _ZN12_GLOBAL__N_121softmax_warp_backwardIN3c104HalfES2_fLi9ELb0ELb0ELi32EEEvPT0_PKT_S7_iiiPKb.num_agpr, 0
	.set _ZN12_GLOBAL__N_121softmax_warp_backwardIN3c104HalfES2_fLi9ELb0ELb0ELi32EEEvPT0_PKT_S7_iiiPKb.numbered_sgpr, 24
	.set _ZN12_GLOBAL__N_121softmax_warp_backwardIN3c104HalfES2_fLi9ELb0ELb0ELi32EEEvPT0_PKT_S7_iiiPKb.num_named_barrier, 0
	.set _ZN12_GLOBAL__N_121softmax_warp_backwardIN3c104HalfES2_fLi9ELb0ELb0ELi32EEEvPT0_PKT_S7_iiiPKb.private_seg_size, 0
	.set _ZN12_GLOBAL__N_121softmax_warp_backwardIN3c104HalfES2_fLi9ELb0ELb0ELi32EEEvPT0_PKT_S7_iiiPKb.uses_vcc, 1
	.set _ZN12_GLOBAL__N_121softmax_warp_backwardIN3c104HalfES2_fLi9ELb0ELb0ELi32EEEvPT0_PKT_S7_iiiPKb.uses_flat_scratch, 0
	.set _ZN12_GLOBAL__N_121softmax_warp_backwardIN3c104HalfES2_fLi9ELb0ELb0ELi32EEEvPT0_PKT_S7_iiiPKb.has_dyn_sized_stack, 0
	.set _ZN12_GLOBAL__N_121softmax_warp_backwardIN3c104HalfES2_fLi9ELb0ELb0ELi32EEEvPT0_PKT_S7_iiiPKb.has_recursion, 0
	.set _ZN12_GLOBAL__N_121softmax_warp_backwardIN3c104HalfES2_fLi9ELb0ELb0ELi32EEEvPT0_PKT_S7_iiiPKb.has_indirect_call, 0
	.section	.AMDGPU.csdata,"",@progbits
; Kernel info:
; codeLenInByte = 2488
; TotalNumSgprs: 26
; NumVgprs: 39
; ScratchSize: 0
; MemoryBound: 0
; FloatMode: 240
; IeeeMode: 1
; LDSByteSize: 0 bytes/workgroup (compile time only)
; SGPRBlocks: 0
; VGPRBlocks: 4
; NumSGPRsForWavesPerEU: 26
; NumVGPRsForWavesPerEU: 39
; Occupancy: 16
; WaveLimiterHint : 0
; COMPUTE_PGM_RSRC2:SCRATCH_EN: 0
; COMPUTE_PGM_RSRC2:USER_SGPR: 6
; COMPUTE_PGM_RSRC2:TRAP_HANDLER: 0
; COMPUTE_PGM_RSRC2:TGID_X_EN: 1
; COMPUTE_PGM_RSRC2:TGID_Y_EN: 0
; COMPUTE_PGM_RSRC2:TGID_Z_EN: 0
; COMPUTE_PGM_RSRC2:TIDIG_COMP_CNT: 1
	.section	.text._ZN12_GLOBAL__N_121softmax_warp_backwardIN3c104HalfES2_fLi10ELb0ELb0ELi64EEEvPT0_PKT_S7_iiiPKb,"axG",@progbits,_ZN12_GLOBAL__N_121softmax_warp_backwardIN3c104HalfES2_fLi10ELb0ELb0ELi64EEEvPT0_PKT_S7_iiiPKb,comdat
	.globl	_ZN12_GLOBAL__N_121softmax_warp_backwardIN3c104HalfES2_fLi10ELb0ELb0ELi64EEEvPT0_PKT_S7_iiiPKb ; -- Begin function _ZN12_GLOBAL__N_121softmax_warp_backwardIN3c104HalfES2_fLi10ELb0ELb0ELi64EEEvPT0_PKT_S7_iiiPKb
	.p2align	8
	.type	_ZN12_GLOBAL__N_121softmax_warp_backwardIN3c104HalfES2_fLi10ELb0ELb0ELi64EEEvPT0_PKT_S7_iiiPKb,@function
_ZN12_GLOBAL__N_121softmax_warp_backwardIN3c104HalfES2_fLi10ELb0ELb0ELi64EEEvPT0_PKT_S7_iiiPKb: ; @_ZN12_GLOBAL__N_121softmax_warp_backwardIN3c104HalfES2_fLi10ELb0ELb0ELi64EEEvPT0_PKT_S7_iiiPKb
; %bb.0:
	s_clause 0x1
	s_load_dword s0, s[4:5], 0x3c
	s_load_dwordx4 s[20:23], s[4:5], 0x18
	v_and_b32_e32 v7, 63, v0
	s_clause 0x1
	s_load_dwordx4 s[16:19], s[4:5], 0x0
	s_load_dwordx2 s[4:5], s[4:5], 0x10
	v_mov_b32_e32 v18, 0
	v_mov_b32_e32 v20, 0
	s_waitcnt lgkmcnt(0)
	s_lshr_b32 s0, s0, 16
	v_cmp_gt_i32_e32 vcc_lo, s22, v7
	v_mad_u64_u32 v[1:2], null, s6, s0, v[1:2]
	v_mad_u64_u32 v[2:3], null, v1, s21, v[7:8]
	v_sub_nc_u32_e32 v17, s20, v1
	v_cmp_lt_i32_e64 s3, 0, v17
	v_ashrrev_i32_e32 v3, 31, v2
	s_and_b32 s1, s3, vcc_lo
	v_lshlrev_b64 v[1:2], 1, v[2:3]
	v_add_co_u32 v3, s0, s18, v1
	v_add_co_ci_u32_e64 v4, null, s19, v2, s0
	v_add_co_u32 v5, s0, s4, v1
	v_add_co_ci_u32_e64 v6, null, s5, v2, s0
	s_and_saveexec_b32 s0, s1
	s_cbranch_execz .LBB590_2
; %bb.1:
	global_load_ushort v8, v[3:4], off
	global_load_ushort v9, v[5:6], off
	s_waitcnt vmcnt(1)
	v_cvt_f32_f16_e32 v20, v8
	s_waitcnt vmcnt(0)
	v_cvt_f32_f16_e32 v18, v9
.LBB590_2:
	s_or_b32 exec_lo, exec_lo, s0
	v_or_b32_e32 v8, 64, v7
	v_cmp_gt_i32_e64 s0, s22, v8
	s_and_b32 s1, s3, s0
	s_xor_b32 s1, s1, -1
	s_and_saveexec_b32 s2, s1
	s_xor_b32 s1, exec_lo, s2
                                        ; implicit-def: $vgpr8
                                        ; implicit-def: $vgpr9
                                        ; implicit-def: $vgpr11
                                        ; implicit-def: $vgpr12
                                        ; implicit-def: $vgpr13
                                        ; implicit-def: $vgpr14
                                        ; implicit-def: $vgpr15
                                        ; implicit-def: $vgpr16
                                        ; implicit-def: $vgpr19
                                        ; implicit-def: $vgpr21
                                        ; implicit-def: $vgpr22
                                        ; implicit-def: $vgpr23
                                        ; implicit-def: $vgpr25
                                        ; implicit-def: $vgpr24
                                        ; implicit-def: $vgpr10
; %bb.3:
	s_mov_b32 s2, 0
                                        ; implicit-def: $vgpr8
                                        ; implicit-def: $vgpr9
                                        ; implicit-def: $vgpr11
                                        ; implicit-def: $vgpr12
                                        ; implicit-def: $vgpr13
                                        ; implicit-def: $vgpr14
                                        ; implicit-def: $vgpr15
                                        ; implicit-def: $vgpr16
                                        ; implicit-def: $vgpr19
                                        ; implicit-def: $vgpr21
                                        ; implicit-def: $vgpr22
                                        ; implicit-def: $vgpr23
                                        ; implicit-def: $vgpr25
                                        ; implicit-def: $vgpr10
	v_mov_b32_e32 v24, s2
; %bb.4:
	s_or_saveexec_b32 s1, s1
	v_mov_b32_e32 v26, 0
	s_xor_b32 exec_lo, exec_lo, s1
	s_cbranch_execz .LBB590_6
; %bb.5:
	global_load_ushort v24, v[3:4], off offset:128
	global_load_ushort v26, v[5:6], off offset:128
	s_waitcnt vmcnt(1)
	v_cvt_f32_f16_e32 v24, v24
	s_waitcnt vmcnt(0)
	v_cvt_f32_f16_e32 v26, v26
.LBB590_6:
	s_or_b32 exec_lo, exec_lo, s1
	v_or_b32_e32 v27, 0x80, v7
	v_cmp_gt_i32_e64 s1, s22, v27
	s_and_b32 s2, s3, s1
	s_xor_b32 s2, s2, -1
	s_and_saveexec_b32 s4, s2
	s_xor_b32 s2, exec_lo, s4
; %bb.7:
	s_mov_b32 s4, 0
	v_mov_b32_e32 v25, s4
; %bb.8:
	s_or_saveexec_b32 s2, s2
	v_mov_b32_e32 v27, 0
	s_xor_b32 exec_lo, exec_lo, s2
	s_cbranch_execz .LBB590_10
; %bb.9:
	global_load_ushort v25, v[3:4], off offset:256
	global_load_ushort v27, v[5:6], off offset:256
	s_waitcnt vmcnt(1)
	v_cvt_f32_f16_e32 v25, v25
	s_waitcnt vmcnt(0)
	v_cvt_f32_f16_e32 v27, v27
.LBB590_10:
	s_or_b32 exec_lo, exec_lo, s2
	v_or_b32_e32 v28, 0xc0, v7
	v_cmp_gt_i32_e64 s2, s22, v28
	s_and_b32 s4, s3, s2
	s_xor_b32 s4, s4, -1
	s_and_saveexec_b32 s5, s4
	s_xor_b32 s4, exec_lo, s5
; %bb.11:
	s_mov_b32 s5, 0
	;; [unrolled: 23-line block ×14, first 2 shown]
                                        ; implicit-def: $vgpr3_vgpr4
                                        ; implicit-def: $vgpr5_vgpr6
	v_mov_b32_e32 v10, s18
; %bb.60:
	s_or_saveexec_b32 s3, s3
	v_mov_b32_e32 v39, 0
	s_xor_b32 exec_lo, exec_lo, s3
	s_cbranch_execz .LBB590_62
; %bb.61:
	global_load_ushort v0, v[3:4], off offset:1920
	global_load_ushort v3, v[5:6], off offset:1920
	s_waitcnt vmcnt(1)
	v_cvt_f32_f16_e32 v10, v0
	s_waitcnt vmcnt(0)
	v_cvt_f32_f16_e32 v39, v3
.LBB590_62:
	s_or_b32 exec_lo, exec_lo, s3
	v_add_f32_e32 v0, 0, v20
	v_mbcnt_lo_u32_b32 v3, -1, 0
	s_mov_b32 s18, exec_lo
	v_add_f32_e32 v0, v0, v24
	v_or_b32_e32 v4, 32, v3
	v_xor_b32_e32 v5, 16, v3
	v_add_f32_e32 v0, v0, v25
	v_cmp_gt_i32_e64 s3, 64, v4
	v_add_f32_e32 v0, v0, v23
	v_cndmask_b32_e64 v4, v3, v4, s3
	v_cmp_gt_i32_e64 s3, 64, v5
	v_add_f32_e32 v0, v0, v22
	v_lshlrev_b32_e32 v4, 2, v4
	v_cndmask_b32_e64 v5, v3, v5, s3
	v_add_f32_e32 v0, v0, v21
	v_lshlrev_b32_e32 v5, 2, v5
	v_add_f32_e32 v0, v0, v19
	v_add_f32_e32 v0, v0, v16
	;; [unrolled: 1-line block ×10, first 2 shown]
	ds_bpermute_b32 v4, v4, v0
	s_waitcnt lgkmcnt(0)
	v_add_f32_e32 v0, v0, v4
	ds_bpermute_b32 v4, v5, v0
	v_xor_b32_e32 v5, 8, v3
	v_cmp_gt_i32_e64 s3, 64, v5
	v_cndmask_b32_e64 v5, v3, v5, s3
	v_lshlrev_b32_e32 v5, 2, v5
	s_waitcnt lgkmcnt(0)
	v_add_f32_e32 v0, v0, v4
	ds_bpermute_b32 v4, v5, v0
	v_xor_b32_e32 v5, 4, v3
	v_cmp_gt_i32_e64 s3, 64, v5
	v_cndmask_b32_e64 v5, v3, v5, s3
	v_lshlrev_b32_e32 v5, 2, v5
	;; [unrolled: 7-line block ×3, first 2 shown]
	s_waitcnt lgkmcnt(0)
	v_add_f32_e32 v0, v0, v4
	ds_bpermute_b32 v4, v5, v0
	v_xor_b32_e32 v5, 1, v3
	v_cmp_gt_i32_e64 s3, 64, v5
	v_cndmask_b32_e64 v5, v3, v5, s3
	s_waitcnt lgkmcnt(0)
	v_add_f32_e32 v3, v0, v4
	v_lshlrev_b32_e32 v0, 2, v5
	ds_bpermute_b32 v4, v0, v3
	v_cmpx_lt_i32_e32 0, v17
	s_cbranch_execz .LBB590_80
; %bb.63:
	v_add_co_u32 v0, s3, s16, v1
	v_add_co_ci_u32_e64 v1, null, s17, v2, s3
	s_waitcnt lgkmcnt(0)
	v_add_f32_e32 v2, v3, v4
	s_and_saveexec_b32 s3, vcc_lo
	s_cbranch_execnz .LBB590_81
; %bb.64:
	s_or_b32 exec_lo, exec_lo, s3
	s_and_saveexec_b32 s3, s0
	s_cbranch_execnz .LBB590_82
.LBB590_65:
	s_or_b32 exec_lo, exec_lo, s3
	s_and_saveexec_b32 s0, s1
	s_cbranch_execnz .LBB590_83
.LBB590_66:
	s_or_b32 exec_lo, exec_lo, s0
	s_and_saveexec_b32 s0, s2
	s_cbranch_execnz .LBB590_84
.LBB590_67:
	s_or_b32 exec_lo, exec_lo, s0
	s_and_saveexec_b32 s0, s4
	s_cbranch_execnz .LBB590_85
.LBB590_68:
	s_or_b32 exec_lo, exec_lo, s0
	s_and_saveexec_b32 s0, s5
	s_cbranch_execnz .LBB590_86
.LBB590_69:
	s_or_b32 exec_lo, exec_lo, s0
	s_and_saveexec_b32 s0, s6
	s_cbranch_execnz .LBB590_87
.LBB590_70:
	s_or_b32 exec_lo, exec_lo, s0
	s_and_saveexec_b32 s0, s7
	s_cbranch_execnz .LBB590_88
.LBB590_71:
	s_or_b32 exec_lo, exec_lo, s0
	s_and_saveexec_b32 s0, s8
	s_cbranch_execnz .LBB590_89
.LBB590_72:
	s_or_b32 exec_lo, exec_lo, s0
	s_and_saveexec_b32 s0, s9
	s_cbranch_execnz .LBB590_90
.LBB590_73:
	s_or_b32 exec_lo, exec_lo, s0
	s_and_saveexec_b32 s0, s10
	s_cbranch_execnz .LBB590_91
.LBB590_74:
	s_or_b32 exec_lo, exec_lo, s0
	s_and_saveexec_b32 s0, s11
	s_cbranch_execnz .LBB590_92
.LBB590_75:
	s_or_b32 exec_lo, exec_lo, s0
	s_and_saveexec_b32 s0, s12
	s_cbranch_execnz .LBB590_93
.LBB590_76:
	s_or_b32 exec_lo, exec_lo, s0
	s_and_saveexec_b32 s0, s13
	s_cbranch_execnz .LBB590_94
.LBB590_77:
	s_or_b32 exec_lo, exec_lo, s0
	s_and_saveexec_b32 s0, s14
	s_cbranch_execnz .LBB590_95
.LBB590_78:
	s_or_b32 exec_lo, exec_lo, s0
	s_and_b32 exec_lo, exec_lo, s15
	s_cbranch_execz .LBB590_80
.LBB590_79:
	v_fma_mixlo_f16 v2, -v2, v39, v10
	global_store_short v[0:1], v2, off offset:1920
.LBB590_80:
	s_endpgm
.LBB590_81:
	v_fma_mixlo_f16 v3, -v2, v18, v20
	global_store_short v[0:1], v3, off
	s_or_b32 exec_lo, exec_lo, s3
	s_and_saveexec_b32 s3, s0
	s_cbranch_execz .LBB590_65
.LBB590_82:
	v_fma_mixlo_f16 v3, -v2, v26, v24
	global_store_short v[0:1], v3, off offset:128
	s_or_b32 exec_lo, exec_lo, s3
	s_and_saveexec_b32 s0, s1
	s_cbranch_execz .LBB590_66
.LBB590_83:
	v_fma_mixlo_f16 v3, -v2, v27, v25
	global_store_short v[0:1], v3, off offset:256
	s_or_b32 exec_lo, exec_lo, s0
	s_and_saveexec_b32 s0, s2
	s_cbranch_execz .LBB590_67
.LBB590_84:
	v_fma_mixlo_f16 v3, -v2, v28, v23
	global_store_short v[0:1], v3, off offset:384
	s_or_b32 exec_lo, exec_lo, s0
	s_and_saveexec_b32 s0, s4
	s_cbranch_execz .LBB590_68
.LBB590_85:
	v_fma_mixlo_f16 v3, -v2, v29, v22
	global_store_short v[0:1], v3, off offset:512
	s_or_b32 exec_lo, exec_lo, s0
	s_and_saveexec_b32 s0, s5
	s_cbranch_execz .LBB590_69
.LBB590_86:
	v_fma_mixlo_f16 v3, -v2, v30, v21
	global_store_short v[0:1], v3, off offset:640
	s_or_b32 exec_lo, exec_lo, s0
	s_and_saveexec_b32 s0, s6
	s_cbranch_execz .LBB590_70
.LBB590_87:
	v_fma_mixlo_f16 v3, -v2, v31, v19
	global_store_short v[0:1], v3, off offset:768
	s_or_b32 exec_lo, exec_lo, s0
	s_and_saveexec_b32 s0, s7
	s_cbranch_execz .LBB590_71
.LBB590_88:
	v_fma_mixlo_f16 v3, -v2, v32, v16
	global_store_short v[0:1], v3, off offset:896
	s_or_b32 exec_lo, exec_lo, s0
	s_and_saveexec_b32 s0, s8
	s_cbranch_execz .LBB590_72
.LBB590_89:
	v_fma_mixlo_f16 v3, -v2, v33, v15
	global_store_short v[0:1], v3, off offset:1024
	s_or_b32 exec_lo, exec_lo, s0
	s_and_saveexec_b32 s0, s9
	s_cbranch_execz .LBB590_73
.LBB590_90:
	v_fma_mixlo_f16 v3, -v2, v34, v14
	global_store_short v[0:1], v3, off offset:1152
	s_or_b32 exec_lo, exec_lo, s0
	s_and_saveexec_b32 s0, s10
	s_cbranch_execz .LBB590_74
.LBB590_91:
	v_fma_mixlo_f16 v3, -v2, v35, v13
	global_store_short v[0:1], v3, off offset:1280
	s_or_b32 exec_lo, exec_lo, s0
	s_and_saveexec_b32 s0, s11
	s_cbranch_execz .LBB590_75
.LBB590_92:
	v_fma_mixlo_f16 v3, -v2, v36, v12
	global_store_short v[0:1], v3, off offset:1408
	s_or_b32 exec_lo, exec_lo, s0
	s_and_saveexec_b32 s0, s12
	s_cbranch_execz .LBB590_76
.LBB590_93:
	v_fma_mixlo_f16 v3, -v2, v37, v11
	global_store_short v[0:1], v3, off offset:1536
	s_or_b32 exec_lo, exec_lo, s0
	s_and_saveexec_b32 s0, s13
	s_cbranch_execz .LBB590_77
.LBB590_94:
	v_fma_mixlo_f16 v3, -v2, v38, v9
	global_store_short v[0:1], v3, off offset:1664
	s_or_b32 exec_lo, exec_lo, s0
	s_and_saveexec_b32 s0, s14
	s_cbranch_execz .LBB590_78
.LBB590_95:
	v_fma_mixlo_f16 v3, -v2, v7, v8
	global_store_short v[0:1], v3, off offset:1792
	s_or_b32 exec_lo, exec_lo, s0
	s_and_b32 exec_lo, exec_lo, s15
	s_cbranch_execnz .LBB590_79
	s_branch .LBB590_80
	.section	.rodata,"a",@progbits
	.p2align	6, 0x0
	.amdhsa_kernel _ZN12_GLOBAL__N_121softmax_warp_backwardIN3c104HalfES2_fLi10ELb0ELb0ELi64EEEvPT0_PKT_S7_iiiPKb
		.amdhsa_group_segment_fixed_size 0
		.amdhsa_private_segment_fixed_size 0
		.amdhsa_kernarg_size 304
		.amdhsa_user_sgpr_count 6
		.amdhsa_user_sgpr_private_segment_buffer 1
		.amdhsa_user_sgpr_dispatch_ptr 0
		.amdhsa_user_sgpr_queue_ptr 0
		.amdhsa_user_sgpr_kernarg_segment_ptr 1
		.amdhsa_user_sgpr_dispatch_id 0
		.amdhsa_user_sgpr_flat_scratch_init 0
		.amdhsa_user_sgpr_private_segment_size 0
		.amdhsa_wavefront_size32 1
		.amdhsa_uses_dynamic_stack 0
		.amdhsa_system_sgpr_private_segment_wavefront_offset 0
		.amdhsa_system_sgpr_workgroup_id_x 1
		.amdhsa_system_sgpr_workgroup_id_y 0
		.amdhsa_system_sgpr_workgroup_id_z 0
		.amdhsa_system_sgpr_workgroup_info 0
		.amdhsa_system_vgpr_workitem_id 1
		.amdhsa_next_free_vgpr 40
		.amdhsa_next_free_sgpr 24
		.amdhsa_reserve_vcc 1
		.amdhsa_reserve_flat_scratch 0
		.amdhsa_float_round_mode_32 0
		.amdhsa_float_round_mode_16_64 0
		.amdhsa_float_denorm_mode_32 3
		.amdhsa_float_denorm_mode_16_64 3
		.amdhsa_dx10_clamp 1
		.amdhsa_ieee_mode 1
		.amdhsa_fp16_overflow 0
		.amdhsa_workgroup_processor_mode 1
		.amdhsa_memory_ordered 1
		.amdhsa_forward_progress 1
		.amdhsa_shared_vgpr_count 0
		.amdhsa_exception_fp_ieee_invalid_op 0
		.amdhsa_exception_fp_denorm_src 0
		.amdhsa_exception_fp_ieee_div_zero 0
		.amdhsa_exception_fp_ieee_overflow 0
		.amdhsa_exception_fp_ieee_underflow 0
		.amdhsa_exception_fp_ieee_inexact 0
		.amdhsa_exception_int_div_zero 0
	.end_amdhsa_kernel
	.section	.text._ZN12_GLOBAL__N_121softmax_warp_backwardIN3c104HalfES2_fLi10ELb0ELb0ELi64EEEvPT0_PKT_S7_iiiPKb,"axG",@progbits,_ZN12_GLOBAL__N_121softmax_warp_backwardIN3c104HalfES2_fLi10ELb0ELb0ELi64EEEvPT0_PKT_S7_iiiPKb,comdat
.Lfunc_end590:
	.size	_ZN12_GLOBAL__N_121softmax_warp_backwardIN3c104HalfES2_fLi10ELb0ELb0ELi64EEEvPT0_PKT_S7_iiiPKb, .Lfunc_end590-_ZN12_GLOBAL__N_121softmax_warp_backwardIN3c104HalfES2_fLi10ELb0ELb0ELi64EEEvPT0_PKT_S7_iiiPKb
                                        ; -- End function
	.set _ZN12_GLOBAL__N_121softmax_warp_backwardIN3c104HalfES2_fLi10ELb0ELb0ELi64EEEvPT0_PKT_S7_iiiPKb.num_vgpr, 40
	.set _ZN12_GLOBAL__N_121softmax_warp_backwardIN3c104HalfES2_fLi10ELb0ELb0ELi64EEEvPT0_PKT_S7_iiiPKb.num_agpr, 0
	.set _ZN12_GLOBAL__N_121softmax_warp_backwardIN3c104HalfES2_fLi10ELb0ELb0ELi64EEEvPT0_PKT_S7_iiiPKb.numbered_sgpr, 24
	.set _ZN12_GLOBAL__N_121softmax_warp_backwardIN3c104HalfES2_fLi10ELb0ELb0ELi64EEEvPT0_PKT_S7_iiiPKb.num_named_barrier, 0
	.set _ZN12_GLOBAL__N_121softmax_warp_backwardIN3c104HalfES2_fLi10ELb0ELb0ELi64EEEvPT0_PKT_S7_iiiPKb.private_seg_size, 0
	.set _ZN12_GLOBAL__N_121softmax_warp_backwardIN3c104HalfES2_fLi10ELb0ELb0ELi64EEEvPT0_PKT_S7_iiiPKb.uses_vcc, 1
	.set _ZN12_GLOBAL__N_121softmax_warp_backwardIN3c104HalfES2_fLi10ELb0ELb0ELi64EEEvPT0_PKT_S7_iiiPKb.uses_flat_scratch, 0
	.set _ZN12_GLOBAL__N_121softmax_warp_backwardIN3c104HalfES2_fLi10ELb0ELb0ELi64EEEvPT0_PKT_S7_iiiPKb.has_dyn_sized_stack, 0
	.set _ZN12_GLOBAL__N_121softmax_warp_backwardIN3c104HalfES2_fLi10ELb0ELb0ELi64EEEvPT0_PKT_S7_iiiPKb.has_recursion, 0
	.set _ZN12_GLOBAL__N_121softmax_warp_backwardIN3c104HalfES2_fLi10ELb0ELb0ELi64EEEvPT0_PKT_S7_iiiPKb.has_indirect_call, 0
	.section	.AMDGPU.csdata,"",@progbits
; Kernel info:
; codeLenInByte = 2532
; TotalNumSgprs: 26
; NumVgprs: 40
; ScratchSize: 0
; MemoryBound: 0
; FloatMode: 240
; IeeeMode: 1
; LDSByteSize: 0 bytes/workgroup (compile time only)
; SGPRBlocks: 0
; VGPRBlocks: 4
; NumSGPRsForWavesPerEU: 26
; NumVGPRsForWavesPerEU: 40
; Occupancy: 16
; WaveLimiterHint : 0
; COMPUTE_PGM_RSRC2:SCRATCH_EN: 0
; COMPUTE_PGM_RSRC2:USER_SGPR: 6
; COMPUTE_PGM_RSRC2:TRAP_HANDLER: 0
; COMPUTE_PGM_RSRC2:TGID_X_EN: 1
; COMPUTE_PGM_RSRC2:TGID_Y_EN: 0
; COMPUTE_PGM_RSRC2:TGID_Z_EN: 0
; COMPUTE_PGM_RSRC2:TIDIG_COMP_CNT: 1
	.section	.text._ZN12_GLOBAL__N_121softmax_warp_backwardIN3c104HalfES2_fLi10ELb0ELb0ELi32EEEvPT0_PKT_S7_iiiPKb,"axG",@progbits,_ZN12_GLOBAL__N_121softmax_warp_backwardIN3c104HalfES2_fLi10ELb0ELb0ELi32EEEvPT0_PKT_S7_iiiPKb,comdat
	.globl	_ZN12_GLOBAL__N_121softmax_warp_backwardIN3c104HalfES2_fLi10ELb0ELb0ELi32EEEvPT0_PKT_S7_iiiPKb ; -- Begin function _ZN12_GLOBAL__N_121softmax_warp_backwardIN3c104HalfES2_fLi10ELb0ELb0ELi32EEEvPT0_PKT_S7_iiiPKb
	.p2align	8
	.type	_ZN12_GLOBAL__N_121softmax_warp_backwardIN3c104HalfES2_fLi10ELb0ELb0ELi32EEEvPT0_PKT_S7_iiiPKb,@function
_ZN12_GLOBAL__N_121softmax_warp_backwardIN3c104HalfES2_fLi10ELb0ELb0ELi32EEEvPT0_PKT_S7_iiiPKb: ; @_ZN12_GLOBAL__N_121softmax_warp_backwardIN3c104HalfES2_fLi10ELb0ELb0ELi32EEEvPT0_PKT_S7_iiiPKb
; %bb.0:
	s_clause 0x1
	s_load_dword s0, s[4:5], 0x3c
	s_load_dwordx4 s[40:43], s[4:5], 0x18
	v_and_b32_e32 v7, 31, v0
	s_clause 0x1
	s_load_dwordx4 s[36:39], s[4:5], 0x0
	s_load_dwordx2 s[4:5], s[4:5], 0x10
	v_mov_b32_e32 v32, 0
	v_mov_b32_e32 v33, 0
	s_waitcnt lgkmcnt(0)
	s_lshr_b32 s0, s0, 16
	v_cmp_gt_i32_e32 vcc_lo, s42, v7
	v_mad_u64_u32 v[1:2], null, s6, s0, v[1:2]
	v_mad_u64_u32 v[2:3], null, v1, s41, v[7:8]
	v_sub_nc_u32_e32 v31, s40, v1
	v_cmp_lt_i32_e64 s2, 0, v31
	v_ashrrev_i32_e32 v3, 31, v2
	s_and_b32 s1, s2, vcc_lo
	v_lshlrev_b64 v[1:2], 1, v[2:3]
	v_add_co_u32 v3, s0, s38, v1
	v_add_co_ci_u32_e64 v4, null, s39, v2, s0
	v_add_co_u32 v5, s0, s4, v1
	v_add_co_ci_u32_e64 v6, null, s5, v2, s0
	s_and_saveexec_b32 s0, s1
	s_cbranch_execz .LBB591_2
; %bb.1:
	global_load_ushort v8, v[3:4], off
	global_load_ushort v9, v[5:6], off
	s_waitcnt vmcnt(1)
	v_cvt_f32_f16_e32 v33, v8
	s_waitcnt vmcnt(0)
	v_cvt_f32_f16_e32 v32, v9
.LBB591_2:
	s_or_b32 exec_lo, exec_lo, s0
	v_or_b32_e32 v8, 32, v7
	v_cmp_gt_i32_e64 s0, s42, v8
	s_and_b32 s1, s2, s0
	s_xor_b32 s1, s1, -1
	s_mov_b32 s3, exec_lo
	s_and_b32 s4, s3, s1
                                        ; implicit-def: $vgpr8
                                        ; implicit-def: $vgpr9
                                        ; implicit-def: $vgpr10
                                        ; implicit-def: $vgpr11
                                        ; implicit-def: $vgpr12
                                        ; implicit-def: $vgpr14
                                        ; implicit-def: $vgpr15
                                        ; implicit-def: $vgpr16
                                        ; implicit-def: $vgpr17
                                        ; implicit-def: $vgpr18
                                        ; implicit-def: $vgpr19
                                        ; implicit-def: $vgpr20
                                        ; implicit-def: $vgpr21
                                        ; implicit-def: $vgpr22
                                        ; implicit-def: $vgpr23
                                        ; implicit-def: $vgpr24
                                        ; implicit-def: $vgpr25
                                        ; implicit-def: $vgpr26
                                        ; implicit-def: $vgpr27
                                        ; implicit-def: $vgpr28
                                        ; implicit-def: $vgpr29
                                        ; implicit-def: $vgpr30
                                        ; implicit-def: $vgpr34
                                        ; implicit-def: $vgpr35
                                        ; implicit-def: $vgpr36
                                        ; implicit-def: $vgpr37
                                        ; implicit-def: $vgpr38
                                        ; implicit-def: $vgpr40
                                        ; implicit-def: $vgpr41
                                        ; implicit-def: $vgpr39
                                        ; implicit-def: $vgpr13
	s_xor_b32 s1, s4, s3
	s_mov_b32 exec_lo, s4
; %bb.3:
	s_mov_b32 s3, 0
                                        ; implicit-def: $vgpr8
                                        ; implicit-def: $vgpr9
                                        ; implicit-def: $vgpr10
                                        ; implicit-def: $vgpr11
                                        ; implicit-def: $vgpr12
                                        ; implicit-def: $vgpr14
                                        ; implicit-def: $vgpr15
                                        ; implicit-def: $vgpr16
                                        ; implicit-def: $vgpr17
                                        ; implicit-def: $vgpr18
                                        ; implicit-def: $vgpr19
                                        ; implicit-def: $vgpr20
                                        ; implicit-def: $vgpr21
                                        ; implicit-def: $vgpr22
                                        ; implicit-def: $vgpr23
                                        ; implicit-def: $vgpr24
                                        ; implicit-def: $vgpr25
                                        ; implicit-def: $vgpr26
                                        ; implicit-def: $vgpr27
                                        ; implicit-def: $vgpr28
                                        ; implicit-def: $vgpr29
                                        ; implicit-def: $vgpr30
                                        ; implicit-def: $vgpr34
                                        ; implicit-def: $vgpr35
                                        ; implicit-def: $vgpr36
                                        ; implicit-def: $vgpr37
                                        ; implicit-def: $vgpr38
                                        ; implicit-def: $vgpr40
                                        ; implicit-def: $vgpr41
                                        ; implicit-def: $vgpr13
	v_mov_b32_e32 v39, s3
; %bb.4:
	s_or_saveexec_b32 s1, s1
	v_mov_b32_e32 v42, 0
	s_xor_b32 exec_lo, exec_lo, s1
	s_cbranch_execz .LBB591_6
; %bb.5:
	global_load_ushort v39, v[3:4], off offset:64
	global_load_ushort v42, v[5:6], off offset:64
	s_waitcnt vmcnt(1)
	v_cvt_f32_f16_e32 v39, v39
	s_waitcnt vmcnt(0)
	v_cvt_f32_f16_e32 v42, v42
.LBB591_6:
	s_or_b32 exec_lo, exec_lo, s1
	v_or_b32_e32 v43, 64, v7
	v_cmp_gt_i32_e64 s1, s42, v43
	s_and_b32 s3, s2, s1
	s_xor_b32 s3, s3, -1
	s_and_saveexec_b32 s4, s3
	s_xor_b32 s3, exec_lo, s4
; %bb.7:
	s_mov_b32 s4, 0
	v_mov_b32_e32 v41, s4
; %bb.8:
	s_or_saveexec_b32 s3, s3
	v_mov_b32_e32 v43, 0
	s_xor_b32 exec_lo, exec_lo, s3
	s_cbranch_execz .LBB591_10
; %bb.9:
	global_load_ushort v41, v[3:4], off offset:128
	global_load_ushort v43, v[5:6], off offset:128
	s_waitcnt vmcnt(1)
	v_cvt_f32_f16_e32 v41, v41
	s_waitcnt vmcnt(0)
	v_cvt_f32_f16_e32 v43, v43
.LBB591_10:
	s_or_b32 exec_lo, exec_lo, s3
	v_or_b32_e32 v44, 0x60, v7
	v_cmp_gt_i32_e64 s3, s42, v44
	s_and_b32 s4, s2, s3
	s_xor_b32 s4, s4, -1
	s_and_saveexec_b32 s5, s4
	s_xor_b32 s4, exec_lo, s5
; %bb.11:
	s_mov_b32 s5, 0
	;; [unrolled: 23-line block ×30, first 2 shown]
                                        ; implicit-def: $vgpr3_vgpr4
                                        ; implicit-def: $vgpr5_vgpr6
	v_mov_b32_e32 v13, s33
; %bb.124:
	s_or_saveexec_b32 s2, s2
	v_mov_b32_e32 v71, 0
	s_xor_b32 exec_lo, exec_lo, s2
	s_cbranch_execz .LBB591_126
; %bb.125:
	global_load_ushort v0, v[3:4], off offset:1984
	global_load_ushort v3, v[5:6], off offset:1984
	s_waitcnt vmcnt(1)
	v_cvt_f32_f16_e32 v13, v0
	s_waitcnt vmcnt(0)
	v_cvt_f32_f16_e32 v71, v3
.LBB591_126:
	s_or_b32 exec_lo, exec_lo, s2
	v_add_f32_e32 v0, 0, v33
	v_mbcnt_lo_u32_b32 v3, -1, 0
	s_mov_b32 s33, exec_lo
	v_add_f32_e32 v0, v0, v39
	v_xor_b32_e32 v4, 16, v3
	v_xor_b32_e32 v5, 8, v3
	v_add_f32_e32 v0, v0, v41
	v_cmp_gt_i32_e64 s2, 32, v4
	v_add_f32_e32 v0, v0, v40
	v_cndmask_b32_e64 v4, v3, v4, s2
	v_cmp_gt_i32_e64 s2, 32, v5
	v_add_f32_e32 v0, v0, v38
	v_lshlrev_b32_e32 v4, 2, v4
	v_cndmask_b32_e64 v5, v3, v5, s2
	v_add_f32_e32 v0, v0, v37
	v_lshlrev_b32_e32 v5, 2, v5
	v_add_f32_e32 v0, v0, v36
	v_add_f32_e32 v0, v0, v35
	;; [unrolled: 1-line block ×26, first 2 shown]
	ds_bpermute_b32 v4, v4, v0
	s_waitcnt lgkmcnt(0)
	v_add_f32_e32 v0, v0, v4
	ds_bpermute_b32 v4, v5, v0
	v_xor_b32_e32 v5, 4, v3
	v_cmp_gt_i32_e64 s2, 32, v5
	v_cndmask_b32_e64 v5, v3, v5, s2
	v_lshlrev_b32_e32 v5, 2, v5
	s_waitcnt lgkmcnt(0)
	v_add_f32_e32 v0, v0, v4
	ds_bpermute_b32 v4, v5, v0
	v_xor_b32_e32 v5, 2, v3
	v_cmp_gt_i32_e64 s2, 32, v5
	v_cndmask_b32_e64 v5, v3, v5, s2
	v_lshlrev_b32_e32 v5, 2, v5
	s_waitcnt lgkmcnt(0)
	v_add_f32_e32 v0, v0, v4
	ds_bpermute_b32 v4, v5, v0
	v_xor_b32_e32 v5, 1, v3
	v_cmp_gt_i32_e64 s2, 32, v5
	v_cndmask_b32_e64 v5, v3, v5, s2
	s_waitcnt lgkmcnt(0)
	v_add_f32_e32 v3, v0, v4
	v_lshlrev_b32_e32 v0, 2, v5
	ds_bpermute_b32 v4, v0, v3
	v_cmpx_lt_i32_e32 0, v31
	s_cbranch_execz .LBB591_160
; %bb.127:
	v_add_co_u32 v0, s2, s36, v1
	v_add_co_ci_u32_e64 v1, null, s37, v2, s2
	s_waitcnt lgkmcnt(0)
	v_add_f32_e32 v2, v3, v4
	s_and_saveexec_b32 s2, vcc_lo
	s_cbranch_execnz .LBB591_161
; %bb.128:
	s_or_b32 exec_lo, exec_lo, s2
	s_and_saveexec_b32 s2, s0
	s_cbranch_execnz .LBB591_162
.LBB591_129:
	s_or_b32 exec_lo, exec_lo, s2
	s_and_saveexec_b32 s0, s1
	s_cbranch_execnz .LBB591_163
.LBB591_130:
	s_or_b32 exec_lo, exec_lo, s0
	s_and_saveexec_b32 s0, s3
	s_cbranch_execnz .LBB591_164
.LBB591_131:
	s_or_b32 exec_lo, exec_lo, s0
	s_and_saveexec_b32 s0, s4
	s_cbranch_execnz .LBB591_165
.LBB591_132:
	s_or_b32 exec_lo, exec_lo, s0
	s_and_saveexec_b32 s0, s5
	s_cbranch_execnz .LBB591_166
.LBB591_133:
	s_or_b32 exec_lo, exec_lo, s0
	s_and_saveexec_b32 s0, s6
	s_cbranch_execnz .LBB591_167
.LBB591_134:
	s_or_b32 exec_lo, exec_lo, s0
	s_and_saveexec_b32 s0, s7
	s_cbranch_execnz .LBB591_168
.LBB591_135:
	s_or_b32 exec_lo, exec_lo, s0
	s_and_saveexec_b32 s0, s8
	s_cbranch_execnz .LBB591_169
.LBB591_136:
	s_or_b32 exec_lo, exec_lo, s0
	s_and_saveexec_b32 s0, s9
	s_cbranch_execnz .LBB591_170
.LBB591_137:
	s_or_b32 exec_lo, exec_lo, s0
	s_and_saveexec_b32 s0, s10
	s_cbranch_execnz .LBB591_171
.LBB591_138:
	s_or_b32 exec_lo, exec_lo, s0
	s_and_saveexec_b32 s0, s11
	s_cbranch_execnz .LBB591_172
.LBB591_139:
	s_or_b32 exec_lo, exec_lo, s0
	s_and_saveexec_b32 s0, s12
	s_cbranch_execnz .LBB591_173
.LBB591_140:
	s_or_b32 exec_lo, exec_lo, s0
	s_and_saveexec_b32 s0, s13
	s_cbranch_execnz .LBB591_174
.LBB591_141:
	s_or_b32 exec_lo, exec_lo, s0
	s_and_saveexec_b32 s0, s14
	s_cbranch_execnz .LBB591_175
.LBB591_142:
	s_or_b32 exec_lo, exec_lo, s0
	s_and_saveexec_b32 s0, s15
	s_cbranch_execnz .LBB591_176
.LBB591_143:
	s_or_b32 exec_lo, exec_lo, s0
	s_and_saveexec_b32 s0, s16
	s_cbranch_execnz .LBB591_177
.LBB591_144:
	s_or_b32 exec_lo, exec_lo, s0
	s_and_saveexec_b32 s0, s17
	s_cbranch_execnz .LBB591_178
.LBB591_145:
	s_or_b32 exec_lo, exec_lo, s0
	s_and_saveexec_b32 s0, s18
	s_cbranch_execnz .LBB591_179
.LBB591_146:
	s_or_b32 exec_lo, exec_lo, s0
	s_and_saveexec_b32 s0, s19
	s_cbranch_execnz .LBB591_180
.LBB591_147:
	s_or_b32 exec_lo, exec_lo, s0
	s_and_saveexec_b32 s0, s20
	s_cbranch_execnz .LBB591_181
.LBB591_148:
	s_or_b32 exec_lo, exec_lo, s0
	s_and_saveexec_b32 s0, s21
	s_cbranch_execnz .LBB591_182
.LBB591_149:
	s_or_b32 exec_lo, exec_lo, s0
	s_and_saveexec_b32 s0, s22
	s_cbranch_execnz .LBB591_183
.LBB591_150:
	s_or_b32 exec_lo, exec_lo, s0
	s_and_saveexec_b32 s0, s23
	s_cbranch_execnz .LBB591_184
.LBB591_151:
	s_or_b32 exec_lo, exec_lo, s0
	s_and_saveexec_b32 s0, s24
	s_cbranch_execnz .LBB591_185
.LBB591_152:
	s_or_b32 exec_lo, exec_lo, s0
	s_and_saveexec_b32 s0, s25
	s_cbranch_execnz .LBB591_186
.LBB591_153:
	s_or_b32 exec_lo, exec_lo, s0
	s_and_saveexec_b32 s0, s26
	s_cbranch_execnz .LBB591_187
.LBB591_154:
	s_or_b32 exec_lo, exec_lo, s0
	s_and_saveexec_b32 s0, s27
	s_cbranch_execnz .LBB591_188
.LBB591_155:
	s_or_b32 exec_lo, exec_lo, s0
	s_and_saveexec_b32 s0, s28
	s_cbranch_execnz .LBB591_189
.LBB591_156:
	s_or_b32 exec_lo, exec_lo, s0
	s_and_saveexec_b32 s0, s29
	s_cbranch_execnz .LBB591_190
.LBB591_157:
	s_or_b32 exec_lo, exec_lo, s0
	s_and_saveexec_b32 s0, s30
	s_cbranch_execnz .LBB591_191
.LBB591_158:
	s_or_b32 exec_lo, exec_lo, s0
	s_and_b32 exec_lo, exec_lo, s31
	s_cbranch_execz .LBB591_160
.LBB591_159:
	v_fma_mixlo_f16 v2, -v2, v71, v13
	global_store_short v[0:1], v2, off offset:1984
.LBB591_160:
	s_endpgm
.LBB591_161:
	v_fma_mixlo_f16 v3, -v2, v32, v33
	global_store_short v[0:1], v3, off
	s_or_b32 exec_lo, exec_lo, s2
	s_and_saveexec_b32 s2, s0
	s_cbranch_execz .LBB591_129
.LBB591_162:
	v_fma_mixlo_f16 v3, -v2, v42, v39
	global_store_short v[0:1], v3, off offset:64
	s_or_b32 exec_lo, exec_lo, s2
	s_and_saveexec_b32 s0, s1
	s_cbranch_execz .LBB591_130
.LBB591_163:
	v_fma_mixlo_f16 v3, -v2, v43, v41
	global_store_short v[0:1], v3, off offset:128
	s_or_b32 exec_lo, exec_lo, s0
	s_and_saveexec_b32 s0, s3
	s_cbranch_execz .LBB591_131
.LBB591_164:
	v_fma_mixlo_f16 v3, -v2, v44, v40
	global_store_short v[0:1], v3, off offset:192
	s_or_b32 exec_lo, exec_lo, s0
	s_and_saveexec_b32 s0, s4
	s_cbranch_execz .LBB591_132
.LBB591_165:
	v_fma_mixlo_f16 v3, -v2, v45, v38
	global_store_short v[0:1], v3, off offset:256
	s_or_b32 exec_lo, exec_lo, s0
	s_and_saveexec_b32 s0, s5
	s_cbranch_execz .LBB591_133
.LBB591_166:
	v_fma_mixlo_f16 v3, -v2, v46, v37
	global_store_short v[0:1], v3, off offset:320
	s_or_b32 exec_lo, exec_lo, s0
	s_and_saveexec_b32 s0, s6
	s_cbranch_execz .LBB591_134
.LBB591_167:
	v_fma_mixlo_f16 v3, -v2, v47, v36
	global_store_short v[0:1], v3, off offset:384
	s_or_b32 exec_lo, exec_lo, s0
	s_and_saveexec_b32 s0, s7
	s_cbranch_execz .LBB591_135
.LBB591_168:
	v_fma_mixlo_f16 v3, -v2, v48, v35
	global_store_short v[0:1], v3, off offset:448
	s_or_b32 exec_lo, exec_lo, s0
	s_and_saveexec_b32 s0, s8
	s_cbranch_execz .LBB591_136
.LBB591_169:
	v_fma_mixlo_f16 v3, -v2, v49, v34
	global_store_short v[0:1], v3, off offset:512
	s_or_b32 exec_lo, exec_lo, s0
	s_and_saveexec_b32 s0, s9
	s_cbranch_execz .LBB591_137
.LBB591_170:
	v_fma_mixlo_f16 v3, -v2, v50, v30
	global_store_short v[0:1], v3, off offset:576
	s_or_b32 exec_lo, exec_lo, s0
	s_and_saveexec_b32 s0, s10
	s_cbranch_execz .LBB591_138
.LBB591_171:
	v_fma_mixlo_f16 v3, -v2, v51, v29
	global_store_short v[0:1], v3, off offset:640
	s_or_b32 exec_lo, exec_lo, s0
	s_and_saveexec_b32 s0, s11
	s_cbranch_execz .LBB591_139
.LBB591_172:
	v_fma_mixlo_f16 v3, -v2, v52, v28
	global_store_short v[0:1], v3, off offset:704
	s_or_b32 exec_lo, exec_lo, s0
	s_and_saveexec_b32 s0, s12
	s_cbranch_execz .LBB591_140
.LBB591_173:
	v_fma_mixlo_f16 v3, -v2, v53, v27
	global_store_short v[0:1], v3, off offset:768
	s_or_b32 exec_lo, exec_lo, s0
	s_and_saveexec_b32 s0, s13
	s_cbranch_execz .LBB591_141
.LBB591_174:
	v_fma_mixlo_f16 v3, -v2, v54, v26
	global_store_short v[0:1], v3, off offset:832
	s_or_b32 exec_lo, exec_lo, s0
	s_and_saveexec_b32 s0, s14
	s_cbranch_execz .LBB591_142
.LBB591_175:
	v_fma_mixlo_f16 v3, -v2, v55, v25
	global_store_short v[0:1], v3, off offset:896
	s_or_b32 exec_lo, exec_lo, s0
	s_and_saveexec_b32 s0, s15
	s_cbranch_execz .LBB591_143
.LBB591_176:
	v_fma_mixlo_f16 v3, -v2, v56, v24
	global_store_short v[0:1], v3, off offset:960
	s_or_b32 exec_lo, exec_lo, s0
	s_and_saveexec_b32 s0, s16
	s_cbranch_execz .LBB591_144
.LBB591_177:
	v_fma_mixlo_f16 v3, -v2, v57, v23
	global_store_short v[0:1], v3, off offset:1024
	s_or_b32 exec_lo, exec_lo, s0
	s_and_saveexec_b32 s0, s17
	s_cbranch_execz .LBB591_145
.LBB591_178:
	v_fma_mixlo_f16 v3, -v2, v58, v22
	global_store_short v[0:1], v3, off offset:1088
	s_or_b32 exec_lo, exec_lo, s0
	s_and_saveexec_b32 s0, s18
	s_cbranch_execz .LBB591_146
.LBB591_179:
	v_fma_mixlo_f16 v3, -v2, v59, v21
	global_store_short v[0:1], v3, off offset:1152
	s_or_b32 exec_lo, exec_lo, s0
	s_and_saveexec_b32 s0, s19
	s_cbranch_execz .LBB591_147
.LBB591_180:
	v_fma_mixlo_f16 v3, -v2, v60, v20
	global_store_short v[0:1], v3, off offset:1216
	s_or_b32 exec_lo, exec_lo, s0
	s_and_saveexec_b32 s0, s20
	s_cbranch_execz .LBB591_148
.LBB591_181:
	v_fma_mixlo_f16 v3, -v2, v61, v19
	global_store_short v[0:1], v3, off offset:1280
	s_or_b32 exec_lo, exec_lo, s0
	s_and_saveexec_b32 s0, s21
	s_cbranch_execz .LBB591_149
.LBB591_182:
	v_fma_mixlo_f16 v3, -v2, v62, v18
	global_store_short v[0:1], v3, off offset:1344
	s_or_b32 exec_lo, exec_lo, s0
	s_and_saveexec_b32 s0, s22
	s_cbranch_execz .LBB591_150
.LBB591_183:
	v_fma_mixlo_f16 v3, -v2, v63, v17
	global_store_short v[0:1], v3, off offset:1408
	s_or_b32 exec_lo, exec_lo, s0
	s_and_saveexec_b32 s0, s23
	s_cbranch_execz .LBB591_151
.LBB591_184:
	v_fma_mixlo_f16 v3, -v2, v64, v16
	global_store_short v[0:1], v3, off offset:1472
	s_or_b32 exec_lo, exec_lo, s0
	s_and_saveexec_b32 s0, s24
	s_cbranch_execz .LBB591_152
.LBB591_185:
	v_fma_mixlo_f16 v3, -v2, v65, v15
	global_store_short v[0:1], v3, off offset:1536
	s_or_b32 exec_lo, exec_lo, s0
	s_and_saveexec_b32 s0, s25
	s_cbranch_execz .LBB591_153
.LBB591_186:
	v_fma_mixlo_f16 v3, -v2, v66, v14
	global_store_short v[0:1], v3, off offset:1600
	s_or_b32 exec_lo, exec_lo, s0
	s_and_saveexec_b32 s0, s26
	s_cbranch_execz .LBB591_154
.LBB591_187:
	v_fma_mixlo_f16 v3, -v2, v67, v12
	global_store_short v[0:1], v3, off offset:1664
	s_or_b32 exec_lo, exec_lo, s0
	s_and_saveexec_b32 s0, s27
	s_cbranch_execz .LBB591_155
.LBB591_188:
	v_fma_mixlo_f16 v3, -v2, v68, v11
	global_store_short v[0:1], v3, off offset:1728
	s_or_b32 exec_lo, exec_lo, s0
	s_and_saveexec_b32 s0, s28
	s_cbranch_execz .LBB591_156
.LBB591_189:
	v_fma_mixlo_f16 v3, -v2, v69, v10
	global_store_short v[0:1], v3, off offset:1792
	s_or_b32 exec_lo, exec_lo, s0
	s_and_saveexec_b32 s0, s29
	s_cbranch_execz .LBB591_157
.LBB591_190:
	v_fma_mixlo_f16 v3, -v2, v70, v9
	global_store_short v[0:1], v3, off offset:1856
	s_or_b32 exec_lo, exec_lo, s0
	s_and_saveexec_b32 s0, s30
	s_cbranch_execz .LBB591_158
.LBB591_191:
	v_fma_mixlo_f16 v3, -v2, v7, v8
	global_store_short v[0:1], v3, off offset:1920
	s_or_b32 exec_lo, exec_lo, s0
	s_and_b32 exec_lo, exec_lo, s31
	s_cbranch_execnz .LBB591_159
	s_branch .LBB591_160
	.section	.rodata,"a",@progbits
	.p2align	6, 0x0
	.amdhsa_kernel _ZN12_GLOBAL__N_121softmax_warp_backwardIN3c104HalfES2_fLi10ELb0ELb0ELi32EEEvPT0_PKT_S7_iiiPKb
		.amdhsa_group_segment_fixed_size 0
		.amdhsa_private_segment_fixed_size 0
		.amdhsa_kernarg_size 304
		.amdhsa_user_sgpr_count 6
		.amdhsa_user_sgpr_private_segment_buffer 1
		.amdhsa_user_sgpr_dispatch_ptr 0
		.amdhsa_user_sgpr_queue_ptr 0
		.amdhsa_user_sgpr_kernarg_segment_ptr 1
		.amdhsa_user_sgpr_dispatch_id 0
		.amdhsa_user_sgpr_flat_scratch_init 0
		.amdhsa_user_sgpr_private_segment_size 0
		.amdhsa_wavefront_size32 1
		.amdhsa_uses_dynamic_stack 0
		.amdhsa_system_sgpr_private_segment_wavefront_offset 0
		.amdhsa_system_sgpr_workgroup_id_x 1
		.amdhsa_system_sgpr_workgroup_id_y 0
		.amdhsa_system_sgpr_workgroup_id_z 0
		.amdhsa_system_sgpr_workgroup_info 0
		.amdhsa_system_vgpr_workitem_id 1
		.amdhsa_next_free_vgpr 72
		.amdhsa_next_free_sgpr 44
		.amdhsa_reserve_vcc 1
		.amdhsa_reserve_flat_scratch 0
		.amdhsa_float_round_mode_32 0
		.amdhsa_float_round_mode_16_64 0
		.amdhsa_float_denorm_mode_32 3
		.amdhsa_float_denorm_mode_16_64 3
		.amdhsa_dx10_clamp 1
		.amdhsa_ieee_mode 1
		.amdhsa_fp16_overflow 0
		.amdhsa_workgroup_processor_mode 1
		.amdhsa_memory_ordered 1
		.amdhsa_forward_progress 1
		.amdhsa_shared_vgpr_count 0
		.amdhsa_exception_fp_ieee_invalid_op 0
		.amdhsa_exception_fp_denorm_src 0
		.amdhsa_exception_fp_ieee_div_zero 0
		.amdhsa_exception_fp_ieee_overflow 0
		.amdhsa_exception_fp_ieee_underflow 0
		.amdhsa_exception_fp_ieee_inexact 0
		.amdhsa_exception_int_div_zero 0
	.end_amdhsa_kernel
	.section	.text._ZN12_GLOBAL__N_121softmax_warp_backwardIN3c104HalfES2_fLi10ELb0ELb0ELi32EEEvPT0_PKT_S7_iiiPKb,"axG",@progbits,_ZN12_GLOBAL__N_121softmax_warp_backwardIN3c104HalfES2_fLi10ELb0ELb0ELi32EEEvPT0_PKT_S7_iiiPKb,comdat
.Lfunc_end591:
	.size	_ZN12_GLOBAL__N_121softmax_warp_backwardIN3c104HalfES2_fLi10ELb0ELb0ELi32EEEvPT0_PKT_S7_iiiPKb, .Lfunc_end591-_ZN12_GLOBAL__N_121softmax_warp_backwardIN3c104HalfES2_fLi10ELb0ELb0ELi32EEEvPT0_PKT_S7_iiiPKb
                                        ; -- End function
	.set _ZN12_GLOBAL__N_121softmax_warp_backwardIN3c104HalfES2_fLi10ELb0ELb0ELi32EEEvPT0_PKT_S7_iiiPKb.num_vgpr, 72
	.set _ZN12_GLOBAL__N_121softmax_warp_backwardIN3c104HalfES2_fLi10ELb0ELb0ELi32EEEvPT0_PKT_S7_iiiPKb.num_agpr, 0
	.set _ZN12_GLOBAL__N_121softmax_warp_backwardIN3c104HalfES2_fLi10ELb0ELb0ELi32EEEvPT0_PKT_S7_iiiPKb.numbered_sgpr, 44
	.set _ZN12_GLOBAL__N_121softmax_warp_backwardIN3c104HalfES2_fLi10ELb0ELb0ELi32EEEvPT0_PKT_S7_iiiPKb.num_named_barrier, 0
	.set _ZN12_GLOBAL__N_121softmax_warp_backwardIN3c104HalfES2_fLi10ELb0ELb0ELi32EEEvPT0_PKT_S7_iiiPKb.private_seg_size, 0
	.set _ZN12_GLOBAL__N_121softmax_warp_backwardIN3c104HalfES2_fLi10ELb0ELb0ELi32EEEvPT0_PKT_S7_iiiPKb.uses_vcc, 1
	.set _ZN12_GLOBAL__N_121softmax_warp_backwardIN3c104HalfES2_fLi10ELb0ELb0ELi32EEEvPT0_PKT_S7_iiiPKb.uses_flat_scratch, 0
	.set _ZN12_GLOBAL__N_121softmax_warp_backwardIN3c104HalfES2_fLi10ELb0ELb0ELi32EEEvPT0_PKT_S7_iiiPKb.has_dyn_sized_stack, 0
	.set _ZN12_GLOBAL__N_121softmax_warp_backwardIN3c104HalfES2_fLi10ELb0ELb0ELi32EEEvPT0_PKT_S7_iiiPKb.has_recursion, 0
	.set _ZN12_GLOBAL__N_121softmax_warp_backwardIN3c104HalfES2_fLi10ELb0ELb0ELi32EEEvPT0_PKT_S7_iiiPKb.has_indirect_call, 0
	.section	.AMDGPU.csdata,"",@progbits
; Kernel info:
; codeLenInByte = 4672
; TotalNumSgprs: 46
; NumVgprs: 72
; ScratchSize: 0
; MemoryBound: 0
; FloatMode: 240
; IeeeMode: 1
; LDSByteSize: 0 bytes/workgroup (compile time only)
; SGPRBlocks: 0
; VGPRBlocks: 8
; NumSGPRsForWavesPerEU: 46
; NumVGPRsForWavesPerEU: 72
; Occupancy: 12
; WaveLimiterHint : 0
; COMPUTE_PGM_RSRC2:SCRATCH_EN: 0
; COMPUTE_PGM_RSRC2:USER_SGPR: 6
; COMPUTE_PGM_RSRC2:TRAP_HANDLER: 0
; COMPUTE_PGM_RSRC2:TGID_X_EN: 1
; COMPUTE_PGM_RSRC2:TGID_Y_EN: 0
; COMPUTE_PGM_RSRC2:TGID_Z_EN: 0
; COMPUTE_PGM_RSRC2:TIDIG_COMP_CNT: 1
	.section	.text._ZN2at6native12_GLOBAL__N_124cunn_SoftMaxBackwardSmemILi8EN3c104HalfEfS4_NS1_23SoftMaxBackwardEpilogueEEEvPT0_PKT2_SA_l,"axG",@progbits,_ZN2at6native12_GLOBAL__N_124cunn_SoftMaxBackwardSmemILi8EN3c104HalfEfS4_NS1_23SoftMaxBackwardEpilogueEEEvPT0_PKT2_SA_l,comdat
	.globl	_ZN2at6native12_GLOBAL__N_124cunn_SoftMaxBackwardSmemILi8EN3c104HalfEfS4_NS1_23SoftMaxBackwardEpilogueEEEvPT0_PKT2_SA_l ; -- Begin function _ZN2at6native12_GLOBAL__N_124cunn_SoftMaxBackwardSmemILi8EN3c104HalfEfS4_NS1_23SoftMaxBackwardEpilogueEEEvPT0_PKT2_SA_l
	.p2align	8
	.type	_ZN2at6native12_GLOBAL__N_124cunn_SoftMaxBackwardSmemILi8EN3c104HalfEfS4_NS1_23SoftMaxBackwardEpilogueEEEvPT0_PKT2_SA_l,@function
_ZN2at6native12_GLOBAL__N_124cunn_SoftMaxBackwardSmemILi8EN3c104HalfEfS4_NS1_23SoftMaxBackwardEpilogueEEEvPT0_PKT2_SA_l: ; @_ZN2at6native12_GLOBAL__N_124cunn_SoftMaxBackwardSmemILi8EN3c104HalfEfS4_NS1_23SoftMaxBackwardEpilogueEEEvPT0_PKT2_SA_l
; %bb.0:
	s_load_dwordx8 s[8:15], s[4:5], 0x0
	v_mov_b32_e32 v2, 0
	v_lshlrev_b32_e32 v1, 3, v0
	v_lshl_add_u32 v5, v0, 4, 0
	s_waitcnt lgkmcnt(0)
	v_cmp_gt_i64_e32 vcc_lo, s[14:15], v[1:2]
	s_mul_i32 s0, s15, s6
	s_mul_hi_u32 s1, s14, s6
	s_mul_i32 s2, s14, s6
	s_add_i32 s3, s1, s0
	s_and_saveexec_b32 s1, vcc_lo
	s_cbranch_execz .LBB592_4
; %bb.1:
	s_load_dword s0, s[4:5], 0x2c
	s_lshl_b64 s[6:7], s[2:3], 1
	v_lshl_add_u32 v6, v0, 4, 0
	s_add_u32 s6, s12, s6
	s_addc_u32 s7, s13, s7
	v_mov_b32_e32 v2, 0
	v_mov_b32_e32 v3, v0
	s_mov_b32 s13, 0
	s_waitcnt lgkmcnt(0)
	s_and_b32 s12, s0, 0xffff
	v_add_lshl_u32 v1, v0, s12, 3
	s_lshl_b32 s16, s12, 3
	s_lshl_b32 s17, s12, 4
	s_inst_prefetch 0x1
	.p2align	6
.LBB592_2:                              ; =>This Inner Loop Header: Depth=1
	v_ashrrev_i32_e32 v4, 31, v3
	v_lshlrev_b64 v[7:8], 4, v[3:4]
	v_add_nc_u32_e32 v3, s12, v3
	v_add_co_u32 v7, s0, s6, v7
	v_add_co_ci_u32_e64 v8, null, s7, v8, s0
	global_load_dwordx4 v[7:10], v[7:8], off
	s_waitcnt vmcnt(0)
	v_cvt_f32_f16_e32 v4, v7
	v_cvt_f32_f16_sdwa v11, v7 dst_sel:DWORD dst_unused:UNUSED_PAD src0_sel:WORD_1
	v_cvt_f32_f16_sdwa v12, v10 dst_sel:DWORD dst_unused:UNUSED_PAD src0_sel:WORD_1
	ds_write_b128 v6, v[7:10]
	v_add_nc_u32_e32 v6, s17, v6
	v_add_f32_e32 v2, v2, v4
	v_cvt_f32_f16_e32 v4, v8
	v_add_f32_e32 v2, v2, v11
	v_cvt_f32_f16_sdwa v11, v8 dst_sel:DWORD dst_unused:UNUSED_PAD src0_sel:WORD_1
	v_add_f32_e32 v2, v2, v4
	v_cvt_f32_f16_e32 v4, v9
	v_add_f32_e32 v2, v2, v11
	v_cvt_f32_f16_sdwa v11, v9 dst_sel:DWORD dst_unused:UNUSED_PAD src0_sel:WORD_1
	v_add_f32_e32 v2, v2, v4
	v_cvt_f32_f16_e32 v4, v10
	v_add_f32_e32 v11, v2, v11
	v_ashrrev_i32_e32 v2, 31, v1
	v_add_f32_e32 v4, v11, v4
	v_cmp_le_i64_e64 s0, s[14:15], v[1:2]
	v_add_nc_u32_e32 v1, s16, v1
	v_add_f32_e32 v2, v4, v12
	s_or_b32 s13, s0, s13
	s_andn2_b32 exec_lo, exec_lo, s13
	s_cbranch_execnz .LBB592_2
; %bb.3:
	s_inst_prefetch 0x2
	s_or_b32 exec_lo, exec_lo, s13
.LBB592_4:
	s_or_b32 exec_lo, exec_lo, s1
	v_mbcnt_lo_u32_b32 v6, -1, 0
	s_lshl_b32 s1, s14, 1
	s_mov_b32 s6, exec_lo
	s_add_i32 s1, s1, 0
	s_waitcnt lgkmcnt(0)
	v_lshl_or_b32 v1, v6, 2, 64
	v_cmp_gt_u32_e64 s0, 24, v6
	s_barrier
	buffer_gl0_inv
	ds_bpermute_b32 v4, v1, v2
	v_cndmask_b32_e64 v3, 0, 8, s0
	v_cmp_gt_u32_e64 s0, 28, v6
	v_add_lshl_u32 v3, v3, v6, 2
	s_waitcnt lgkmcnt(0)
	v_add_f32_e32 v4, v2, v4
	v_cndmask_b32_e64 v2, 0, 4, s0
	v_cmp_gt_u32_e64 s0, 30, v6
	ds_bpermute_b32 v7, v3, v4
	v_add_lshl_u32 v2, v2, v6, 2
	s_waitcnt lgkmcnt(0)
	v_add_f32_e32 v7, v4, v7
	v_cndmask_b32_e64 v4, 0, 2, s0
	v_cmp_ne_u32_e64 s0, 31, v6
	ds_bpermute_b32 v8, v2, v7
	v_add_lshl_u32 v4, v4, v6, 2
	v_add_co_ci_u32_e64 v6, null, 0, v6, s0
	v_lshlrev_b32_e32 v6, 2, v6
	s_waitcnt lgkmcnt(0)
	v_add_f32_e32 v7, v7, v8
	ds_bpermute_b32 v8, v4, v7
	s_waitcnt lgkmcnt(0)
	v_add_f32_e32 v8, v7, v8
	v_and_b32_e32 v7, 31, v0
	ds_bpermute_b32 v9, v6, v8
	v_cmpx_eq_u32_e32 0, v7
	s_cbranch_execz .LBB592_6
; %bb.5:
	v_lshrrev_b32_e32 v10, 3, v0
	s_waitcnt lgkmcnt(0)
	v_add_f32_e32 v8, v8, v9
	v_add_nc_u32_e32 v10, s1, v10
	ds_write_b32 v10, v8
.LBB592_6:
	s_or_b32 exec_lo, exec_lo, s6
	s_waitcnt lgkmcnt(0)
	s_barrier
	buffer_gl0_inv
	s_load_dword s4, s[4:5], 0x2c
	v_mov_b32_e32 v8, 0
	s_mov_b32 s5, exec_lo
	s_waitcnt lgkmcnt(0)
	s_bfe_u32 s0, s4, 0xb0005
	v_cmpx_gt_u32_e64 s0, v0
; %bb.7:
	v_lshl_add_u32 v7, v7, 2, s1
	ds_read_b32 v8, v7
; %bb.8:
	s_or_b32 exec_lo, exec_lo, s5
	s_mov_b32 s5, exec_lo
	v_cmpx_gt_u32_e32 32, v0
	s_cbranch_execz .LBB592_10
; %bb.9:
	s_waitcnt lgkmcnt(0)
	ds_bpermute_b32 v1, v1, v8
	s_waitcnt lgkmcnt(0)
	v_add_f32_e32 v1, v8, v1
	ds_bpermute_b32 v3, v3, v1
	s_waitcnt lgkmcnt(0)
	v_add_f32_e32 v1, v1, v3
	;; [unrolled: 3-line block ×5, first 2 shown]
.LBB592_10:
	s_or_b32 exec_lo, exec_lo, s5
	s_mov_b32 s5, exec_lo
	v_cmpx_eq_u32_e32 0, v0
	s_cbranch_execz .LBB592_12
; %bb.11:
	v_mov_b32_e32 v1, s1
	s_waitcnt lgkmcnt(0)
	ds_write_b32 v1, v8
.LBB592_12:
	s_or_b32 exec_lo, exec_lo, s5
	s_waitcnt lgkmcnt(0)
	s_barrier
	buffer_gl0_inv
	s_and_saveexec_b32 s0, vcc_lo
	s_cbranch_execz .LBB592_15
; %bb.13:
	v_mov_b32_e32 v1, s1
	s_lshl_b64 s[6:7], s[2:3], 1
	s_and_b32 s1, 0xffff, s4
	s_add_u32 s2, s8, s6
	v_add_lshl_u32 v2, v0, s1, 3
	ds_read_b32 v4, v1
	s_addc_u32 s3, s9, s7
	s_add_u32 s4, s10, s6
	s_addc_u32 s5, s11, s7
	s_lshl_b32 s6, s1, 3
	s_mov_b32 s7, 0
	s_lshl_b32 s8, s1, 4
	s_inst_prefetch 0x1
	.p2align	6
.LBB592_14:                             ; =>This Inner Loop Header: Depth=1
	v_ashrrev_i32_e32 v1, 31, v0
	ds_read_b128 v[10:13], v5
	v_ashrrev_i32_e32 v3, 31, v2
	v_add_nc_u32_e32 v5, s8, v5
	v_lshlrev_b64 v[17:18], 4, v[0:1]
	v_add_nc_u32_e32 v0, s1, v0
	v_add_co_u32 v6, vcc_lo, s4, v17
	v_add_co_ci_u32_e64 v7, null, s5, v18, vcc_lo
	v_add_co_u32 v19, s0, s2, v17
	v_cmp_le_i64_e32 vcc_lo, s[14:15], v[2:3]
	global_load_dwordx4 v[6:9], v[6:7], off
	v_add_co_ci_u32_e64 v20, null, s3, v18, s0
	v_add_nc_u32_e32 v2, s6, v2
	s_or_b32 s7, vcc_lo, s7
	s_waitcnt vmcnt(0) lgkmcnt(0)
	v_fma_mixlo_f16 v14, -v4, v6, v10 op_sel_hi:[0,1,1]
	v_fma_mixlo_f16 v17, -v4, v9, v13 op_sel_hi:[0,1,1]
	;; [unrolled: 1-line block ×4, first 2 shown]
	v_fma_mixhi_f16 v14, -v4, v6, v10 op_sel:[0,1,1] op_sel_hi:[0,1,1]
	v_fma_mixhi_f16 v17, -v4, v9, v13 op_sel:[0,1,1] op_sel_hi:[0,1,1]
	;; [unrolled: 1-line block ×4, first 2 shown]
	global_store_dwordx4 v[19:20], v[14:17], off
	s_andn2_b32 exec_lo, exec_lo, s7
	s_cbranch_execnz .LBB592_14
.LBB592_15:
	s_inst_prefetch 0x2
	s_endpgm
	.section	.rodata,"a",@progbits
	.p2align	6, 0x0
	.amdhsa_kernel _ZN2at6native12_GLOBAL__N_124cunn_SoftMaxBackwardSmemILi8EN3c104HalfEfS4_NS1_23SoftMaxBackwardEpilogueEEEvPT0_PKT2_SA_l
		.amdhsa_group_segment_fixed_size 0
		.amdhsa_private_segment_fixed_size 0
		.amdhsa_kernarg_size 288
		.amdhsa_user_sgpr_count 6
		.amdhsa_user_sgpr_private_segment_buffer 1
		.amdhsa_user_sgpr_dispatch_ptr 0
		.amdhsa_user_sgpr_queue_ptr 0
		.amdhsa_user_sgpr_kernarg_segment_ptr 1
		.amdhsa_user_sgpr_dispatch_id 0
		.amdhsa_user_sgpr_flat_scratch_init 0
		.amdhsa_user_sgpr_private_segment_size 0
		.amdhsa_wavefront_size32 1
		.amdhsa_uses_dynamic_stack 0
		.amdhsa_system_sgpr_private_segment_wavefront_offset 0
		.amdhsa_system_sgpr_workgroup_id_x 1
		.amdhsa_system_sgpr_workgroup_id_y 0
		.amdhsa_system_sgpr_workgroup_id_z 0
		.amdhsa_system_sgpr_workgroup_info 0
		.amdhsa_system_vgpr_workitem_id 0
		.amdhsa_next_free_vgpr 21
		.amdhsa_next_free_sgpr 18
		.amdhsa_reserve_vcc 1
		.amdhsa_reserve_flat_scratch 0
		.amdhsa_float_round_mode_32 0
		.amdhsa_float_round_mode_16_64 0
		.amdhsa_float_denorm_mode_32 3
		.amdhsa_float_denorm_mode_16_64 3
		.amdhsa_dx10_clamp 1
		.amdhsa_ieee_mode 1
		.amdhsa_fp16_overflow 0
		.amdhsa_workgroup_processor_mode 1
		.amdhsa_memory_ordered 1
		.amdhsa_forward_progress 1
		.amdhsa_shared_vgpr_count 0
		.amdhsa_exception_fp_ieee_invalid_op 0
		.amdhsa_exception_fp_denorm_src 0
		.amdhsa_exception_fp_ieee_div_zero 0
		.amdhsa_exception_fp_ieee_overflow 0
		.amdhsa_exception_fp_ieee_underflow 0
		.amdhsa_exception_fp_ieee_inexact 0
		.amdhsa_exception_int_div_zero 0
	.end_amdhsa_kernel
	.section	.text._ZN2at6native12_GLOBAL__N_124cunn_SoftMaxBackwardSmemILi8EN3c104HalfEfS4_NS1_23SoftMaxBackwardEpilogueEEEvPT0_PKT2_SA_l,"axG",@progbits,_ZN2at6native12_GLOBAL__N_124cunn_SoftMaxBackwardSmemILi8EN3c104HalfEfS4_NS1_23SoftMaxBackwardEpilogueEEEvPT0_PKT2_SA_l,comdat
.Lfunc_end592:
	.size	_ZN2at6native12_GLOBAL__N_124cunn_SoftMaxBackwardSmemILi8EN3c104HalfEfS4_NS1_23SoftMaxBackwardEpilogueEEEvPT0_PKT2_SA_l, .Lfunc_end592-_ZN2at6native12_GLOBAL__N_124cunn_SoftMaxBackwardSmemILi8EN3c104HalfEfS4_NS1_23SoftMaxBackwardEpilogueEEEvPT0_PKT2_SA_l
                                        ; -- End function
	.set _ZN2at6native12_GLOBAL__N_124cunn_SoftMaxBackwardSmemILi8EN3c104HalfEfS4_NS1_23SoftMaxBackwardEpilogueEEEvPT0_PKT2_SA_l.num_vgpr, 21
	.set _ZN2at6native12_GLOBAL__N_124cunn_SoftMaxBackwardSmemILi8EN3c104HalfEfS4_NS1_23SoftMaxBackwardEpilogueEEEvPT0_PKT2_SA_l.num_agpr, 0
	.set _ZN2at6native12_GLOBAL__N_124cunn_SoftMaxBackwardSmemILi8EN3c104HalfEfS4_NS1_23SoftMaxBackwardEpilogueEEEvPT0_PKT2_SA_l.numbered_sgpr, 18
	.set _ZN2at6native12_GLOBAL__N_124cunn_SoftMaxBackwardSmemILi8EN3c104HalfEfS4_NS1_23SoftMaxBackwardEpilogueEEEvPT0_PKT2_SA_l.num_named_barrier, 0
	.set _ZN2at6native12_GLOBAL__N_124cunn_SoftMaxBackwardSmemILi8EN3c104HalfEfS4_NS1_23SoftMaxBackwardEpilogueEEEvPT0_PKT2_SA_l.private_seg_size, 0
	.set _ZN2at6native12_GLOBAL__N_124cunn_SoftMaxBackwardSmemILi8EN3c104HalfEfS4_NS1_23SoftMaxBackwardEpilogueEEEvPT0_PKT2_SA_l.uses_vcc, 1
	.set _ZN2at6native12_GLOBAL__N_124cunn_SoftMaxBackwardSmemILi8EN3c104HalfEfS4_NS1_23SoftMaxBackwardEpilogueEEEvPT0_PKT2_SA_l.uses_flat_scratch, 0
	.set _ZN2at6native12_GLOBAL__N_124cunn_SoftMaxBackwardSmemILi8EN3c104HalfEfS4_NS1_23SoftMaxBackwardEpilogueEEEvPT0_PKT2_SA_l.has_dyn_sized_stack, 0
	.set _ZN2at6native12_GLOBAL__N_124cunn_SoftMaxBackwardSmemILi8EN3c104HalfEfS4_NS1_23SoftMaxBackwardEpilogueEEEvPT0_PKT2_SA_l.has_recursion, 0
	.set _ZN2at6native12_GLOBAL__N_124cunn_SoftMaxBackwardSmemILi8EN3c104HalfEfS4_NS1_23SoftMaxBackwardEpilogueEEEvPT0_PKT2_SA_l.has_indirect_call, 0
	.section	.AMDGPU.csdata,"",@progbits
; Kernel info:
; codeLenInByte = 1072
; TotalNumSgprs: 20
; NumVgprs: 21
; ScratchSize: 0
; MemoryBound: 0
; FloatMode: 240
; IeeeMode: 1
; LDSByteSize: 0 bytes/workgroup (compile time only)
; SGPRBlocks: 0
; VGPRBlocks: 2
; NumSGPRsForWavesPerEU: 20
; NumVGPRsForWavesPerEU: 21
; Occupancy: 16
; WaveLimiterHint : 0
; COMPUTE_PGM_RSRC2:SCRATCH_EN: 0
; COMPUTE_PGM_RSRC2:USER_SGPR: 6
; COMPUTE_PGM_RSRC2:TRAP_HANDLER: 0
; COMPUTE_PGM_RSRC2:TGID_X_EN: 1
; COMPUTE_PGM_RSRC2:TGID_Y_EN: 0
; COMPUTE_PGM_RSRC2:TGID_Z_EN: 0
; COMPUTE_PGM_RSRC2:TIDIG_COMP_CNT: 0
	.section	.text._ZN2at6native12_GLOBAL__N_120cunn_SoftMaxBackwardILi8EN3c104HalfEfS4_NS1_23SoftMaxBackwardEpilogueEEEvPT0_PKT2_SA_l,"axG",@progbits,_ZN2at6native12_GLOBAL__N_120cunn_SoftMaxBackwardILi8EN3c104HalfEfS4_NS1_23SoftMaxBackwardEpilogueEEEvPT0_PKT2_SA_l,comdat
	.globl	_ZN2at6native12_GLOBAL__N_120cunn_SoftMaxBackwardILi8EN3c104HalfEfS4_NS1_23SoftMaxBackwardEpilogueEEEvPT0_PKT2_SA_l ; -- Begin function _ZN2at6native12_GLOBAL__N_120cunn_SoftMaxBackwardILi8EN3c104HalfEfS4_NS1_23SoftMaxBackwardEpilogueEEEvPT0_PKT2_SA_l
	.p2align	8
	.type	_ZN2at6native12_GLOBAL__N_120cunn_SoftMaxBackwardILi8EN3c104HalfEfS4_NS1_23SoftMaxBackwardEpilogueEEEvPT0_PKT2_SA_l,@function
_ZN2at6native12_GLOBAL__N_120cunn_SoftMaxBackwardILi8EN3c104HalfEfS4_NS1_23SoftMaxBackwardEpilogueEEEvPT0_PKT2_SA_l: ; @_ZN2at6native12_GLOBAL__N_120cunn_SoftMaxBackwardILi8EN3c104HalfEfS4_NS1_23SoftMaxBackwardEpilogueEEEvPT0_PKT2_SA_l
; %bb.0:
	s_load_dwordx8 s[8:15], s[4:5], 0x0
	s_mov_b32 s27, 0
	s_waitcnt lgkmcnt(0)
	s_mul_i32 s1, s15, s6
	s_mul_hi_u32 s2, s14, s6
	s_mul_i32 s0, s14, s6
	s_add_i32 s1, s2, s1
	v_cmp_lt_i64_e64 s7, 0x7ffffffe, s[14:15]
	s_lshl_b64 s[22:23], s[0:1], 1
	s_mov_b64 s[16:17], s[14:15]
	s_add_u32 s2, s12, s22
	s_addc_u32 s3, s13, s23
	s_bfe_u32 s26, s2, 0x30001
	s_cmp_lg_u32 s26, 0
	s_cselect_b32 s28, -1, 0
	s_and_b32 vcc_lo, exec_lo, s7
	s_cbranch_vccz .LBB593_16
; %bb.1:
	v_mov_b32_e32 v1, 0
	s_add_u32 s0, s4, 32
	s_addc_u32 s1, s5, 0
	s_and_b32 vcc_lo, exec_lo, s28
	s_cbranch_vccz .LBB593_39
; %bb.2:
	s_lshl_b32 s0, s26, 1
	v_mov_b32_e32 v6, v1
	s_sub_u32 s20, s2, s0
	s_mov_b32 s24, 0
	s_subb_u32 s21, s3, 0
	s_mov_b32 s0, exec_lo
	v_cmpx_le_u64_e64 s[26:27], v[0:1]
	s_cbranch_execz .LBB593_4
; %bb.3:
	v_lshlrev_b32_e32 v2, 1, v0
	global_load_ushort v2, v2, s[20:21]
	s_waitcnt vmcnt(0)
	v_cvt_f32_f16_e32 v2, v2
	v_add_f32_e32 v6, 0, v2
.LBB593_4:
	s_or_b32 exec_lo, exec_lo, s0
	s_load_dword s18, s[4:5], 0x2c
	s_add_u32 s19, s26, s14
	s_addc_u32 s25, 0, s15
	s_add_u32 s0, s4, 32
	s_addc_u32 s1, s5, 0
	s_waitcnt lgkmcnt(0)
	s_and_b32 s29, s18, 0xffff
	s_sub_u32 s18, s19, s29
	s_subb_u32 s19, s25, 0
	s_lshl_b32 s25, s29, 1
	s_add_u32 s20, s20, s25
	s_addc_u32 s21, s21, 0
	s_and_b32 vcc_lo, exec_lo, s24
	s_cbranch_vccz .LBB593_6
.LBB593_5:
	v_mov_b32_e32 v6, 0
	s_mov_b64 s[18:19], s[16:17]
	s_mov_b64 s[20:21], s[2:3]
.LBB593_6:
	s_load_dword s24, s[0:1], 0x0
	v_mov_b32_e32 v2, 0
	s_waitcnt lgkmcnt(0)
	s_cmp_lt_u32 s6, s24
	s_cselect_b32 s24, 12, 18
	s_add_u32 s0, s0, s24
	s_addc_u32 s1, s1, 0
	global_load_ushort v2, v2, s[0:1]
	s_mov_b32 s0, 0
	s_waitcnt vmcnt(0)
	v_readfirstlane_b32 s1, v2
	v_and_b32_e32 v7, 0xffff, v2
	s_and_b32 s24, 0xffff, s1
	s_mov_b32 s1, s19
	s_lshl_b32 s29, s24, 3
	s_cmp_lg_u64 s[0:1], 0
	s_cbranch_scc0 .LBB593_40
; %bb.7:
	v_cvt_f32_u32_e32 v2, s29
	s_sub_u32 s25, 0, s29
	s_subb_u32 s30, 0, 0
	v_fmamk_f32 v2, 0, 0x4f800000, v2
	v_rcp_f32_e32 v2, v2
	v_mul_f32_e32 v2, 0x5f7ffffc, v2
	v_mul_f32_e32 v3, 0x2f800000, v2
	v_trunc_f32_e32 v3, v3
	v_fmamk_f32 v2, v3, 0xcf800000, v2
	v_cvt_u32_f32_e32 v3, v3
	v_cvt_u32_f32_e32 v2, v2
	v_readfirstlane_b32 s1, v3
	v_readfirstlane_b32 s24, v2
	s_mul_i32 s31, s25, s1
	s_mul_hi_u32 s34, s25, s24
	s_mul_i32 s33, s30, s24
	s_add_i32 s31, s34, s31
	s_mul_i32 s35, s25, s24
	s_add_i32 s31, s31, s33
	s_mul_hi_u32 s34, s24, s35
	s_mul_i32 s37, s24, s31
	s_mul_hi_u32 s36, s1, s35
	s_mul_i32 s33, s1, s35
	s_mul_hi_u32 s35, s24, s31
	s_add_u32 s34, s34, s37
	s_addc_u32 s35, 0, s35
	s_mul_hi_u32 s38, s1, s31
	s_add_u32 s33, s34, s33
	s_mul_i32 s31, s1, s31
	s_addc_u32 s33, s35, s36
	s_addc_u32 s34, s38, 0
	s_add_u32 s31, s33, s31
	s_addc_u32 s33, 0, s34
	s_add_u32 s24, s24, s31
	s_cselect_b32 s31, -1, 0
	s_mul_hi_u32 s34, s25, s24
	s_cmp_lg_u32 s31, 0
	s_mul_i32 s31, s25, s24
	s_addc_u32 s1, s1, s33
	s_mul_i32 s30, s30, s24
	s_mul_i32 s25, s25, s1
	s_mul_hi_u32 s33, s24, s31
	s_add_i32 s25, s34, s25
	s_mul_hi_u32 s34, s1, s31
	s_add_i32 s25, s25, s30
	s_mul_i32 s30, s1, s31
	s_mul_i32 s36, s24, s25
	s_mul_hi_u32 s35, s24, s25
	s_add_u32 s33, s33, s36
	s_addc_u32 s35, 0, s35
	s_mul_hi_u32 s31, s1, s25
	s_add_u32 s30, s33, s30
	s_mul_i32 s25, s1, s25
	s_addc_u32 s30, s35, s34
	s_addc_u32 s31, s31, 0
	s_add_u32 s25, s30, s25
	s_addc_u32 s30, 0, s31
	s_add_u32 s24, s24, s25
	s_cselect_b32 s25, -1, 0
	s_mul_hi_u32 s31, s18, s24
	s_cmp_lg_u32 s25, 0
	s_mul_hi_u32 s25, s19, s24
	s_addc_u32 s1, s1, s30
	s_mul_i32 s24, s19, s24
	s_mul_i32 s33, s18, s1
	s_mul_hi_u32 s30, s18, s1
	s_add_u32 s31, s31, s33
	s_addc_u32 s30, 0, s30
	s_mul_hi_u32 s34, s19, s1
	s_add_u32 s24, s31, s24
	s_mul_i32 s1, s19, s1
	s_addc_u32 s24, s30, s25
	s_addc_u32 s25, s34, 0
	s_add_u32 s1, s24, s1
	s_addc_u32 s24, 0, s25
	s_mul_hi_u32 s25, s29, s1
	s_mul_i32 s24, s29, s24
	s_mul_i32 s1, s29, s1
	s_add_i32 s25, s25, s24
	s_sub_u32 s1, s18, s1
	s_cselect_b32 s24, -1, 0
	s_cmp_lg_u32 s24, 0
	s_subb_u32 s24, s19, s25
	s_sub_u32 s25, s1, s29
	s_cselect_b32 s30, -1, 0
	s_cmp_lg_u32 s30, 0
	s_subb_u32 s30, s24, 0
	s_sub_u32 s31, s25, s29
	s_cselect_b32 s33, -1, 0
	s_cmp_lg_u32 s33, 0
	s_subb_u32 s33, s30, 0
	s_cmp_ge_u32 s25, s29
	s_cselect_b32 s34, -1, 0
	s_cmp_eq_u32 s30, 0
	s_cselect_b32 s34, s34, -1
	s_cmp_lg_u32 s34, 0
	s_cselect_b32 s30, s33, s30
	s_cselect_b32 s31, s31, s25
	s_cmp_ge_u32 s1, s29
	s_cselect_b32 s25, -1, 0
	s_cmp_eq_u32 s24, 0
	s_cselect_b32 s25, s25, -1
	s_cmp_lg_u32 s25, 0
	s_cselect_b32 s25, s30, s24
	s_cselect_b32 s24, s31, s1
	s_andn2_b32 vcc_lo, exec_lo, s0
	s_cbranch_vccnz .LBB593_9
.LBB593_8:
	v_cvt_f32_u32_e32 v2, s29
	s_sub_i32 s1, 0, s29
	s_mov_b32 s25, 0
	v_rcp_iflag_f32_e32 v2, v2
	v_mul_f32_e32 v2, 0x4f7ffffe, v2
	v_cvt_u32_f32_e32 v2, v2
	v_readfirstlane_b32 s0, v2
	s_mul_i32 s1, s1, s0
	s_mul_hi_u32 s1, s0, s1
	s_add_i32 s0, s0, s1
	s_mul_hi_u32 s0, s18, s0
	s_mul_i32 s0, s0, s29
	s_sub_i32 s0, s18, s0
	s_sub_i32 s1, s0, s29
	s_cmp_ge_u32 s0, s29
	s_cselect_b32 s0, s1, s0
	s_sub_i32 s1, s0, s29
	s_cmp_ge_u32 s0, s29
	s_cselect_b32 s24, s1, s0
.LBB593_9:
	v_lshlrev_b32_e32 v2, 4, v0
	v_mov_b32_e32 v5, v1
	v_lshlrev_b32_e32 v8, 4, v7
	v_mov_b32_e32 v4, v0
	s_sub_u32 s24, s18, s24
	v_add_co_u32 v2, s0, s20, v2
	v_add_co_ci_u32_e64 v3, null, s21, 0, s0
	s_subb_u32 s25, s19, s25
	s_mov_b32 s1, 0
	s_inst_prefetch 0x1
	.p2align	6
.LBB593_10:                             ; =>This Inner Loop Header: Depth=1
	global_load_dwordx4 v[9:12], v[2:3], off
	v_add_co_u32 v4, vcc_lo, v4, v7
	v_add_co_ci_u32_e64 v5, null, 0, v5, vcc_lo
	v_add_co_u32 v2, s0, v2, v8
	v_add_co_ci_u32_e64 v3, null, 0, v3, s0
	s_waitcnt vmcnt(0)
	v_cvt_f32_f16_e32 v1, v9
	v_cvt_f32_f16_sdwa v9, v9 dst_sel:DWORD dst_unused:UNUSED_PAD src0_sel:WORD_1
	v_add_f32_e32 v1, v6, v1
	v_cvt_f32_f16_e32 v6, v10
	v_add_f32_e32 v1, v1, v9
	v_cvt_f32_f16_sdwa v9, v10 dst_sel:DWORD dst_unused:UNUSED_PAD src0_sel:WORD_1
	v_add_f32_e32 v1, v1, v6
	v_cvt_f32_f16_e32 v6, v11
	v_cvt_f32_f16_sdwa v11, v11 dst_sel:DWORD dst_unused:UNUSED_PAD src0_sel:WORD_1
	v_add_f32_e32 v1, v1, v9
	v_lshlrev_b64 v[9:10], 3, v[4:5]
	v_add_f32_e32 v1, v1, v6
	v_cvt_f32_f16_e32 v6, v12
	v_cmp_le_i64_e32 vcc_lo, s[24:25], v[9:10]
	v_cvt_f32_f16_sdwa v9, v12 dst_sel:DWORD dst_unused:UNUSED_PAD src0_sel:WORD_1
	v_add_f32_e32 v1, v1, v11
	s_or_b32 s1, vcc_lo, s1
	v_add_f32_e32 v1, v1, v6
	v_add_f32_e32 v6, v1, v9
	s_andn2_b32 exec_lo, exec_lo, s1
	s_cbranch_execnz .LBB593_10
; %bb.11:
	s_inst_prefetch 0x2
	s_or_b32 exec_lo, exec_lo, s1
	v_add_co_u32 v1, s0, s24, v0
	v_add_co_ci_u32_e64 v2, null, s25, 0, s0
	s_mov_b32 s0, exec_lo
	v_cmpx_gt_u64_e64 s[18:19], v[1:2]
	s_cbranch_execz .LBB593_15
; %bb.12:
	s_mov_b32 s1, 0
	.p2align	6
.LBB593_13:                             ; =>This Inner Loop Header: Depth=1
	v_lshlrev_b64 v[3:4], 1, v[1:2]
	v_add_co_u32 v3, vcc_lo, s20, v3
	v_add_co_ci_u32_e64 v4, null, s21, v4, vcc_lo
	v_add_co_u32 v1, vcc_lo, v1, v7
	v_add_co_ci_u32_e64 v2, null, 0, v2, vcc_lo
	global_load_ushort v3, v[3:4], off
	v_cmp_le_i64_e32 vcc_lo, s[18:19], v[1:2]
	s_or_b32 s1, vcc_lo, s1
	s_waitcnt vmcnt(0)
	v_cvt_f32_f16_e32 v3, v3
	v_add_f32_e32 v6, v6, v3
	s_andn2_b32 exec_lo, exec_lo, s1
	s_cbranch_execnz .LBB593_13
; %bb.14:
	s_or_b32 exec_lo, exec_lo, s1
.LBB593_15:
	s_or_b32 exec_lo, exec_lo, s0
	s_branch .LBB593_31
.LBB593_16:
                                        ; implicit-def: $vgpr6
	s_cbranch_execz .LBB593_31
; %bb.17:
	s_add_u32 s18, s4, 32
	s_addc_u32 s19, s5, 0
	s_and_b32 vcc_lo, exec_lo, s28
	s_cbranch_vccz .LBB593_41
; %bb.18:
	s_lshl_b64 s[0:1], s[26:27], 1
	v_cmp_le_u32_e32 vcc_lo, s26, v0
	s_sub_u32 s20, s2, s0
	s_subb_u32 s21, s3, s1
	s_add_i32 s1, s26, s14
	v_mov_b32_e32 v6, 0
	v_cmp_gt_i32_e64 s0, s1, v0
	s_and_b32 s18, vcc_lo, s0
	s_and_saveexec_b32 s0, s18
	s_cbranch_execz .LBB593_20
; %bb.19:
	v_lshlrev_b32_e32 v1, 1, v0
	global_load_ushort v1, v1, s[20:21]
	s_waitcnt vmcnt(0)
	v_cvt_f32_f16_e32 v1, v1
	v_add_f32_e32 v6, 0, v1
.LBB593_20:
	s_or_b32 exec_lo, exec_lo, s0
	s_load_dword s0, s[4:5], 0x2c
	s_add_u32 s18, s4, 32
	s_addc_u32 s19, s5, 0
	s_waitcnt lgkmcnt(0)
	s_and_b32 s0, s0, 0xffff
	v_sub_nc_u32_e64 v1, s1, s0 clamp
	s_lshl_b32 s0, s0, 1
	s_add_u32 s0, s20, s0
	s_addc_u32 s1, s21, 0
	v_readfirstlane_b32 s24, v1
	s_branch .LBB593_22
.LBB593_21:
	v_mov_b32_e32 v6, 0
	s_mov_b32 s24, s14
	s_mov_b64 s[0:1], s[2:3]
.LBB593_22:
	s_load_dword s20, s[18:19], 0x0
	v_mov_b32_e32 v1, 0
	s_waitcnt lgkmcnt(0)
	s_cmp_lt_u32 s6, s20
	s_cselect_b32 s20, 12, 18
	s_add_u32 s18, s18, s20
	s_addc_u32 s19, s19, 0
	global_load_ushort v3, v1, s[18:19]
	s_waitcnt vmcnt(0)
	v_readfirstlane_b32 s18, v3
	s_lshl_b32 s18, s18, 3
	v_cvt_f32_u32_e32 v1, s18
	s_sub_i32 s20, 0, s18
	v_rcp_iflag_f32_e32 v1, v1
	v_mul_f32_e32 v1, 0x4f7ffffe, v1
	v_cvt_u32_f32_e32 v1, v1
	v_readfirstlane_b32 s19, v1
	v_lshlrev_b32_e32 v1, 3, v0
	s_mul_i32 s20, s20, s19
	s_mul_hi_u32 s20, s19, s20
	s_add_i32 s19, s19, s20
	s_mul_hi_u32 s19, s24, s19
	s_mul_i32 s19, s19, s18
	s_sub_i32 s19, s24, s19
	s_sub_i32 s20, s19, s18
	s_cmp_ge_u32 s19, s18
	s_cselect_b32 s19, s20, s19
	s_sub_i32 s20, s19, s18
	s_cmp_ge_u32 s19, s18
	s_cselect_b32 s18, s20, s19
	s_mov_b32 s20, 0
	s_sub_i32 s18, s24, s18
	s_mov_b32 s19, exec_lo
	v_cmpx_gt_i32_e64 s18, v1
	s_cbranch_execz .LBB593_26
; %bb.23:
	v_mov_b32_e32 v1, v0
	s_inst_prefetch 0x1
	.p2align	6
.LBB593_24:                             ; =>This Inner Loop Header: Depth=1
	v_ashrrev_i32_e32 v2, 31, v1
	v_lshlrev_b64 v[4:5], 4, v[1:2]
	v_add_nc_u32_e32 v1, v1, v3
	v_add_co_u32 v4, vcc_lo, s0, v4
	v_add_co_ci_u32_e64 v5, null, s1, v5, vcc_lo
	global_load_dwordx4 v[7:10], v[4:5], off
	s_waitcnt vmcnt(0)
	v_cvt_f32_f16_e32 v2, v7
	v_cvt_f32_f16_sdwa v4, v7 dst_sel:DWORD dst_unused:UNUSED_PAD src0_sel:WORD_1
	v_cvt_f32_f16_e32 v5, v8
	v_add_f32_e32 v2, v6, v2
	v_cvt_f32_f16_sdwa v6, v10 dst_sel:DWORD dst_unused:UNUSED_PAD src0_sel:WORD_1
	v_add_f32_e32 v2, v2, v4
	v_cvt_f32_f16_sdwa v4, v8 dst_sel:DWORD dst_unused:UNUSED_PAD src0_sel:WORD_1
	v_add_f32_e32 v2, v2, v5
	v_cvt_f32_f16_e32 v5, v9
	v_add_f32_e32 v2, v2, v4
	v_cvt_f32_f16_sdwa v4, v9 dst_sel:DWORD dst_unused:UNUSED_PAD src0_sel:WORD_1
	v_add_f32_e32 v2, v2, v5
	v_cvt_f32_f16_e32 v5, v10
	v_add_f32_e32 v2, v2, v4
	v_lshlrev_b32_e32 v4, 3, v1
	v_add_f32_e32 v2, v2, v5
	v_cmp_le_i32_e32 vcc_lo, s18, v4
	v_add_f32_e32 v6, v2, v6
	s_or_b32 s20, vcc_lo, s20
	s_andn2_b32 exec_lo, exec_lo, s20
	s_cbranch_execnz .LBB593_24
; %bb.25:
	s_inst_prefetch 0x2
	s_or_b32 exec_lo, exec_lo, s20
.LBB593_26:
	s_or_b32 exec_lo, exec_lo, s19
	v_add_nc_u32_e32 v1, s18, v0
	s_mov_b32 s18, exec_lo
	v_cmpx_gt_i32_e64 s24, v1
	s_cbranch_execz .LBB593_30
; %bb.27:
	s_mov_b32 s19, 0
.LBB593_28:                             ; =>This Inner Loop Header: Depth=1
	v_ashrrev_i32_e32 v2, 31, v1
	v_lshlrev_b64 v[4:5], 1, v[1:2]
	v_add_nc_u32_e32 v1, v1, v3
	v_add_co_u32 v4, vcc_lo, s0, v4
	v_add_co_ci_u32_e64 v5, null, s1, v5, vcc_lo
	v_cmp_le_i32_e32 vcc_lo, s24, v1
	global_load_ushort v2, v[4:5], off
	s_or_b32 s19, vcc_lo, s19
	s_waitcnt vmcnt(0)
	v_cvt_f32_f16_e32 v2, v2
	v_add_f32_e32 v6, v6, v2
	s_andn2_b32 exec_lo, exec_lo, s19
	s_cbranch_execnz .LBB593_28
; %bb.29:
	s_or_b32 exec_lo, exec_lo, s19
.LBB593_30:
	s_or_b32 exec_lo, exec_lo, s18
.LBB593_31:
	v_lshl_add_u32 v1, v0, 2, 0
	s_barrier
	buffer_gl0_inv
	ds_write_b32 v1, v6
	s_waitcnt lgkmcnt(0)
	s_barrier
	buffer_gl0_inv
	s_load_dword s1, s[4:5], 0x2c
	s_add_u32 s4, s4, 32
	s_addc_u32 s5, s5, 0
	s_waitcnt lgkmcnt(0)
	s_bfe_u32 s0, s1, 0xb0005
	s_and_b32 s0, s0, 0xffff
	s_min_u32 s18, s0, 32
	v_cmp_gt_u32_e32 vcc_lo, s18, v0
	s_and_saveexec_b32 s18, vcc_lo
	s_cbranch_execz .LBB593_33
; %bb.32:
	v_mad_u32_u24 v10, 0x7c, v0, v1
	ds_read2_b32 v[2:3], v10 offset1:1
	ds_read2_b32 v[4:5], v10 offset0:2 offset1:3
	ds_read2_b32 v[6:7], v10 offset0:4 offset1:5
	;; [unrolled: 1-line block ×3, first 2 shown]
	s_waitcnt lgkmcnt(3)
	v_add_f32_e32 v2, 0, v2
	v_add_f32_e32 v2, v2, v3
	s_waitcnt lgkmcnt(2)
	v_add_f32_e32 v2, v2, v4
	v_add_f32_e32 v4, v2, v5
	ds_read2_b32 v[2:3], v10 offset0:8 offset1:9
	s_waitcnt lgkmcnt(2)
	v_add_f32_e32 v4, v4, v6
	v_add_f32_e32 v6, v4, v7
	ds_read2_b32 v[4:5], v10 offset0:10 offset1:11
	;; [unrolled: 4-line block ×3, first 2 shown]
	ds_read2_b32 v[8:9], v10 offset0:14 offset1:15
	s_waitcnt lgkmcnt(3)
	v_add_f32_e32 v2, v11, v2
	v_add_f32_e32 v2, v2, v3
	s_waitcnt lgkmcnt(2)
	v_add_f32_e32 v2, v2, v4
	v_add_f32_e32 v4, v2, v5
	ds_read2_b32 v[2:3], v10 offset0:16 offset1:17
	s_waitcnt lgkmcnt(2)
	v_add_f32_e32 v4, v4, v6
	v_add_f32_e32 v6, v4, v7
	ds_read2_b32 v[4:5], v10 offset0:18 offset1:19
	;; [unrolled: 4-line block ×3, first 2 shown]
	ds_read2_b32 v[8:9], v10 offset0:22 offset1:23
	s_waitcnt lgkmcnt(3)
	v_add_f32_e32 v2, v11, v2
	v_add_f32_e32 v2, v2, v3
	s_waitcnt lgkmcnt(2)
	v_add_f32_e32 v2, v2, v4
	v_add_f32_e32 v2, v2, v5
	s_waitcnt lgkmcnt(1)
	v_add_f32_e32 v4, v2, v6
	ds_read2_b32 v[2:3], v10 offset0:24 offset1:25
	v_add_f32_e32 v4, v4, v7
	s_waitcnt lgkmcnt(1)
	v_add_f32_e32 v6, v4, v8
	ds_read2_b32 v[4:5], v10 offset0:26 offset1:27
	v_add_f32_e32 v11, v6, v9
	ds_read2_b32 v[6:7], v10 offset0:28 offset1:29
	ds_read2_b32 v[8:9], v10 offset0:30 offset1:31
	s_waitcnt lgkmcnt(3)
	v_add_f32_e32 v2, v11, v2
	v_add_f32_e32 v2, v2, v3
	s_waitcnt lgkmcnt(2)
	v_add_f32_e32 v2, v2, v4
	v_add_f32_e32 v2, v2, v5
	;; [unrolled: 3-line block ×4, first 2 shown]
	ds_write_b32 v1, v2
.LBB593_33:
	s_or_b32 exec_lo, exec_lo, s18
	s_and_b32 s30, 0xffff, s1
	s_mov_b32 s1, exec_lo
	s_waitcnt lgkmcnt(0)
	s_barrier
	buffer_gl0_inv
	v_cmpx_eq_u32_e32 0, v0
	s_cbranch_execz .LBB593_46
; %bb.34:
	v_mov_b32_e32 v1, 0
	s_cmp_lt_u32 s30, 32
	s_cbranch_scc1 .LBB593_45
; %bb.35:
	s_add_i32 s18, s0, -1
	v_mov_b32_e32 v1, 0
	s_and_b32 s18, s18, 0xffff
	s_cmp_lt_u32 s18, 7
	s_cbranch_scc1 .LBB593_42
; %bb.36:
	s_and_b32 s18, s0, 0x7f8
	s_mov_b32 s19, 0
	s_mov_b32 s20, 0
	.p2align	6
.LBB593_37:                             ; =>This Inner Loop Header: Depth=1
	v_mov_b32_e32 v8, s20
	s_add_i32 s19, s19, 8
	s_add_i32 s20, s20, 32
	s_cmp_eq_u32 s18, s19
	ds_read2_b32 v[2:3], v8 offset1:1
	ds_read2_b32 v[4:5], v8 offset0:2 offset1:3
	ds_read2_b32 v[6:7], v8 offset0:4 offset1:5
	;; [unrolled: 1-line block ×3, first 2 shown]
	s_waitcnt lgkmcnt(3)
	v_add_f32_e32 v1, v1, v2
	v_add_f32_e32 v1, v1, v3
	s_waitcnt lgkmcnt(2)
	v_add_f32_e32 v1, v1, v4
	v_add_f32_e32 v1, v1, v5
	;; [unrolled: 3-line block ×4, first 2 shown]
	s_cbranch_scc0 .LBB593_37
; %bb.38:
	s_and_b32 s0, s0, 7
	s_cmp_eq_u32 s0, 0
	s_cbranch_scc0 .LBB593_43
	s_branch .LBB593_45
.LBB593_39:
                                        ; implicit-def: $sgpr20_sgpr21
                                        ; implicit-def: $sgpr18_sgpr19
                                        ; implicit-def: $vgpr6
	s_cbranch_execnz .LBB593_5
	s_branch .LBB593_6
.LBB593_40:
                                        ; implicit-def: $sgpr24_sgpr25
	s_branch .LBB593_8
.LBB593_41:
                                        ; implicit-def: $sgpr0_sgpr1
                                        ; implicit-def: $sgpr24
                                        ; implicit-def: $vgpr6
	s_cbranch_execnz .LBB593_21
	s_branch .LBB593_22
.LBB593_42:
	s_mov_b32 s18, 0
	s_and_b32 s0, s0, 7
	s_cmp_eq_u32 s0, 0
	s_cbranch_scc1 .LBB593_45
.LBB593_43:
	s_lshl_b32 s18, s18, 2
	s_add_i32 s18, s18, 0
.LBB593_44:                             ; =>This Inner Loop Header: Depth=1
	v_mov_b32_e32 v2, s18
	s_add_i32 s0, s0, -1
	s_add_i32 s18, s18, 4
	s_cmp_lg_u32 s0, 0
	ds_read_b32 v2, v2
	s_waitcnt lgkmcnt(0)
	v_add_f32_e32 v1, v1, v2
	s_cbranch_scc1 .LBB593_44
.LBB593_45:
	v_mov_b32_e32 v2, 0
	ds_write_b32 v2, v1
.LBB593_46:
	s_or_b32 exec_lo, exec_lo, s1
	v_mov_b32_e32 v1, 0
	s_waitcnt lgkmcnt(0)
	s_barrier
	buffer_gl0_inv
	s_add_u32 s18, s8, s22
	ds_read_b32 v6, v1
	s_addc_u32 s19, s9, s23
	s_add_u32 s20, s10, s22
	s_addc_u32 s21, s11, s23
	s_lshr_b64 s[0:1], s[18:19], 1
	s_mov_b32 s25, 0
	s_and_b32 s24, s0, 7
	s_bfe_u32 s0, s20, 0x30001
	s_mov_b32 s1, s25
	s_cmp_eq_u64 s[24:25], s[0:1]
	s_cselect_b32 s0, -1, 0
	s_cmp_eq_u64 s[24:25], s[26:27]
	s_cselect_b32 s1, -1, 0
	s_and_b32 s0, s0, s1
	s_andn2_b32 vcc_lo, exec_lo, s0
	s_mov_b32 s0, -1
	s_cbranch_vccz .LBB593_65
; %bb.47:
	s_and_b32 vcc_lo, exec_lo, s7
	s_cbranch_vccz .LBB593_56
; %bb.48:
	s_lshl_b32 s1, s30, 3
	s_mov_b32 s33, 0
	v_cvt_f32_u32_e32 v1, s1
	s_sub_i32 s26, 0, s1
	s_mov_b32 s31, exec_lo
	v_rcp_iflag_f32_e32 v1, v1
	v_mul_f32_e32 v1, 0x4f7ffffe, v1
	v_cvt_u32_f32_e32 v1, v1
	v_readfirstlane_b32 s0, v1
	v_mov_b32_e32 v1, 0
	s_mul_i32 s26, s26, s0
	v_mov_b32_e32 v3, v1
	s_mul_hi_u32 s26, s0, s26
	v_mov_b32_e32 v2, v0
	s_add_i32 s0, s0, s26
	s_mul_hi_u32 s0, s14, s0
	s_mul_i32 s0, s0, s1
	s_sub_i32 s0, s14, s0
	s_sub_i32 s26, s0, s1
	s_cmp_ge_u32 s0, s1
	s_cselect_b32 s0, s26, s0
	s_sub_i32 s26, s0, s1
	s_cmp_ge_u32 s0, s1
	s_cselect_b32 s0, s26, s0
	s_bfe_i64 s[26:27], s[14:15], 0x200000
	s_sub_u32 s28, s26, s0
	s_subb_u32 s29, s27, 0
	v_cmpx_gt_i64_e64 s[28:29], v[0:1]
	s_cbranch_execz .LBB593_52
; %bb.49:
	v_lshlrev_b64 v[2:3], 1, v[0:1]
	s_lshl_b32 s34, s30, 1
	s_lshl_b32 s35, s30, 4
	v_add_co_u32 v4, vcc_lo, s22, v2
	v_add_co_ci_u32_e64 v5, null, s23, v3, vcc_lo
	v_mov_b32_e32 v3, v1
	v_mov_b32_e32 v2, v0
.LBB593_50:                             ; =>This Inner Loop Header: Depth=1
	v_add_co_u32 v7, vcc_lo, s10, v4
	v_add_co_ci_u32_e64 v8, null, s11, v5, vcc_lo
	v_add_co_u32 v9, vcc_lo, s12, v4
	v_add_co_ci_u32_e64 v10, null, s13, v5, vcc_lo
	global_load_ushort v1, v[7:8], off
	global_load_ushort v23, v[9:10], off
	v_add_co_u32 v7, vcc_lo, v7, s34
	v_add_co_ci_u32_e64 v8, null, 0, v8, vcc_lo
	v_add_co_u32 v9, vcc_lo, v9, s34
	v_add_co_ci_u32_e64 v10, null, 0, v10, vcc_lo
	;; [unrolled: 2-line block ×4, first 2 shown]
	global_load_ushort v24, v[7:8], off
	global_load_ushort v25, v[9:10], off
	;; [unrolled: 1-line block ×4, first 2 shown]
	v_add_co_u32 v7, vcc_lo, v11, s34
	v_add_co_ci_u32_e64 v8, null, 0, v12, vcc_lo
	v_add_co_u32 v9, vcc_lo, v13, s34
	v_add_co_ci_u32_e64 v10, null, 0, v14, vcc_lo
	;; [unrolled: 2-line block ×4, first 2 shown]
	global_load_ushort v28, v[7:8], off
	global_load_ushort v29, v[9:10], off
	;; [unrolled: 1-line block ×4, first 2 shown]
	v_add_co_u32 v7, vcc_lo, v11, s34
	v_add_co_ci_u32_e64 v8, null, 0, v12, vcc_lo
	v_add_co_u32 v9, vcc_lo, v13, s34
	v_add_co_ci_u32_e64 v10, null, 0, v14, vcc_lo
	global_load_ushort v32, v[7:8], off
	v_add_co_u32 v7, vcc_lo, v7, s34
	v_add_co_ci_u32_e64 v8, null, 0, v8, vcc_lo
	v_add_co_u32 v11, vcc_lo, v9, s34
	v_add_co_ci_u32_e64 v12, null, 0, v10, vcc_lo
	;; [unrolled: 2-line block ×4, first 2 shown]
	global_load_ushort v33, v[9:10], off
	global_load_ushort v34, v[7:8], off
	;; [unrolled: 1-line block ×5, first 2 shown]
	v_add_co_u32 v7, vcc_lo, s8, v4
	v_add_co_ci_u32_e64 v8, null, s9, v5, vcc_lo
	v_add_co_u32 v2, vcc_lo, v2, s1
	v_add_co_ci_u32_e64 v3, null, 0, v3, vcc_lo
	;; [unrolled: 2-line block ×4, first 2 shown]
	v_cmp_le_i64_e32 vcc_lo, s[28:29], v[2:3]
	v_add_co_u32 v11, s0, v9, s34
	v_add_co_ci_u32_e64 v12, null, 0, v10, s0
	s_or_b32 s33, vcc_lo, s33
	v_add_co_u32 v13, vcc_lo, v11, s34
	v_add_co_ci_u32_e64 v14, null, 0, v12, vcc_lo
	v_add_co_u32 v15, vcc_lo, v13, s34
	v_add_co_ci_u32_e64 v16, null, 0, v14, vcc_lo
	;; [unrolled: 2-line block ×5, first 2 shown]
	s_waitcnt vmcnt(14) lgkmcnt(0)
	v_fma_mixlo_f16 v1, -v6, v1, v23 op_sel_hi:[0,1,1]
	global_store_short v[7:8], v1, off
	s_waitcnt vmcnt(12)
	v_fma_mixlo_f16 v1, -v6, v24, v25 op_sel_hi:[0,1,1]
	s_waitcnt vmcnt(10)
	v_fma_mixlo_f16 v7, -v6, v26, v27 op_sel_hi:[0,1,1]
	global_store_short v[9:10], v1, off
	global_store_short v[11:12], v7, off
	s_waitcnt vmcnt(8)
	v_fma_mixlo_f16 v1, -v6, v28, v29 op_sel_hi:[0,1,1]
	s_waitcnt vmcnt(6)
	v_fma_mixlo_f16 v7, -v6, v30, v31 op_sel_hi:[0,1,1]
	;; [unrolled: 2-line block ×5, first 2 shown]
	global_store_short v[13:14], v1, off
	global_store_short v[15:16], v7, off
	;; [unrolled: 1-line block ×5, first 2 shown]
	s_andn2_b32 exec_lo, exec_lo, s33
	s_cbranch_execnz .LBB593_50
; %bb.51:
	s_or_b32 exec_lo, exec_lo, s33
.LBB593_52:
	s_or_b32 exec_lo, exec_lo, s31
	s_mov_b32 s1, exec_lo
	v_cmpx_gt_i64_e64 s[26:27], v[2:3]
	s_cbranch_execz .LBB593_55
; %bb.53:
	v_lshlrev_b64 v[4:5], 1, v[2:3]
	v_add_co_u32 v1, vcc_lo, s22, v4
	v_add_co_ci_u32_e64 v4, null, s23, v5, vcc_lo
	s_mov_b32 s22, 0
	s_lshl_b32 s23, s30, 1
	.p2align	6
.LBB593_54:                             ; =>This Inner Loop Header: Depth=1
	v_add_co_u32 v7, vcc_lo, s12, v1
	v_add_co_ci_u32_e64 v8, null, s13, v4, vcc_lo
	v_add_co_u32 v9, vcc_lo, s10, v1
	v_add_co_ci_u32_e64 v10, null, s11, v4, vcc_lo
	global_load_ushort v5, v[7:8], off
	global_load_ushort v9, v[9:10], off
	v_add_co_u32 v2, vcc_lo, v2, s30
	v_add_co_ci_u32_e64 v3, null, 0, v3, vcc_lo
	v_add_co_u32 v7, vcc_lo, s8, v1
	v_add_co_ci_u32_e64 v8, null, s9, v4, vcc_lo
	v_cmp_le_i64_e32 vcc_lo, s[26:27], v[2:3]
	v_add_co_u32 v1, s0, v1, s23
	v_add_co_ci_u32_e64 v4, null, 0, v4, s0
	s_or_b32 s22, vcc_lo, s22
	s_waitcnt vmcnt(0) lgkmcnt(0)
	v_fma_mixlo_f16 v5, -v6, v9, v5 op_sel_hi:[0,1,1]
	global_store_short v[7:8], v5, off
	s_andn2_b32 exec_lo, exec_lo, s22
	s_cbranch_execnz .LBB593_54
.LBB593_55:
	s_or_b32 exec_lo, exec_lo, s1
	s_mov_b32 s0, 0
.LBB593_56:
	s_and_b32 vcc_lo, exec_lo, s0
	s_cbranch_vccz .LBB593_91
; %bb.57:
	s_lshl_b32 s0, s30, 3
	s_mov_b32 s9, 0
	v_cvt_f32_u32_e32 v1, s0
	s_sub_i32 s8, 0, s0
	v_rcp_iflag_f32_e32 v1, v1
	v_mul_f32_e32 v1, 0x4f7ffffe, v1
	v_cvt_u32_f32_e32 v1, v1
	v_readfirstlane_b32 s1, v1
	v_mov_b32_e32 v1, v0
	s_mul_i32 s8, s8, s1
	s_mul_hi_u32 s8, s1, s8
	s_add_i32 s1, s1, s8
	s_mul_hi_u32 s1, s14, s1
	s_mul_i32 s1, s1, s0
	s_sub_i32 s1, s14, s1
	s_sub_i32 s8, s1, s0
	s_cmp_ge_u32 s1, s0
	s_cselect_b32 s1, s8, s1
	s_sub_i32 s8, s1, s0
	s_cmp_ge_u32 s1, s0
	s_cselect_b32 s0, s8, s1
	s_mov_b32 s1, exec_lo
	s_sub_i32 s8, s14, s0
	v_cmpx_gt_i32_e64 s8, v0
	s_cbranch_execz .LBB593_61
; %bb.58:
	s_add_i32 s23, s30, s30
	v_mov_b32_e32 v2, 0
	v_mov_b32_e32 v1, v0
	s_add_i32 s0, s23, s30
	s_lshl_b32 s10, s30, 1
	s_mul_i32 s11, s30, 3
	s_lshl_b32 s12, s30, 2
	s_mul_i32 s13, s30, 5
	s_mul_i32 s22, s30, 6
	s_mul_i32 s26, s30, 7
	s_add_i32 s27, s23, s0
.LBB593_59:                             ; =>This Inner Loop Header: Depth=1
	v_lshlrev_b64 v[3:4], 1, v[1:2]
	v_add_nc_u32_e32 v7, s30, v1
	v_mov_b32_e32 v8, v2
	v_add_nc_u32_e32 v9, s10, v1
	v_mov_b32_e32 v10, v2
	v_add_nc_u32_e32 v11, s11, v1
	v_add_co_u32 v23, vcc_lo, s20, v3
	v_lshlrev_b64 v[19:20], 1, v[7:8]
	v_add_co_ci_u32_e64 v24, null, s21, v4, vcc_lo
	v_add_co_u32 v25, vcc_lo, s2, v3
	v_add_co_ci_u32_e64 v26, null, s3, v4, vcc_lo
	v_mov_b32_e32 v12, v2
	v_lshlrev_b64 v[8:9], 1, v[9:10]
	global_load_ushort v5, v[23:24], off
	global_load_ushort v51, v[25:26], off
	v_add_co_u32 v23, vcc_lo, s20, v19
	v_add_nc_u32_e32 v13, s12, v1
	v_mov_b32_e32 v14, v2
	v_lshlrev_b64 v[10:11], 1, v[11:12]
	v_add_co_ci_u32_e64 v24, null, s21, v20, vcc_lo
	v_add_co_u32 v25, vcc_lo, s2, v19
	v_add_co_ci_u32_e64 v26, null, s3, v20, vcc_lo
	v_add_co_u32 v27, vcc_lo, s20, v8
	v_add_nc_u32_e32 v15, s13, v1
	v_mov_b32_e32 v16, v2
	v_lshlrev_b64 v[12:13], 1, v[13:14]
	v_add_co_ci_u32_e64 v28, null, s21, v9, vcc_lo
	v_add_co_u32 v29, vcc_lo, s2, v8
	v_add_co_ci_u32_e64 v30, null, s3, v9, vcc_lo
	;; [unrolled: 7-line block ×3, first 2 shown]
	v_add_co_u32 v35, vcc_lo, s20, v12
	v_add_nc_u32_e32 v1, s26, v1
	v_lshlrev_b64 v[16:17], 1, v[17:18]
	v_add_co_ci_u32_e64 v36, null, s21, v13, vcc_lo
	v_add_co_u32 v37, vcc_lo, s2, v12
	v_add_co_ci_u32_e64 v38, null, s3, v13, vcc_lo
	v_add_co_u32 v39, vcc_lo, s20, v14
	v_lshlrev_b64 v[21:22], 1, v[1:2]
	v_add_co_ci_u32_e64 v40, null, s21, v15, vcc_lo
	v_add_co_u32 v41, vcc_lo, s2, v14
	v_add_co_ci_u32_e64 v42, null, s3, v15, vcc_lo
	v_add_co_u32 v43, vcc_lo, s20, v16
	v_add_co_ci_u32_e64 v44, null, s21, v17, vcc_lo
	v_add_co_u32 v45, vcc_lo, s2, v16
	v_add_co_ci_u32_e64 v46, null, s3, v17, vcc_lo
	v_add_co_u32 v47, vcc_lo, s20, v21
	v_add_co_ci_u32_e64 v48, null, s21, v22, vcc_lo
	v_add_co_u32 v49, vcc_lo, s2, v21
	v_add_co_ci_u32_e64 v50, null, s3, v22, vcc_lo
	global_load_ushort v23, v[23:24], off
	global_load_ushort v24, v[25:26], off
	;; [unrolled: 1-line block ×14, first 2 shown]
	v_add_co_u32 v18, s0, s18, v19
	v_add3_u32 v1, s23, s27, v7
	v_add_co_ci_u32_e64 v19, null, s19, v20, s0
	v_add_co_u32 v7, s0, s18, v8
	v_add_co_u32 v3, vcc_lo, s18, v3
	v_add_co_ci_u32_e64 v8, null, s19, v9, s0
	v_add_co_u32 v9, s0, s18, v10
	v_add_co_ci_u32_e64 v4, null, s19, v4, vcc_lo
	v_add_co_ci_u32_e64 v10, null, s19, v11, s0
	v_add_co_u32 v11, s0, s18, v12
	v_cmp_le_i32_e32 vcc_lo, s8, v1
	v_add_co_ci_u32_e64 v12, null, s19, v13, s0
	v_add_co_u32 v13, s0, s18, v14
	v_add_co_ci_u32_e64 v14, null, s19, v15, s0
	v_add_co_u32 v15, s0, s18, v16
	;; [unrolled: 2-line block ×3, first 2 shown]
	s_or_b32 s9, vcc_lo, s9
	v_add_co_ci_u32_e64 v21, null, s19, v22, s0
	s_waitcnt vmcnt(14) lgkmcnt(0)
	v_fma_mixlo_f16 v5, -v6, v5, v51 op_sel_hi:[0,1,1]
	global_store_short v[3:4], v5, off
	s_waitcnt vmcnt(12)
	v_fma_mixlo_f16 v3, -v6, v23, v24 op_sel_hi:[0,1,1]
	s_waitcnt vmcnt(10)
	v_fma_mixlo_f16 v4, -v6, v25, v26 op_sel_hi:[0,1,1]
	;; [unrolled: 2-line block ×7, first 2 shown]
	global_store_short v[18:19], v3, off
	global_store_short v[7:8], v4, off
	;; [unrolled: 1-line block ×7, first 2 shown]
	s_andn2_b32 exec_lo, exec_lo, s9
	s_cbranch_execnz .LBB593_59
; %bb.60:
	s_or_b32 exec_lo, exec_lo, s9
.LBB593_61:
	s_or_b32 exec_lo, exec_lo, s1
	s_mov_b32 s1, exec_lo
	v_cmpx_gt_i32_e64 s14, v1
	s_cbranch_execz .LBB593_64
; %bb.62:
	s_mov_b32 s8, 0
	.p2align	6
.LBB593_63:                             ; =>This Inner Loop Header: Depth=1
	v_ashrrev_i32_e32 v2, 31, v1
	v_lshlrev_b64 v[2:3], 1, v[1:2]
	v_add_nc_u32_e32 v1, s30, v1
	v_add_co_u32 v4, vcc_lo, s2, v2
	v_add_co_ci_u32_e64 v5, null, s3, v3, vcc_lo
	v_add_co_u32 v7, vcc_lo, s20, v2
	v_add_co_ci_u32_e64 v8, null, s21, v3, vcc_lo
	global_load_ushort v4, v[4:5], off
	global_load_ushort v5, v[7:8], off
	v_cmp_le_i32_e32 vcc_lo, s14, v1
	v_add_co_u32 v2, s0, s18, v2
	v_add_co_ci_u32_e64 v3, null, s19, v3, s0
	s_or_b32 s8, vcc_lo, s8
	s_waitcnt vmcnt(0) lgkmcnt(0)
	v_fma_mixlo_f16 v4, -v6, v5, v4 op_sel_hi:[0,1,1]
	global_store_short v[2:3], v4, off
	s_andn2_b32 exec_lo, exec_lo, s8
	s_cbranch_execnz .LBB593_63
.LBB593_64:
	s_or_b32 exec_lo, exec_lo, s1
	s_mov_b32 s0, 0
.LBB593_65:
	s_andn2_b32 vcc_lo, exec_lo, s0
	s_cbranch_vccnz .LBB593_92
.LBB593_66:
	s_cmp_lg_u64 s[24:25], 0
	s_mov_b32 s1, -1
	s_cselect_b32 s31, -1, 0
	s_and_b32 vcc_lo, exec_lo, s7
	v_cndmask_b32_e64 v1, 0, 1, s31
	v_cmp_ne_u32_e64 s0, 1, v1
	s_cbranch_vccz .LBB593_80
; %bb.67:
	v_mov_b32_e32 v1, 0
	s_and_b32 vcc_lo, exec_lo, s0
	s_mov_b64 s[8:9], s[18:19]
	s_mov_b64 s[10:11], s[20:21]
	;; [unrolled: 1-line block ×3, first 2 shown]
	s_cbranch_vccnz .LBB593_71
; %bb.68:
	s_lshl_b32 s7, s24, 1
	s_mov_b32 s8, exec_lo
	s_sub_u32 s0, s18, s7
	s_subb_u32 s1, s19, 0
	s_sub_u32 s10, s20, s7
	s_subb_u32 s11, s21, 0
	;; [unrolled: 2-line block ×3, first 2 shown]
	v_cmpx_le_u64_e64 s[24:25], v[0:1]
	s_cbranch_execz .LBB593_70
; %bb.69:
	v_lshlrev_b64 v[2:3], 1, v[0:1]
	v_add_co_u32 v4, vcc_lo, s7, v2
	v_add_co_ci_u32_e64 v5, null, s13, v3, vcc_lo
	v_add_co_u32 v7, vcc_lo, s10, v2
	v_add_co_ci_u32_e64 v8, null, s11, v3, vcc_lo
	global_load_ushort v4, v[4:5], off
	global_load_ushort v5, v[7:8], off
	v_add_co_u32 v2, vcc_lo, s0, v2
	v_add_co_ci_u32_e64 v3, null, s1, v3, vcc_lo
	s_waitcnt vmcnt(0) lgkmcnt(0)
	v_fma_mixlo_f16 v4, -v6, v5, v4 op_sel_hi:[0,1,1]
	global_store_short v[2:3], v4, off
.LBB593_70:
	s_or_b32 exec_lo, exec_lo, s8
	s_add_u32 s8, s24, s14
	s_addc_u32 s9, 0, s15
	s_sub_u32 s16, s8, s30
	s_subb_u32 s17, s9, 0
	s_lshl_b32 s12, s30, 1
	s_add_u32 s8, s0, s12
	s_addc_u32 s9, s1, 0
	s_add_u32 s10, s10, s12
	s_addc_u32 s11, s11, 0
	;; [unrolled: 2-line block ×3, first 2 shown]
.LBB593_71:
	s_load_dword s0, s[4:5], 0x0
	v_mov_b32_e32 v2, 0
	s_waitcnt lgkmcnt(0)
	s_cmp_lt_u32 s6, s0
	s_cselect_b32 s0, 12, 18
	s_add_u32 s0, s4, s0
	s_addc_u32 s1, s5, 0
	global_load_ushort v2, v2, s[0:1]
	s_mov_b32 s0, 0
	s_waitcnt vmcnt(0)
	v_readfirstlane_b32 s1, v2
	s_and_b32 s7, s1, 0xffff
	s_mov_b32 s1, s17
	s_lshl_b32 s15, s7, 3
	s_cmp_lg_u64 s[0:1], 0
	s_cbranch_scc0 .LBB593_93
; %bb.72:
	v_cvt_f32_u32_e32 v2, s15
	s_sub_u32 s23, 0, s15
	s_subb_u32 s25, 0, 0
	v_fmamk_f32 v2, 0, 0x4f800000, v2
	v_rcp_f32_e32 v2, v2
	v_mul_f32_e32 v2, 0x5f7ffffc, v2
	v_mul_f32_e32 v3, 0x2f800000, v2
	v_trunc_f32_e32 v3, v3
	v_fmamk_f32 v2, v3, 0xcf800000, v2
	v_cvt_u32_f32_e32 v3, v3
	v_cvt_u32_f32_e32 v2, v2
	v_readfirstlane_b32 s1, v3
	v_readfirstlane_b32 s22, v2
	s_mul_i32 s26, s23, s1
	s_mul_hi_u32 s28, s23, s22
	s_mul_i32 s27, s25, s22
	s_add_i32 s26, s28, s26
	s_mul_i32 s29, s23, s22
	s_add_i32 s26, s26, s27
	s_mul_hi_u32 s28, s22, s29
	s_mul_i32 s34, s22, s26
	s_mul_hi_u32 s33, s1, s29
	s_mul_i32 s27, s1, s29
	s_mul_hi_u32 s29, s22, s26
	s_add_u32 s28, s28, s34
	s_addc_u32 s29, 0, s29
	s_mul_hi_u32 s35, s1, s26
	s_add_u32 s27, s28, s27
	s_mul_i32 s26, s1, s26
	s_addc_u32 s27, s29, s33
	s_addc_u32 s28, s35, 0
	s_add_u32 s26, s27, s26
	s_addc_u32 s27, 0, s28
	s_add_u32 s22, s22, s26
	s_cselect_b32 s26, -1, 0
	s_mul_hi_u32 s28, s23, s22
	s_cmp_lg_u32 s26, 0
	s_mul_i32 s26, s23, s22
	s_addc_u32 s1, s1, s27
	s_mul_i32 s25, s25, s22
	s_mul_i32 s23, s23, s1
	s_mul_hi_u32 s27, s22, s26
	s_add_i32 s23, s28, s23
	s_mul_hi_u32 s28, s1, s26
	s_add_i32 s23, s23, s25
	s_mul_i32 s25, s1, s26
	s_mul_i32 s33, s22, s23
	s_mul_hi_u32 s29, s22, s23
	s_add_u32 s27, s27, s33
	s_addc_u32 s29, 0, s29
	s_mul_hi_u32 s26, s1, s23
	s_add_u32 s25, s27, s25
	s_mul_i32 s23, s1, s23
	s_addc_u32 s25, s29, s28
	s_addc_u32 s26, s26, 0
	s_add_u32 s23, s25, s23
	s_addc_u32 s25, 0, s26
	s_add_u32 s22, s22, s23
	s_cselect_b32 s23, -1, 0
	s_mul_hi_u32 s26, s16, s22
	s_cmp_lg_u32 s23, 0
	s_mul_hi_u32 s23, s17, s22
	s_addc_u32 s1, s1, s25
	s_mul_i32 s22, s17, s22
	s_mul_i32 s27, s16, s1
	s_mul_hi_u32 s25, s16, s1
	s_add_u32 s26, s26, s27
	s_addc_u32 s25, 0, s25
	s_mul_hi_u32 s28, s17, s1
	s_add_u32 s22, s26, s22
	s_mul_i32 s1, s17, s1
	s_addc_u32 s22, s25, s23
	s_addc_u32 s23, s28, 0
	s_add_u32 s1, s22, s1
	s_addc_u32 s22, 0, s23
	s_mul_hi_u32 s23, s15, s1
	s_mul_i32 s22, s15, s22
	s_mul_i32 s1, s15, s1
	s_add_i32 s23, s23, s22
	s_sub_u32 s1, s16, s1
	s_cselect_b32 s22, -1, 0
	s_cmp_lg_u32 s22, 0
	s_subb_u32 s22, s17, s23
	s_sub_u32 s23, s1, s15
	s_cselect_b32 s25, -1, 0
	s_cmp_lg_u32 s25, 0
	s_subb_u32 s25, s22, 0
	;; [unrolled: 4-line block ×3, first 2 shown]
	s_cmp_ge_u32 s23, s15
	s_cselect_b32 s28, -1, 0
	s_cmp_eq_u32 s25, 0
	s_cselect_b32 s28, s28, -1
	s_cmp_lg_u32 s28, 0
	s_cselect_b32 s25, s27, s25
	s_cselect_b32 s26, s26, s23
	s_cmp_ge_u32 s1, s15
	s_cselect_b32 s23, -1, 0
	s_cmp_eq_u32 s22, 0
	s_cselect_b32 s23, s23, -1
	s_cmp_lg_u32 s23, 0
	s_cselect_b32 s23, s25, s22
	s_cselect_b32 s22, s26, s1
	s_andn2_b32 vcc_lo, exec_lo, s0
	s_cbranch_vccnz .LBB593_74
.LBB593_73:
	v_cvt_f32_u32_e32 v2, s15
	s_sub_i32 s1, 0, s15
	s_mov_b32 s23, 0
	v_rcp_iflag_f32_e32 v2, v2
	v_mul_f32_e32 v2, 0x4f7ffffe, v2
	v_cvt_u32_f32_e32 v2, v2
	v_readfirstlane_b32 s0, v2
	s_mul_i32 s1, s1, s0
	s_mul_hi_u32 s1, s0, s1
	s_add_i32 s0, s0, s1
	s_mul_hi_u32 s0, s16, s0
	s_mul_i32 s0, s0, s15
	s_sub_i32 s0, s16, s0
	s_sub_i32 s1, s0, s15
	s_cmp_ge_u32 s0, s15
	s_cselect_b32 s0, s1, s0
	s_sub_i32 s1, s0, s15
	s_cmp_ge_u32 s0, s15
	s_cselect_b32 s22, s1, s0
.LBB593_74:
	v_lshlrev_b64 v[2:3], 4, v[0:1]
	v_mov_b32_e32 v5, v1
	v_mov_b32_e32 v4, v0
	s_sub_u32 s0, s16, s22
	s_subb_u32 s1, s17, s23
	s_lshl_b32 s25, s7, 4
	s_mov_b32 s15, 0
	s_mov_b64 s[22:23], s[12:13]
	s_mov_b64 s[26:27], s[10:11]
	;; [unrolled: 1-line block ×3, first 2 shown]
.LBB593_75:                             ; =>This Inner Loop Header: Depth=1
	v_add_co_u32 v7, vcc_lo, s26, v2
	v_add_co_ci_u32_e64 v8, null, s27, v3, vcc_lo
	v_add_co_u32 v11, vcc_lo, s22, v2
	v_add_co_ci_u32_e64 v12, null, s23, v3, vcc_lo
	global_load_dwordx4 v[7:10], v[7:8], off
	global_load_dwordx4 v[11:14], v[11:12], off
	v_add_co_u32 v19, vcc_lo, s28, v2
	v_add_co_ci_u32_e64 v20, null, s29, v3, vcc_lo
	v_add_co_u32 v4, vcc_lo, v4, s7
	v_add_co_ci_u32_e64 v5, null, 0, v5, vcc_lo
	s_add_u32 s28, s28, s25
	s_addc_u32 s29, s29, 0
	s_add_u32 s26, s26, s25
	v_lshlrev_b64 v[21:22], 3, v[4:5]
	s_addc_u32 s27, s27, 0
	s_add_u32 s22, s22, s25
	s_addc_u32 s23, s23, 0
	v_cmp_le_i64_e32 vcc_lo, s[0:1], v[21:22]
	s_or_b32 s15, vcc_lo, s15
	s_waitcnt vmcnt(0)
	v_fma_mixlo_f16 v18, -v6, v10, v14 op_sel_hi:[0,1,1]
	v_fma_mixlo_f16 v17, -v6, v9, v13 op_sel_hi:[0,1,1]
	;; [unrolled: 1-line block ×4, first 2 shown]
	v_fma_mixhi_f16 v18, -v6, v10, v14 op_sel:[0,1,1] op_sel_hi:[0,1,1]
	v_fma_mixhi_f16 v17, -v6, v9, v13 op_sel:[0,1,1] op_sel_hi:[0,1,1]
	;; [unrolled: 1-line block ×4, first 2 shown]
	global_store_dwordx4 v[19:20], v[15:18], off
	s_andn2_b32 exec_lo, exec_lo, s15
	s_cbranch_execnz .LBB593_75
; %bb.76:
	s_or_b32 exec_lo, exec_lo, s15
	v_add_co_u32 v1, s0, s0, v0
	v_add_co_ci_u32_e64 v2, null, s1, 0, s0
	s_mov_b32 s1, exec_lo
	v_cmpx_gt_u64_e64 s[16:17], v[1:2]
	s_cbranch_execz .LBB593_79
; %bb.77:
	s_mov_b32 s15, 0
	.p2align	6
.LBB593_78:                             ; =>This Inner Loop Header: Depth=1
	v_lshlrev_b64 v[3:4], 1, v[1:2]
	v_add_co_u32 v7, vcc_lo, s12, v3
	v_add_co_ci_u32_e64 v8, null, s13, v4, vcc_lo
	v_add_co_u32 v9, vcc_lo, s10, v3
	v_add_co_ci_u32_e64 v10, null, s11, v4, vcc_lo
	global_load_ushort v5, v[7:8], off
	global_load_ushort v7, v[9:10], off
	v_add_co_u32 v1, vcc_lo, v1, s7
	v_add_co_ci_u32_e64 v2, null, 0, v2, vcc_lo
	v_add_co_u32 v3, s0, s8, v3
	v_add_co_ci_u32_e64 v4, null, s9, v4, s0
	v_cmp_le_i64_e32 vcc_lo, s[16:17], v[1:2]
	s_or_b32 s15, vcc_lo, s15
	s_waitcnt vmcnt(0)
	v_fma_mixlo_f16 v5, -v6, v7, v5 op_sel_hi:[0,1,1]
	global_store_short v[3:4], v5, off
	s_andn2_b32 exec_lo, exec_lo, s15
	s_cbranch_execnz .LBB593_78
.LBB593_79:
	s_or_b32 exec_lo, exec_lo, s1
	s_mov_b32 s1, 0
.LBB593_80:
	s_and_b32 vcc_lo, exec_lo, s1
	s_cbranch_vccz .LBB593_92
; %bb.81:
	s_andn2_b32 vcc_lo, exec_lo, s31
	s_cbranch_vccnz .LBB593_85
; %bb.82:
	s_lshl_b32 s1, s24, 1
	s_sub_u32 s7, s18, s1
	s_subb_u32 s8, s19, 0
	s_sub_u32 s0, s20, s1
	s_subb_u32 s9, s21, 0
	;; [unrolled: 2-line block ×3, first 2 shown]
	s_mov_b32 s2, exec_lo
	v_cmpx_le_u32_e64 s24, v0
	s_cbranch_execz .LBB593_84
; %bb.83:
	v_mov_b32_e32 v1, 0
	v_lshlrev_b64 v[1:2], 1, v[0:1]
	v_add_co_u32 v3, vcc_lo, s1, v1
	v_add_co_ci_u32_e64 v4, null, s3, v2, vcc_lo
	v_add_co_u32 v7, vcc_lo, s0, v1
	v_add_co_ci_u32_e64 v8, null, s9, v2, vcc_lo
	global_load_ushort v3, v[3:4], off
	global_load_ushort v4, v[7:8], off
	v_add_co_u32 v1, vcc_lo, s7, v1
	v_add_co_ci_u32_e64 v2, null, s8, v2, vcc_lo
	s_waitcnt vmcnt(0) lgkmcnt(0)
	v_fma_mixlo_f16 v3, -v6, v4, v3 op_sel_hi:[0,1,1]
	global_store_short v[1:2], v3, off
.LBB593_84:
	s_or_b32 exec_lo, exec_lo, s2
	s_add_i32 s2, s24, s14
	v_sub_nc_u32_e64 v1, s2, s30 clamp
	s_lshl_b32 s2, s30, 1
	s_add_u32 s18, s7, s2
	s_addc_u32 s19, s8, 0
	v_readfirstlane_b32 s14, v1
	s_add_u32 s20, s0, s2
	s_addc_u32 s21, s9, 0
	s_add_u32 s2, s1, s2
	s_addc_u32 s3, s3, 0
.LBB593_85:
	s_load_dword s0, s[4:5], 0x0
	v_mov_b32_e32 v1, 0
	s_waitcnt lgkmcnt(0)
	s_cmp_lt_u32 s6, s0
	s_cselect_b32 s0, 12, 18
	s_add_u32 s0, s4, s0
	s_addc_u32 s1, s5, 0
	global_load_ushort v3, v1, s[0:1]
	s_waitcnt vmcnt(0)
	v_readfirstlane_b32 s0, v3
	s_lshl_b32 s0, s0, 3
	v_cvt_f32_u32_e32 v1, s0
	s_sub_i32 s4, 0, s0
	v_rcp_iflag_f32_e32 v1, v1
	v_mul_f32_e32 v1, 0x4f7ffffe, v1
	v_cvt_u32_f32_e32 v1, v1
	v_readfirstlane_b32 s1, v1
	v_lshlrev_b32_e32 v1, 3, v0
	s_mul_i32 s4, s4, s1
	s_mul_hi_u32 s4, s1, s4
	s_add_i32 s1, s1, s4
	s_mul_hi_u32 s1, s14, s1
	s_mul_i32 s1, s1, s0
	s_sub_i32 s1, s14, s1
	s_sub_i32 s4, s1, s0
	s_cmp_ge_u32 s1, s0
	s_cselect_b32 s1, s4, s1
	s_sub_i32 s4, s1, s0
	s_cmp_ge_u32 s1, s0
	s_cselect_b32 s0, s4, s1
	s_mov_b32 s4, 0
	s_sub_i32 s0, s14, s0
	s_mov_b32 s1, exec_lo
	v_cmpx_gt_i32_e64 s0, v1
	s_cbranch_execz .LBB593_88
; %bb.86:
	v_mov_b32_e32 v1, v0
	s_inst_prefetch 0x1
	.p2align	6
.LBB593_87:                             ; =>This Inner Loop Header: Depth=1
	v_ashrrev_i32_e32 v2, 31, v1
	v_lshlrev_b64 v[4:5], 4, v[1:2]
	v_add_nc_u32_e32 v1, v1, v3
	v_lshlrev_b32_e32 v2, 3, v1
	v_add_co_u32 v7, vcc_lo, s20, v4
	v_add_co_ci_u32_e64 v8, null, s21, v5, vcc_lo
	v_add_co_u32 v11, vcc_lo, s2, v4
	v_add_co_ci_u32_e64 v12, null, s3, v5, vcc_lo
	global_load_dwordx4 v[7:10], v[7:8], off
	global_load_dwordx4 v[11:14], v[11:12], off
	v_add_co_u32 v4, vcc_lo, s18, v4
	v_add_co_ci_u32_e64 v5, null, s19, v5, vcc_lo
	v_cmp_le_i32_e32 vcc_lo, s0, v2
	s_or_b32 s4, vcc_lo, s4
	s_waitcnt vmcnt(0)
	v_fma_mixlo_f16 v18, -v6, v10, v14 op_sel_hi:[0,1,1]
	v_fma_mixlo_f16 v17, -v6, v9, v13 op_sel_hi:[0,1,1]
	;; [unrolled: 1-line block ×4, first 2 shown]
	v_fma_mixhi_f16 v18, -v6, v10, v14 op_sel:[0,1,1] op_sel_hi:[0,1,1]
	v_fma_mixhi_f16 v17, -v6, v9, v13 op_sel:[0,1,1] op_sel_hi:[0,1,1]
	;; [unrolled: 1-line block ×4, first 2 shown]
	global_store_dwordx4 v[4:5], v[15:18], off
	s_andn2_b32 exec_lo, exec_lo, s4
	s_cbranch_execnz .LBB593_87
.LBB593_88:
	s_inst_prefetch 0x2
	s_or_b32 exec_lo, exec_lo, s1
	v_add_nc_u32_e32 v0, s0, v0
	s_mov_b32 s0, exec_lo
	v_cmpx_gt_i32_e64 s14, v0
	s_cbranch_execz .LBB593_92
; %bb.89:
	s_mov_b32 s1, 0
	.p2align	6
.LBB593_90:                             ; =>This Inner Loop Header: Depth=1
	v_ashrrev_i32_e32 v1, 31, v0
	v_lshlrev_b64 v[1:2], 1, v[0:1]
	v_add_nc_u32_e32 v0, v0, v3
	v_add_co_u32 v4, vcc_lo, s2, v1
	v_add_co_ci_u32_e64 v5, null, s3, v2, vcc_lo
	v_add_co_u32 v7, vcc_lo, s20, v1
	v_add_co_ci_u32_e64 v8, null, s21, v2, vcc_lo
	global_load_ushort v4, v[4:5], off
	global_load_ushort v5, v[7:8], off
	v_cmp_le_i32_e32 vcc_lo, s14, v0
	v_add_co_u32 v1, s0, s18, v1
	v_add_co_ci_u32_e64 v2, null, s19, v2, s0
	s_or_b32 s1, vcc_lo, s1
	s_waitcnt vmcnt(0)
	v_fma_mixlo_f16 v4, -v6, v5, v4 op_sel_hi:[0,1,1]
	global_store_short v[1:2], v4, off
	s_andn2_b32 exec_lo, exec_lo, s1
	s_cbranch_execnz .LBB593_90
	s_branch .LBB593_92
.LBB593_91:
	s_cbranch_execz .LBB593_66
.LBB593_92:
	s_endpgm
.LBB593_93:
                                        ; implicit-def: $sgpr22_sgpr23
	s_branch .LBB593_73
	.section	.rodata,"a",@progbits
	.p2align	6, 0x0
	.amdhsa_kernel _ZN2at6native12_GLOBAL__N_120cunn_SoftMaxBackwardILi8EN3c104HalfEfS4_NS1_23SoftMaxBackwardEpilogueEEEvPT0_PKT2_SA_l
		.amdhsa_group_segment_fixed_size 0
		.amdhsa_private_segment_fixed_size 0
		.amdhsa_kernarg_size 288
		.amdhsa_user_sgpr_count 6
		.amdhsa_user_sgpr_private_segment_buffer 1
		.amdhsa_user_sgpr_dispatch_ptr 0
		.amdhsa_user_sgpr_queue_ptr 0
		.amdhsa_user_sgpr_kernarg_segment_ptr 1
		.amdhsa_user_sgpr_dispatch_id 0
		.amdhsa_user_sgpr_flat_scratch_init 0
		.amdhsa_user_sgpr_private_segment_size 0
		.amdhsa_wavefront_size32 1
		.amdhsa_uses_dynamic_stack 0
		.amdhsa_system_sgpr_private_segment_wavefront_offset 0
		.amdhsa_system_sgpr_workgroup_id_x 1
		.amdhsa_system_sgpr_workgroup_id_y 0
		.amdhsa_system_sgpr_workgroup_id_z 0
		.amdhsa_system_sgpr_workgroup_info 0
		.amdhsa_system_vgpr_workitem_id 0
		.amdhsa_next_free_vgpr 52
		.amdhsa_next_free_sgpr 39
		.amdhsa_reserve_vcc 1
		.amdhsa_reserve_flat_scratch 0
		.amdhsa_float_round_mode_32 0
		.amdhsa_float_round_mode_16_64 0
		.amdhsa_float_denorm_mode_32 3
		.amdhsa_float_denorm_mode_16_64 3
		.amdhsa_dx10_clamp 1
		.amdhsa_ieee_mode 1
		.amdhsa_fp16_overflow 0
		.amdhsa_workgroup_processor_mode 1
		.amdhsa_memory_ordered 1
		.amdhsa_forward_progress 1
		.amdhsa_shared_vgpr_count 0
		.amdhsa_exception_fp_ieee_invalid_op 0
		.amdhsa_exception_fp_denorm_src 0
		.amdhsa_exception_fp_ieee_div_zero 0
		.amdhsa_exception_fp_ieee_overflow 0
		.amdhsa_exception_fp_ieee_underflow 0
		.amdhsa_exception_fp_ieee_inexact 0
		.amdhsa_exception_int_div_zero 0
	.end_amdhsa_kernel
	.section	.text._ZN2at6native12_GLOBAL__N_120cunn_SoftMaxBackwardILi8EN3c104HalfEfS4_NS1_23SoftMaxBackwardEpilogueEEEvPT0_PKT2_SA_l,"axG",@progbits,_ZN2at6native12_GLOBAL__N_120cunn_SoftMaxBackwardILi8EN3c104HalfEfS4_NS1_23SoftMaxBackwardEpilogueEEEvPT0_PKT2_SA_l,comdat
.Lfunc_end593:
	.size	_ZN2at6native12_GLOBAL__N_120cunn_SoftMaxBackwardILi8EN3c104HalfEfS4_NS1_23SoftMaxBackwardEpilogueEEEvPT0_PKT2_SA_l, .Lfunc_end593-_ZN2at6native12_GLOBAL__N_120cunn_SoftMaxBackwardILi8EN3c104HalfEfS4_NS1_23SoftMaxBackwardEpilogueEEEvPT0_PKT2_SA_l
                                        ; -- End function
	.set _ZN2at6native12_GLOBAL__N_120cunn_SoftMaxBackwardILi8EN3c104HalfEfS4_NS1_23SoftMaxBackwardEpilogueEEEvPT0_PKT2_SA_l.num_vgpr, 52
	.set _ZN2at6native12_GLOBAL__N_120cunn_SoftMaxBackwardILi8EN3c104HalfEfS4_NS1_23SoftMaxBackwardEpilogueEEEvPT0_PKT2_SA_l.num_agpr, 0
	.set _ZN2at6native12_GLOBAL__N_120cunn_SoftMaxBackwardILi8EN3c104HalfEfS4_NS1_23SoftMaxBackwardEpilogueEEEvPT0_PKT2_SA_l.numbered_sgpr, 39
	.set _ZN2at6native12_GLOBAL__N_120cunn_SoftMaxBackwardILi8EN3c104HalfEfS4_NS1_23SoftMaxBackwardEpilogueEEEvPT0_PKT2_SA_l.num_named_barrier, 0
	.set _ZN2at6native12_GLOBAL__N_120cunn_SoftMaxBackwardILi8EN3c104HalfEfS4_NS1_23SoftMaxBackwardEpilogueEEEvPT0_PKT2_SA_l.private_seg_size, 0
	.set _ZN2at6native12_GLOBAL__N_120cunn_SoftMaxBackwardILi8EN3c104HalfEfS4_NS1_23SoftMaxBackwardEpilogueEEEvPT0_PKT2_SA_l.uses_vcc, 1
	.set _ZN2at6native12_GLOBAL__N_120cunn_SoftMaxBackwardILi8EN3c104HalfEfS4_NS1_23SoftMaxBackwardEpilogueEEEvPT0_PKT2_SA_l.uses_flat_scratch, 0
	.set _ZN2at6native12_GLOBAL__N_120cunn_SoftMaxBackwardILi8EN3c104HalfEfS4_NS1_23SoftMaxBackwardEpilogueEEEvPT0_PKT2_SA_l.has_dyn_sized_stack, 0
	.set _ZN2at6native12_GLOBAL__N_120cunn_SoftMaxBackwardILi8EN3c104HalfEfS4_NS1_23SoftMaxBackwardEpilogueEEEvPT0_PKT2_SA_l.has_recursion, 0
	.set _ZN2at6native12_GLOBAL__N_120cunn_SoftMaxBackwardILi8EN3c104HalfEfS4_NS1_23SoftMaxBackwardEpilogueEEEvPT0_PKT2_SA_l.has_indirect_call, 0
	.section	.AMDGPU.csdata,"",@progbits
; Kernel info:
; codeLenInByte = 7044
; TotalNumSgprs: 41
; NumVgprs: 52
; ScratchSize: 0
; MemoryBound: 0
; FloatMode: 240
; IeeeMode: 1
; LDSByteSize: 0 bytes/workgroup (compile time only)
; SGPRBlocks: 0
; VGPRBlocks: 6
; NumSGPRsForWavesPerEU: 41
; NumVGPRsForWavesPerEU: 52
; Occupancy: 16
; WaveLimiterHint : 0
; COMPUTE_PGM_RSRC2:SCRATCH_EN: 0
; COMPUTE_PGM_RSRC2:USER_SGPR: 6
; COMPUTE_PGM_RSRC2:TRAP_HANDLER: 0
; COMPUTE_PGM_RSRC2:TGID_X_EN: 1
; COMPUTE_PGM_RSRC2:TGID_Y_EN: 0
; COMPUTE_PGM_RSRC2:TGID_Z_EN: 0
; COMPUTE_PGM_RSRC2:TIDIG_COMP_CNT: 0
	.section	.text._ZN12_GLOBAL__N_121softmax_warp_backwardIfN3c104HalfEfLi0ELb0ELb0ELi64EEEvPT0_PKT_S7_iiiPKb,"axG",@progbits,_ZN12_GLOBAL__N_121softmax_warp_backwardIfN3c104HalfEfLi0ELb0ELb0ELi64EEEvPT0_PKT_S7_iiiPKb,comdat
	.globl	_ZN12_GLOBAL__N_121softmax_warp_backwardIfN3c104HalfEfLi0ELb0ELb0ELi64EEEvPT0_PKT_S7_iiiPKb ; -- Begin function _ZN12_GLOBAL__N_121softmax_warp_backwardIfN3c104HalfEfLi0ELb0ELb0ELi64EEEvPT0_PKT_S7_iiiPKb
	.p2align	8
	.type	_ZN12_GLOBAL__N_121softmax_warp_backwardIfN3c104HalfEfLi0ELb0ELb0ELi64EEEvPT0_PKT_S7_iiiPKb,@function
_ZN12_GLOBAL__N_121softmax_warp_backwardIfN3c104HalfEfLi0ELb0ELb0ELi64EEEvPT0_PKT_S7_iiiPKb: ; @_ZN12_GLOBAL__N_121softmax_warp_backwardIfN3c104HalfEfLi0ELb0ELb0ELi64EEEvPT0_PKT_S7_iiiPKb
; %bb.0:
	s_clause 0x3
	s_load_dword s7, s[4:5], 0x3c
	s_load_dwordx4 s[0:3], s[4:5], 0x18
	s_load_dwordx4 s[8:11], s[4:5], 0x0
	s_load_dwordx2 s[4:5], s[4:5], 0x10
	v_mov_b32_e32 v7, 0
	v_mov_b32_e32 v8, 0
	s_waitcnt lgkmcnt(0)
	s_lshr_b32 s3, s7, 16
	s_and_b32 s3, s3, 0xffff
	s_cmp_gt_i32 s2, 0
	s_mul_i32 s6, s6, s3
	v_add_lshl_u32 v2, s6, v1, 1
	v_mul_lo_u32 v0, v2, s1
	v_sub_nc_u32_e32 v6, s0, v2
	s_cselect_b32 s1, -1, 0
	v_cmp_lt_i32_e32 vcc_lo, 0, v6
	v_ashrrev_i32_e32 v1, 31, v0
	s_and_b32 s3, s1, vcc_lo
	v_lshlrev_b64 v[2:3], 2, v[0:1]
	v_add_co_u32 v4, s0, s10, v2
	v_add_co_ci_u32_e64 v5, null, s11, v3, s0
	v_add_co_u32 v2, s0, s4, v2
	v_add_co_ci_u32_e64 v3, null, s5, v3, s0
	s_and_saveexec_b32 s0, s3
	s_cbranch_execz .LBB594_2
; %bb.1:
	global_load_dword v8, v[4:5], off
	global_load_dword v7, v[2:3], off
.LBB594_2:
	s_or_b32 exec_lo, exec_lo, s0
	v_cmp_gt_i32_e64 s0, 2, v6
	s_xor_b32 s3, s1, -1
	s_or_b32 s0, s3, s0
	s_and_saveexec_b32 s3, s0
	s_xor_b32 s0, exec_lo, s3
                                        ; implicit-def: $vgpr9
	s_cbranch_execnz .LBB594_6
; %bb.3:
	s_or_saveexec_b32 s4, s0
	v_mov_b32_e32 v10, 0
	s_xor_b32 exec_lo, exec_lo, s4
	s_cbranch_execnz .LBB594_7
.LBB594_4:
	s_or_b32 exec_lo, exec_lo, s4
	s_and_saveexec_b32 s0, vcc_lo
	s_cbranch_execnz .LBB594_8
.LBB594_5:
	s_endpgm
.LBB594_6:
	v_mov_b32_e32 v9, 0
                                        ; implicit-def: $vgpr2
                                        ; implicit-def: $vgpr4
	s_or_saveexec_b32 s4, s0
	v_mov_b32_e32 v10, 0
	s_xor_b32 exec_lo, exec_lo, s4
	s_cbranch_execz .LBB594_4
.LBB594_7:
	s_mov_b32 s3, 0
	s_lshl_b64 s[6:7], s[2:3], 2
	v_add_co_u32 v4, s0, v4, s6
	v_add_co_ci_u32_e64 v5, null, s7, v5, s0
	v_add_co_u32 v2, s0, v2, s6
	v_add_co_ci_u32_e64 v3, null, s7, v3, s0
	global_load_dword v9, v[4:5], off
	global_load_dword v10, v[2:3], off
	s_or_b32 exec_lo, exec_lo, s4
	s_and_saveexec_b32 s0, vcc_lo
	s_cbranch_execz .LBB594_5
.LBB594_8:
	v_lshlrev_b64 v[0:1], 1, v[0:1]
	v_add_co_u32 v0, vcc_lo, s8, v0
	v_add_co_ci_u32_e64 v1, null, s9, v1, vcc_lo
	s_andn2_b32 vcc_lo, exec_lo, s1
	s_cbranch_vccnz .LBB594_10
; %bb.9:
	s_waitcnt vmcnt(1)
	v_add_f32_e32 v2, 0, v8
	s_waitcnt vmcnt(0)
	v_fma_mixlo_f16 v2, -v7, v2, v8
	global_store_short v[0:1], v2, off
.LBB594_10:
	v_cmp_ne_u32_e32 vcc_lo, 1, v6
	s_and_b32 s0, vcc_lo, s1
	s_and_b32 exec_lo, exec_lo, s0
	s_cbranch_execz .LBB594_5
; %bb.11:
	s_mov_b32 s3, 0
	s_waitcnt vmcnt(1)
	v_add_f32_e32 v2, 0, v9
	s_lshl_b64 s[0:1], s[2:3], 1
	v_add_co_u32 v0, vcc_lo, v0, s0
	v_add_co_ci_u32_e64 v1, null, s1, v1, vcc_lo
	s_waitcnt vmcnt(0)
	v_fma_mixlo_f16 v2, -v10, v2, v9
	global_store_short v[0:1], v2, off
	s_endpgm
	.section	.rodata,"a",@progbits
	.p2align	6, 0x0
	.amdhsa_kernel _ZN12_GLOBAL__N_121softmax_warp_backwardIfN3c104HalfEfLi0ELb0ELb0ELi64EEEvPT0_PKT_S7_iiiPKb
		.amdhsa_group_segment_fixed_size 0
		.amdhsa_private_segment_fixed_size 0
		.amdhsa_kernarg_size 304
		.amdhsa_user_sgpr_count 6
		.amdhsa_user_sgpr_private_segment_buffer 1
		.amdhsa_user_sgpr_dispatch_ptr 0
		.amdhsa_user_sgpr_queue_ptr 0
		.amdhsa_user_sgpr_kernarg_segment_ptr 1
		.amdhsa_user_sgpr_dispatch_id 0
		.amdhsa_user_sgpr_flat_scratch_init 0
		.amdhsa_user_sgpr_private_segment_size 0
		.amdhsa_wavefront_size32 1
		.amdhsa_uses_dynamic_stack 0
		.amdhsa_system_sgpr_private_segment_wavefront_offset 0
		.amdhsa_system_sgpr_workgroup_id_x 1
		.amdhsa_system_sgpr_workgroup_id_y 0
		.amdhsa_system_sgpr_workgroup_id_z 0
		.amdhsa_system_sgpr_workgroup_info 0
		.amdhsa_system_vgpr_workitem_id 1
		.amdhsa_next_free_vgpr 11
		.amdhsa_next_free_sgpr 12
		.amdhsa_reserve_vcc 1
		.amdhsa_reserve_flat_scratch 0
		.amdhsa_float_round_mode_32 0
		.amdhsa_float_round_mode_16_64 0
		.amdhsa_float_denorm_mode_32 3
		.amdhsa_float_denorm_mode_16_64 3
		.amdhsa_dx10_clamp 1
		.amdhsa_ieee_mode 1
		.amdhsa_fp16_overflow 0
		.amdhsa_workgroup_processor_mode 1
		.amdhsa_memory_ordered 1
		.amdhsa_forward_progress 1
		.amdhsa_shared_vgpr_count 0
		.amdhsa_exception_fp_ieee_invalid_op 0
		.amdhsa_exception_fp_denorm_src 0
		.amdhsa_exception_fp_ieee_div_zero 0
		.amdhsa_exception_fp_ieee_overflow 0
		.amdhsa_exception_fp_ieee_underflow 0
		.amdhsa_exception_fp_ieee_inexact 0
		.amdhsa_exception_int_div_zero 0
	.end_amdhsa_kernel
	.section	.text._ZN12_GLOBAL__N_121softmax_warp_backwardIfN3c104HalfEfLi0ELb0ELb0ELi64EEEvPT0_PKT_S7_iiiPKb,"axG",@progbits,_ZN12_GLOBAL__N_121softmax_warp_backwardIfN3c104HalfEfLi0ELb0ELb0ELi64EEEvPT0_PKT_S7_iiiPKb,comdat
.Lfunc_end594:
	.size	_ZN12_GLOBAL__N_121softmax_warp_backwardIfN3c104HalfEfLi0ELb0ELb0ELi64EEEvPT0_PKT_S7_iiiPKb, .Lfunc_end594-_ZN12_GLOBAL__N_121softmax_warp_backwardIfN3c104HalfEfLi0ELb0ELb0ELi64EEEvPT0_PKT_S7_iiiPKb
                                        ; -- End function
	.set _ZN12_GLOBAL__N_121softmax_warp_backwardIfN3c104HalfEfLi0ELb0ELb0ELi64EEEvPT0_PKT_S7_iiiPKb.num_vgpr, 11
	.set _ZN12_GLOBAL__N_121softmax_warp_backwardIfN3c104HalfEfLi0ELb0ELb0ELi64EEEvPT0_PKT_S7_iiiPKb.num_agpr, 0
	.set _ZN12_GLOBAL__N_121softmax_warp_backwardIfN3c104HalfEfLi0ELb0ELb0ELi64EEEvPT0_PKT_S7_iiiPKb.numbered_sgpr, 12
	.set _ZN12_GLOBAL__N_121softmax_warp_backwardIfN3c104HalfEfLi0ELb0ELb0ELi64EEEvPT0_PKT_S7_iiiPKb.num_named_barrier, 0
	.set _ZN12_GLOBAL__N_121softmax_warp_backwardIfN3c104HalfEfLi0ELb0ELb0ELi64EEEvPT0_PKT_S7_iiiPKb.private_seg_size, 0
	.set _ZN12_GLOBAL__N_121softmax_warp_backwardIfN3c104HalfEfLi0ELb0ELb0ELi64EEEvPT0_PKT_S7_iiiPKb.uses_vcc, 1
	.set _ZN12_GLOBAL__N_121softmax_warp_backwardIfN3c104HalfEfLi0ELb0ELb0ELi64EEEvPT0_PKT_S7_iiiPKb.uses_flat_scratch, 0
	.set _ZN12_GLOBAL__N_121softmax_warp_backwardIfN3c104HalfEfLi0ELb0ELb0ELi64EEEvPT0_PKT_S7_iiiPKb.has_dyn_sized_stack, 0
	.set _ZN12_GLOBAL__N_121softmax_warp_backwardIfN3c104HalfEfLi0ELb0ELb0ELi64EEEvPT0_PKT_S7_iiiPKb.has_recursion, 0
	.set _ZN12_GLOBAL__N_121softmax_warp_backwardIfN3c104HalfEfLi0ELb0ELb0ELi64EEEvPT0_PKT_S7_iiiPKb.has_indirect_call, 0
	.section	.AMDGPU.csdata,"",@progbits
; Kernel info:
; codeLenInByte = 452
; TotalNumSgprs: 14
; NumVgprs: 11
; ScratchSize: 0
; MemoryBound: 0
; FloatMode: 240
; IeeeMode: 1
; LDSByteSize: 0 bytes/workgroup (compile time only)
; SGPRBlocks: 0
; VGPRBlocks: 1
; NumSGPRsForWavesPerEU: 14
; NumVGPRsForWavesPerEU: 11
; Occupancy: 16
; WaveLimiterHint : 0
; COMPUTE_PGM_RSRC2:SCRATCH_EN: 0
; COMPUTE_PGM_RSRC2:USER_SGPR: 6
; COMPUTE_PGM_RSRC2:TRAP_HANDLER: 0
; COMPUTE_PGM_RSRC2:TGID_X_EN: 1
; COMPUTE_PGM_RSRC2:TGID_Y_EN: 0
; COMPUTE_PGM_RSRC2:TGID_Z_EN: 0
; COMPUTE_PGM_RSRC2:TIDIG_COMP_CNT: 1
	.section	.text._ZN12_GLOBAL__N_121softmax_warp_backwardIfN3c104HalfEfLi0ELb0ELb0ELi32EEEvPT0_PKT_S7_iiiPKb,"axG",@progbits,_ZN12_GLOBAL__N_121softmax_warp_backwardIfN3c104HalfEfLi0ELb0ELb0ELi32EEEvPT0_PKT_S7_iiiPKb,comdat
	.globl	_ZN12_GLOBAL__N_121softmax_warp_backwardIfN3c104HalfEfLi0ELb0ELb0ELi32EEEvPT0_PKT_S7_iiiPKb ; -- Begin function _ZN12_GLOBAL__N_121softmax_warp_backwardIfN3c104HalfEfLi0ELb0ELb0ELi32EEEvPT0_PKT_S7_iiiPKb
	.p2align	8
	.type	_ZN12_GLOBAL__N_121softmax_warp_backwardIfN3c104HalfEfLi0ELb0ELb0ELi32EEEvPT0_PKT_S7_iiiPKb,@function
_ZN12_GLOBAL__N_121softmax_warp_backwardIfN3c104HalfEfLi0ELb0ELb0ELi32EEEvPT0_PKT_S7_iiiPKb: ; @_ZN12_GLOBAL__N_121softmax_warp_backwardIfN3c104HalfEfLi0ELb0ELb0ELi32EEEvPT0_PKT_S7_iiiPKb
; %bb.0:
	s_clause 0x3
	s_load_dword s7, s[4:5], 0x3c
	s_load_dwordx4 s[0:3], s[4:5], 0x18
	s_load_dwordx4 s[8:11], s[4:5], 0x0
	s_load_dwordx2 s[4:5], s[4:5], 0x10
	v_mov_b32_e32 v7, 0
	v_mov_b32_e32 v8, 0
	s_waitcnt lgkmcnt(0)
	s_lshr_b32 s3, s7, 16
	s_and_b32 s3, s3, 0xffff
	s_cmp_gt_i32 s2, 0
	s_mul_i32 s6, s6, s3
	v_add_lshl_u32 v2, s6, v1, 1
	v_mul_lo_u32 v0, v2, s1
	v_sub_nc_u32_e32 v6, s0, v2
	s_cselect_b32 s1, -1, 0
	v_cmp_lt_i32_e32 vcc_lo, 0, v6
	v_ashrrev_i32_e32 v1, 31, v0
	s_and_b32 s3, s1, vcc_lo
	v_lshlrev_b64 v[2:3], 2, v[0:1]
	v_add_co_u32 v4, s0, s10, v2
	v_add_co_ci_u32_e64 v5, null, s11, v3, s0
	v_add_co_u32 v2, s0, s4, v2
	v_add_co_ci_u32_e64 v3, null, s5, v3, s0
	s_and_saveexec_b32 s0, s3
	s_cbranch_execz .LBB595_2
; %bb.1:
	global_load_dword v8, v[4:5], off
	global_load_dword v7, v[2:3], off
.LBB595_2:
	s_or_b32 exec_lo, exec_lo, s0
	v_cmp_gt_i32_e64 s0, 2, v6
	s_xor_b32 s3, s1, -1
	s_or_b32 s0, s3, s0
	s_and_saveexec_b32 s3, s0
	s_xor_b32 s0, exec_lo, s3
                                        ; implicit-def: $vgpr9
	s_cbranch_execnz .LBB595_6
; %bb.3:
	s_or_saveexec_b32 s4, s0
	v_mov_b32_e32 v10, 0
	s_xor_b32 exec_lo, exec_lo, s4
	s_cbranch_execnz .LBB595_7
.LBB595_4:
	s_or_b32 exec_lo, exec_lo, s4
	s_and_saveexec_b32 s0, vcc_lo
	s_cbranch_execnz .LBB595_8
.LBB595_5:
	s_endpgm
.LBB595_6:
	v_mov_b32_e32 v9, 0
                                        ; implicit-def: $vgpr2
                                        ; implicit-def: $vgpr4
	s_or_saveexec_b32 s4, s0
	v_mov_b32_e32 v10, 0
	s_xor_b32 exec_lo, exec_lo, s4
	s_cbranch_execz .LBB595_4
.LBB595_7:
	s_mov_b32 s3, 0
	s_lshl_b64 s[6:7], s[2:3], 2
	v_add_co_u32 v4, s0, v4, s6
	v_add_co_ci_u32_e64 v5, null, s7, v5, s0
	v_add_co_u32 v2, s0, v2, s6
	v_add_co_ci_u32_e64 v3, null, s7, v3, s0
	global_load_dword v9, v[4:5], off
	global_load_dword v10, v[2:3], off
	s_or_b32 exec_lo, exec_lo, s4
	s_and_saveexec_b32 s0, vcc_lo
	s_cbranch_execz .LBB595_5
.LBB595_8:
	v_lshlrev_b64 v[0:1], 1, v[0:1]
	v_add_co_u32 v0, vcc_lo, s8, v0
	v_add_co_ci_u32_e64 v1, null, s9, v1, vcc_lo
	s_andn2_b32 vcc_lo, exec_lo, s1
	s_cbranch_vccnz .LBB595_10
; %bb.9:
	s_waitcnt vmcnt(1)
	v_add_f32_e32 v2, 0, v8
	s_waitcnt vmcnt(0)
	v_fma_mixlo_f16 v2, -v7, v2, v8
	global_store_short v[0:1], v2, off
.LBB595_10:
	v_cmp_ne_u32_e32 vcc_lo, 1, v6
	s_and_b32 s0, vcc_lo, s1
	s_and_b32 exec_lo, exec_lo, s0
	s_cbranch_execz .LBB595_5
; %bb.11:
	s_mov_b32 s3, 0
	s_waitcnt vmcnt(1)
	v_add_f32_e32 v2, 0, v9
	s_lshl_b64 s[0:1], s[2:3], 1
	v_add_co_u32 v0, vcc_lo, v0, s0
	v_add_co_ci_u32_e64 v1, null, s1, v1, vcc_lo
	s_waitcnt vmcnt(0)
	v_fma_mixlo_f16 v2, -v10, v2, v9
	global_store_short v[0:1], v2, off
	s_endpgm
	.section	.rodata,"a",@progbits
	.p2align	6, 0x0
	.amdhsa_kernel _ZN12_GLOBAL__N_121softmax_warp_backwardIfN3c104HalfEfLi0ELb0ELb0ELi32EEEvPT0_PKT_S7_iiiPKb
		.amdhsa_group_segment_fixed_size 0
		.amdhsa_private_segment_fixed_size 0
		.amdhsa_kernarg_size 304
		.amdhsa_user_sgpr_count 6
		.amdhsa_user_sgpr_private_segment_buffer 1
		.amdhsa_user_sgpr_dispatch_ptr 0
		.amdhsa_user_sgpr_queue_ptr 0
		.amdhsa_user_sgpr_kernarg_segment_ptr 1
		.amdhsa_user_sgpr_dispatch_id 0
		.amdhsa_user_sgpr_flat_scratch_init 0
		.amdhsa_user_sgpr_private_segment_size 0
		.amdhsa_wavefront_size32 1
		.amdhsa_uses_dynamic_stack 0
		.amdhsa_system_sgpr_private_segment_wavefront_offset 0
		.amdhsa_system_sgpr_workgroup_id_x 1
		.amdhsa_system_sgpr_workgroup_id_y 0
		.amdhsa_system_sgpr_workgroup_id_z 0
		.amdhsa_system_sgpr_workgroup_info 0
		.amdhsa_system_vgpr_workitem_id 1
		.amdhsa_next_free_vgpr 11
		.amdhsa_next_free_sgpr 12
		.amdhsa_reserve_vcc 1
		.amdhsa_reserve_flat_scratch 0
		.amdhsa_float_round_mode_32 0
		.amdhsa_float_round_mode_16_64 0
		.amdhsa_float_denorm_mode_32 3
		.amdhsa_float_denorm_mode_16_64 3
		.amdhsa_dx10_clamp 1
		.amdhsa_ieee_mode 1
		.amdhsa_fp16_overflow 0
		.amdhsa_workgroup_processor_mode 1
		.amdhsa_memory_ordered 1
		.amdhsa_forward_progress 1
		.amdhsa_shared_vgpr_count 0
		.amdhsa_exception_fp_ieee_invalid_op 0
		.amdhsa_exception_fp_denorm_src 0
		.amdhsa_exception_fp_ieee_div_zero 0
		.amdhsa_exception_fp_ieee_overflow 0
		.amdhsa_exception_fp_ieee_underflow 0
		.amdhsa_exception_fp_ieee_inexact 0
		.amdhsa_exception_int_div_zero 0
	.end_amdhsa_kernel
	.section	.text._ZN12_GLOBAL__N_121softmax_warp_backwardIfN3c104HalfEfLi0ELb0ELb0ELi32EEEvPT0_PKT_S7_iiiPKb,"axG",@progbits,_ZN12_GLOBAL__N_121softmax_warp_backwardIfN3c104HalfEfLi0ELb0ELb0ELi32EEEvPT0_PKT_S7_iiiPKb,comdat
.Lfunc_end595:
	.size	_ZN12_GLOBAL__N_121softmax_warp_backwardIfN3c104HalfEfLi0ELb0ELb0ELi32EEEvPT0_PKT_S7_iiiPKb, .Lfunc_end595-_ZN12_GLOBAL__N_121softmax_warp_backwardIfN3c104HalfEfLi0ELb0ELb0ELi32EEEvPT0_PKT_S7_iiiPKb
                                        ; -- End function
	.set _ZN12_GLOBAL__N_121softmax_warp_backwardIfN3c104HalfEfLi0ELb0ELb0ELi32EEEvPT0_PKT_S7_iiiPKb.num_vgpr, 11
	.set _ZN12_GLOBAL__N_121softmax_warp_backwardIfN3c104HalfEfLi0ELb0ELb0ELi32EEEvPT0_PKT_S7_iiiPKb.num_agpr, 0
	.set _ZN12_GLOBAL__N_121softmax_warp_backwardIfN3c104HalfEfLi0ELb0ELb0ELi32EEEvPT0_PKT_S7_iiiPKb.numbered_sgpr, 12
	.set _ZN12_GLOBAL__N_121softmax_warp_backwardIfN3c104HalfEfLi0ELb0ELb0ELi32EEEvPT0_PKT_S7_iiiPKb.num_named_barrier, 0
	.set _ZN12_GLOBAL__N_121softmax_warp_backwardIfN3c104HalfEfLi0ELb0ELb0ELi32EEEvPT0_PKT_S7_iiiPKb.private_seg_size, 0
	.set _ZN12_GLOBAL__N_121softmax_warp_backwardIfN3c104HalfEfLi0ELb0ELb0ELi32EEEvPT0_PKT_S7_iiiPKb.uses_vcc, 1
	.set _ZN12_GLOBAL__N_121softmax_warp_backwardIfN3c104HalfEfLi0ELb0ELb0ELi32EEEvPT0_PKT_S7_iiiPKb.uses_flat_scratch, 0
	.set _ZN12_GLOBAL__N_121softmax_warp_backwardIfN3c104HalfEfLi0ELb0ELb0ELi32EEEvPT0_PKT_S7_iiiPKb.has_dyn_sized_stack, 0
	.set _ZN12_GLOBAL__N_121softmax_warp_backwardIfN3c104HalfEfLi0ELb0ELb0ELi32EEEvPT0_PKT_S7_iiiPKb.has_recursion, 0
	.set _ZN12_GLOBAL__N_121softmax_warp_backwardIfN3c104HalfEfLi0ELb0ELb0ELi32EEEvPT0_PKT_S7_iiiPKb.has_indirect_call, 0
	.section	.AMDGPU.csdata,"",@progbits
; Kernel info:
; codeLenInByte = 452
; TotalNumSgprs: 14
; NumVgprs: 11
; ScratchSize: 0
; MemoryBound: 0
; FloatMode: 240
; IeeeMode: 1
; LDSByteSize: 0 bytes/workgroup (compile time only)
; SGPRBlocks: 0
; VGPRBlocks: 1
; NumSGPRsForWavesPerEU: 14
; NumVGPRsForWavesPerEU: 11
; Occupancy: 16
; WaveLimiterHint : 0
; COMPUTE_PGM_RSRC2:SCRATCH_EN: 0
; COMPUTE_PGM_RSRC2:USER_SGPR: 6
; COMPUTE_PGM_RSRC2:TRAP_HANDLER: 0
; COMPUTE_PGM_RSRC2:TGID_X_EN: 1
; COMPUTE_PGM_RSRC2:TGID_Y_EN: 0
; COMPUTE_PGM_RSRC2:TGID_Z_EN: 0
; COMPUTE_PGM_RSRC2:TIDIG_COMP_CNT: 1
	.section	.text._ZN12_GLOBAL__N_121softmax_warp_backwardIfN3c104HalfEfLi1ELb0ELb0ELi64EEEvPT0_PKT_S7_iiiPKb,"axG",@progbits,_ZN12_GLOBAL__N_121softmax_warp_backwardIfN3c104HalfEfLi1ELb0ELb0ELi64EEEvPT0_PKT_S7_iiiPKb,comdat
	.globl	_ZN12_GLOBAL__N_121softmax_warp_backwardIfN3c104HalfEfLi1ELb0ELb0ELi64EEEvPT0_PKT_S7_iiiPKb ; -- Begin function _ZN12_GLOBAL__N_121softmax_warp_backwardIfN3c104HalfEfLi1ELb0ELb0ELi64EEEvPT0_PKT_S7_iiiPKb
	.p2align	8
	.type	_ZN12_GLOBAL__N_121softmax_warp_backwardIfN3c104HalfEfLi1ELb0ELb0ELi64EEEvPT0_PKT_S7_iiiPKb,@function
_ZN12_GLOBAL__N_121softmax_warp_backwardIfN3c104HalfEfLi1ELb0ELb0ELi64EEEvPT0_PKT_S7_iiiPKb: ; @_ZN12_GLOBAL__N_121softmax_warp_backwardIfN3c104HalfEfLi1ELb0ELb0ELi64EEEvPT0_PKT_S7_iiiPKb
; %bb.0:
	s_clause 0x1
	s_load_dword s7, s[4:5], 0x3c
	s_load_dwordx4 s[0:3], s[4:5], 0x18
	v_and_b32_e32 v4, 1, v0
	s_clause 0x1
	s_load_dwordx4 s[8:11], s[4:5], 0x0
	s_load_dwordx2 s[4:5], s[4:5], 0x10
	v_mov_b32_e32 v7, 0
	v_mov_b32_e32 v8, 0
	s_waitcnt lgkmcnt(0)
	s_lshr_b32 s3, s7, 16
	v_cmp_gt_i32_e32 vcc_lo, s2, v4
	s_and_b32 s3, s3, 0xffff
	s_mul_i32 s6, s6, s3
	v_add_lshl_u32 v2, s6, v1, 1
	v_mul_lo_u32 v1, v2, s1
	v_sub_nc_u32_e32 v6, s0, v2
	v_cmp_lt_i32_e64 s0, 0, v6
	v_or_b32_e32 v0, v1, v4
	s_and_b32 s3, vcc_lo, s0
	v_ashrrev_i32_e32 v1, 31, v0
	v_lshlrev_b64 v[2:3], 2, v[0:1]
	v_add_co_u32 v4, s1, s10, v2
	v_add_co_ci_u32_e64 v5, null, s11, v3, s1
	v_add_co_u32 v2, s1, s4, v2
	v_add_co_ci_u32_e64 v3, null, s5, v3, s1
	s_and_saveexec_b32 s1, s3
	s_cbranch_execz .LBB596_2
; %bb.1:
	global_load_dword v8, v[4:5], off
	global_load_dword v7, v[2:3], off
.LBB596_2:
	s_or_b32 exec_lo, exec_lo, s1
	v_cmp_gt_i32_e64 s1, 2, v6
	s_xor_b32 s3, vcc_lo, -1
	s_or_b32 s1, s3, s1
	s_and_saveexec_b32 s3, s1
	s_xor_b32 s1, exec_lo, s3
                                        ; implicit-def: $vgpr9
; %bb.3:
	v_mov_b32_e32 v9, 0
                                        ; implicit-def: $vgpr2
                                        ; implicit-def: $vgpr4
; %bb.4:
	s_or_saveexec_b32 s4, s1
	v_mov_b32_e32 v10, 0
	s_xor_b32 exec_lo, exec_lo, s4
	s_cbranch_execz .LBB596_6
; %bb.5:
	s_mov_b32 s3, 0
	s_lshl_b64 s[6:7], s[2:3], 2
	v_add_co_u32 v4, s1, v4, s6
	v_add_co_ci_u32_e64 v5, null, s7, v5, s1
	v_add_co_u32 v2, s1, v2, s6
	v_add_co_ci_u32_e64 v3, null, s7, v3, s1
	global_load_dword v9, v[4:5], off
	global_load_dword v10, v[2:3], off
.LBB596_6:
	s_or_b32 exec_lo, exec_lo, s4
	v_mbcnt_lo_u32_b32 v2, -1, 0
	v_and_b32_e32 v3, 30, v2
	v_xor_b32_e32 v4, 1, v2
	v_add_nc_u32_e32 v3, 2, v3
	v_cmp_lt_i32_e64 s1, v4, v3
	v_cndmask_b32_e64 v2, v2, v4, s1
	s_waitcnt vmcnt(1)
	v_add_f32_e32 v4, 0, v8
	v_lshlrev_b32_e32 v3, 2, v2
	v_add_f32_e32 v2, 0, v9
	ds_bpermute_b32 v5, v3, v4
	ds_bpermute_b32 v3, v3, v2
	s_and_saveexec_b32 s1, s0
	s_cbranch_execz .LBB596_11
; %bb.7:
	v_lshlrev_b64 v[0:1], 1, v[0:1]
	v_add_co_u32 v0, s0, s8, v0
	v_add_co_ci_u32_e64 v1, null, s9, v1, s0
	s_and_saveexec_b32 s0, vcc_lo
	s_cbranch_execz .LBB596_9
; %bb.8:
	s_waitcnt lgkmcnt(1)
	v_add_f32_e32 v4, v4, v5
	s_waitcnt vmcnt(0)
	v_fma_mixlo_f16 v4, -v7, v4, v8
	global_store_short v[0:1], v4, off
.LBB596_9:
	s_or_b32 exec_lo, exec_lo, s0
	v_cmp_ne_u32_e64 s0, 1, v6
	s_and_b32 s0, s0, vcc_lo
	s_and_b32 exec_lo, exec_lo, s0
	s_cbranch_execz .LBB596_11
; %bb.10:
	s_mov_b32 s3, 0
	s_waitcnt lgkmcnt(0)
	v_add_f32_e32 v2, v2, v3
	s_lshl_b64 s[0:1], s[2:3], 1
	v_add_co_u32 v0, vcc_lo, v0, s0
	v_add_co_ci_u32_e64 v1, null, s1, v1, vcc_lo
	s_waitcnt vmcnt(0)
	v_fma_mixlo_f16 v2, -v10, v2, v9
	global_store_short v[0:1], v2, off
.LBB596_11:
	s_endpgm
	.section	.rodata,"a",@progbits
	.p2align	6, 0x0
	.amdhsa_kernel _ZN12_GLOBAL__N_121softmax_warp_backwardIfN3c104HalfEfLi1ELb0ELb0ELi64EEEvPT0_PKT_S7_iiiPKb
		.amdhsa_group_segment_fixed_size 0
		.amdhsa_private_segment_fixed_size 0
		.amdhsa_kernarg_size 304
		.amdhsa_user_sgpr_count 6
		.amdhsa_user_sgpr_private_segment_buffer 1
		.amdhsa_user_sgpr_dispatch_ptr 0
		.amdhsa_user_sgpr_queue_ptr 0
		.amdhsa_user_sgpr_kernarg_segment_ptr 1
		.amdhsa_user_sgpr_dispatch_id 0
		.amdhsa_user_sgpr_flat_scratch_init 0
		.amdhsa_user_sgpr_private_segment_size 0
		.amdhsa_wavefront_size32 1
		.amdhsa_uses_dynamic_stack 0
		.amdhsa_system_sgpr_private_segment_wavefront_offset 0
		.amdhsa_system_sgpr_workgroup_id_x 1
		.amdhsa_system_sgpr_workgroup_id_y 0
		.amdhsa_system_sgpr_workgroup_id_z 0
		.amdhsa_system_sgpr_workgroup_info 0
		.amdhsa_system_vgpr_workitem_id 1
		.amdhsa_next_free_vgpr 11
		.amdhsa_next_free_sgpr 12
		.amdhsa_reserve_vcc 1
		.amdhsa_reserve_flat_scratch 0
		.amdhsa_float_round_mode_32 0
		.amdhsa_float_round_mode_16_64 0
		.amdhsa_float_denorm_mode_32 3
		.amdhsa_float_denorm_mode_16_64 3
		.amdhsa_dx10_clamp 1
		.amdhsa_ieee_mode 1
		.amdhsa_fp16_overflow 0
		.amdhsa_workgroup_processor_mode 1
		.amdhsa_memory_ordered 1
		.amdhsa_forward_progress 1
		.amdhsa_shared_vgpr_count 0
		.amdhsa_exception_fp_ieee_invalid_op 0
		.amdhsa_exception_fp_denorm_src 0
		.amdhsa_exception_fp_ieee_div_zero 0
		.amdhsa_exception_fp_ieee_overflow 0
		.amdhsa_exception_fp_ieee_underflow 0
		.amdhsa_exception_fp_ieee_inexact 0
		.amdhsa_exception_int_div_zero 0
	.end_amdhsa_kernel
	.section	.text._ZN12_GLOBAL__N_121softmax_warp_backwardIfN3c104HalfEfLi1ELb0ELb0ELi64EEEvPT0_PKT_S7_iiiPKb,"axG",@progbits,_ZN12_GLOBAL__N_121softmax_warp_backwardIfN3c104HalfEfLi1ELb0ELb0ELi64EEEvPT0_PKT_S7_iiiPKb,comdat
.Lfunc_end596:
	.size	_ZN12_GLOBAL__N_121softmax_warp_backwardIfN3c104HalfEfLi1ELb0ELb0ELi64EEEvPT0_PKT_S7_iiiPKb, .Lfunc_end596-_ZN12_GLOBAL__N_121softmax_warp_backwardIfN3c104HalfEfLi1ELb0ELb0ELi64EEEvPT0_PKT_S7_iiiPKb
                                        ; -- End function
	.set _ZN12_GLOBAL__N_121softmax_warp_backwardIfN3c104HalfEfLi1ELb0ELb0ELi64EEEvPT0_PKT_S7_iiiPKb.num_vgpr, 11
	.set _ZN12_GLOBAL__N_121softmax_warp_backwardIfN3c104HalfEfLi1ELb0ELb0ELi64EEEvPT0_PKT_S7_iiiPKb.num_agpr, 0
	.set _ZN12_GLOBAL__N_121softmax_warp_backwardIfN3c104HalfEfLi1ELb0ELb0ELi64EEEvPT0_PKT_S7_iiiPKb.numbered_sgpr, 12
	.set _ZN12_GLOBAL__N_121softmax_warp_backwardIfN3c104HalfEfLi1ELb0ELb0ELi64EEEvPT0_PKT_S7_iiiPKb.num_named_barrier, 0
	.set _ZN12_GLOBAL__N_121softmax_warp_backwardIfN3c104HalfEfLi1ELb0ELb0ELi64EEEvPT0_PKT_S7_iiiPKb.private_seg_size, 0
	.set _ZN12_GLOBAL__N_121softmax_warp_backwardIfN3c104HalfEfLi1ELb0ELb0ELi64EEEvPT0_PKT_S7_iiiPKb.uses_vcc, 1
	.set _ZN12_GLOBAL__N_121softmax_warp_backwardIfN3c104HalfEfLi1ELb0ELb0ELi64EEEvPT0_PKT_S7_iiiPKb.uses_flat_scratch, 0
	.set _ZN12_GLOBAL__N_121softmax_warp_backwardIfN3c104HalfEfLi1ELb0ELb0ELi64EEEvPT0_PKT_S7_iiiPKb.has_dyn_sized_stack, 0
	.set _ZN12_GLOBAL__N_121softmax_warp_backwardIfN3c104HalfEfLi1ELb0ELb0ELi64EEEvPT0_PKT_S7_iiiPKb.has_recursion, 0
	.set _ZN12_GLOBAL__N_121softmax_warp_backwardIfN3c104HalfEfLi1ELb0ELb0ELi64EEEvPT0_PKT_S7_iiiPKb.has_indirect_call, 0
	.section	.AMDGPU.csdata,"",@progbits
; Kernel info:
; codeLenInByte = 504
; TotalNumSgprs: 14
; NumVgprs: 11
; ScratchSize: 0
; MemoryBound: 0
; FloatMode: 240
; IeeeMode: 1
; LDSByteSize: 0 bytes/workgroup (compile time only)
; SGPRBlocks: 0
; VGPRBlocks: 1
; NumSGPRsForWavesPerEU: 14
; NumVGPRsForWavesPerEU: 11
; Occupancy: 16
; WaveLimiterHint : 0
; COMPUTE_PGM_RSRC2:SCRATCH_EN: 0
; COMPUTE_PGM_RSRC2:USER_SGPR: 6
; COMPUTE_PGM_RSRC2:TRAP_HANDLER: 0
; COMPUTE_PGM_RSRC2:TGID_X_EN: 1
; COMPUTE_PGM_RSRC2:TGID_Y_EN: 0
; COMPUTE_PGM_RSRC2:TGID_Z_EN: 0
; COMPUTE_PGM_RSRC2:TIDIG_COMP_CNT: 1
	.section	.text._ZN12_GLOBAL__N_121softmax_warp_backwardIfN3c104HalfEfLi1ELb0ELb0ELi32EEEvPT0_PKT_S7_iiiPKb,"axG",@progbits,_ZN12_GLOBAL__N_121softmax_warp_backwardIfN3c104HalfEfLi1ELb0ELb0ELi32EEEvPT0_PKT_S7_iiiPKb,comdat
	.globl	_ZN12_GLOBAL__N_121softmax_warp_backwardIfN3c104HalfEfLi1ELb0ELb0ELi32EEEvPT0_PKT_S7_iiiPKb ; -- Begin function _ZN12_GLOBAL__N_121softmax_warp_backwardIfN3c104HalfEfLi1ELb0ELb0ELi32EEEvPT0_PKT_S7_iiiPKb
	.p2align	8
	.type	_ZN12_GLOBAL__N_121softmax_warp_backwardIfN3c104HalfEfLi1ELb0ELb0ELi32EEEvPT0_PKT_S7_iiiPKb,@function
_ZN12_GLOBAL__N_121softmax_warp_backwardIfN3c104HalfEfLi1ELb0ELb0ELi32EEEvPT0_PKT_S7_iiiPKb: ; @_ZN12_GLOBAL__N_121softmax_warp_backwardIfN3c104HalfEfLi1ELb0ELb0ELi32EEEvPT0_PKT_S7_iiiPKb
; %bb.0:
	s_clause 0x1
	s_load_dword s7, s[4:5], 0x3c
	s_load_dwordx4 s[0:3], s[4:5], 0x18
	v_and_b32_e32 v4, 1, v0
	s_clause 0x1
	s_load_dwordx4 s[8:11], s[4:5], 0x0
	s_load_dwordx2 s[4:5], s[4:5], 0x10
	v_mov_b32_e32 v7, 0
	v_mov_b32_e32 v8, 0
	s_waitcnt lgkmcnt(0)
	s_lshr_b32 s3, s7, 16
	v_cmp_gt_i32_e32 vcc_lo, s2, v4
	s_and_b32 s3, s3, 0xffff
	s_mul_i32 s6, s6, s3
	v_add_lshl_u32 v2, s6, v1, 1
	v_mul_lo_u32 v1, v2, s1
	v_sub_nc_u32_e32 v6, s0, v2
	v_cmp_lt_i32_e64 s0, 0, v6
	v_or_b32_e32 v0, v1, v4
	s_and_b32 s3, vcc_lo, s0
	v_ashrrev_i32_e32 v1, 31, v0
	v_lshlrev_b64 v[2:3], 2, v[0:1]
	v_add_co_u32 v4, s1, s10, v2
	v_add_co_ci_u32_e64 v5, null, s11, v3, s1
	v_add_co_u32 v2, s1, s4, v2
	v_add_co_ci_u32_e64 v3, null, s5, v3, s1
	s_and_saveexec_b32 s1, s3
	s_cbranch_execz .LBB597_2
; %bb.1:
	global_load_dword v8, v[4:5], off
	global_load_dword v7, v[2:3], off
.LBB597_2:
	s_or_b32 exec_lo, exec_lo, s1
	v_cmp_gt_i32_e64 s1, 2, v6
	s_xor_b32 s3, vcc_lo, -1
	s_or_b32 s1, s3, s1
	s_and_saveexec_b32 s3, s1
	s_xor_b32 s1, exec_lo, s3
                                        ; implicit-def: $vgpr9
; %bb.3:
	v_mov_b32_e32 v9, 0
                                        ; implicit-def: $vgpr2
                                        ; implicit-def: $vgpr4
; %bb.4:
	s_or_saveexec_b32 s4, s1
	v_mov_b32_e32 v10, 0
	s_xor_b32 exec_lo, exec_lo, s4
	s_cbranch_execz .LBB597_6
; %bb.5:
	s_mov_b32 s3, 0
	s_lshl_b64 s[6:7], s[2:3], 2
	v_add_co_u32 v4, s1, v4, s6
	v_add_co_ci_u32_e64 v5, null, s7, v5, s1
	v_add_co_u32 v2, s1, v2, s6
	v_add_co_ci_u32_e64 v3, null, s7, v3, s1
	global_load_dword v9, v[4:5], off
	global_load_dword v10, v[2:3], off
.LBB597_6:
	s_or_b32 exec_lo, exec_lo, s4
	v_mbcnt_lo_u32_b32 v2, -1, 0
	v_and_b32_e32 v3, 30, v2
	v_xor_b32_e32 v4, 1, v2
	v_add_nc_u32_e32 v3, 2, v3
	v_cmp_lt_i32_e64 s1, v4, v3
	v_cndmask_b32_e64 v2, v2, v4, s1
	s_waitcnt vmcnt(1)
	v_add_f32_e32 v4, 0, v8
	v_lshlrev_b32_e32 v3, 2, v2
	v_add_f32_e32 v2, 0, v9
	ds_bpermute_b32 v5, v3, v4
	ds_bpermute_b32 v3, v3, v2
	s_and_saveexec_b32 s1, s0
	s_cbranch_execz .LBB597_11
; %bb.7:
	v_lshlrev_b64 v[0:1], 1, v[0:1]
	v_add_co_u32 v0, s0, s8, v0
	v_add_co_ci_u32_e64 v1, null, s9, v1, s0
	s_and_saveexec_b32 s0, vcc_lo
	s_cbranch_execz .LBB597_9
; %bb.8:
	s_waitcnt lgkmcnt(1)
	v_add_f32_e32 v4, v4, v5
	s_waitcnt vmcnt(0)
	v_fma_mixlo_f16 v4, -v7, v4, v8
	global_store_short v[0:1], v4, off
.LBB597_9:
	s_or_b32 exec_lo, exec_lo, s0
	v_cmp_ne_u32_e64 s0, 1, v6
	s_and_b32 s0, s0, vcc_lo
	s_and_b32 exec_lo, exec_lo, s0
	s_cbranch_execz .LBB597_11
; %bb.10:
	s_mov_b32 s3, 0
	s_waitcnt lgkmcnt(0)
	v_add_f32_e32 v2, v2, v3
	s_lshl_b64 s[0:1], s[2:3], 1
	v_add_co_u32 v0, vcc_lo, v0, s0
	v_add_co_ci_u32_e64 v1, null, s1, v1, vcc_lo
	s_waitcnt vmcnt(0)
	v_fma_mixlo_f16 v2, -v10, v2, v9
	global_store_short v[0:1], v2, off
.LBB597_11:
	s_endpgm
	.section	.rodata,"a",@progbits
	.p2align	6, 0x0
	.amdhsa_kernel _ZN12_GLOBAL__N_121softmax_warp_backwardIfN3c104HalfEfLi1ELb0ELb0ELi32EEEvPT0_PKT_S7_iiiPKb
		.amdhsa_group_segment_fixed_size 0
		.amdhsa_private_segment_fixed_size 0
		.amdhsa_kernarg_size 304
		.amdhsa_user_sgpr_count 6
		.amdhsa_user_sgpr_private_segment_buffer 1
		.amdhsa_user_sgpr_dispatch_ptr 0
		.amdhsa_user_sgpr_queue_ptr 0
		.amdhsa_user_sgpr_kernarg_segment_ptr 1
		.amdhsa_user_sgpr_dispatch_id 0
		.amdhsa_user_sgpr_flat_scratch_init 0
		.amdhsa_user_sgpr_private_segment_size 0
		.amdhsa_wavefront_size32 1
		.amdhsa_uses_dynamic_stack 0
		.amdhsa_system_sgpr_private_segment_wavefront_offset 0
		.amdhsa_system_sgpr_workgroup_id_x 1
		.amdhsa_system_sgpr_workgroup_id_y 0
		.amdhsa_system_sgpr_workgroup_id_z 0
		.amdhsa_system_sgpr_workgroup_info 0
		.amdhsa_system_vgpr_workitem_id 1
		.amdhsa_next_free_vgpr 11
		.amdhsa_next_free_sgpr 12
		.amdhsa_reserve_vcc 1
		.amdhsa_reserve_flat_scratch 0
		.amdhsa_float_round_mode_32 0
		.amdhsa_float_round_mode_16_64 0
		.amdhsa_float_denorm_mode_32 3
		.amdhsa_float_denorm_mode_16_64 3
		.amdhsa_dx10_clamp 1
		.amdhsa_ieee_mode 1
		.amdhsa_fp16_overflow 0
		.amdhsa_workgroup_processor_mode 1
		.amdhsa_memory_ordered 1
		.amdhsa_forward_progress 1
		.amdhsa_shared_vgpr_count 0
		.amdhsa_exception_fp_ieee_invalid_op 0
		.amdhsa_exception_fp_denorm_src 0
		.amdhsa_exception_fp_ieee_div_zero 0
		.amdhsa_exception_fp_ieee_overflow 0
		.amdhsa_exception_fp_ieee_underflow 0
		.amdhsa_exception_fp_ieee_inexact 0
		.amdhsa_exception_int_div_zero 0
	.end_amdhsa_kernel
	.section	.text._ZN12_GLOBAL__N_121softmax_warp_backwardIfN3c104HalfEfLi1ELb0ELb0ELi32EEEvPT0_PKT_S7_iiiPKb,"axG",@progbits,_ZN12_GLOBAL__N_121softmax_warp_backwardIfN3c104HalfEfLi1ELb0ELb0ELi32EEEvPT0_PKT_S7_iiiPKb,comdat
.Lfunc_end597:
	.size	_ZN12_GLOBAL__N_121softmax_warp_backwardIfN3c104HalfEfLi1ELb0ELb0ELi32EEEvPT0_PKT_S7_iiiPKb, .Lfunc_end597-_ZN12_GLOBAL__N_121softmax_warp_backwardIfN3c104HalfEfLi1ELb0ELb0ELi32EEEvPT0_PKT_S7_iiiPKb
                                        ; -- End function
	.set _ZN12_GLOBAL__N_121softmax_warp_backwardIfN3c104HalfEfLi1ELb0ELb0ELi32EEEvPT0_PKT_S7_iiiPKb.num_vgpr, 11
	.set _ZN12_GLOBAL__N_121softmax_warp_backwardIfN3c104HalfEfLi1ELb0ELb0ELi32EEEvPT0_PKT_S7_iiiPKb.num_agpr, 0
	.set _ZN12_GLOBAL__N_121softmax_warp_backwardIfN3c104HalfEfLi1ELb0ELb0ELi32EEEvPT0_PKT_S7_iiiPKb.numbered_sgpr, 12
	.set _ZN12_GLOBAL__N_121softmax_warp_backwardIfN3c104HalfEfLi1ELb0ELb0ELi32EEEvPT0_PKT_S7_iiiPKb.num_named_barrier, 0
	.set _ZN12_GLOBAL__N_121softmax_warp_backwardIfN3c104HalfEfLi1ELb0ELb0ELi32EEEvPT0_PKT_S7_iiiPKb.private_seg_size, 0
	.set _ZN12_GLOBAL__N_121softmax_warp_backwardIfN3c104HalfEfLi1ELb0ELb0ELi32EEEvPT0_PKT_S7_iiiPKb.uses_vcc, 1
	.set _ZN12_GLOBAL__N_121softmax_warp_backwardIfN3c104HalfEfLi1ELb0ELb0ELi32EEEvPT0_PKT_S7_iiiPKb.uses_flat_scratch, 0
	.set _ZN12_GLOBAL__N_121softmax_warp_backwardIfN3c104HalfEfLi1ELb0ELb0ELi32EEEvPT0_PKT_S7_iiiPKb.has_dyn_sized_stack, 0
	.set _ZN12_GLOBAL__N_121softmax_warp_backwardIfN3c104HalfEfLi1ELb0ELb0ELi32EEEvPT0_PKT_S7_iiiPKb.has_recursion, 0
	.set _ZN12_GLOBAL__N_121softmax_warp_backwardIfN3c104HalfEfLi1ELb0ELb0ELi32EEEvPT0_PKT_S7_iiiPKb.has_indirect_call, 0
	.section	.AMDGPU.csdata,"",@progbits
; Kernel info:
; codeLenInByte = 504
; TotalNumSgprs: 14
; NumVgprs: 11
; ScratchSize: 0
; MemoryBound: 0
; FloatMode: 240
; IeeeMode: 1
; LDSByteSize: 0 bytes/workgroup (compile time only)
; SGPRBlocks: 0
; VGPRBlocks: 1
; NumSGPRsForWavesPerEU: 14
; NumVGPRsForWavesPerEU: 11
; Occupancy: 16
; WaveLimiterHint : 0
; COMPUTE_PGM_RSRC2:SCRATCH_EN: 0
; COMPUTE_PGM_RSRC2:USER_SGPR: 6
; COMPUTE_PGM_RSRC2:TRAP_HANDLER: 0
; COMPUTE_PGM_RSRC2:TGID_X_EN: 1
; COMPUTE_PGM_RSRC2:TGID_Y_EN: 0
; COMPUTE_PGM_RSRC2:TGID_Z_EN: 0
; COMPUTE_PGM_RSRC2:TIDIG_COMP_CNT: 1
	.section	.text._ZN12_GLOBAL__N_121softmax_warp_backwardIfN3c104HalfEfLi2ELb0ELb0ELi64EEEvPT0_PKT_S7_iiiPKb,"axG",@progbits,_ZN12_GLOBAL__N_121softmax_warp_backwardIfN3c104HalfEfLi2ELb0ELb0ELi64EEEvPT0_PKT_S7_iiiPKb,comdat
	.globl	_ZN12_GLOBAL__N_121softmax_warp_backwardIfN3c104HalfEfLi2ELb0ELb0ELi64EEEvPT0_PKT_S7_iiiPKb ; -- Begin function _ZN12_GLOBAL__N_121softmax_warp_backwardIfN3c104HalfEfLi2ELb0ELb0ELi64EEEvPT0_PKT_S7_iiiPKb
	.p2align	8
	.type	_ZN12_GLOBAL__N_121softmax_warp_backwardIfN3c104HalfEfLi2ELb0ELb0ELi64EEEvPT0_PKT_S7_iiiPKb,@function
_ZN12_GLOBAL__N_121softmax_warp_backwardIfN3c104HalfEfLi2ELb0ELb0ELi64EEEvPT0_PKT_S7_iiiPKb: ; @_ZN12_GLOBAL__N_121softmax_warp_backwardIfN3c104HalfEfLi2ELb0ELb0ELi64EEEvPT0_PKT_S7_iiiPKb
; %bb.0:
	s_clause 0x1
	s_load_dword s7, s[4:5], 0x3c
	s_load_dwordx4 s[0:3], s[4:5], 0x18
	v_and_b32_e32 v2, 3, v0
	s_clause 0x1
	s_load_dwordx4 s[8:11], s[4:5], 0x0
	s_load_dwordx2 s[4:5], s[4:5], 0x10
	v_mov_b32_e32 v7, 0
	s_waitcnt lgkmcnt(0)
	s_lshr_b32 s3, s7, 16
	v_cmp_gt_i32_e32 vcc_lo, s2, v2
	s_and_b32 s3, s3, 0xffff
	s_mul_i32 s6, s6, s3
	v_add_lshl_u32 v3, s6, v1, 1
	v_mad_u64_u32 v[0:1], null, v3, s1, v[2:3]
	v_sub_nc_u32_e32 v6, s0, v3
	v_cmp_lt_i32_e64 s0, 0, v6
	v_ashrrev_i32_e32 v1, 31, v0
	s_and_b32 s3, vcc_lo, s0
	v_lshlrev_b64 v[8:9], 2, v[0:1]
	v_add_co_u32 v4, s1, s10, v8
	v_add_co_ci_u32_e64 v5, null, s11, v9, s1
	v_add_co_u32 v2, s1, s4, v8
	v_add_co_ci_u32_e64 v3, null, s5, v9, s1
	v_mov_b32_e32 v8, 0
	s_and_saveexec_b32 s1, s3
	s_cbranch_execz .LBB598_2
; %bb.1:
	global_load_dword v8, v[4:5], off
	global_load_dword v7, v[2:3], off
.LBB598_2:
	s_or_b32 exec_lo, exec_lo, s1
	v_cmp_gt_i32_e64 s1, 2, v6
	s_xor_b32 s3, vcc_lo, -1
	s_or_b32 s1, s3, s1
	s_and_saveexec_b32 s3, s1
	s_xor_b32 s1, exec_lo, s3
                                        ; implicit-def: $vgpr9
; %bb.3:
	v_mov_b32_e32 v9, 0
                                        ; implicit-def: $vgpr2
                                        ; implicit-def: $vgpr4
; %bb.4:
	s_or_saveexec_b32 s4, s1
	v_mov_b32_e32 v10, 0
	s_xor_b32 exec_lo, exec_lo, s4
	s_cbranch_execz .LBB598_6
; %bb.5:
	s_mov_b32 s3, 0
	s_lshl_b64 s[6:7], s[2:3], 2
	v_add_co_u32 v4, s1, v4, s6
	v_add_co_ci_u32_e64 v5, null, s7, v5, s1
	v_add_co_u32 v2, s1, v2, s6
	v_add_co_ci_u32_e64 v3, null, s7, v3, s1
	global_load_dword v9, v[4:5], off
	global_load_dword v10, v[2:3], off
.LBB598_6:
	s_or_b32 exec_lo, exec_lo, s4
	v_mbcnt_lo_u32_b32 v2, -1, 0
	s_waitcnt vmcnt(1)
	v_add_f32_e32 v5, 0, v8
	v_add_f32_e32 v11, 0, v9
	v_and_b32_e32 v3, 28, v2
	v_xor_b32_e32 v4, 2, v2
	v_add_nc_u32_e32 v3, 4, v3
	v_cmp_lt_i32_e64 s1, v4, v3
	v_cndmask_b32_e64 v4, v2, v4, s1
	v_lshlrev_b32_e32 v4, 2, v4
	ds_bpermute_b32 v12, v4, v5
	ds_bpermute_b32 v13, v4, v11
	v_xor_b32_e32 v4, 1, v2
	v_cmp_lt_i32_e64 s1, v4, v3
	v_cndmask_b32_e64 v2, v2, v4, s1
	v_lshlrev_b32_e32 v3, 2, v2
	s_waitcnt lgkmcnt(1)
	v_add_f32_e32 v4, v5, v12
	s_waitcnt lgkmcnt(0)
	v_add_f32_e32 v2, v11, v13
	ds_bpermute_b32 v5, v3, v4
	ds_bpermute_b32 v3, v3, v2
	s_and_saveexec_b32 s1, s0
	s_cbranch_execz .LBB598_11
; %bb.7:
	v_lshlrev_b64 v[0:1], 1, v[0:1]
	v_add_co_u32 v0, s0, s8, v0
	v_add_co_ci_u32_e64 v1, null, s9, v1, s0
	s_and_saveexec_b32 s0, vcc_lo
	s_cbranch_execz .LBB598_9
; %bb.8:
	s_waitcnt lgkmcnt(1)
	v_add_f32_e32 v4, v4, v5
	s_waitcnt vmcnt(0)
	v_fma_mixlo_f16 v4, -v7, v4, v8
	global_store_short v[0:1], v4, off
.LBB598_9:
	s_or_b32 exec_lo, exec_lo, s0
	v_cmp_ne_u32_e64 s0, 1, v6
	s_and_b32 s0, s0, vcc_lo
	s_and_b32 exec_lo, exec_lo, s0
	s_cbranch_execz .LBB598_11
; %bb.10:
	s_mov_b32 s3, 0
	s_waitcnt lgkmcnt(0)
	v_add_f32_e32 v2, v2, v3
	s_lshl_b64 s[0:1], s[2:3], 1
	v_add_co_u32 v0, vcc_lo, v0, s0
	v_add_co_ci_u32_e64 v1, null, s1, v1, vcc_lo
	s_waitcnt vmcnt(0)
	v_fma_mixlo_f16 v2, -v10, v2, v9
	global_store_short v[0:1], v2, off
.LBB598_11:
	s_endpgm
	.section	.rodata,"a",@progbits
	.p2align	6, 0x0
	.amdhsa_kernel _ZN12_GLOBAL__N_121softmax_warp_backwardIfN3c104HalfEfLi2ELb0ELb0ELi64EEEvPT0_PKT_S7_iiiPKb
		.amdhsa_group_segment_fixed_size 0
		.amdhsa_private_segment_fixed_size 0
		.amdhsa_kernarg_size 304
		.amdhsa_user_sgpr_count 6
		.amdhsa_user_sgpr_private_segment_buffer 1
		.amdhsa_user_sgpr_dispatch_ptr 0
		.amdhsa_user_sgpr_queue_ptr 0
		.amdhsa_user_sgpr_kernarg_segment_ptr 1
		.amdhsa_user_sgpr_dispatch_id 0
		.amdhsa_user_sgpr_flat_scratch_init 0
		.amdhsa_user_sgpr_private_segment_size 0
		.amdhsa_wavefront_size32 1
		.amdhsa_uses_dynamic_stack 0
		.amdhsa_system_sgpr_private_segment_wavefront_offset 0
		.amdhsa_system_sgpr_workgroup_id_x 1
		.amdhsa_system_sgpr_workgroup_id_y 0
		.amdhsa_system_sgpr_workgroup_id_z 0
		.amdhsa_system_sgpr_workgroup_info 0
		.amdhsa_system_vgpr_workitem_id 1
		.amdhsa_next_free_vgpr 14
		.amdhsa_next_free_sgpr 12
		.amdhsa_reserve_vcc 1
		.amdhsa_reserve_flat_scratch 0
		.amdhsa_float_round_mode_32 0
		.amdhsa_float_round_mode_16_64 0
		.amdhsa_float_denorm_mode_32 3
		.amdhsa_float_denorm_mode_16_64 3
		.amdhsa_dx10_clamp 1
		.amdhsa_ieee_mode 1
		.amdhsa_fp16_overflow 0
		.amdhsa_workgroup_processor_mode 1
		.amdhsa_memory_ordered 1
		.amdhsa_forward_progress 1
		.amdhsa_shared_vgpr_count 0
		.amdhsa_exception_fp_ieee_invalid_op 0
		.amdhsa_exception_fp_denorm_src 0
		.amdhsa_exception_fp_ieee_div_zero 0
		.amdhsa_exception_fp_ieee_overflow 0
		.amdhsa_exception_fp_ieee_underflow 0
		.amdhsa_exception_fp_ieee_inexact 0
		.amdhsa_exception_int_div_zero 0
	.end_amdhsa_kernel
	.section	.text._ZN12_GLOBAL__N_121softmax_warp_backwardIfN3c104HalfEfLi2ELb0ELb0ELi64EEEvPT0_PKT_S7_iiiPKb,"axG",@progbits,_ZN12_GLOBAL__N_121softmax_warp_backwardIfN3c104HalfEfLi2ELb0ELb0ELi64EEEvPT0_PKT_S7_iiiPKb,comdat
.Lfunc_end598:
	.size	_ZN12_GLOBAL__N_121softmax_warp_backwardIfN3c104HalfEfLi2ELb0ELb0ELi64EEEvPT0_PKT_S7_iiiPKb, .Lfunc_end598-_ZN12_GLOBAL__N_121softmax_warp_backwardIfN3c104HalfEfLi2ELb0ELb0ELi64EEEvPT0_PKT_S7_iiiPKb
                                        ; -- End function
	.set _ZN12_GLOBAL__N_121softmax_warp_backwardIfN3c104HalfEfLi2ELb0ELb0ELi64EEEvPT0_PKT_S7_iiiPKb.num_vgpr, 14
	.set _ZN12_GLOBAL__N_121softmax_warp_backwardIfN3c104HalfEfLi2ELb0ELb0ELi64EEEvPT0_PKT_S7_iiiPKb.num_agpr, 0
	.set _ZN12_GLOBAL__N_121softmax_warp_backwardIfN3c104HalfEfLi2ELb0ELb0ELi64EEEvPT0_PKT_S7_iiiPKb.numbered_sgpr, 12
	.set _ZN12_GLOBAL__N_121softmax_warp_backwardIfN3c104HalfEfLi2ELb0ELb0ELi64EEEvPT0_PKT_S7_iiiPKb.num_named_barrier, 0
	.set _ZN12_GLOBAL__N_121softmax_warp_backwardIfN3c104HalfEfLi2ELb0ELb0ELi64EEEvPT0_PKT_S7_iiiPKb.private_seg_size, 0
	.set _ZN12_GLOBAL__N_121softmax_warp_backwardIfN3c104HalfEfLi2ELb0ELb0ELi64EEEvPT0_PKT_S7_iiiPKb.uses_vcc, 1
	.set _ZN12_GLOBAL__N_121softmax_warp_backwardIfN3c104HalfEfLi2ELb0ELb0ELi64EEEvPT0_PKT_S7_iiiPKb.uses_flat_scratch, 0
	.set _ZN12_GLOBAL__N_121softmax_warp_backwardIfN3c104HalfEfLi2ELb0ELb0ELi64EEEvPT0_PKT_S7_iiiPKb.has_dyn_sized_stack, 0
	.set _ZN12_GLOBAL__N_121softmax_warp_backwardIfN3c104HalfEfLi2ELb0ELb0ELi64EEEvPT0_PKT_S7_iiiPKb.has_recursion, 0
	.set _ZN12_GLOBAL__N_121softmax_warp_backwardIfN3c104HalfEfLi2ELb0ELb0ELi64EEEvPT0_PKT_S7_iiiPKb.has_indirect_call, 0
	.section	.AMDGPU.csdata,"",@progbits
; Kernel info:
; codeLenInByte = 556
; TotalNumSgprs: 14
; NumVgprs: 14
; ScratchSize: 0
; MemoryBound: 0
; FloatMode: 240
; IeeeMode: 1
; LDSByteSize: 0 bytes/workgroup (compile time only)
; SGPRBlocks: 0
; VGPRBlocks: 1
; NumSGPRsForWavesPerEU: 14
; NumVGPRsForWavesPerEU: 14
; Occupancy: 16
; WaveLimiterHint : 0
; COMPUTE_PGM_RSRC2:SCRATCH_EN: 0
; COMPUTE_PGM_RSRC2:USER_SGPR: 6
; COMPUTE_PGM_RSRC2:TRAP_HANDLER: 0
; COMPUTE_PGM_RSRC2:TGID_X_EN: 1
; COMPUTE_PGM_RSRC2:TGID_Y_EN: 0
; COMPUTE_PGM_RSRC2:TGID_Z_EN: 0
; COMPUTE_PGM_RSRC2:TIDIG_COMP_CNT: 1
	.section	.text._ZN12_GLOBAL__N_121softmax_warp_backwardIfN3c104HalfEfLi2ELb0ELb0ELi32EEEvPT0_PKT_S7_iiiPKb,"axG",@progbits,_ZN12_GLOBAL__N_121softmax_warp_backwardIfN3c104HalfEfLi2ELb0ELb0ELi32EEEvPT0_PKT_S7_iiiPKb,comdat
	.globl	_ZN12_GLOBAL__N_121softmax_warp_backwardIfN3c104HalfEfLi2ELb0ELb0ELi32EEEvPT0_PKT_S7_iiiPKb ; -- Begin function _ZN12_GLOBAL__N_121softmax_warp_backwardIfN3c104HalfEfLi2ELb0ELb0ELi32EEEvPT0_PKT_S7_iiiPKb
	.p2align	8
	.type	_ZN12_GLOBAL__N_121softmax_warp_backwardIfN3c104HalfEfLi2ELb0ELb0ELi32EEEvPT0_PKT_S7_iiiPKb,@function
_ZN12_GLOBAL__N_121softmax_warp_backwardIfN3c104HalfEfLi2ELb0ELb0ELi32EEEvPT0_PKT_S7_iiiPKb: ; @_ZN12_GLOBAL__N_121softmax_warp_backwardIfN3c104HalfEfLi2ELb0ELb0ELi32EEEvPT0_PKT_S7_iiiPKb
; %bb.0:
	s_clause 0x1
	s_load_dword s7, s[4:5], 0x3c
	s_load_dwordx4 s[0:3], s[4:5], 0x18
	v_and_b32_e32 v2, 3, v0
	s_clause 0x1
	s_load_dwordx4 s[8:11], s[4:5], 0x0
	s_load_dwordx2 s[4:5], s[4:5], 0x10
	v_mov_b32_e32 v7, 0
	s_waitcnt lgkmcnt(0)
	s_lshr_b32 s3, s7, 16
	v_cmp_gt_i32_e32 vcc_lo, s2, v2
	s_and_b32 s3, s3, 0xffff
	s_mul_i32 s6, s6, s3
	v_add_lshl_u32 v3, s6, v1, 1
	v_mad_u64_u32 v[0:1], null, v3, s1, v[2:3]
	v_sub_nc_u32_e32 v6, s0, v3
	v_cmp_lt_i32_e64 s0, 0, v6
	v_ashrrev_i32_e32 v1, 31, v0
	s_and_b32 s3, vcc_lo, s0
	v_lshlrev_b64 v[8:9], 2, v[0:1]
	v_add_co_u32 v4, s1, s10, v8
	v_add_co_ci_u32_e64 v5, null, s11, v9, s1
	v_add_co_u32 v2, s1, s4, v8
	v_add_co_ci_u32_e64 v3, null, s5, v9, s1
	v_mov_b32_e32 v8, 0
	s_and_saveexec_b32 s1, s3
	s_cbranch_execz .LBB599_2
; %bb.1:
	global_load_dword v8, v[4:5], off
	global_load_dword v7, v[2:3], off
.LBB599_2:
	s_or_b32 exec_lo, exec_lo, s1
	v_cmp_gt_i32_e64 s1, 2, v6
	s_xor_b32 s3, vcc_lo, -1
	s_or_b32 s1, s3, s1
	s_and_saveexec_b32 s3, s1
	s_xor_b32 s1, exec_lo, s3
                                        ; implicit-def: $vgpr9
; %bb.3:
	v_mov_b32_e32 v9, 0
                                        ; implicit-def: $vgpr2
                                        ; implicit-def: $vgpr4
; %bb.4:
	s_or_saveexec_b32 s4, s1
	v_mov_b32_e32 v10, 0
	s_xor_b32 exec_lo, exec_lo, s4
	s_cbranch_execz .LBB599_6
; %bb.5:
	s_mov_b32 s3, 0
	s_lshl_b64 s[6:7], s[2:3], 2
	v_add_co_u32 v4, s1, v4, s6
	v_add_co_ci_u32_e64 v5, null, s7, v5, s1
	v_add_co_u32 v2, s1, v2, s6
	v_add_co_ci_u32_e64 v3, null, s7, v3, s1
	global_load_dword v9, v[4:5], off
	global_load_dword v10, v[2:3], off
.LBB599_6:
	s_or_b32 exec_lo, exec_lo, s4
	v_mbcnt_lo_u32_b32 v2, -1, 0
	s_waitcnt vmcnt(1)
	v_add_f32_e32 v5, 0, v8
	v_add_f32_e32 v11, 0, v9
	v_and_b32_e32 v3, 28, v2
	v_xor_b32_e32 v4, 2, v2
	v_add_nc_u32_e32 v3, 4, v3
	v_cmp_lt_i32_e64 s1, v4, v3
	v_cndmask_b32_e64 v4, v2, v4, s1
	v_lshlrev_b32_e32 v4, 2, v4
	ds_bpermute_b32 v12, v4, v5
	ds_bpermute_b32 v13, v4, v11
	v_xor_b32_e32 v4, 1, v2
	v_cmp_lt_i32_e64 s1, v4, v3
	v_cndmask_b32_e64 v2, v2, v4, s1
	v_lshlrev_b32_e32 v3, 2, v2
	s_waitcnt lgkmcnt(1)
	v_add_f32_e32 v4, v5, v12
	s_waitcnt lgkmcnt(0)
	v_add_f32_e32 v2, v11, v13
	ds_bpermute_b32 v5, v3, v4
	ds_bpermute_b32 v3, v3, v2
	s_and_saveexec_b32 s1, s0
	s_cbranch_execz .LBB599_11
; %bb.7:
	v_lshlrev_b64 v[0:1], 1, v[0:1]
	v_add_co_u32 v0, s0, s8, v0
	v_add_co_ci_u32_e64 v1, null, s9, v1, s0
	s_and_saveexec_b32 s0, vcc_lo
	s_cbranch_execz .LBB599_9
; %bb.8:
	s_waitcnt lgkmcnt(1)
	v_add_f32_e32 v4, v4, v5
	s_waitcnt vmcnt(0)
	v_fma_mixlo_f16 v4, -v7, v4, v8
	global_store_short v[0:1], v4, off
.LBB599_9:
	s_or_b32 exec_lo, exec_lo, s0
	v_cmp_ne_u32_e64 s0, 1, v6
	s_and_b32 s0, s0, vcc_lo
	s_and_b32 exec_lo, exec_lo, s0
	s_cbranch_execz .LBB599_11
; %bb.10:
	s_mov_b32 s3, 0
	s_waitcnt lgkmcnt(0)
	v_add_f32_e32 v2, v2, v3
	s_lshl_b64 s[0:1], s[2:3], 1
	v_add_co_u32 v0, vcc_lo, v0, s0
	v_add_co_ci_u32_e64 v1, null, s1, v1, vcc_lo
	s_waitcnt vmcnt(0)
	v_fma_mixlo_f16 v2, -v10, v2, v9
	global_store_short v[0:1], v2, off
.LBB599_11:
	s_endpgm
	.section	.rodata,"a",@progbits
	.p2align	6, 0x0
	.amdhsa_kernel _ZN12_GLOBAL__N_121softmax_warp_backwardIfN3c104HalfEfLi2ELb0ELb0ELi32EEEvPT0_PKT_S7_iiiPKb
		.amdhsa_group_segment_fixed_size 0
		.amdhsa_private_segment_fixed_size 0
		.amdhsa_kernarg_size 304
		.amdhsa_user_sgpr_count 6
		.amdhsa_user_sgpr_private_segment_buffer 1
		.amdhsa_user_sgpr_dispatch_ptr 0
		.amdhsa_user_sgpr_queue_ptr 0
		.amdhsa_user_sgpr_kernarg_segment_ptr 1
		.amdhsa_user_sgpr_dispatch_id 0
		.amdhsa_user_sgpr_flat_scratch_init 0
		.amdhsa_user_sgpr_private_segment_size 0
		.amdhsa_wavefront_size32 1
		.amdhsa_uses_dynamic_stack 0
		.amdhsa_system_sgpr_private_segment_wavefront_offset 0
		.amdhsa_system_sgpr_workgroup_id_x 1
		.amdhsa_system_sgpr_workgroup_id_y 0
		.amdhsa_system_sgpr_workgroup_id_z 0
		.amdhsa_system_sgpr_workgroup_info 0
		.amdhsa_system_vgpr_workitem_id 1
		.amdhsa_next_free_vgpr 14
		.amdhsa_next_free_sgpr 12
		.amdhsa_reserve_vcc 1
		.amdhsa_reserve_flat_scratch 0
		.amdhsa_float_round_mode_32 0
		.amdhsa_float_round_mode_16_64 0
		.amdhsa_float_denorm_mode_32 3
		.amdhsa_float_denorm_mode_16_64 3
		.amdhsa_dx10_clamp 1
		.amdhsa_ieee_mode 1
		.amdhsa_fp16_overflow 0
		.amdhsa_workgroup_processor_mode 1
		.amdhsa_memory_ordered 1
		.amdhsa_forward_progress 1
		.amdhsa_shared_vgpr_count 0
		.amdhsa_exception_fp_ieee_invalid_op 0
		.amdhsa_exception_fp_denorm_src 0
		.amdhsa_exception_fp_ieee_div_zero 0
		.amdhsa_exception_fp_ieee_overflow 0
		.amdhsa_exception_fp_ieee_underflow 0
		.amdhsa_exception_fp_ieee_inexact 0
		.amdhsa_exception_int_div_zero 0
	.end_amdhsa_kernel
	.section	.text._ZN12_GLOBAL__N_121softmax_warp_backwardIfN3c104HalfEfLi2ELb0ELb0ELi32EEEvPT0_PKT_S7_iiiPKb,"axG",@progbits,_ZN12_GLOBAL__N_121softmax_warp_backwardIfN3c104HalfEfLi2ELb0ELb0ELi32EEEvPT0_PKT_S7_iiiPKb,comdat
.Lfunc_end599:
	.size	_ZN12_GLOBAL__N_121softmax_warp_backwardIfN3c104HalfEfLi2ELb0ELb0ELi32EEEvPT0_PKT_S7_iiiPKb, .Lfunc_end599-_ZN12_GLOBAL__N_121softmax_warp_backwardIfN3c104HalfEfLi2ELb0ELb0ELi32EEEvPT0_PKT_S7_iiiPKb
                                        ; -- End function
	.set _ZN12_GLOBAL__N_121softmax_warp_backwardIfN3c104HalfEfLi2ELb0ELb0ELi32EEEvPT0_PKT_S7_iiiPKb.num_vgpr, 14
	.set _ZN12_GLOBAL__N_121softmax_warp_backwardIfN3c104HalfEfLi2ELb0ELb0ELi32EEEvPT0_PKT_S7_iiiPKb.num_agpr, 0
	.set _ZN12_GLOBAL__N_121softmax_warp_backwardIfN3c104HalfEfLi2ELb0ELb0ELi32EEEvPT0_PKT_S7_iiiPKb.numbered_sgpr, 12
	.set _ZN12_GLOBAL__N_121softmax_warp_backwardIfN3c104HalfEfLi2ELb0ELb0ELi32EEEvPT0_PKT_S7_iiiPKb.num_named_barrier, 0
	.set _ZN12_GLOBAL__N_121softmax_warp_backwardIfN3c104HalfEfLi2ELb0ELb0ELi32EEEvPT0_PKT_S7_iiiPKb.private_seg_size, 0
	.set _ZN12_GLOBAL__N_121softmax_warp_backwardIfN3c104HalfEfLi2ELb0ELb0ELi32EEEvPT0_PKT_S7_iiiPKb.uses_vcc, 1
	.set _ZN12_GLOBAL__N_121softmax_warp_backwardIfN3c104HalfEfLi2ELb0ELb0ELi32EEEvPT0_PKT_S7_iiiPKb.uses_flat_scratch, 0
	.set _ZN12_GLOBAL__N_121softmax_warp_backwardIfN3c104HalfEfLi2ELb0ELb0ELi32EEEvPT0_PKT_S7_iiiPKb.has_dyn_sized_stack, 0
	.set _ZN12_GLOBAL__N_121softmax_warp_backwardIfN3c104HalfEfLi2ELb0ELb0ELi32EEEvPT0_PKT_S7_iiiPKb.has_recursion, 0
	.set _ZN12_GLOBAL__N_121softmax_warp_backwardIfN3c104HalfEfLi2ELb0ELb0ELi32EEEvPT0_PKT_S7_iiiPKb.has_indirect_call, 0
	.section	.AMDGPU.csdata,"",@progbits
; Kernel info:
; codeLenInByte = 556
; TotalNumSgprs: 14
; NumVgprs: 14
; ScratchSize: 0
; MemoryBound: 0
; FloatMode: 240
; IeeeMode: 1
; LDSByteSize: 0 bytes/workgroup (compile time only)
; SGPRBlocks: 0
; VGPRBlocks: 1
; NumSGPRsForWavesPerEU: 14
; NumVGPRsForWavesPerEU: 14
; Occupancy: 16
; WaveLimiterHint : 0
; COMPUTE_PGM_RSRC2:SCRATCH_EN: 0
; COMPUTE_PGM_RSRC2:USER_SGPR: 6
; COMPUTE_PGM_RSRC2:TRAP_HANDLER: 0
; COMPUTE_PGM_RSRC2:TGID_X_EN: 1
; COMPUTE_PGM_RSRC2:TGID_Y_EN: 0
; COMPUTE_PGM_RSRC2:TGID_Z_EN: 0
; COMPUTE_PGM_RSRC2:TIDIG_COMP_CNT: 1
	.section	.text._ZN12_GLOBAL__N_121softmax_warp_backwardIfN3c104HalfEfLi3ELb0ELb0ELi64EEEvPT0_PKT_S7_iiiPKb,"axG",@progbits,_ZN12_GLOBAL__N_121softmax_warp_backwardIfN3c104HalfEfLi3ELb0ELb0ELi64EEEvPT0_PKT_S7_iiiPKb,comdat
	.globl	_ZN12_GLOBAL__N_121softmax_warp_backwardIfN3c104HalfEfLi3ELb0ELb0ELi64EEEvPT0_PKT_S7_iiiPKb ; -- Begin function _ZN12_GLOBAL__N_121softmax_warp_backwardIfN3c104HalfEfLi3ELb0ELb0ELi64EEEvPT0_PKT_S7_iiiPKb
	.p2align	8
	.type	_ZN12_GLOBAL__N_121softmax_warp_backwardIfN3c104HalfEfLi3ELb0ELb0ELi64EEEvPT0_PKT_S7_iiiPKb,@function
_ZN12_GLOBAL__N_121softmax_warp_backwardIfN3c104HalfEfLi3ELb0ELb0ELi64EEEvPT0_PKT_S7_iiiPKb: ; @_ZN12_GLOBAL__N_121softmax_warp_backwardIfN3c104HalfEfLi3ELb0ELb0ELi64EEEvPT0_PKT_S7_iiiPKb
; %bb.0:
	s_clause 0x1
	s_load_dword s7, s[4:5], 0x3c
	s_load_dwordx4 s[0:3], s[4:5], 0x18
	v_and_b32_e32 v2, 7, v0
	s_clause 0x1
	s_load_dwordx4 s[8:11], s[4:5], 0x0
	s_load_dwordx2 s[4:5], s[4:5], 0x10
	v_mov_b32_e32 v7, 0
	s_waitcnt lgkmcnt(0)
	s_lshr_b32 s3, s7, 16
	v_cmp_gt_i32_e32 vcc_lo, s2, v2
	s_and_b32 s3, s3, 0xffff
	s_mul_i32 s6, s6, s3
	v_add_lshl_u32 v3, s6, v1, 1
	v_mad_u64_u32 v[0:1], null, v3, s1, v[2:3]
	v_sub_nc_u32_e32 v6, s0, v3
	v_cmp_lt_i32_e64 s0, 0, v6
	v_ashrrev_i32_e32 v1, 31, v0
	s_and_b32 s3, vcc_lo, s0
	v_lshlrev_b64 v[8:9], 2, v[0:1]
	v_add_co_u32 v4, s1, s10, v8
	v_add_co_ci_u32_e64 v5, null, s11, v9, s1
	v_add_co_u32 v2, s1, s4, v8
	v_add_co_ci_u32_e64 v3, null, s5, v9, s1
	v_mov_b32_e32 v8, 0
	s_and_saveexec_b32 s1, s3
	s_cbranch_execz .LBB600_2
; %bb.1:
	global_load_dword v8, v[4:5], off
	global_load_dword v7, v[2:3], off
.LBB600_2:
	s_or_b32 exec_lo, exec_lo, s1
	v_cmp_gt_i32_e64 s1, 2, v6
	s_xor_b32 s3, vcc_lo, -1
	s_or_b32 s1, s3, s1
	s_and_saveexec_b32 s3, s1
	s_xor_b32 s1, exec_lo, s3
                                        ; implicit-def: $vgpr9
; %bb.3:
	v_mov_b32_e32 v9, 0
                                        ; implicit-def: $vgpr2
                                        ; implicit-def: $vgpr4
; %bb.4:
	s_or_saveexec_b32 s4, s1
	v_mov_b32_e32 v10, 0
	s_xor_b32 exec_lo, exec_lo, s4
	s_cbranch_execz .LBB600_6
; %bb.5:
	s_mov_b32 s3, 0
	s_lshl_b64 s[6:7], s[2:3], 2
	v_add_co_u32 v4, s1, v4, s6
	v_add_co_ci_u32_e64 v5, null, s7, v5, s1
	v_add_co_u32 v2, s1, v2, s6
	v_add_co_ci_u32_e64 v3, null, s7, v3, s1
	global_load_dword v9, v[4:5], off
	global_load_dword v10, v[2:3], off
.LBB600_6:
	s_or_b32 exec_lo, exec_lo, s4
	v_mbcnt_lo_u32_b32 v2, -1, 0
	s_waitcnt vmcnt(1)
	v_add_f32_e32 v5, 0, v8
	v_add_f32_e32 v11, 0, v9
	v_and_b32_e32 v3, 24, v2
	v_xor_b32_e32 v4, 4, v2
	v_xor_b32_e32 v13, 2, v2
	v_add_nc_u32_e32 v3, 8, v3
	v_cmp_lt_i32_e64 s1, v4, v3
	v_cndmask_b32_e64 v4, v2, v4, s1
	v_cmp_lt_i32_e64 s1, v13, v3
	v_lshlrev_b32_e32 v4, 2, v4
	v_cndmask_b32_e64 v13, v2, v13, s1
	ds_bpermute_b32 v12, v4, v5
	ds_bpermute_b32 v4, v4, v11
	v_lshlrev_b32_e32 v13, 2, v13
	s_waitcnt lgkmcnt(1)
	v_add_f32_e32 v5, v5, v12
	s_waitcnt lgkmcnt(0)
	v_add_f32_e32 v11, v11, v4
	ds_bpermute_b32 v4, v13, v5
	ds_bpermute_b32 v12, v13, v11
	v_xor_b32_e32 v13, 1, v2
	v_cmp_lt_i32_e64 s1, v13, v3
	v_cndmask_b32_e64 v2, v2, v13, s1
	v_lshlrev_b32_e32 v3, 2, v2
	s_waitcnt lgkmcnt(1)
	v_add_f32_e32 v4, v5, v4
	s_waitcnt lgkmcnt(0)
	v_add_f32_e32 v2, v11, v12
	ds_bpermute_b32 v5, v3, v4
	ds_bpermute_b32 v3, v3, v2
	s_and_saveexec_b32 s1, s0
	s_cbranch_execz .LBB600_11
; %bb.7:
	v_lshlrev_b64 v[0:1], 1, v[0:1]
	v_add_co_u32 v0, s0, s8, v0
	v_add_co_ci_u32_e64 v1, null, s9, v1, s0
	s_and_saveexec_b32 s0, vcc_lo
	s_cbranch_execz .LBB600_9
; %bb.8:
	s_waitcnt lgkmcnt(1)
	v_add_f32_e32 v4, v4, v5
	s_waitcnt vmcnt(0)
	v_fma_mixlo_f16 v4, -v7, v4, v8
	global_store_short v[0:1], v4, off
.LBB600_9:
	s_or_b32 exec_lo, exec_lo, s0
	v_cmp_ne_u32_e64 s0, 1, v6
	s_and_b32 s0, s0, vcc_lo
	s_and_b32 exec_lo, exec_lo, s0
	s_cbranch_execz .LBB600_11
; %bb.10:
	s_mov_b32 s3, 0
	s_waitcnt lgkmcnt(0)
	v_add_f32_e32 v2, v2, v3
	s_lshl_b64 s[0:1], s[2:3], 1
	v_add_co_u32 v0, vcc_lo, v0, s0
	v_add_co_ci_u32_e64 v1, null, s1, v1, vcc_lo
	s_waitcnt vmcnt(0)
	v_fma_mixlo_f16 v2, -v10, v2, v9
	global_store_short v[0:1], v2, off
.LBB600_11:
	s_endpgm
	.section	.rodata,"a",@progbits
	.p2align	6, 0x0
	.amdhsa_kernel _ZN12_GLOBAL__N_121softmax_warp_backwardIfN3c104HalfEfLi3ELb0ELb0ELi64EEEvPT0_PKT_S7_iiiPKb
		.amdhsa_group_segment_fixed_size 0
		.amdhsa_private_segment_fixed_size 0
		.amdhsa_kernarg_size 304
		.amdhsa_user_sgpr_count 6
		.amdhsa_user_sgpr_private_segment_buffer 1
		.amdhsa_user_sgpr_dispatch_ptr 0
		.amdhsa_user_sgpr_queue_ptr 0
		.amdhsa_user_sgpr_kernarg_segment_ptr 1
		.amdhsa_user_sgpr_dispatch_id 0
		.amdhsa_user_sgpr_flat_scratch_init 0
		.amdhsa_user_sgpr_private_segment_size 0
		.amdhsa_wavefront_size32 1
		.amdhsa_uses_dynamic_stack 0
		.amdhsa_system_sgpr_private_segment_wavefront_offset 0
		.amdhsa_system_sgpr_workgroup_id_x 1
		.amdhsa_system_sgpr_workgroup_id_y 0
		.amdhsa_system_sgpr_workgroup_id_z 0
		.amdhsa_system_sgpr_workgroup_info 0
		.amdhsa_system_vgpr_workitem_id 1
		.amdhsa_next_free_vgpr 14
		.amdhsa_next_free_sgpr 12
		.amdhsa_reserve_vcc 1
		.amdhsa_reserve_flat_scratch 0
		.amdhsa_float_round_mode_32 0
		.amdhsa_float_round_mode_16_64 0
		.amdhsa_float_denorm_mode_32 3
		.amdhsa_float_denorm_mode_16_64 3
		.amdhsa_dx10_clamp 1
		.amdhsa_ieee_mode 1
		.amdhsa_fp16_overflow 0
		.amdhsa_workgroup_processor_mode 1
		.amdhsa_memory_ordered 1
		.amdhsa_forward_progress 1
		.amdhsa_shared_vgpr_count 0
		.amdhsa_exception_fp_ieee_invalid_op 0
		.amdhsa_exception_fp_denorm_src 0
		.amdhsa_exception_fp_ieee_div_zero 0
		.amdhsa_exception_fp_ieee_overflow 0
		.amdhsa_exception_fp_ieee_underflow 0
		.amdhsa_exception_fp_ieee_inexact 0
		.amdhsa_exception_int_div_zero 0
	.end_amdhsa_kernel
	.section	.text._ZN12_GLOBAL__N_121softmax_warp_backwardIfN3c104HalfEfLi3ELb0ELb0ELi64EEEvPT0_PKT_S7_iiiPKb,"axG",@progbits,_ZN12_GLOBAL__N_121softmax_warp_backwardIfN3c104HalfEfLi3ELb0ELb0ELi64EEEvPT0_PKT_S7_iiiPKb,comdat
.Lfunc_end600:
	.size	_ZN12_GLOBAL__N_121softmax_warp_backwardIfN3c104HalfEfLi3ELb0ELb0ELi64EEEvPT0_PKT_S7_iiiPKb, .Lfunc_end600-_ZN12_GLOBAL__N_121softmax_warp_backwardIfN3c104HalfEfLi3ELb0ELb0ELi64EEEvPT0_PKT_S7_iiiPKb
                                        ; -- End function
	.set _ZN12_GLOBAL__N_121softmax_warp_backwardIfN3c104HalfEfLi3ELb0ELb0ELi64EEEvPT0_PKT_S7_iiiPKb.num_vgpr, 14
	.set _ZN12_GLOBAL__N_121softmax_warp_backwardIfN3c104HalfEfLi3ELb0ELb0ELi64EEEvPT0_PKT_S7_iiiPKb.num_agpr, 0
	.set _ZN12_GLOBAL__N_121softmax_warp_backwardIfN3c104HalfEfLi3ELb0ELb0ELi64EEEvPT0_PKT_S7_iiiPKb.numbered_sgpr, 12
	.set _ZN12_GLOBAL__N_121softmax_warp_backwardIfN3c104HalfEfLi3ELb0ELb0ELi64EEEvPT0_PKT_S7_iiiPKb.num_named_barrier, 0
	.set _ZN12_GLOBAL__N_121softmax_warp_backwardIfN3c104HalfEfLi3ELb0ELb0ELi64EEEvPT0_PKT_S7_iiiPKb.private_seg_size, 0
	.set _ZN12_GLOBAL__N_121softmax_warp_backwardIfN3c104HalfEfLi3ELb0ELb0ELi64EEEvPT0_PKT_S7_iiiPKb.uses_vcc, 1
	.set _ZN12_GLOBAL__N_121softmax_warp_backwardIfN3c104HalfEfLi3ELb0ELb0ELi64EEEvPT0_PKT_S7_iiiPKb.uses_flat_scratch, 0
	.set _ZN12_GLOBAL__N_121softmax_warp_backwardIfN3c104HalfEfLi3ELb0ELb0ELi64EEEvPT0_PKT_S7_iiiPKb.has_dyn_sized_stack, 0
	.set _ZN12_GLOBAL__N_121softmax_warp_backwardIfN3c104HalfEfLi3ELb0ELb0ELi64EEEvPT0_PKT_S7_iiiPKb.has_recursion, 0
	.set _ZN12_GLOBAL__N_121softmax_warp_backwardIfN3c104HalfEfLi3ELb0ELb0ELi64EEEvPT0_PKT_S7_iiiPKb.has_indirect_call, 0
	.section	.AMDGPU.csdata,"",@progbits
; Kernel info:
; codeLenInByte = 612
; TotalNumSgprs: 14
; NumVgprs: 14
; ScratchSize: 0
; MemoryBound: 0
; FloatMode: 240
; IeeeMode: 1
; LDSByteSize: 0 bytes/workgroup (compile time only)
; SGPRBlocks: 0
; VGPRBlocks: 1
; NumSGPRsForWavesPerEU: 14
; NumVGPRsForWavesPerEU: 14
; Occupancy: 16
; WaveLimiterHint : 0
; COMPUTE_PGM_RSRC2:SCRATCH_EN: 0
; COMPUTE_PGM_RSRC2:USER_SGPR: 6
; COMPUTE_PGM_RSRC2:TRAP_HANDLER: 0
; COMPUTE_PGM_RSRC2:TGID_X_EN: 1
; COMPUTE_PGM_RSRC2:TGID_Y_EN: 0
; COMPUTE_PGM_RSRC2:TGID_Z_EN: 0
; COMPUTE_PGM_RSRC2:TIDIG_COMP_CNT: 1
	.section	.text._ZN12_GLOBAL__N_121softmax_warp_backwardIfN3c104HalfEfLi3ELb0ELb0ELi32EEEvPT0_PKT_S7_iiiPKb,"axG",@progbits,_ZN12_GLOBAL__N_121softmax_warp_backwardIfN3c104HalfEfLi3ELb0ELb0ELi32EEEvPT0_PKT_S7_iiiPKb,comdat
	.globl	_ZN12_GLOBAL__N_121softmax_warp_backwardIfN3c104HalfEfLi3ELb0ELb0ELi32EEEvPT0_PKT_S7_iiiPKb ; -- Begin function _ZN12_GLOBAL__N_121softmax_warp_backwardIfN3c104HalfEfLi3ELb0ELb0ELi32EEEvPT0_PKT_S7_iiiPKb
	.p2align	8
	.type	_ZN12_GLOBAL__N_121softmax_warp_backwardIfN3c104HalfEfLi3ELb0ELb0ELi32EEEvPT0_PKT_S7_iiiPKb,@function
_ZN12_GLOBAL__N_121softmax_warp_backwardIfN3c104HalfEfLi3ELb0ELb0ELi32EEEvPT0_PKT_S7_iiiPKb: ; @_ZN12_GLOBAL__N_121softmax_warp_backwardIfN3c104HalfEfLi3ELb0ELb0ELi32EEEvPT0_PKT_S7_iiiPKb
; %bb.0:
	s_clause 0x1
	s_load_dword s7, s[4:5], 0x3c
	s_load_dwordx4 s[0:3], s[4:5], 0x18
	v_and_b32_e32 v2, 7, v0
	s_clause 0x1
	s_load_dwordx4 s[8:11], s[4:5], 0x0
	s_load_dwordx2 s[4:5], s[4:5], 0x10
	v_mov_b32_e32 v7, 0
	s_waitcnt lgkmcnt(0)
	s_lshr_b32 s3, s7, 16
	v_cmp_gt_i32_e32 vcc_lo, s2, v2
	s_and_b32 s3, s3, 0xffff
	s_mul_i32 s6, s6, s3
	v_add_lshl_u32 v3, s6, v1, 1
	v_mad_u64_u32 v[0:1], null, v3, s1, v[2:3]
	v_sub_nc_u32_e32 v6, s0, v3
	v_cmp_lt_i32_e64 s0, 0, v6
	v_ashrrev_i32_e32 v1, 31, v0
	s_and_b32 s3, vcc_lo, s0
	v_lshlrev_b64 v[8:9], 2, v[0:1]
	v_add_co_u32 v4, s1, s10, v8
	v_add_co_ci_u32_e64 v5, null, s11, v9, s1
	v_add_co_u32 v2, s1, s4, v8
	v_add_co_ci_u32_e64 v3, null, s5, v9, s1
	v_mov_b32_e32 v8, 0
	s_and_saveexec_b32 s1, s3
	s_cbranch_execz .LBB601_2
; %bb.1:
	global_load_dword v8, v[4:5], off
	global_load_dword v7, v[2:3], off
.LBB601_2:
	s_or_b32 exec_lo, exec_lo, s1
	v_cmp_gt_i32_e64 s1, 2, v6
	s_xor_b32 s3, vcc_lo, -1
	s_or_b32 s1, s3, s1
	s_and_saveexec_b32 s3, s1
	s_xor_b32 s1, exec_lo, s3
                                        ; implicit-def: $vgpr9
; %bb.3:
	v_mov_b32_e32 v9, 0
                                        ; implicit-def: $vgpr2
                                        ; implicit-def: $vgpr4
; %bb.4:
	s_or_saveexec_b32 s4, s1
	v_mov_b32_e32 v10, 0
	s_xor_b32 exec_lo, exec_lo, s4
	s_cbranch_execz .LBB601_6
; %bb.5:
	s_mov_b32 s3, 0
	s_lshl_b64 s[6:7], s[2:3], 2
	v_add_co_u32 v4, s1, v4, s6
	v_add_co_ci_u32_e64 v5, null, s7, v5, s1
	v_add_co_u32 v2, s1, v2, s6
	v_add_co_ci_u32_e64 v3, null, s7, v3, s1
	global_load_dword v9, v[4:5], off
	global_load_dword v10, v[2:3], off
.LBB601_6:
	s_or_b32 exec_lo, exec_lo, s4
	v_mbcnt_lo_u32_b32 v2, -1, 0
	s_waitcnt vmcnt(1)
	v_add_f32_e32 v5, 0, v8
	v_add_f32_e32 v11, 0, v9
	v_and_b32_e32 v3, 24, v2
	v_xor_b32_e32 v4, 4, v2
	v_xor_b32_e32 v13, 2, v2
	v_add_nc_u32_e32 v3, 8, v3
	v_cmp_lt_i32_e64 s1, v4, v3
	v_cndmask_b32_e64 v4, v2, v4, s1
	v_cmp_lt_i32_e64 s1, v13, v3
	v_lshlrev_b32_e32 v4, 2, v4
	v_cndmask_b32_e64 v13, v2, v13, s1
	ds_bpermute_b32 v12, v4, v5
	ds_bpermute_b32 v4, v4, v11
	v_lshlrev_b32_e32 v13, 2, v13
	s_waitcnt lgkmcnt(1)
	v_add_f32_e32 v5, v5, v12
	s_waitcnt lgkmcnt(0)
	v_add_f32_e32 v11, v11, v4
	ds_bpermute_b32 v4, v13, v5
	ds_bpermute_b32 v12, v13, v11
	v_xor_b32_e32 v13, 1, v2
	v_cmp_lt_i32_e64 s1, v13, v3
	v_cndmask_b32_e64 v2, v2, v13, s1
	v_lshlrev_b32_e32 v3, 2, v2
	s_waitcnt lgkmcnt(1)
	v_add_f32_e32 v4, v5, v4
	s_waitcnt lgkmcnt(0)
	v_add_f32_e32 v2, v11, v12
	ds_bpermute_b32 v5, v3, v4
	ds_bpermute_b32 v3, v3, v2
	s_and_saveexec_b32 s1, s0
	s_cbranch_execz .LBB601_11
; %bb.7:
	v_lshlrev_b64 v[0:1], 1, v[0:1]
	v_add_co_u32 v0, s0, s8, v0
	v_add_co_ci_u32_e64 v1, null, s9, v1, s0
	s_and_saveexec_b32 s0, vcc_lo
	s_cbranch_execz .LBB601_9
; %bb.8:
	s_waitcnt lgkmcnt(1)
	v_add_f32_e32 v4, v4, v5
	s_waitcnt vmcnt(0)
	v_fma_mixlo_f16 v4, -v7, v4, v8
	global_store_short v[0:1], v4, off
.LBB601_9:
	s_or_b32 exec_lo, exec_lo, s0
	v_cmp_ne_u32_e64 s0, 1, v6
	s_and_b32 s0, s0, vcc_lo
	s_and_b32 exec_lo, exec_lo, s0
	s_cbranch_execz .LBB601_11
; %bb.10:
	s_mov_b32 s3, 0
	s_waitcnt lgkmcnt(0)
	v_add_f32_e32 v2, v2, v3
	s_lshl_b64 s[0:1], s[2:3], 1
	v_add_co_u32 v0, vcc_lo, v0, s0
	v_add_co_ci_u32_e64 v1, null, s1, v1, vcc_lo
	s_waitcnt vmcnt(0)
	v_fma_mixlo_f16 v2, -v10, v2, v9
	global_store_short v[0:1], v2, off
.LBB601_11:
	s_endpgm
	.section	.rodata,"a",@progbits
	.p2align	6, 0x0
	.amdhsa_kernel _ZN12_GLOBAL__N_121softmax_warp_backwardIfN3c104HalfEfLi3ELb0ELb0ELi32EEEvPT0_PKT_S7_iiiPKb
		.amdhsa_group_segment_fixed_size 0
		.amdhsa_private_segment_fixed_size 0
		.amdhsa_kernarg_size 304
		.amdhsa_user_sgpr_count 6
		.amdhsa_user_sgpr_private_segment_buffer 1
		.amdhsa_user_sgpr_dispatch_ptr 0
		.amdhsa_user_sgpr_queue_ptr 0
		.amdhsa_user_sgpr_kernarg_segment_ptr 1
		.amdhsa_user_sgpr_dispatch_id 0
		.amdhsa_user_sgpr_flat_scratch_init 0
		.amdhsa_user_sgpr_private_segment_size 0
		.amdhsa_wavefront_size32 1
		.amdhsa_uses_dynamic_stack 0
		.amdhsa_system_sgpr_private_segment_wavefront_offset 0
		.amdhsa_system_sgpr_workgroup_id_x 1
		.amdhsa_system_sgpr_workgroup_id_y 0
		.amdhsa_system_sgpr_workgroup_id_z 0
		.amdhsa_system_sgpr_workgroup_info 0
		.amdhsa_system_vgpr_workitem_id 1
		.amdhsa_next_free_vgpr 14
		.amdhsa_next_free_sgpr 12
		.amdhsa_reserve_vcc 1
		.amdhsa_reserve_flat_scratch 0
		.amdhsa_float_round_mode_32 0
		.amdhsa_float_round_mode_16_64 0
		.amdhsa_float_denorm_mode_32 3
		.amdhsa_float_denorm_mode_16_64 3
		.amdhsa_dx10_clamp 1
		.amdhsa_ieee_mode 1
		.amdhsa_fp16_overflow 0
		.amdhsa_workgroup_processor_mode 1
		.amdhsa_memory_ordered 1
		.amdhsa_forward_progress 1
		.amdhsa_shared_vgpr_count 0
		.amdhsa_exception_fp_ieee_invalid_op 0
		.amdhsa_exception_fp_denorm_src 0
		.amdhsa_exception_fp_ieee_div_zero 0
		.amdhsa_exception_fp_ieee_overflow 0
		.amdhsa_exception_fp_ieee_underflow 0
		.amdhsa_exception_fp_ieee_inexact 0
		.amdhsa_exception_int_div_zero 0
	.end_amdhsa_kernel
	.section	.text._ZN12_GLOBAL__N_121softmax_warp_backwardIfN3c104HalfEfLi3ELb0ELb0ELi32EEEvPT0_PKT_S7_iiiPKb,"axG",@progbits,_ZN12_GLOBAL__N_121softmax_warp_backwardIfN3c104HalfEfLi3ELb0ELb0ELi32EEEvPT0_PKT_S7_iiiPKb,comdat
.Lfunc_end601:
	.size	_ZN12_GLOBAL__N_121softmax_warp_backwardIfN3c104HalfEfLi3ELb0ELb0ELi32EEEvPT0_PKT_S7_iiiPKb, .Lfunc_end601-_ZN12_GLOBAL__N_121softmax_warp_backwardIfN3c104HalfEfLi3ELb0ELb0ELi32EEEvPT0_PKT_S7_iiiPKb
                                        ; -- End function
	.set _ZN12_GLOBAL__N_121softmax_warp_backwardIfN3c104HalfEfLi3ELb0ELb0ELi32EEEvPT0_PKT_S7_iiiPKb.num_vgpr, 14
	.set _ZN12_GLOBAL__N_121softmax_warp_backwardIfN3c104HalfEfLi3ELb0ELb0ELi32EEEvPT0_PKT_S7_iiiPKb.num_agpr, 0
	.set _ZN12_GLOBAL__N_121softmax_warp_backwardIfN3c104HalfEfLi3ELb0ELb0ELi32EEEvPT0_PKT_S7_iiiPKb.numbered_sgpr, 12
	.set _ZN12_GLOBAL__N_121softmax_warp_backwardIfN3c104HalfEfLi3ELb0ELb0ELi32EEEvPT0_PKT_S7_iiiPKb.num_named_barrier, 0
	.set _ZN12_GLOBAL__N_121softmax_warp_backwardIfN3c104HalfEfLi3ELb0ELb0ELi32EEEvPT0_PKT_S7_iiiPKb.private_seg_size, 0
	.set _ZN12_GLOBAL__N_121softmax_warp_backwardIfN3c104HalfEfLi3ELb0ELb0ELi32EEEvPT0_PKT_S7_iiiPKb.uses_vcc, 1
	.set _ZN12_GLOBAL__N_121softmax_warp_backwardIfN3c104HalfEfLi3ELb0ELb0ELi32EEEvPT0_PKT_S7_iiiPKb.uses_flat_scratch, 0
	.set _ZN12_GLOBAL__N_121softmax_warp_backwardIfN3c104HalfEfLi3ELb0ELb0ELi32EEEvPT0_PKT_S7_iiiPKb.has_dyn_sized_stack, 0
	.set _ZN12_GLOBAL__N_121softmax_warp_backwardIfN3c104HalfEfLi3ELb0ELb0ELi32EEEvPT0_PKT_S7_iiiPKb.has_recursion, 0
	.set _ZN12_GLOBAL__N_121softmax_warp_backwardIfN3c104HalfEfLi3ELb0ELb0ELi32EEEvPT0_PKT_S7_iiiPKb.has_indirect_call, 0
	.section	.AMDGPU.csdata,"",@progbits
; Kernel info:
; codeLenInByte = 612
; TotalNumSgprs: 14
; NumVgprs: 14
; ScratchSize: 0
; MemoryBound: 0
; FloatMode: 240
; IeeeMode: 1
; LDSByteSize: 0 bytes/workgroup (compile time only)
; SGPRBlocks: 0
; VGPRBlocks: 1
; NumSGPRsForWavesPerEU: 14
; NumVGPRsForWavesPerEU: 14
; Occupancy: 16
; WaveLimiterHint : 0
; COMPUTE_PGM_RSRC2:SCRATCH_EN: 0
; COMPUTE_PGM_RSRC2:USER_SGPR: 6
; COMPUTE_PGM_RSRC2:TRAP_HANDLER: 0
; COMPUTE_PGM_RSRC2:TGID_X_EN: 1
; COMPUTE_PGM_RSRC2:TGID_Y_EN: 0
; COMPUTE_PGM_RSRC2:TGID_Z_EN: 0
; COMPUTE_PGM_RSRC2:TIDIG_COMP_CNT: 1
	.section	.text._ZN12_GLOBAL__N_121softmax_warp_backwardIfN3c104HalfEfLi4ELb0ELb0ELi64EEEvPT0_PKT_S7_iiiPKb,"axG",@progbits,_ZN12_GLOBAL__N_121softmax_warp_backwardIfN3c104HalfEfLi4ELb0ELb0ELi64EEEvPT0_PKT_S7_iiiPKb,comdat
	.globl	_ZN12_GLOBAL__N_121softmax_warp_backwardIfN3c104HalfEfLi4ELb0ELb0ELi64EEEvPT0_PKT_S7_iiiPKb ; -- Begin function _ZN12_GLOBAL__N_121softmax_warp_backwardIfN3c104HalfEfLi4ELb0ELb0ELi64EEEvPT0_PKT_S7_iiiPKb
	.p2align	8
	.type	_ZN12_GLOBAL__N_121softmax_warp_backwardIfN3c104HalfEfLi4ELb0ELb0ELi64EEEvPT0_PKT_S7_iiiPKb,@function
_ZN12_GLOBAL__N_121softmax_warp_backwardIfN3c104HalfEfLi4ELb0ELb0ELi64EEEvPT0_PKT_S7_iiiPKb: ; @_ZN12_GLOBAL__N_121softmax_warp_backwardIfN3c104HalfEfLi4ELb0ELb0ELi64EEEvPT0_PKT_S7_iiiPKb
; %bb.0:
	s_clause 0x1
	s_load_dword s7, s[4:5], 0x3c
	s_load_dwordx4 s[0:3], s[4:5], 0x18
	v_and_b32_e32 v2, 15, v0
	s_clause 0x1
	s_load_dwordx4 s[8:11], s[4:5], 0x0
	s_load_dwordx2 s[4:5], s[4:5], 0x10
	v_mov_b32_e32 v7, 0
	s_waitcnt lgkmcnt(0)
	s_lshr_b32 s3, s7, 16
	v_cmp_gt_i32_e32 vcc_lo, s2, v2
	s_and_b32 s3, s3, 0xffff
	s_mul_i32 s6, s6, s3
	v_add_lshl_u32 v3, s6, v1, 1
	v_mad_u64_u32 v[0:1], null, v3, s1, v[2:3]
	v_sub_nc_u32_e32 v6, s0, v3
	v_cmp_lt_i32_e64 s0, 0, v6
	v_ashrrev_i32_e32 v1, 31, v0
	s_and_b32 s3, vcc_lo, s0
	v_lshlrev_b64 v[8:9], 2, v[0:1]
	v_add_co_u32 v4, s1, s10, v8
	v_add_co_ci_u32_e64 v5, null, s11, v9, s1
	v_add_co_u32 v2, s1, s4, v8
	v_add_co_ci_u32_e64 v3, null, s5, v9, s1
	v_mov_b32_e32 v8, 0
	s_and_saveexec_b32 s1, s3
	s_cbranch_execz .LBB602_2
; %bb.1:
	global_load_dword v8, v[4:5], off
	global_load_dword v7, v[2:3], off
.LBB602_2:
	s_or_b32 exec_lo, exec_lo, s1
	v_cmp_gt_i32_e64 s1, 2, v6
	s_xor_b32 s3, vcc_lo, -1
	s_or_b32 s1, s3, s1
	s_and_saveexec_b32 s3, s1
	s_xor_b32 s1, exec_lo, s3
                                        ; implicit-def: $vgpr9
; %bb.3:
	v_mov_b32_e32 v9, 0
                                        ; implicit-def: $vgpr2
                                        ; implicit-def: $vgpr4
; %bb.4:
	s_or_saveexec_b32 s4, s1
	v_mov_b32_e32 v10, 0
	s_xor_b32 exec_lo, exec_lo, s4
	s_cbranch_execz .LBB602_6
; %bb.5:
	s_mov_b32 s3, 0
	s_lshl_b64 s[6:7], s[2:3], 2
	v_add_co_u32 v4, s1, v4, s6
	v_add_co_ci_u32_e64 v5, null, s7, v5, s1
	v_add_co_u32 v2, s1, v2, s6
	v_add_co_ci_u32_e64 v3, null, s7, v3, s1
	global_load_dword v9, v[4:5], off
	global_load_dword v10, v[2:3], off
.LBB602_6:
	s_or_b32 exec_lo, exec_lo, s4
	v_mbcnt_lo_u32_b32 v2, -1, 0
	s_waitcnt vmcnt(1)
	v_add_f32_e32 v5, 0, v8
	v_add_f32_e32 v11, 0, v9
	v_and_b32_e32 v3, 16, v2
	v_xor_b32_e32 v4, 8, v2
	v_xor_b32_e32 v13, 4, v2
	v_add_nc_u32_e32 v3, 16, v3
	v_cmp_lt_i32_e64 s1, v4, v3
	v_cndmask_b32_e64 v4, v2, v4, s1
	v_cmp_lt_i32_e64 s1, v13, v3
	v_lshlrev_b32_e32 v4, 2, v4
	v_cndmask_b32_e64 v13, v2, v13, s1
	ds_bpermute_b32 v12, v4, v5
	ds_bpermute_b32 v4, v4, v11
	v_lshlrev_b32_e32 v13, 2, v13
	s_waitcnt lgkmcnt(1)
	v_add_f32_e32 v5, v5, v12
	s_waitcnt lgkmcnt(0)
	v_add_f32_e32 v4, v11, v4
	ds_bpermute_b32 v11, v13, v5
	ds_bpermute_b32 v12, v13, v4
	v_xor_b32_e32 v13, 2, v2
	v_cmp_lt_i32_e64 s1, v13, v3
	v_cndmask_b32_e64 v13, v2, v13, s1
	v_lshlrev_b32_e32 v13, 2, v13
	s_waitcnt lgkmcnt(1)
	v_add_f32_e32 v5, v5, v11
	s_waitcnt lgkmcnt(0)
	v_add_f32_e32 v11, v4, v12
	ds_bpermute_b32 v4, v13, v5
	ds_bpermute_b32 v12, v13, v11
	v_xor_b32_e32 v13, 1, v2
	v_cmp_lt_i32_e64 s1, v13, v3
	v_cndmask_b32_e64 v2, v2, v13, s1
	v_lshlrev_b32_e32 v3, 2, v2
	s_waitcnt lgkmcnt(1)
	v_add_f32_e32 v4, v5, v4
	s_waitcnt lgkmcnt(0)
	v_add_f32_e32 v2, v11, v12
	ds_bpermute_b32 v5, v3, v4
	ds_bpermute_b32 v3, v3, v2
	s_and_saveexec_b32 s1, s0
	s_cbranch_execz .LBB602_11
; %bb.7:
	v_lshlrev_b64 v[0:1], 1, v[0:1]
	v_add_co_u32 v0, s0, s8, v0
	v_add_co_ci_u32_e64 v1, null, s9, v1, s0
	s_and_saveexec_b32 s0, vcc_lo
	s_cbranch_execz .LBB602_9
; %bb.8:
	s_waitcnt lgkmcnt(1)
	v_add_f32_e32 v4, v4, v5
	s_waitcnt vmcnt(0)
	v_fma_mixlo_f16 v4, -v7, v4, v8
	global_store_short v[0:1], v4, off
.LBB602_9:
	s_or_b32 exec_lo, exec_lo, s0
	v_cmp_ne_u32_e64 s0, 1, v6
	s_and_b32 s0, s0, vcc_lo
	s_and_b32 exec_lo, exec_lo, s0
	s_cbranch_execz .LBB602_11
; %bb.10:
	s_mov_b32 s3, 0
	s_waitcnt lgkmcnt(0)
	v_add_f32_e32 v2, v2, v3
	s_lshl_b64 s[0:1], s[2:3], 1
	v_add_co_u32 v0, vcc_lo, v0, s0
	v_add_co_ci_u32_e64 v1, null, s1, v1, vcc_lo
	s_waitcnt vmcnt(0)
	v_fma_mixlo_f16 v2, -v10, v2, v9
	global_store_short v[0:1], v2, off
.LBB602_11:
	s_endpgm
	.section	.rodata,"a",@progbits
	.p2align	6, 0x0
	.amdhsa_kernel _ZN12_GLOBAL__N_121softmax_warp_backwardIfN3c104HalfEfLi4ELb0ELb0ELi64EEEvPT0_PKT_S7_iiiPKb
		.amdhsa_group_segment_fixed_size 0
		.amdhsa_private_segment_fixed_size 0
		.amdhsa_kernarg_size 304
		.amdhsa_user_sgpr_count 6
		.amdhsa_user_sgpr_private_segment_buffer 1
		.amdhsa_user_sgpr_dispatch_ptr 0
		.amdhsa_user_sgpr_queue_ptr 0
		.amdhsa_user_sgpr_kernarg_segment_ptr 1
		.amdhsa_user_sgpr_dispatch_id 0
		.amdhsa_user_sgpr_flat_scratch_init 0
		.amdhsa_user_sgpr_private_segment_size 0
		.amdhsa_wavefront_size32 1
		.amdhsa_uses_dynamic_stack 0
		.amdhsa_system_sgpr_private_segment_wavefront_offset 0
		.amdhsa_system_sgpr_workgroup_id_x 1
		.amdhsa_system_sgpr_workgroup_id_y 0
		.amdhsa_system_sgpr_workgroup_id_z 0
		.amdhsa_system_sgpr_workgroup_info 0
		.amdhsa_system_vgpr_workitem_id 1
		.amdhsa_next_free_vgpr 14
		.amdhsa_next_free_sgpr 12
		.amdhsa_reserve_vcc 1
		.amdhsa_reserve_flat_scratch 0
		.amdhsa_float_round_mode_32 0
		.amdhsa_float_round_mode_16_64 0
		.amdhsa_float_denorm_mode_32 3
		.amdhsa_float_denorm_mode_16_64 3
		.amdhsa_dx10_clamp 1
		.amdhsa_ieee_mode 1
		.amdhsa_fp16_overflow 0
		.amdhsa_workgroup_processor_mode 1
		.amdhsa_memory_ordered 1
		.amdhsa_forward_progress 1
		.amdhsa_shared_vgpr_count 0
		.amdhsa_exception_fp_ieee_invalid_op 0
		.amdhsa_exception_fp_denorm_src 0
		.amdhsa_exception_fp_ieee_div_zero 0
		.amdhsa_exception_fp_ieee_overflow 0
		.amdhsa_exception_fp_ieee_underflow 0
		.amdhsa_exception_fp_ieee_inexact 0
		.amdhsa_exception_int_div_zero 0
	.end_amdhsa_kernel
	.section	.text._ZN12_GLOBAL__N_121softmax_warp_backwardIfN3c104HalfEfLi4ELb0ELb0ELi64EEEvPT0_PKT_S7_iiiPKb,"axG",@progbits,_ZN12_GLOBAL__N_121softmax_warp_backwardIfN3c104HalfEfLi4ELb0ELb0ELi64EEEvPT0_PKT_S7_iiiPKb,comdat
.Lfunc_end602:
	.size	_ZN12_GLOBAL__N_121softmax_warp_backwardIfN3c104HalfEfLi4ELb0ELb0ELi64EEEvPT0_PKT_S7_iiiPKb, .Lfunc_end602-_ZN12_GLOBAL__N_121softmax_warp_backwardIfN3c104HalfEfLi4ELb0ELb0ELi64EEEvPT0_PKT_S7_iiiPKb
                                        ; -- End function
	.set _ZN12_GLOBAL__N_121softmax_warp_backwardIfN3c104HalfEfLi4ELb0ELb0ELi64EEEvPT0_PKT_S7_iiiPKb.num_vgpr, 14
	.set _ZN12_GLOBAL__N_121softmax_warp_backwardIfN3c104HalfEfLi4ELb0ELb0ELi64EEEvPT0_PKT_S7_iiiPKb.num_agpr, 0
	.set _ZN12_GLOBAL__N_121softmax_warp_backwardIfN3c104HalfEfLi4ELb0ELb0ELi64EEEvPT0_PKT_S7_iiiPKb.numbered_sgpr, 12
	.set _ZN12_GLOBAL__N_121softmax_warp_backwardIfN3c104HalfEfLi4ELb0ELb0ELi64EEEvPT0_PKT_S7_iiiPKb.num_named_barrier, 0
	.set _ZN12_GLOBAL__N_121softmax_warp_backwardIfN3c104HalfEfLi4ELb0ELb0ELi64EEEvPT0_PKT_S7_iiiPKb.private_seg_size, 0
	.set _ZN12_GLOBAL__N_121softmax_warp_backwardIfN3c104HalfEfLi4ELb0ELb0ELi64EEEvPT0_PKT_S7_iiiPKb.uses_vcc, 1
	.set _ZN12_GLOBAL__N_121softmax_warp_backwardIfN3c104HalfEfLi4ELb0ELb0ELi64EEEvPT0_PKT_S7_iiiPKb.uses_flat_scratch, 0
	.set _ZN12_GLOBAL__N_121softmax_warp_backwardIfN3c104HalfEfLi4ELb0ELb0ELi64EEEvPT0_PKT_S7_iiiPKb.has_dyn_sized_stack, 0
	.set _ZN12_GLOBAL__N_121softmax_warp_backwardIfN3c104HalfEfLi4ELb0ELb0ELi64EEEvPT0_PKT_S7_iiiPKb.has_recursion, 0
	.set _ZN12_GLOBAL__N_121softmax_warp_backwardIfN3c104HalfEfLi4ELb0ELb0ELi64EEEvPT0_PKT_S7_iiiPKb.has_indirect_call, 0
	.section	.AMDGPU.csdata,"",@progbits
; Kernel info:
; codeLenInByte = 668
; TotalNumSgprs: 14
; NumVgprs: 14
; ScratchSize: 0
; MemoryBound: 0
; FloatMode: 240
; IeeeMode: 1
; LDSByteSize: 0 bytes/workgroup (compile time only)
; SGPRBlocks: 0
; VGPRBlocks: 1
; NumSGPRsForWavesPerEU: 14
; NumVGPRsForWavesPerEU: 14
; Occupancy: 16
; WaveLimiterHint : 0
; COMPUTE_PGM_RSRC2:SCRATCH_EN: 0
; COMPUTE_PGM_RSRC2:USER_SGPR: 6
; COMPUTE_PGM_RSRC2:TRAP_HANDLER: 0
; COMPUTE_PGM_RSRC2:TGID_X_EN: 1
; COMPUTE_PGM_RSRC2:TGID_Y_EN: 0
; COMPUTE_PGM_RSRC2:TGID_Z_EN: 0
; COMPUTE_PGM_RSRC2:TIDIG_COMP_CNT: 1
	.section	.text._ZN12_GLOBAL__N_121softmax_warp_backwardIfN3c104HalfEfLi4ELb0ELb0ELi32EEEvPT0_PKT_S7_iiiPKb,"axG",@progbits,_ZN12_GLOBAL__N_121softmax_warp_backwardIfN3c104HalfEfLi4ELb0ELb0ELi32EEEvPT0_PKT_S7_iiiPKb,comdat
	.globl	_ZN12_GLOBAL__N_121softmax_warp_backwardIfN3c104HalfEfLi4ELb0ELb0ELi32EEEvPT0_PKT_S7_iiiPKb ; -- Begin function _ZN12_GLOBAL__N_121softmax_warp_backwardIfN3c104HalfEfLi4ELb0ELb0ELi32EEEvPT0_PKT_S7_iiiPKb
	.p2align	8
	.type	_ZN12_GLOBAL__N_121softmax_warp_backwardIfN3c104HalfEfLi4ELb0ELb0ELi32EEEvPT0_PKT_S7_iiiPKb,@function
_ZN12_GLOBAL__N_121softmax_warp_backwardIfN3c104HalfEfLi4ELb0ELb0ELi32EEEvPT0_PKT_S7_iiiPKb: ; @_ZN12_GLOBAL__N_121softmax_warp_backwardIfN3c104HalfEfLi4ELb0ELb0ELi32EEEvPT0_PKT_S7_iiiPKb
; %bb.0:
	s_clause 0x1
	s_load_dword s7, s[4:5], 0x3c
	s_load_dwordx4 s[0:3], s[4:5], 0x18
	v_and_b32_e32 v2, 15, v0
	s_clause 0x1
	s_load_dwordx4 s[8:11], s[4:5], 0x0
	s_load_dwordx2 s[4:5], s[4:5], 0x10
	v_mov_b32_e32 v7, 0
	s_waitcnt lgkmcnt(0)
	s_lshr_b32 s3, s7, 16
	v_cmp_gt_i32_e32 vcc_lo, s2, v2
	s_and_b32 s3, s3, 0xffff
	s_mul_i32 s6, s6, s3
	v_add_lshl_u32 v3, s6, v1, 1
	v_mad_u64_u32 v[0:1], null, v3, s1, v[2:3]
	v_sub_nc_u32_e32 v6, s0, v3
	v_cmp_lt_i32_e64 s0, 0, v6
	v_ashrrev_i32_e32 v1, 31, v0
	s_and_b32 s3, vcc_lo, s0
	v_lshlrev_b64 v[8:9], 2, v[0:1]
	v_add_co_u32 v4, s1, s10, v8
	v_add_co_ci_u32_e64 v5, null, s11, v9, s1
	v_add_co_u32 v2, s1, s4, v8
	v_add_co_ci_u32_e64 v3, null, s5, v9, s1
	v_mov_b32_e32 v8, 0
	s_and_saveexec_b32 s1, s3
	s_cbranch_execz .LBB603_2
; %bb.1:
	global_load_dword v8, v[4:5], off
	global_load_dword v7, v[2:3], off
.LBB603_2:
	s_or_b32 exec_lo, exec_lo, s1
	v_cmp_gt_i32_e64 s1, 2, v6
	s_xor_b32 s3, vcc_lo, -1
	s_or_b32 s1, s3, s1
	s_and_saveexec_b32 s3, s1
	s_xor_b32 s1, exec_lo, s3
                                        ; implicit-def: $vgpr9
; %bb.3:
	v_mov_b32_e32 v9, 0
                                        ; implicit-def: $vgpr2
                                        ; implicit-def: $vgpr4
; %bb.4:
	s_or_saveexec_b32 s4, s1
	v_mov_b32_e32 v10, 0
	s_xor_b32 exec_lo, exec_lo, s4
	s_cbranch_execz .LBB603_6
; %bb.5:
	s_mov_b32 s3, 0
	s_lshl_b64 s[6:7], s[2:3], 2
	v_add_co_u32 v4, s1, v4, s6
	v_add_co_ci_u32_e64 v5, null, s7, v5, s1
	v_add_co_u32 v2, s1, v2, s6
	v_add_co_ci_u32_e64 v3, null, s7, v3, s1
	global_load_dword v9, v[4:5], off
	global_load_dword v10, v[2:3], off
.LBB603_6:
	s_or_b32 exec_lo, exec_lo, s4
	v_mbcnt_lo_u32_b32 v2, -1, 0
	s_waitcnt vmcnt(1)
	v_add_f32_e32 v5, 0, v8
	v_add_f32_e32 v11, 0, v9
	v_and_b32_e32 v3, 16, v2
	v_xor_b32_e32 v4, 8, v2
	v_xor_b32_e32 v13, 4, v2
	v_add_nc_u32_e32 v3, 16, v3
	v_cmp_lt_i32_e64 s1, v4, v3
	v_cndmask_b32_e64 v4, v2, v4, s1
	v_cmp_lt_i32_e64 s1, v13, v3
	v_lshlrev_b32_e32 v4, 2, v4
	v_cndmask_b32_e64 v13, v2, v13, s1
	ds_bpermute_b32 v12, v4, v5
	ds_bpermute_b32 v4, v4, v11
	v_lshlrev_b32_e32 v13, 2, v13
	s_waitcnt lgkmcnt(1)
	v_add_f32_e32 v5, v5, v12
	s_waitcnt lgkmcnt(0)
	v_add_f32_e32 v4, v11, v4
	ds_bpermute_b32 v11, v13, v5
	ds_bpermute_b32 v12, v13, v4
	v_xor_b32_e32 v13, 2, v2
	v_cmp_lt_i32_e64 s1, v13, v3
	v_cndmask_b32_e64 v13, v2, v13, s1
	v_lshlrev_b32_e32 v13, 2, v13
	s_waitcnt lgkmcnt(1)
	v_add_f32_e32 v5, v5, v11
	s_waitcnt lgkmcnt(0)
	v_add_f32_e32 v11, v4, v12
	ds_bpermute_b32 v4, v13, v5
	ds_bpermute_b32 v12, v13, v11
	v_xor_b32_e32 v13, 1, v2
	v_cmp_lt_i32_e64 s1, v13, v3
	v_cndmask_b32_e64 v2, v2, v13, s1
	v_lshlrev_b32_e32 v3, 2, v2
	s_waitcnt lgkmcnt(1)
	v_add_f32_e32 v4, v5, v4
	s_waitcnt lgkmcnt(0)
	v_add_f32_e32 v2, v11, v12
	ds_bpermute_b32 v5, v3, v4
	ds_bpermute_b32 v3, v3, v2
	s_and_saveexec_b32 s1, s0
	s_cbranch_execz .LBB603_11
; %bb.7:
	v_lshlrev_b64 v[0:1], 1, v[0:1]
	v_add_co_u32 v0, s0, s8, v0
	v_add_co_ci_u32_e64 v1, null, s9, v1, s0
	s_and_saveexec_b32 s0, vcc_lo
	s_cbranch_execz .LBB603_9
; %bb.8:
	s_waitcnt lgkmcnt(1)
	v_add_f32_e32 v4, v4, v5
	s_waitcnt vmcnt(0)
	v_fma_mixlo_f16 v4, -v7, v4, v8
	global_store_short v[0:1], v4, off
.LBB603_9:
	s_or_b32 exec_lo, exec_lo, s0
	v_cmp_ne_u32_e64 s0, 1, v6
	s_and_b32 s0, s0, vcc_lo
	s_and_b32 exec_lo, exec_lo, s0
	s_cbranch_execz .LBB603_11
; %bb.10:
	s_mov_b32 s3, 0
	s_waitcnt lgkmcnt(0)
	v_add_f32_e32 v2, v2, v3
	s_lshl_b64 s[0:1], s[2:3], 1
	v_add_co_u32 v0, vcc_lo, v0, s0
	v_add_co_ci_u32_e64 v1, null, s1, v1, vcc_lo
	s_waitcnt vmcnt(0)
	v_fma_mixlo_f16 v2, -v10, v2, v9
	global_store_short v[0:1], v2, off
.LBB603_11:
	s_endpgm
	.section	.rodata,"a",@progbits
	.p2align	6, 0x0
	.amdhsa_kernel _ZN12_GLOBAL__N_121softmax_warp_backwardIfN3c104HalfEfLi4ELb0ELb0ELi32EEEvPT0_PKT_S7_iiiPKb
		.amdhsa_group_segment_fixed_size 0
		.amdhsa_private_segment_fixed_size 0
		.amdhsa_kernarg_size 304
		.amdhsa_user_sgpr_count 6
		.amdhsa_user_sgpr_private_segment_buffer 1
		.amdhsa_user_sgpr_dispatch_ptr 0
		.amdhsa_user_sgpr_queue_ptr 0
		.amdhsa_user_sgpr_kernarg_segment_ptr 1
		.amdhsa_user_sgpr_dispatch_id 0
		.amdhsa_user_sgpr_flat_scratch_init 0
		.amdhsa_user_sgpr_private_segment_size 0
		.amdhsa_wavefront_size32 1
		.amdhsa_uses_dynamic_stack 0
		.amdhsa_system_sgpr_private_segment_wavefront_offset 0
		.amdhsa_system_sgpr_workgroup_id_x 1
		.amdhsa_system_sgpr_workgroup_id_y 0
		.amdhsa_system_sgpr_workgroup_id_z 0
		.amdhsa_system_sgpr_workgroup_info 0
		.amdhsa_system_vgpr_workitem_id 1
		.amdhsa_next_free_vgpr 14
		.amdhsa_next_free_sgpr 12
		.amdhsa_reserve_vcc 1
		.amdhsa_reserve_flat_scratch 0
		.amdhsa_float_round_mode_32 0
		.amdhsa_float_round_mode_16_64 0
		.amdhsa_float_denorm_mode_32 3
		.amdhsa_float_denorm_mode_16_64 3
		.amdhsa_dx10_clamp 1
		.amdhsa_ieee_mode 1
		.amdhsa_fp16_overflow 0
		.amdhsa_workgroup_processor_mode 1
		.amdhsa_memory_ordered 1
		.amdhsa_forward_progress 1
		.amdhsa_shared_vgpr_count 0
		.amdhsa_exception_fp_ieee_invalid_op 0
		.amdhsa_exception_fp_denorm_src 0
		.amdhsa_exception_fp_ieee_div_zero 0
		.amdhsa_exception_fp_ieee_overflow 0
		.amdhsa_exception_fp_ieee_underflow 0
		.amdhsa_exception_fp_ieee_inexact 0
		.amdhsa_exception_int_div_zero 0
	.end_amdhsa_kernel
	.section	.text._ZN12_GLOBAL__N_121softmax_warp_backwardIfN3c104HalfEfLi4ELb0ELb0ELi32EEEvPT0_PKT_S7_iiiPKb,"axG",@progbits,_ZN12_GLOBAL__N_121softmax_warp_backwardIfN3c104HalfEfLi4ELb0ELb0ELi32EEEvPT0_PKT_S7_iiiPKb,comdat
.Lfunc_end603:
	.size	_ZN12_GLOBAL__N_121softmax_warp_backwardIfN3c104HalfEfLi4ELb0ELb0ELi32EEEvPT0_PKT_S7_iiiPKb, .Lfunc_end603-_ZN12_GLOBAL__N_121softmax_warp_backwardIfN3c104HalfEfLi4ELb0ELb0ELi32EEEvPT0_PKT_S7_iiiPKb
                                        ; -- End function
	.set _ZN12_GLOBAL__N_121softmax_warp_backwardIfN3c104HalfEfLi4ELb0ELb0ELi32EEEvPT0_PKT_S7_iiiPKb.num_vgpr, 14
	.set _ZN12_GLOBAL__N_121softmax_warp_backwardIfN3c104HalfEfLi4ELb0ELb0ELi32EEEvPT0_PKT_S7_iiiPKb.num_agpr, 0
	.set _ZN12_GLOBAL__N_121softmax_warp_backwardIfN3c104HalfEfLi4ELb0ELb0ELi32EEEvPT0_PKT_S7_iiiPKb.numbered_sgpr, 12
	.set _ZN12_GLOBAL__N_121softmax_warp_backwardIfN3c104HalfEfLi4ELb0ELb0ELi32EEEvPT0_PKT_S7_iiiPKb.num_named_barrier, 0
	.set _ZN12_GLOBAL__N_121softmax_warp_backwardIfN3c104HalfEfLi4ELb0ELb0ELi32EEEvPT0_PKT_S7_iiiPKb.private_seg_size, 0
	.set _ZN12_GLOBAL__N_121softmax_warp_backwardIfN3c104HalfEfLi4ELb0ELb0ELi32EEEvPT0_PKT_S7_iiiPKb.uses_vcc, 1
	.set _ZN12_GLOBAL__N_121softmax_warp_backwardIfN3c104HalfEfLi4ELb0ELb0ELi32EEEvPT0_PKT_S7_iiiPKb.uses_flat_scratch, 0
	.set _ZN12_GLOBAL__N_121softmax_warp_backwardIfN3c104HalfEfLi4ELb0ELb0ELi32EEEvPT0_PKT_S7_iiiPKb.has_dyn_sized_stack, 0
	.set _ZN12_GLOBAL__N_121softmax_warp_backwardIfN3c104HalfEfLi4ELb0ELb0ELi32EEEvPT0_PKT_S7_iiiPKb.has_recursion, 0
	.set _ZN12_GLOBAL__N_121softmax_warp_backwardIfN3c104HalfEfLi4ELb0ELb0ELi32EEEvPT0_PKT_S7_iiiPKb.has_indirect_call, 0
	.section	.AMDGPU.csdata,"",@progbits
; Kernel info:
; codeLenInByte = 668
; TotalNumSgprs: 14
; NumVgprs: 14
; ScratchSize: 0
; MemoryBound: 0
; FloatMode: 240
; IeeeMode: 1
; LDSByteSize: 0 bytes/workgroup (compile time only)
; SGPRBlocks: 0
; VGPRBlocks: 1
; NumSGPRsForWavesPerEU: 14
; NumVGPRsForWavesPerEU: 14
; Occupancy: 16
; WaveLimiterHint : 0
; COMPUTE_PGM_RSRC2:SCRATCH_EN: 0
; COMPUTE_PGM_RSRC2:USER_SGPR: 6
; COMPUTE_PGM_RSRC2:TRAP_HANDLER: 0
; COMPUTE_PGM_RSRC2:TGID_X_EN: 1
; COMPUTE_PGM_RSRC2:TGID_Y_EN: 0
; COMPUTE_PGM_RSRC2:TGID_Z_EN: 0
; COMPUTE_PGM_RSRC2:TIDIG_COMP_CNT: 1
	.section	.text._ZN12_GLOBAL__N_121softmax_warp_backwardIfN3c104HalfEfLi5ELb0ELb0ELi64EEEvPT0_PKT_S7_iiiPKb,"axG",@progbits,_ZN12_GLOBAL__N_121softmax_warp_backwardIfN3c104HalfEfLi5ELb0ELb0ELi64EEEvPT0_PKT_S7_iiiPKb,comdat
	.globl	_ZN12_GLOBAL__N_121softmax_warp_backwardIfN3c104HalfEfLi5ELb0ELb0ELi64EEEvPT0_PKT_S7_iiiPKb ; -- Begin function _ZN12_GLOBAL__N_121softmax_warp_backwardIfN3c104HalfEfLi5ELb0ELb0ELi64EEEvPT0_PKT_S7_iiiPKb
	.p2align	8
	.type	_ZN12_GLOBAL__N_121softmax_warp_backwardIfN3c104HalfEfLi5ELb0ELb0ELi64EEEvPT0_PKT_S7_iiiPKb,@function
_ZN12_GLOBAL__N_121softmax_warp_backwardIfN3c104HalfEfLi5ELb0ELb0ELi64EEEvPT0_PKT_S7_iiiPKb: ; @_ZN12_GLOBAL__N_121softmax_warp_backwardIfN3c104HalfEfLi5ELb0ELb0ELi64EEEvPT0_PKT_S7_iiiPKb
; %bb.0:
	s_clause 0x1
	s_load_dword s7, s[4:5], 0x3c
	s_load_dwordx4 s[0:3], s[4:5], 0x18
	v_and_b32_e32 v2, 31, v0
	s_clause 0x1
	s_load_dwordx4 s[8:11], s[4:5], 0x0
	s_load_dwordx2 s[4:5], s[4:5], 0x10
	v_mov_b32_e32 v7, 0
	s_waitcnt lgkmcnt(0)
	s_lshr_b32 s3, s7, 16
	v_cmp_gt_i32_e32 vcc_lo, s2, v2
	s_and_b32 s3, s3, 0xffff
	s_mul_i32 s6, s6, s3
	v_add_lshl_u32 v3, s6, v1, 1
	v_mad_u64_u32 v[0:1], null, v3, s1, v[2:3]
	v_sub_nc_u32_e32 v6, s0, v3
	v_cmp_lt_i32_e64 s0, 0, v6
	v_ashrrev_i32_e32 v1, 31, v0
	s_and_b32 s3, vcc_lo, s0
	v_lshlrev_b64 v[8:9], 2, v[0:1]
	v_add_co_u32 v4, s1, s10, v8
	v_add_co_ci_u32_e64 v5, null, s11, v9, s1
	v_add_co_u32 v2, s1, s4, v8
	v_add_co_ci_u32_e64 v3, null, s5, v9, s1
	v_mov_b32_e32 v8, 0
	s_and_saveexec_b32 s1, s3
	s_cbranch_execz .LBB604_2
; %bb.1:
	global_load_dword v8, v[4:5], off
	global_load_dword v7, v[2:3], off
.LBB604_2:
	s_or_b32 exec_lo, exec_lo, s1
	v_cmp_gt_i32_e64 s1, 2, v6
	s_xor_b32 s3, vcc_lo, -1
	s_or_b32 s1, s3, s1
	s_and_saveexec_b32 s3, s1
	s_xor_b32 s1, exec_lo, s3
                                        ; implicit-def: $vgpr9
; %bb.3:
	v_mov_b32_e32 v9, 0
                                        ; implicit-def: $vgpr2
                                        ; implicit-def: $vgpr4
; %bb.4:
	s_or_saveexec_b32 s4, s1
	v_mov_b32_e32 v10, 0
	s_xor_b32 exec_lo, exec_lo, s4
	s_cbranch_execz .LBB604_6
; %bb.5:
	s_mov_b32 s3, 0
	s_lshl_b64 s[6:7], s[2:3], 2
	v_add_co_u32 v4, s1, v4, s6
	v_add_co_ci_u32_e64 v5, null, s7, v5, s1
	v_add_co_u32 v2, s1, v2, s6
	v_add_co_ci_u32_e64 v3, null, s7, v3, s1
	global_load_dword v9, v[4:5], off
	global_load_dword v10, v[2:3], off
.LBB604_6:
	s_or_b32 exec_lo, exec_lo, s4
	v_mbcnt_lo_u32_b32 v2, -1, 0
	s_waitcnt vmcnt(1)
	v_add_f32_e32 v4, 0, v8
	v_add_f32_e32 v5, 0, v9
	v_xor_b32_e32 v3, 16, v2
	v_xor_b32_e32 v12, 8, v2
	v_cmp_gt_i32_e64 s1, 32, v3
	v_cndmask_b32_e64 v3, v2, v3, s1
	v_cmp_gt_i32_e64 s1, 32, v12
	v_lshlrev_b32_e32 v3, 2, v3
	v_cndmask_b32_e64 v12, v2, v12, s1
	ds_bpermute_b32 v11, v3, v4
	ds_bpermute_b32 v3, v3, v5
	v_lshlrev_b32_e32 v12, 2, v12
	s_waitcnt lgkmcnt(1)
	v_add_f32_e32 v4, v4, v11
	s_waitcnt lgkmcnt(0)
	v_add_f32_e32 v3, v5, v3
	ds_bpermute_b32 v5, v12, v4
	ds_bpermute_b32 v11, v12, v3
	v_xor_b32_e32 v12, 4, v2
	v_cmp_gt_i32_e64 s1, 32, v12
	v_cndmask_b32_e64 v12, v2, v12, s1
	v_lshlrev_b32_e32 v12, 2, v12
	s_waitcnt lgkmcnt(1)
	v_add_f32_e32 v4, v4, v5
	s_waitcnt lgkmcnt(0)
	v_add_f32_e32 v3, v3, v11
	ds_bpermute_b32 v5, v12, v4
	ds_bpermute_b32 v11, v12, v3
	v_xor_b32_e32 v12, 2, v2
	v_cmp_gt_i32_e64 s1, 32, v12
	v_cndmask_b32_e64 v12, v2, v12, s1
	;; [unrolled: 10-line block ×3, first 2 shown]
	v_lshlrev_b32_e32 v12, 2, v2
	s_waitcnt lgkmcnt(1)
	v_add_f32_e32 v4, v4, v5
	s_waitcnt lgkmcnt(0)
	v_add_f32_e32 v2, v3, v11
	ds_bpermute_b32 v5, v12, v4
	ds_bpermute_b32 v3, v12, v2
	s_and_saveexec_b32 s1, s0
	s_cbranch_execz .LBB604_11
; %bb.7:
	v_lshlrev_b64 v[0:1], 1, v[0:1]
	v_add_co_u32 v0, s0, s8, v0
	v_add_co_ci_u32_e64 v1, null, s9, v1, s0
	s_and_saveexec_b32 s0, vcc_lo
	s_cbranch_execz .LBB604_9
; %bb.8:
	s_waitcnt lgkmcnt(1)
	v_add_f32_e32 v4, v4, v5
	s_waitcnt vmcnt(0)
	v_fma_mixlo_f16 v4, -v7, v4, v8
	global_store_short v[0:1], v4, off
.LBB604_9:
	s_or_b32 exec_lo, exec_lo, s0
	v_cmp_ne_u32_e64 s0, 1, v6
	s_and_b32 s0, s0, vcc_lo
	s_and_b32 exec_lo, exec_lo, s0
	s_cbranch_execz .LBB604_11
; %bb.10:
	s_mov_b32 s3, 0
	s_waitcnt lgkmcnt(0)
	v_add_f32_e32 v2, v2, v3
	s_lshl_b64 s[0:1], s[2:3], 1
	v_add_co_u32 v0, vcc_lo, v0, s0
	v_add_co_ci_u32_e64 v1, null, s1, v1, vcc_lo
	s_waitcnt vmcnt(0)
	v_fma_mixlo_f16 v2, -v10, v2, v9
	global_store_short v[0:1], v2, off
.LBB604_11:
	s_endpgm
	.section	.rodata,"a",@progbits
	.p2align	6, 0x0
	.amdhsa_kernel _ZN12_GLOBAL__N_121softmax_warp_backwardIfN3c104HalfEfLi5ELb0ELb0ELi64EEEvPT0_PKT_S7_iiiPKb
		.amdhsa_group_segment_fixed_size 0
		.amdhsa_private_segment_fixed_size 0
		.amdhsa_kernarg_size 304
		.amdhsa_user_sgpr_count 6
		.amdhsa_user_sgpr_private_segment_buffer 1
		.amdhsa_user_sgpr_dispatch_ptr 0
		.amdhsa_user_sgpr_queue_ptr 0
		.amdhsa_user_sgpr_kernarg_segment_ptr 1
		.amdhsa_user_sgpr_dispatch_id 0
		.amdhsa_user_sgpr_flat_scratch_init 0
		.amdhsa_user_sgpr_private_segment_size 0
		.amdhsa_wavefront_size32 1
		.amdhsa_uses_dynamic_stack 0
		.amdhsa_system_sgpr_private_segment_wavefront_offset 0
		.amdhsa_system_sgpr_workgroup_id_x 1
		.amdhsa_system_sgpr_workgroup_id_y 0
		.amdhsa_system_sgpr_workgroup_id_z 0
		.amdhsa_system_sgpr_workgroup_info 0
		.amdhsa_system_vgpr_workitem_id 1
		.amdhsa_next_free_vgpr 13
		.amdhsa_next_free_sgpr 12
		.amdhsa_reserve_vcc 1
		.amdhsa_reserve_flat_scratch 0
		.amdhsa_float_round_mode_32 0
		.amdhsa_float_round_mode_16_64 0
		.amdhsa_float_denorm_mode_32 3
		.amdhsa_float_denorm_mode_16_64 3
		.amdhsa_dx10_clamp 1
		.amdhsa_ieee_mode 1
		.amdhsa_fp16_overflow 0
		.amdhsa_workgroup_processor_mode 1
		.amdhsa_memory_ordered 1
		.amdhsa_forward_progress 1
		.amdhsa_shared_vgpr_count 0
		.amdhsa_exception_fp_ieee_invalid_op 0
		.amdhsa_exception_fp_denorm_src 0
		.amdhsa_exception_fp_ieee_div_zero 0
		.amdhsa_exception_fp_ieee_overflow 0
		.amdhsa_exception_fp_ieee_underflow 0
		.amdhsa_exception_fp_ieee_inexact 0
		.amdhsa_exception_int_div_zero 0
	.end_amdhsa_kernel
	.section	.text._ZN12_GLOBAL__N_121softmax_warp_backwardIfN3c104HalfEfLi5ELb0ELb0ELi64EEEvPT0_PKT_S7_iiiPKb,"axG",@progbits,_ZN12_GLOBAL__N_121softmax_warp_backwardIfN3c104HalfEfLi5ELb0ELb0ELi64EEEvPT0_PKT_S7_iiiPKb,comdat
.Lfunc_end604:
	.size	_ZN12_GLOBAL__N_121softmax_warp_backwardIfN3c104HalfEfLi5ELb0ELb0ELi64EEEvPT0_PKT_S7_iiiPKb, .Lfunc_end604-_ZN12_GLOBAL__N_121softmax_warp_backwardIfN3c104HalfEfLi5ELb0ELb0ELi64EEEvPT0_PKT_S7_iiiPKb
                                        ; -- End function
	.set _ZN12_GLOBAL__N_121softmax_warp_backwardIfN3c104HalfEfLi5ELb0ELb0ELi64EEEvPT0_PKT_S7_iiiPKb.num_vgpr, 13
	.set _ZN12_GLOBAL__N_121softmax_warp_backwardIfN3c104HalfEfLi5ELb0ELb0ELi64EEEvPT0_PKT_S7_iiiPKb.num_agpr, 0
	.set _ZN12_GLOBAL__N_121softmax_warp_backwardIfN3c104HalfEfLi5ELb0ELb0ELi64EEEvPT0_PKT_S7_iiiPKb.numbered_sgpr, 12
	.set _ZN12_GLOBAL__N_121softmax_warp_backwardIfN3c104HalfEfLi5ELb0ELb0ELi64EEEvPT0_PKT_S7_iiiPKb.num_named_barrier, 0
	.set _ZN12_GLOBAL__N_121softmax_warp_backwardIfN3c104HalfEfLi5ELb0ELb0ELi64EEEvPT0_PKT_S7_iiiPKb.private_seg_size, 0
	.set _ZN12_GLOBAL__N_121softmax_warp_backwardIfN3c104HalfEfLi5ELb0ELb0ELi64EEEvPT0_PKT_S7_iiiPKb.uses_vcc, 1
	.set _ZN12_GLOBAL__N_121softmax_warp_backwardIfN3c104HalfEfLi5ELb0ELb0ELi64EEEvPT0_PKT_S7_iiiPKb.uses_flat_scratch, 0
	.set _ZN12_GLOBAL__N_121softmax_warp_backwardIfN3c104HalfEfLi5ELb0ELb0ELi64EEEvPT0_PKT_S7_iiiPKb.has_dyn_sized_stack, 0
	.set _ZN12_GLOBAL__N_121softmax_warp_backwardIfN3c104HalfEfLi5ELb0ELb0ELi64EEEvPT0_PKT_S7_iiiPKb.has_recursion, 0
	.set _ZN12_GLOBAL__N_121softmax_warp_backwardIfN3c104HalfEfLi5ELb0ELb0ELi64EEEvPT0_PKT_S7_iiiPKb.has_indirect_call, 0
	.section	.AMDGPU.csdata,"",@progbits
; Kernel info:
; codeLenInByte = 716
; TotalNumSgprs: 14
; NumVgprs: 13
; ScratchSize: 0
; MemoryBound: 0
; FloatMode: 240
; IeeeMode: 1
; LDSByteSize: 0 bytes/workgroup (compile time only)
; SGPRBlocks: 0
; VGPRBlocks: 1
; NumSGPRsForWavesPerEU: 14
; NumVGPRsForWavesPerEU: 13
; Occupancy: 16
; WaveLimiterHint : 0
; COMPUTE_PGM_RSRC2:SCRATCH_EN: 0
; COMPUTE_PGM_RSRC2:USER_SGPR: 6
; COMPUTE_PGM_RSRC2:TRAP_HANDLER: 0
; COMPUTE_PGM_RSRC2:TGID_X_EN: 1
; COMPUTE_PGM_RSRC2:TGID_Y_EN: 0
; COMPUTE_PGM_RSRC2:TGID_Z_EN: 0
; COMPUTE_PGM_RSRC2:TIDIG_COMP_CNT: 1
	.section	.text._ZN12_GLOBAL__N_121softmax_warp_backwardIfN3c104HalfEfLi5ELb0ELb0ELi32EEEvPT0_PKT_S7_iiiPKb,"axG",@progbits,_ZN12_GLOBAL__N_121softmax_warp_backwardIfN3c104HalfEfLi5ELb0ELb0ELi32EEEvPT0_PKT_S7_iiiPKb,comdat
	.globl	_ZN12_GLOBAL__N_121softmax_warp_backwardIfN3c104HalfEfLi5ELb0ELb0ELi32EEEvPT0_PKT_S7_iiiPKb ; -- Begin function _ZN12_GLOBAL__N_121softmax_warp_backwardIfN3c104HalfEfLi5ELb0ELb0ELi32EEEvPT0_PKT_S7_iiiPKb
	.p2align	8
	.type	_ZN12_GLOBAL__N_121softmax_warp_backwardIfN3c104HalfEfLi5ELb0ELb0ELi32EEEvPT0_PKT_S7_iiiPKb,@function
_ZN12_GLOBAL__N_121softmax_warp_backwardIfN3c104HalfEfLi5ELb0ELb0ELi32EEEvPT0_PKT_S7_iiiPKb: ; @_ZN12_GLOBAL__N_121softmax_warp_backwardIfN3c104HalfEfLi5ELb0ELb0ELi32EEEvPT0_PKT_S7_iiiPKb
; %bb.0:
	s_clause 0x1
	s_load_dword s7, s[4:5], 0x3c
	s_load_dwordx4 s[0:3], s[4:5], 0x18
	v_and_b32_e32 v2, 31, v0
	s_clause 0x1
	s_load_dwordx4 s[8:11], s[4:5], 0x0
	s_load_dwordx2 s[4:5], s[4:5], 0x10
	v_mov_b32_e32 v7, 0
	s_waitcnt lgkmcnt(0)
	s_lshr_b32 s3, s7, 16
	v_cmp_gt_i32_e32 vcc_lo, s2, v2
	s_and_b32 s3, s3, 0xffff
	s_mul_i32 s6, s6, s3
	v_add_lshl_u32 v3, s6, v1, 1
	v_mad_u64_u32 v[0:1], null, v3, s1, v[2:3]
	v_sub_nc_u32_e32 v6, s0, v3
	v_cmp_lt_i32_e64 s0, 0, v6
	v_ashrrev_i32_e32 v1, 31, v0
	s_and_b32 s3, vcc_lo, s0
	v_lshlrev_b64 v[8:9], 2, v[0:1]
	v_add_co_u32 v4, s1, s10, v8
	v_add_co_ci_u32_e64 v5, null, s11, v9, s1
	v_add_co_u32 v2, s1, s4, v8
	v_add_co_ci_u32_e64 v3, null, s5, v9, s1
	v_mov_b32_e32 v8, 0
	s_and_saveexec_b32 s1, s3
	s_cbranch_execz .LBB605_2
; %bb.1:
	global_load_dword v8, v[4:5], off
	global_load_dword v7, v[2:3], off
.LBB605_2:
	s_or_b32 exec_lo, exec_lo, s1
	v_cmp_gt_i32_e64 s1, 2, v6
	s_xor_b32 s3, vcc_lo, -1
	s_or_b32 s1, s3, s1
	s_and_saveexec_b32 s3, s1
	s_xor_b32 s1, exec_lo, s3
                                        ; implicit-def: $vgpr9
; %bb.3:
	v_mov_b32_e32 v9, 0
                                        ; implicit-def: $vgpr2
                                        ; implicit-def: $vgpr4
; %bb.4:
	s_or_saveexec_b32 s4, s1
	v_mov_b32_e32 v10, 0
	s_xor_b32 exec_lo, exec_lo, s4
	s_cbranch_execz .LBB605_6
; %bb.5:
	s_mov_b32 s3, 0
	s_lshl_b64 s[6:7], s[2:3], 2
	v_add_co_u32 v4, s1, v4, s6
	v_add_co_ci_u32_e64 v5, null, s7, v5, s1
	v_add_co_u32 v2, s1, v2, s6
	v_add_co_ci_u32_e64 v3, null, s7, v3, s1
	global_load_dword v9, v[4:5], off
	global_load_dword v10, v[2:3], off
.LBB605_6:
	s_or_b32 exec_lo, exec_lo, s4
	v_mbcnt_lo_u32_b32 v2, -1, 0
	s_waitcnt vmcnt(1)
	v_add_f32_e32 v4, 0, v8
	v_add_f32_e32 v5, 0, v9
	v_xor_b32_e32 v3, 16, v2
	v_xor_b32_e32 v12, 8, v2
	v_cmp_gt_i32_e64 s1, 32, v3
	v_cndmask_b32_e64 v3, v2, v3, s1
	v_cmp_gt_i32_e64 s1, 32, v12
	v_lshlrev_b32_e32 v3, 2, v3
	v_cndmask_b32_e64 v12, v2, v12, s1
	ds_bpermute_b32 v11, v3, v4
	ds_bpermute_b32 v3, v3, v5
	v_lshlrev_b32_e32 v12, 2, v12
	s_waitcnt lgkmcnt(1)
	v_add_f32_e32 v4, v4, v11
	s_waitcnt lgkmcnt(0)
	v_add_f32_e32 v3, v5, v3
	ds_bpermute_b32 v5, v12, v4
	ds_bpermute_b32 v11, v12, v3
	v_xor_b32_e32 v12, 4, v2
	v_cmp_gt_i32_e64 s1, 32, v12
	v_cndmask_b32_e64 v12, v2, v12, s1
	v_lshlrev_b32_e32 v12, 2, v12
	s_waitcnt lgkmcnt(1)
	v_add_f32_e32 v4, v4, v5
	s_waitcnt lgkmcnt(0)
	v_add_f32_e32 v3, v3, v11
	ds_bpermute_b32 v5, v12, v4
	ds_bpermute_b32 v11, v12, v3
	v_xor_b32_e32 v12, 2, v2
	v_cmp_gt_i32_e64 s1, 32, v12
	v_cndmask_b32_e64 v12, v2, v12, s1
	;; [unrolled: 10-line block ×3, first 2 shown]
	v_lshlrev_b32_e32 v12, 2, v2
	s_waitcnt lgkmcnt(1)
	v_add_f32_e32 v4, v4, v5
	s_waitcnt lgkmcnt(0)
	v_add_f32_e32 v2, v3, v11
	ds_bpermute_b32 v5, v12, v4
	ds_bpermute_b32 v3, v12, v2
	s_and_saveexec_b32 s1, s0
	s_cbranch_execz .LBB605_11
; %bb.7:
	v_lshlrev_b64 v[0:1], 1, v[0:1]
	v_add_co_u32 v0, s0, s8, v0
	v_add_co_ci_u32_e64 v1, null, s9, v1, s0
	s_and_saveexec_b32 s0, vcc_lo
	s_cbranch_execz .LBB605_9
; %bb.8:
	s_waitcnt lgkmcnt(1)
	v_add_f32_e32 v4, v4, v5
	s_waitcnt vmcnt(0)
	v_fma_mixlo_f16 v4, -v7, v4, v8
	global_store_short v[0:1], v4, off
.LBB605_9:
	s_or_b32 exec_lo, exec_lo, s0
	v_cmp_ne_u32_e64 s0, 1, v6
	s_and_b32 s0, s0, vcc_lo
	s_and_b32 exec_lo, exec_lo, s0
	s_cbranch_execz .LBB605_11
; %bb.10:
	s_mov_b32 s3, 0
	s_waitcnt lgkmcnt(0)
	v_add_f32_e32 v2, v2, v3
	s_lshl_b64 s[0:1], s[2:3], 1
	v_add_co_u32 v0, vcc_lo, v0, s0
	v_add_co_ci_u32_e64 v1, null, s1, v1, vcc_lo
	s_waitcnt vmcnt(0)
	v_fma_mixlo_f16 v2, -v10, v2, v9
	global_store_short v[0:1], v2, off
.LBB605_11:
	s_endpgm
	.section	.rodata,"a",@progbits
	.p2align	6, 0x0
	.amdhsa_kernel _ZN12_GLOBAL__N_121softmax_warp_backwardIfN3c104HalfEfLi5ELb0ELb0ELi32EEEvPT0_PKT_S7_iiiPKb
		.amdhsa_group_segment_fixed_size 0
		.amdhsa_private_segment_fixed_size 0
		.amdhsa_kernarg_size 304
		.amdhsa_user_sgpr_count 6
		.amdhsa_user_sgpr_private_segment_buffer 1
		.amdhsa_user_sgpr_dispatch_ptr 0
		.amdhsa_user_sgpr_queue_ptr 0
		.amdhsa_user_sgpr_kernarg_segment_ptr 1
		.amdhsa_user_sgpr_dispatch_id 0
		.amdhsa_user_sgpr_flat_scratch_init 0
		.amdhsa_user_sgpr_private_segment_size 0
		.amdhsa_wavefront_size32 1
		.amdhsa_uses_dynamic_stack 0
		.amdhsa_system_sgpr_private_segment_wavefront_offset 0
		.amdhsa_system_sgpr_workgroup_id_x 1
		.amdhsa_system_sgpr_workgroup_id_y 0
		.amdhsa_system_sgpr_workgroup_id_z 0
		.amdhsa_system_sgpr_workgroup_info 0
		.amdhsa_system_vgpr_workitem_id 1
		.amdhsa_next_free_vgpr 13
		.amdhsa_next_free_sgpr 12
		.amdhsa_reserve_vcc 1
		.amdhsa_reserve_flat_scratch 0
		.amdhsa_float_round_mode_32 0
		.amdhsa_float_round_mode_16_64 0
		.amdhsa_float_denorm_mode_32 3
		.amdhsa_float_denorm_mode_16_64 3
		.amdhsa_dx10_clamp 1
		.amdhsa_ieee_mode 1
		.amdhsa_fp16_overflow 0
		.amdhsa_workgroup_processor_mode 1
		.amdhsa_memory_ordered 1
		.amdhsa_forward_progress 1
		.amdhsa_shared_vgpr_count 0
		.amdhsa_exception_fp_ieee_invalid_op 0
		.amdhsa_exception_fp_denorm_src 0
		.amdhsa_exception_fp_ieee_div_zero 0
		.amdhsa_exception_fp_ieee_overflow 0
		.amdhsa_exception_fp_ieee_underflow 0
		.amdhsa_exception_fp_ieee_inexact 0
		.amdhsa_exception_int_div_zero 0
	.end_amdhsa_kernel
	.section	.text._ZN12_GLOBAL__N_121softmax_warp_backwardIfN3c104HalfEfLi5ELb0ELb0ELi32EEEvPT0_PKT_S7_iiiPKb,"axG",@progbits,_ZN12_GLOBAL__N_121softmax_warp_backwardIfN3c104HalfEfLi5ELb0ELb0ELi32EEEvPT0_PKT_S7_iiiPKb,comdat
.Lfunc_end605:
	.size	_ZN12_GLOBAL__N_121softmax_warp_backwardIfN3c104HalfEfLi5ELb0ELb0ELi32EEEvPT0_PKT_S7_iiiPKb, .Lfunc_end605-_ZN12_GLOBAL__N_121softmax_warp_backwardIfN3c104HalfEfLi5ELb0ELb0ELi32EEEvPT0_PKT_S7_iiiPKb
                                        ; -- End function
	.set _ZN12_GLOBAL__N_121softmax_warp_backwardIfN3c104HalfEfLi5ELb0ELb0ELi32EEEvPT0_PKT_S7_iiiPKb.num_vgpr, 13
	.set _ZN12_GLOBAL__N_121softmax_warp_backwardIfN3c104HalfEfLi5ELb0ELb0ELi32EEEvPT0_PKT_S7_iiiPKb.num_agpr, 0
	.set _ZN12_GLOBAL__N_121softmax_warp_backwardIfN3c104HalfEfLi5ELb0ELb0ELi32EEEvPT0_PKT_S7_iiiPKb.numbered_sgpr, 12
	.set _ZN12_GLOBAL__N_121softmax_warp_backwardIfN3c104HalfEfLi5ELb0ELb0ELi32EEEvPT0_PKT_S7_iiiPKb.num_named_barrier, 0
	.set _ZN12_GLOBAL__N_121softmax_warp_backwardIfN3c104HalfEfLi5ELb0ELb0ELi32EEEvPT0_PKT_S7_iiiPKb.private_seg_size, 0
	.set _ZN12_GLOBAL__N_121softmax_warp_backwardIfN3c104HalfEfLi5ELb0ELb0ELi32EEEvPT0_PKT_S7_iiiPKb.uses_vcc, 1
	.set _ZN12_GLOBAL__N_121softmax_warp_backwardIfN3c104HalfEfLi5ELb0ELb0ELi32EEEvPT0_PKT_S7_iiiPKb.uses_flat_scratch, 0
	.set _ZN12_GLOBAL__N_121softmax_warp_backwardIfN3c104HalfEfLi5ELb0ELb0ELi32EEEvPT0_PKT_S7_iiiPKb.has_dyn_sized_stack, 0
	.set _ZN12_GLOBAL__N_121softmax_warp_backwardIfN3c104HalfEfLi5ELb0ELb0ELi32EEEvPT0_PKT_S7_iiiPKb.has_recursion, 0
	.set _ZN12_GLOBAL__N_121softmax_warp_backwardIfN3c104HalfEfLi5ELb0ELb0ELi32EEEvPT0_PKT_S7_iiiPKb.has_indirect_call, 0
	.section	.AMDGPU.csdata,"",@progbits
; Kernel info:
; codeLenInByte = 716
; TotalNumSgprs: 14
; NumVgprs: 13
; ScratchSize: 0
; MemoryBound: 0
; FloatMode: 240
; IeeeMode: 1
; LDSByteSize: 0 bytes/workgroup (compile time only)
; SGPRBlocks: 0
; VGPRBlocks: 1
; NumSGPRsForWavesPerEU: 14
; NumVGPRsForWavesPerEU: 13
; Occupancy: 16
; WaveLimiterHint : 0
; COMPUTE_PGM_RSRC2:SCRATCH_EN: 0
; COMPUTE_PGM_RSRC2:USER_SGPR: 6
; COMPUTE_PGM_RSRC2:TRAP_HANDLER: 0
; COMPUTE_PGM_RSRC2:TGID_X_EN: 1
; COMPUTE_PGM_RSRC2:TGID_Y_EN: 0
; COMPUTE_PGM_RSRC2:TGID_Z_EN: 0
; COMPUTE_PGM_RSRC2:TIDIG_COMP_CNT: 1
	.section	.text._ZN12_GLOBAL__N_121softmax_warp_backwardIfN3c104HalfEfLi6ELb0ELb0ELi64EEEvPT0_PKT_S7_iiiPKb,"axG",@progbits,_ZN12_GLOBAL__N_121softmax_warp_backwardIfN3c104HalfEfLi6ELb0ELb0ELi64EEEvPT0_PKT_S7_iiiPKb,comdat
	.globl	_ZN12_GLOBAL__N_121softmax_warp_backwardIfN3c104HalfEfLi6ELb0ELb0ELi64EEEvPT0_PKT_S7_iiiPKb ; -- Begin function _ZN12_GLOBAL__N_121softmax_warp_backwardIfN3c104HalfEfLi6ELb0ELb0ELi64EEEvPT0_PKT_S7_iiiPKb
	.p2align	8
	.type	_ZN12_GLOBAL__N_121softmax_warp_backwardIfN3c104HalfEfLi6ELb0ELb0ELi64EEEvPT0_PKT_S7_iiiPKb,@function
_ZN12_GLOBAL__N_121softmax_warp_backwardIfN3c104HalfEfLi6ELb0ELb0ELi64EEEvPT0_PKT_S7_iiiPKb: ; @_ZN12_GLOBAL__N_121softmax_warp_backwardIfN3c104HalfEfLi6ELb0ELb0ELi64EEEvPT0_PKT_S7_iiiPKb
; %bb.0:
	s_clause 0x1
	s_load_dword s7, s[4:5], 0x3c
	s_load_dwordx4 s[0:3], s[4:5], 0x18
	v_and_b32_e32 v2, 63, v0
	s_clause 0x1
	s_load_dwordx4 s[8:11], s[4:5], 0x0
	s_load_dwordx2 s[4:5], s[4:5], 0x10
	v_mov_b32_e32 v7, 0
	s_waitcnt lgkmcnt(0)
	s_lshr_b32 s3, s7, 16
	v_cmp_gt_i32_e32 vcc_lo, s2, v2
	s_and_b32 s3, s3, 0xffff
	s_mul_i32 s6, s6, s3
	v_add_lshl_u32 v3, s6, v1, 1
	v_mad_u64_u32 v[0:1], null, v3, s1, v[2:3]
	v_sub_nc_u32_e32 v6, s0, v3
	v_cmp_lt_i32_e64 s0, 0, v6
	v_ashrrev_i32_e32 v1, 31, v0
	s_and_b32 s3, vcc_lo, s0
	v_lshlrev_b64 v[8:9], 2, v[0:1]
	v_add_co_u32 v4, s1, s10, v8
	v_add_co_ci_u32_e64 v5, null, s11, v9, s1
	v_add_co_u32 v2, s1, s4, v8
	v_add_co_ci_u32_e64 v3, null, s5, v9, s1
	v_mov_b32_e32 v8, 0
	s_and_saveexec_b32 s1, s3
	s_cbranch_execz .LBB606_2
; %bb.1:
	global_load_dword v8, v[4:5], off
	global_load_dword v7, v[2:3], off
.LBB606_2:
	s_or_b32 exec_lo, exec_lo, s1
	v_cmp_gt_i32_e64 s1, 2, v6
	s_xor_b32 s3, vcc_lo, -1
	s_or_b32 s1, s3, s1
	s_and_saveexec_b32 s3, s1
	s_xor_b32 s1, exec_lo, s3
                                        ; implicit-def: $vgpr9
; %bb.3:
	v_mov_b32_e32 v9, 0
                                        ; implicit-def: $vgpr2
                                        ; implicit-def: $vgpr4
; %bb.4:
	s_or_saveexec_b32 s4, s1
	v_mov_b32_e32 v10, 0
	s_xor_b32 exec_lo, exec_lo, s4
	s_cbranch_execz .LBB606_6
; %bb.5:
	s_mov_b32 s3, 0
	s_lshl_b64 s[6:7], s[2:3], 2
	v_add_co_u32 v4, s1, v4, s6
	v_add_co_ci_u32_e64 v5, null, s7, v5, s1
	v_add_co_u32 v2, s1, v2, s6
	v_add_co_ci_u32_e64 v3, null, s7, v3, s1
	global_load_dword v9, v[4:5], off
	global_load_dword v10, v[2:3], off
.LBB606_6:
	s_or_b32 exec_lo, exec_lo, s4
	v_mbcnt_lo_u32_b32 v2, -1, 0
	s_waitcnt vmcnt(1)
	v_add_f32_e32 v4, 0, v8
	v_add_f32_e32 v5, 0, v9
	v_or_b32_e32 v3, 32, v2
	v_xor_b32_e32 v12, 16, v2
	v_cmp_gt_i32_e64 s1, 64, v3
	v_cndmask_b32_e64 v3, v2, v3, s1
	v_cmp_gt_i32_e64 s1, 64, v12
	v_lshlrev_b32_e32 v3, 2, v3
	v_cndmask_b32_e64 v12, v2, v12, s1
	ds_bpermute_b32 v11, v3, v4
	ds_bpermute_b32 v3, v3, v5
	v_lshlrev_b32_e32 v12, 2, v12
	s_waitcnt lgkmcnt(1)
	v_add_f32_e32 v4, v4, v11
	s_waitcnt lgkmcnt(0)
	v_add_f32_e32 v3, v5, v3
	ds_bpermute_b32 v5, v12, v4
	ds_bpermute_b32 v11, v12, v3
	v_xor_b32_e32 v12, 8, v2
	v_cmp_gt_i32_e64 s1, 64, v12
	v_cndmask_b32_e64 v12, v2, v12, s1
	v_lshlrev_b32_e32 v12, 2, v12
	s_waitcnt lgkmcnt(1)
	v_add_f32_e32 v4, v4, v5
	s_waitcnt lgkmcnt(0)
	v_add_f32_e32 v3, v3, v11
	ds_bpermute_b32 v5, v12, v4
	ds_bpermute_b32 v11, v12, v3
	v_xor_b32_e32 v12, 4, v2
	v_cmp_gt_i32_e64 s1, 64, v12
	v_cndmask_b32_e64 v12, v2, v12, s1
	;; [unrolled: 10-line block ×4, first 2 shown]
	v_lshlrev_b32_e32 v12, 2, v2
	s_waitcnt lgkmcnt(1)
	v_add_f32_e32 v4, v4, v5
	s_waitcnt lgkmcnt(0)
	v_add_f32_e32 v2, v3, v11
	ds_bpermute_b32 v5, v12, v4
	ds_bpermute_b32 v3, v12, v2
	s_and_saveexec_b32 s1, s0
	s_cbranch_execz .LBB606_11
; %bb.7:
	v_lshlrev_b64 v[0:1], 1, v[0:1]
	v_add_co_u32 v0, s0, s8, v0
	v_add_co_ci_u32_e64 v1, null, s9, v1, s0
	s_and_saveexec_b32 s0, vcc_lo
	s_cbranch_execz .LBB606_9
; %bb.8:
	s_waitcnt lgkmcnt(1)
	v_add_f32_e32 v4, v4, v5
	s_waitcnt vmcnt(0)
	v_fma_mixlo_f16 v4, -v7, v4, v8
	global_store_short v[0:1], v4, off
.LBB606_9:
	s_or_b32 exec_lo, exec_lo, s0
	v_cmp_ne_u32_e64 s0, 1, v6
	s_and_b32 s0, s0, vcc_lo
	s_and_b32 exec_lo, exec_lo, s0
	s_cbranch_execz .LBB606_11
; %bb.10:
	s_mov_b32 s3, 0
	s_waitcnt lgkmcnt(0)
	v_add_f32_e32 v2, v2, v3
	s_lshl_b64 s[0:1], s[2:3], 1
	v_add_co_u32 v0, vcc_lo, v0, s0
	v_add_co_ci_u32_e64 v1, null, s1, v1, vcc_lo
	s_waitcnt vmcnt(0)
	v_fma_mixlo_f16 v2, -v10, v2, v9
	global_store_short v[0:1], v2, off
.LBB606_11:
	s_endpgm
	.section	.rodata,"a",@progbits
	.p2align	6, 0x0
	.amdhsa_kernel _ZN12_GLOBAL__N_121softmax_warp_backwardIfN3c104HalfEfLi6ELb0ELb0ELi64EEEvPT0_PKT_S7_iiiPKb
		.amdhsa_group_segment_fixed_size 0
		.amdhsa_private_segment_fixed_size 0
		.amdhsa_kernarg_size 304
		.amdhsa_user_sgpr_count 6
		.amdhsa_user_sgpr_private_segment_buffer 1
		.amdhsa_user_sgpr_dispatch_ptr 0
		.amdhsa_user_sgpr_queue_ptr 0
		.amdhsa_user_sgpr_kernarg_segment_ptr 1
		.amdhsa_user_sgpr_dispatch_id 0
		.amdhsa_user_sgpr_flat_scratch_init 0
		.amdhsa_user_sgpr_private_segment_size 0
		.amdhsa_wavefront_size32 1
		.amdhsa_uses_dynamic_stack 0
		.amdhsa_system_sgpr_private_segment_wavefront_offset 0
		.amdhsa_system_sgpr_workgroup_id_x 1
		.amdhsa_system_sgpr_workgroup_id_y 0
		.amdhsa_system_sgpr_workgroup_id_z 0
		.amdhsa_system_sgpr_workgroup_info 0
		.amdhsa_system_vgpr_workitem_id 1
		.amdhsa_next_free_vgpr 13
		.amdhsa_next_free_sgpr 12
		.amdhsa_reserve_vcc 1
		.amdhsa_reserve_flat_scratch 0
		.amdhsa_float_round_mode_32 0
		.amdhsa_float_round_mode_16_64 0
		.amdhsa_float_denorm_mode_32 3
		.amdhsa_float_denorm_mode_16_64 3
		.amdhsa_dx10_clamp 1
		.amdhsa_ieee_mode 1
		.amdhsa_fp16_overflow 0
		.amdhsa_workgroup_processor_mode 1
		.amdhsa_memory_ordered 1
		.amdhsa_forward_progress 1
		.amdhsa_shared_vgpr_count 0
		.amdhsa_exception_fp_ieee_invalid_op 0
		.amdhsa_exception_fp_denorm_src 0
		.amdhsa_exception_fp_ieee_div_zero 0
		.amdhsa_exception_fp_ieee_overflow 0
		.amdhsa_exception_fp_ieee_underflow 0
		.amdhsa_exception_fp_ieee_inexact 0
		.amdhsa_exception_int_div_zero 0
	.end_amdhsa_kernel
	.section	.text._ZN12_GLOBAL__N_121softmax_warp_backwardIfN3c104HalfEfLi6ELb0ELb0ELi64EEEvPT0_PKT_S7_iiiPKb,"axG",@progbits,_ZN12_GLOBAL__N_121softmax_warp_backwardIfN3c104HalfEfLi6ELb0ELb0ELi64EEEvPT0_PKT_S7_iiiPKb,comdat
.Lfunc_end606:
	.size	_ZN12_GLOBAL__N_121softmax_warp_backwardIfN3c104HalfEfLi6ELb0ELb0ELi64EEEvPT0_PKT_S7_iiiPKb, .Lfunc_end606-_ZN12_GLOBAL__N_121softmax_warp_backwardIfN3c104HalfEfLi6ELb0ELb0ELi64EEEvPT0_PKT_S7_iiiPKb
                                        ; -- End function
	.set _ZN12_GLOBAL__N_121softmax_warp_backwardIfN3c104HalfEfLi6ELb0ELb0ELi64EEEvPT0_PKT_S7_iiiPKb.num_vgpr, 13
	.set _ZN12_GLOBAL__N_121softmax_warp_backwardIfN3c104HalfEfLi6ELb0ELb0ELi64EEEvPT0_PKT_S7_iiiPKb.num_agpr, 0
	.set _ZN12_GLOBAL__N_121softmax_warp_backwardIfN3c104HalfEfLi6ELb0ELb0ELi64EEEvPT0_PKT_S7_iiiPKb.numbered_sgpr, 12
	.set _ZN12_GLOBAL__N_121softmax_warp_backwardIfN3c104HalfEfLi6ELb0ELb0ELi64EEEvPT0_PKT_S7_iiiPKb.num_named_barrier, 0
	.set _ZN12_GLOBAL__N_121softmax_warp_backwardIfN3c104HalfEfLi6ELb0ELb0ELi64EEEvPT0_PKT_S7_iiiPKb.private_seg_size, 0
	.set _ZN12_GLOBAL__N_121softmax_warp_backwardIfN3c104HalfEfLi6ELb0ELb0ELi64EEEvPT0_PKT_S7_iiiPKb.uses_vcc, 1
	.set _ZN12_GLOBAL__N_121softmax_warp_backwardIfN3c104HalfEfLi6ELb0ELb0ELi64EEEvPT0_PKT_S7_iiiPKb.uses_flat_scratch, 0
	.set _ZN12_GLOBAL__N_121softmax_warp_backwardIfN3c104HalfEfLi6ELb0ELb0ELi64EEEvPT0_PKT_S7_iiiPKb.has_dyn_sized_stack, 0
	.set _ZN12_GLOBAL__N_121softmax_warp_backwardIfN3c104HalfEfLi6ELb0ELb0ELi64EEEvPT0_PKT_S7_iiiPKb.has_recursion, 0
	.set _ZN12_GLOBAL__N_121softmax_warp_backwardIfN3c104HalfEfLi6ELb0ELb0ELi64EEEvPT0_PKT_S7_iiiPKb.has_indirect_call, 0
	.section	.AMDGPU.csdata,"",@progbits
; Kernel info:
; codeLenInByte = 772
; TotalNumSgprs: 14
; NumVgprs: 13
; ScratchSize: 0
; MemoryBound: 0
; FloatMode: 240
; IeeeMode: 1
; LDSByteSize: 0 bytes/workgroup (compile time only)
; SGPRBlocks: 0
; VGPRBlocks: 1
; NumSGPRsForWavesPerEU: 14
; NumVGPRsForWavesPerEU: 13
; Occupancy: 16
; WaveLimiterHint : 0
; COMPUTE_PGM_RSRC2:SCRATCH_EN: 0
; COMPUTE_PGM_RSRC2:USER_SGPR: 6
; COMPUTE_PGM_RSRC2:TRAP_HANDLER: 0
; COMPUTE_PGM_RSRC2:TGID_X_EN: 1
; COMPUTE_PGM_RSRC2:TGID_Y_EN: 0
; COMPUTE_PGM_RSRC2:TGID_Z_EN: 0
; COMPUTE_PGM_RSRC2:TIDIG_COMP_CNT: 1
	.section	.text._ZN12_GLOBAL__N_121softmax_warp_backwardIfN3c104HalfEfLi6ELb0ELb0ELi32EEEvPT0_PKT_S7_iiiPKb,"axG",@progbits,_ZN12_GLOBAL__N_121softmax_warp_backwardIfN3c104HalfEfLi6ELb0ELb0ELi32EEEvPT0_PKT_S7_iiiPKb,comdat
	.globl	_ZN12_GLOBAL__N_121softmax_warp_backwardIfN3c104HalfEfLi6ELb0ELb0ELi32EEEvPT0_PKT_S7_iiiPKb ; -- Begin function _ZN12_GLOBAL__N_121softmax_warp_backwardIfN3c104HalfEfLi6ELb0ELb0ELi32EEEvPT0_PKT_S7_iiiPKb
	.p2align	8
	.type	_ZN12_GLOBAL__N_121softmax_warp_backwardIfN3c104HalfEfLi6ELb0ELb0ELi32EEEvPT0_PKT_S7_iiiPKb,@function
_ZN12_GLOBAL__N_121softmax_warp_backwardIfN3c104HalfEfLi6ELb0ELb0ELi32EEEvPT0_PKT_S7_iiiPKb: ; @_ZN12_GLOBAL__N_121softmax_warp_backwardIfN3c104HalfEfLi6ELb0ELb0ELi32EEEvPT0_PKT_S7_iiiPKb
; %bb.0:
	s_clause 0x1
	s_load_dword s0, s[4:5], 0x3c
	s_load_dwordx4 s[8:11], s[4:5], 0x18
	v_and_b32_e32 v6, 31, v0
	s_clause 0x1
	s_load_dwordx4 s[12:15], s[4:5], 0x0
	s_load_dwordx2 s[2:3], s[4:5], 0x10
	v_mov_b32_e32 v8, 0
	v_mov_b32_e32 v9, 0
	;; [unrolled: 1-line block ×3, first 2 shown]
	s_waitcnt lgkmcnt(0)
	s_lshr_b32 s0, s0, 16
	v_cmp_gt_i32_e32 vcc_lo, s10, v6
	s_and_b32 s0, s0, 0xffff
	s_mul_i32 s6, s6, s0
	v_add_lshl_u32 v2, s6, v1, 1
	v_mad_u64_u32 v[0:1], null, v2, s9, v[6:7]
	v_sub_nc_u32_e32 v7, s8, v2
	v_cmp_lt_i32_e64 s1, 0, v7
	v_ashrrev_i32_e32 v1, 31, v0
	v_lshlrev_b64 v[2:3], 2, v[0:1]
	v_add_co_u32 v4, s0, s14, v2
	v_add_co_ci_u32_e64 v5, null, s15, v3, s0
	v_add_co_u32 v2, s0, s2, v2
	v_add_co_ci_u32_e64 v3, null, s3, v3, s0
	s_and_b32 s2, s1, vcc_lo
	s_and_saveexec_b32 s0, s2
	s_cbranch_execz .LBB607_2
; %bb.1:
	global_load_dword v9, v[4:5], off
	global_load_dword v10, v[2:3], off
.LBB607_2:
	s_or_b32 exec_lo, exec_lo, s0
	v_or_b32_e32 v6, 32, v6
	v_mov_b32_e32 v11, 0
	v_cmp_gt_i32_e64 s0, s10, v6
	s_and_b32 s3, s1, s0
	s_and_saveexec_b32 s2, s3
	s_cbranch_execz .LBB607_4
; %bb.3:
	global_load_dword v8, v[4:5], off offset:128
	global_load_dword v11, v[2:3], off offset:128
.LBB607_4:
	s_or_b32 exec_lo, exec_lo, s2
	v_cmp_lt_i32_e64 s2, 1, v7
	v_mov_b32_e32 v6, 0
	v_mov_b32_e32 v12, 0
	;; [unrolled: 1-line block ×3, first 2 shown]
	s_and_b32 s3, s2, vcc_lo
	s_and_saveexec_b32 s4, s3
	s_cbranch_execz .LBB607_6
; %bb.5:
	s_mov_b32 s11, 0
	s_lshl_b64 s[6:7], s[10:11], 2
	v_add_co_u32 v12, s3, v4, s6
	v_add_co_ci_u32_e64 v13, null, s7, v5, s3
	v_add_co_u32 v14, s3, v2, s6
	v_add_co_ci_u32_e64 v15, null, s7, v3, s3
	global_load_dword v12, v[12:13], off
	global_load_dword v13, v[14:15], off
.LBB607_6:
	s_or_b32 exec_lo, exec_lo, s4
	v_mov_b32_e32 v14, 0
	s_and_b32 s2, s2, s0
	s_and_saveexec_b32 s3, s2
	s_cbranch_execz .LBB607_8
; %bb.7:
	s_mov_b32 s11, 0
	s_lshl_b64 s[4:5], s[10:11], 2
	v_add_co_u32 v4, s2, v4, s4
	v_add_co_ci_u32_e64 v5, null, s5, v5, s2
	v_add_co_u32 v2, s2, v2, s4
	v_add_co_ci_u32_e64 v3, null, s5, v3, s2
	global_load_dword v6, v[4:5], off offset:128
	global_load_dword v14, v[2:3], off offset:128
.LBB607_8:
	s_or_b32 exec_lo, exec_lo, s3
	v_mbcnt_lo_u32_b32 v2, -1, 0
	s_waitcnt vmcnt(1)
	v_add_f32_e32 v4, 0, v9
	v_add_f32_e32 v5, 0, v12
	v_xor_b32_e32 v3, 16, v2
	v_add_f32_e32 v4, v4, v8
	v_add_f32_e32 v5, v5, v6
	v_xor_b32_e32 v16, 8, v2
	v_cmp_gt_i32_e64 s2, 32, v3
	v_cndmask_b32_e64 v3, v2, v3, s2
	v_cmp_gt_i32_e64 s2, 32, v16
	v_lshlrev_b32_e32 v3, 2, v3
	v_cndmask_b32_e64 v16, v2, v16, s2
	ds_bpermute_b32 v15, v3, v4
	ds_bpermute_b32 v3, v3, v5
	v_lshlrev_b32_e32 v16, 2, v16
	s_waitcnt lgkmcnt(1)
	v_add_f32_e32 v4, v4, v15
	s_waitcnt lgkmcnt(0)
	v_add_f32_e32 v3, v5, v3
	ds_bpermute_b32 v5, v16, v4
	ds_bpermute_b32 v15, v16, v3
	v_xor_b32_e32 v16, 4, v2
	v_cmp_gt_i32_e64 s2, 32, v16
	v_cndmask_b32_e64 v16, v2, v16, s2
	v_lshlrev_b32_e32 v16, 2, v16
	s_waitcnt lgkmcnt(1)
	v_add_f32_e32 v4, v4, v5
	s_waitcnt lgkmcnt(0)
	v_add_f32_e32 v3, v3, v15
	ds_bpermute_b32 v5, v16, v4
	ds_bpermute_b32 v15, v16, v3
	v_xor_b32_e32 v16, 2, v2
	v_cmp_gt_i32_e64 s2, 32, v16
	v_cndmask_b32_e64 v16, v2, v16, s2
	;; [unrolled: 10-line block ×3, first 2 shown]
	v_lshlrev_b32_e32 v16, 2, v2
	s_waitcnt lgkmcnt(1)
	v_add_f32_e32 v4, v4, v5
	s_waitcnt lgkmcnt(0)
	v_add_f32_e32 v2, v3, v15
	ds_bpermute_b32 v5, v16, v4
	ds_bpermute_b32 v3, v16, v2
	s_and_saveexec_b32 s2, s1
	s_cbranch_execz .LBB607_12
; %bb.9:
	v_lshlrev_b64 v[0:1], 1, v[0:1]
	s_waitcnt lgkmcnt(1)
	v_add_f32_e32 v4, v4, v5
	v_add_co_u32 v0, s1, s12, v0
	v_add_co_ci_u32_e64 v1, null, s13, v1, s1
	s_and_saveexec_b32 s1, vcc_lo
	s_cbranch_execnz .LBB607_13
; %bb.10:
	s_or_b32 exec_lo, exec_lo, s1
	s_and_saveexec_b32 s1, s0
	s_cbranch_execnz .LBB607_14
.LBB607_11:
	s_or_b32 exec_lo, exec_lo, s1
	v_cmp_ne_u32_e64 s1, 1, v7
	s_and_b32 exec_lo, exec_lo, s1
	s_cbranch_execnz .LBB607_15
.LBB607_12:
	s_endpgm
.LBB607_13:
	s_waitcnt vmcnt(0)
	v_fma_mixlo_f16 v5, -v4, v10, v9
	global_store_short v[0:1], v5, off
	s_or_b32 exec_lo, exec_lo, s1
	s_and_saveexec_b32 s1, s0
	s_cbranch_execz .LBB607_11
.LBB607_14:
	s_waitcnt vmcnt(0)
	v_fma_mixlo_f16 v4, -v4, v11, v8
	global_store_short v[0:1], v4, off offset:64
	s_or_b32 exec_lo, exec_lo, s1
	v_cmp_ne_u32_e64 s1, 1, v7
	s_and_b32 exec_lo, exec_lo, s1
	s_cbranch_execz .LBB607_12
.LBB607_15:
	s_waitcnt lgkmcnt(0)
	v_add_f32_e32 v2, v2, v3
	s_and_saveexec_b32 s1, vcc_lo
	s_cbranch_execz .LBB607_17
; %bb.16:
	s_mov_b32 s11, 0
	s_waitcnt vmcnt(0)
	v_fma_mixlo_f16 v5, -v2, v13, v12
	s_lshl_b64 s[2:3], s[10:11], 1
	v_add_co_u32 v3, vcc_lo, v0, s2
	v_add_co_ci_u32_e64 v4, null, s3, v1, vcc_lo
	global_store_short v[3:4], v5, off
.LBB607_17:
	s_or_b32 exec_lo, exec_lo, s1
	s_and_b32 exec_lo, exec_lo, s0
	s_cbranch_execz .LBB607_12
; %bb.18:
	s_mov_b32 s11, 0
	s_waitcnt vmcnt(0)
	v_fma_mixlo_f16 v2, -v2, v14, v6
	s_lshl_b64 s[0:1], s[10:11], 1
	v_add_co_u32 v0, vcc_lo, v0, s0
	v_add_co_ci_u32_e64 v1, null, s1, v1, vcc_lo
	global_store_short v[0:1], v2, off offset:64
	s_endpgm
	.section	.rodata,"a",@progbits
	.p2align	6, 0x0
	.amdhsa_kernel _ZN12_GLOBAL__N_121softmax_warp_backwardIfN3c104HalfEfLi6ELb0ELb0ELi32EEEvPT0_PKT_S7_iiiPKb
		.amdhsa_group_segment_fixed_size 0
		.amdhsa_private_segment_fixed_size 0
		.amdhsa_kernarg_size 304
		.amdhsa_user_sgpr_count 6
		.amdhsa_user_sgpr_private_segment_buffer 1
		.amdhsa_user_sgpr_dispatch_ptr 0
		.amdhsa_user_sgpr_queue_ptr 0
		.amdhsa_user_sgpr_kernarg_segment_ptr 1
		.amdhsa_user_sgpr_dispatch_id 0
		.amdhsa_user_sgpr_flat_scratch_init 0
		.amdhsa_user_sgpr_private_segment_size 0
		.amdhsa_wavefront_size32 1
		.amdhsa_uses_dynamic_stack 0
		.amdhsa_system_sgpr_private_segment_wavefront_offset 0
		.amdhsa_system_sgpr_workgroup_id_x 1
		.amdhsa_system_sgpr_workgroup_id_y 0
		.amdhsa_system_sgpr_workgroup_id_z 0
		.amdhsa_system_sgpr_workgroup_info 0
		.amdhsa_system_vgpr_workitem_id 1
		.amdhsa_next_free_vgpr 17
		.amdhsa_next_free_sgpr 16
		.amdhsa_reserve_vcc 1
		.amdhsa_reserve_flat_scratch 0
		.amdhsa_float_round_mode_32 0
		.amdhsa_float_round_mode_16_64 0
		.amdhsa_float_denorm_mode_32 3
		.amdhsa_float_denorm_mode_16_64 3
		.amdhsa_dx10_clamp 1
		.amdhsa_ieee_mode 1
		.amdhsa_fp16_overflow 0
		.amdhsa_workgroup_processor_mode 1
		.amdhsa_memory_ordered 1
		.amdhsa_forward_progress 1
		.amdhsa_shared_vgpr_count 0
		.amdhsa_exception_fp_ieee_invalid_op 0
		.amdhsa_exception_fp_denorm_src 0
		.amdhsa_exception_fp_ieee_div_zero 0
		.amdhsa_exception_fp_ieee_overflow 0
		.amdhsa_exception_fp_ieee_underflow 0
		.amdhsa_exception_fp_ieee_inexact 0
		.amdhsa_exception_int_div_zero 0
	.end_amdhsa_kernel
	.section	.text._ZN12_GLOBAL__N_121softmax_warp_backwardIfN3c104HalfEfLi6ELb0ELb0ELi32EEEvPT0_PKT_S7_iiiPKb,"axG",@progbits,_ZN12_GLOBAL__N_121softmax_warp_backwardIfN3c104HalfEfLi6ELb0ELb0ELi32EEEvPT0_PKT_S7_iiiPKb,comdat
.Lfunc_end607:
	.size	_ZN12_GLOBAL__N_121softmax_warp_backwardIfN3c104HalfEfLi6ELb0ELb0ELi32EEEvPT0_PKT_S7_iiiPKb, .Lfunc_end607-_ZN12_GLOBAL__N_121softmax_warp_backwardIfN3c104HalfEfLi6ELb0ELb0ELi32EEEvPT0_PKT_S7_iiiPKb
                                        ; -- End function
	.set _ZN12_GLOBAL__N_121softmax_warp_backwardIfN3c104HalfEfLi6ELb0ELb0ELi32EEEvPT0_PKT_S7_iiiPKb.num_vgpr, 17
	.set _ZN12_GLOBAL__N_121softmax_warp_backwardIfN3c104HalfEfLi6ELb0ELb0ELi32EEEvPT0_PKT_S7_iiiPKb.num_agpr, 0
	.set _ZN12_GLOBAL__N_121softmax_warp_backwardIfN3c104HalfEfLi6ELb0ELb0ELi32EEEvPT0_PKT_S7_iiiPKb.numbered_sgpr, 16
	.set _ZN12_GLOBAL__N_121softmax_warp_backwardIfN3c104HalfEfLi6ELb0ELb0ELi32EEEvPT0_PKT_S7_iiiPKb.num_named_barrier, 0
	.set _ZN12_GLOBAL__N_121softmax_warp_backwardIfN3c104HalfEfLi6ELb0ELb0ELi32EEEvPT0_PKT_S7_iiiPKb.private_seg_size, 0
	.set _ZN12_GLOBAL__N_121softmax_warp_backwardIfN3c104HalfEfLi6ELb0ELb0ELi32EEEvPT0_PKT_S7_iiiPKb.uses_vcc, 1
	.set _ZN12_GLOBAL__N_121softmax_warp_backwardIfN3c104HalfEfLi6ELb0ELb0ELi32EEEvPT0_PKT_S7_iiiPKb.uses_flat_scratch, 0
	.set _ZN12_GLOBAL__N_121softmax_warp_backwardIfN3c104HalfEfLi6ELb0ELb0ELi32EEEvPT0_PKT_S7_iiiPKb.has_dyn_sized_stack, 0
	.set _ZN12_GLOBAL__N_121softmax_warp_backwardIfN3c104HalfEfLi6ELb0ELb0ELi32EEEvPT0_PKT_S7_iiiPKb.has_recursion, 0
	.set _ZN12_GLOBAL__N_121softmax_warp_backwardIfN3c104HalfEfLi6ELb0ELb0ELi32EEEvPT0_PKT_S7_iiiPKb.has_indirect_call, 0
	.section	.AMDGPU.csdata,"",@progbits
; Kernel info:
; codeLenInByte = 968
; TotalNumSgprs: 18
; NumVgprs: 17
; ScratchSize: 0
; MemoryBound: 0
; FloatMode: 240
; IeeeMode: 1
; LDSByteSize: 0 bytes/workgroup (compile time only)
; SGPRBlocks: 0
; VGPRBlocks: 2
; NumSGPRsForWavesPerEU: 18
; NumVGPRsForWavesPerEU: 17
; Occupancy: 16
; WaveLimiterHint : 0
; COMPUTE_PGM_RSRC2:SCRATCH_EN: 0
; COMPUTE_PGM_RSRC2:USER_SGPR: 6
; COMPUTE_PGM_RSRC2:TRAP_HANDLER: 0
; COMPUTE_PGM_RSRC2:TGID_X_EN: 1
; COMPUTE_PGM_RSRC2:TGID_Y_EN: 0
; COMPUTE_PGM_RSRC2:TGID_Z_EN: 0
; COMPUTE_PGM_RSRC2:TIDIG_COMP_CNT: 1
	.section	.text._ZN12_GLOBAL__N_121softmax_warp_backwardIfN3c104HalfEfLi7ELb0ELb0ELi64EEEvPT0_PKT_S7_iiiPKb,"axG",@progbits,_ZN12_GLOBAL__N_121softmax_warp_backwardIfN3c104HalfEfLi7ELb0ELb0ELi64EEEvPT0_PKT_S7_iiiPKb,comdat
	.globl	_ZN12_GLOBAL__N_121softmax_warp_backwardIfN3c104HalfEfLi7ELb0ELb0ELi64EEEvPT0_PKT_S7_iiiPKb ; -- Begin function _ZN12_GLOBAL__N_121softmax_warp_backwardIfN3c104HalfEfLi7ELb0ELb0ELi64EEEvPT0_PKT_S7_iiiPKb
	.p2align	8
	.type	_ZN12_GLOBAL__N_121softmax_warp_backwardIfN3c104HalfEfLi7ELb0ELb0ELi64EEEvPT0_PKT_S7_iiiPKb,@function
_ZN12_GLOBAL__N_121softmax_warp_backwardIfN3c104HalfEfLi7ELb0ELb0ELi64EEEvPT0_PKT_S7_iiiPKb: ; @_ZN12_GLOBAL__N_121softmax_warp_backwardIfN3c104HalfEfLi7ELb0ELb0ELi64EEEvPT0_PKT_S7_iiiPKb
; %bb.0:
	s_clause 0x1
	s_load_dword s0, s[4:5], 0x3c
	s_load_dwordx4 s[8:11], s[4:5], 0x18
	v_and_b32_e32 v6, 63, v0
	s_clause 0x1
	s_load_dwordx4 s[12:15], s[4:5], 0x0
	s_load_dwordx2 s[2:3], s[4:5], 0x10
	v_mov_b32_e32 v8, 0
	v_mov_b32_e32 v9, 0
	;; [unrolled: 1-line block ×3, first 2 shown]
	s_waitcnt lgkmcnt(0)
	s_lshr_b32 s0, s0, 16
	v_cmp_gt_i32_e32 vcc_lo, s10, v6
	s_and_b32 s0, s0, 0xffff
	s_mul_i32 s6, s6, s0
	v_add_lshl_u32 v2, s6, v1, 1
	v_mad_u64_u32 v[0:1], null, v2, s9, v[6:7]
	v_sub_nc_u32_e32 v7, s8, v2
	v_cmp_lt_i32_e64 s1, 0, v7
	v_ashrrev_i32_e32 v1, 31, v0
	v_lshlrev_b64 v[2:3], 2, v[0:1]
	v_add_co_u32 v4, s0, s14, v2
	v_add_co_ci_u32_e64 v5, null, s15, v3, s0
	v_add_co_u32 v2, s0, s2, v2
	v_add_co_ci_u32_e64 v3, null, s3, v3, s0
	s_and_b32 s2, s1, vcc_lo
	s_and_saveexec_b32 s0, s2
	s_cbranch_execz .LBB608_2
; %bb.1:
	global_load_dword v9, v[4:5], off
	global_load_dword v10, v[2:3], off
.LBB608_2:
	s_or_b32 exec_lo, exec_lo, s0
	v_or_b32_e32 v6, 64, v6
	v_mov_b32_e32 v11, 0
	v_cmp_gt_i32_e64 s0, s10, v6
	s_and_b32 s3, s1, s0
	s_and_saveexec_b32 s2, s3
	s_cbranch_execz .LBB608_4
; %bb.3:
	global_load_dword v8, v[4:5], off offset:256
	global_load_dword v11, v[2:3], off offset:256
.LBB608_4:
	s_or_b32 exec_lo, exec_lo, s2
	v_cmp_lt_i32_e64 s2, 1, v7
	v_mov_b32_e32 v6, 0
	v_mov_b32_e32 v12, 0
	;; [unrolled: 1-line block ×3, first 2 shown]
	s_and_b32 s3, s2, vcc_lo
	s_and_saveexec_b32 s4, s3
	s_cbranch_execz .LBB608_6
; %bb.5:
	s_mov_b32 s11, 0
	s_lshl_b64 s[6:7], s[10:11], 2
	v_add_co_u32 v12, s3, v4, s6
	v_add_co_ci_u32_e64 v13, null, s7, v5, s3
	v_add_co_u32 v14, s3, v2, s6
	v_add_co_ci_u32_e64 v15, null, s7, v3, s3
	global_load_dword v12, v[12:13], off
	global_load_dword v13, v[14:15], off
.LBB608_6:
	s_or_b32 exec_lo, exec_lo, s4
	v_mov_b32_e32 v14, 0
	s_and_b32 s2, s2, s0
	s_and_saveexec_b32 s3, s2
	s_cbranch_execz .LBB608_8
; %bb.7:
	s_mov_b32 s11, 0
	s_lshl_b64 s[4:5], s[10:11], 2
	v_add_co_u32 v4, s2, v4, s4
	v_add_co_ci_u32_e64 v5, null, s5, v5, s2
	v_add_co_u32 v2, s2, v2, s4
	v_add_co_ci_u32_e64 v3, null, s5, v3, s2
	global_load_dword v6, v[4:5], off offset:256
	global_load_dword v14, v[2:3], off offset:256
.LBB608_8:
	s_or_b32 exec_lo, exec_lo, s3
	v_mbcnt_lo_u32_b32 v2, -1, 0
	s_waitcnt vmcnt(1)
	v_add_f32_e32 v4, 0, v9
	v_add_f32_e32 v5, 0, v12
	v_or_b32_e32 v3, 32, v2
	v_add_f32_e32 v4, v4, v8
	v_add_f32_e32 v5, v5, v6
	v_xor_b32_e32 v16, 16, v2
	v_cmp_gt_i32_e64 s2, 64, v3
	v_cndmask_b32_e64 v3, v2, v3, s2
	v_cmp_gt_i32_e64 s2, 64, v16
	v_lshlrev_b32_e32 v3, 2, v3
	v_cndmask_b32_e64 v16, v2, v16, s2
	ds_bpermute_b32 v15, v3, v4
	ds_bpermute_b32 v3, v3, v5
	v_lshlrev_b32_e32 v16, 2, v16
	s_waitcnt lgkmcnt(1)
	v_add_f32_e32 v4, v4, v15
	s_waitcnt lgkmcnt(0)
	v_add_f32_e32 v3, v5, v3
	ds_bpermute_b32 v5, v16, v4
	ds_bpermute_b32 v15, v16, v3
	v_xor_b32_e32 v16, 8, v2
	v_cmp_gt_i32_e64 s2, 64, v16
	v_cndmask_b32_e64 v16, v2, v16, s2
	v_lshlrev_b32_e32 v16, 2, v16
	s_waitcnt lgkmcnt(1)
	v_add_f32_e32 v4, v4, v5
	s_waitcnt lgkmcnt(0)
	v_add_f32_e32 v3, v3, v15
	ds_bpermute_b32 v5, v16, v4
	ds_bpermute_b32 v15, v16, v3
	v_xor_b32_e32 v16, 4, v2
	v_cmp_gt_i32_e64 s2, 64, v16
	v_cndmask_b32_e64 v16, v2, v16, s2
	v_lshlrev_b32_e32 v16, 2, v16
	s_waitcnt lgkmcnt(1)
	v_add_f32_e32 v4, v4, v5
	s_waitcnt lgkmcnt(0)
	v_add_f32_e32 v3, v3, v15
	ds_bpermute_b32 v5, v16, v4
	ds_bpermute_b32 v15, v16, v3
	v_xor_b32_e32 v16, 2, v2
	v_cmp_gt_i32_e64 s2, 64, v16
	v_cndmask_b32_e64 v16, v2, v16, s2
	v_lshlrev_b32_e32 v16, 2, v16
	s_waitcnt lgkmcnt(1)
	v_add_f32_e32 v4, v4, v5
	s_waitcnt lgkmcnt(0)
	v_add_f32_e32 v3, v3, v15
	ds_bpermute_b32 v5, v16, v4
	ds_bpermute_b32 v15, v16, v3
	v_xor_b32_e32 v16, 1, v2
	v_cmp_gt_i32_e64 s2, 64, v16
	v_cndmask_b32_e64 v2, v2, v16, s2
	v_lshlrev_b32_e32 v16, 2, v2
	s_waitcnt lgkmcnt(1)
	v_add_f32_e32 v4, v4, v5
	s_waitcnt lgkmcnt(0)
	v_add_f32_e32 v2, v3, v15
	ds_bpermute_b32 v5, v16, v4
	ds_bpermute_b32 v3, v16, v2
	s_and_saveexec_b32 s2, s1
	s_cbranch_execz .LBB608_12
; %bb.9:
	v_lshlrev_b64 v[0:1], 1, v[0:1]
	s_waitcnt lgkmcnt(1)
	v_add_f32_e32 v4, v4, v5
	v_add_co_u32 v0, s1, s12, v0
	v_add_co_ci_u32_e64 v1, null, s13, v1, s1
	s_and_saveexec_b32 s1, vcc_lo
	s_cbranch_execnz .LBB608_13
; %bb.10:
	s_or_b32 exec_lo, exec_lo, s1
	s_and_saveexec_b32 s1, s0
	s_cbranch_execnz .LBB608_14
.LBB608_11:
	s_or_b32 exec_lo, exec_lo, s1
	v_cmp_ne_u32_e64 s1, 1, v7
	s_and_b32 exec_lo, exec_lo, s1
	s_cbranch_execnz .LBB608_15
.LBB608_12:
	s_endpgm
.LBB608_13:
	s_waitcnt vmcnt(0)
	v_fma_mixlo_f16 v5, -v4, v10, v9
	global_store_short v[0:1], v5, off
	s_or_b32 exec_lo, exec_lo, s1
	s_and_saveexec_b32 s1, s0
	s_cbranch_execz .LBB608_11
.LBB608_14:
	s_waitcnt vmcnt(0)
	v_fma_mixlo_f16 v4, -v4, v11, v8
	global_store_short v[0:1], v4, off offset:128
	s_or_b32 exec_lo, exec_lo, s1
	v_cmp_ne_u32_e64 s1, 1, v7
	s_and_b32 exec_lo, exec_lo, s1
	s_cbranch_execz .LBB608_12
.LBB608_15:
	s_waitcnt lgkmcnt(0)
	v_add_f32_e32 v2, v2, v3
	s_and_saveexec_b32 s1, vcc_lo
	s_cbranch_execz .LBB608_17
; %bb.16:
	s_mov_b32 s11, 0
	s_waitcnt vmcnt(0)
	v_fma_mixlo_f16 v5, -v2, v13, v12
	s_lshl_b64 s[2:3], s[10:11], 1
	v_add_co_u32 v3, vcc_lo, v0, s2
	v_add_co_ci_u32_e64 v4, null, s3, v1, vcc_lo
	global_store_short v[3:4], v5, off
.LBB608_17:
	s_or_b32 exec_lo, exec_lo, s1
	s_and_b32 exec_lo, exec_lo, s0
	s_cbranch_execz .LBB608_12
; %bb.18:
	s_mov_b32 s11, 0
	s_waitcnt vmcnt(0)
	v_fma_mixlo_f16 v2, -v2, v14, v6
	s_lshl_b64 s[0:1], s[10:11], 1
	v_add_co_u32 v0, vcc_lo, v0, s0
	v_add_co_ci_u32_e64 v1, null, s1, v1, vcc_lo
	global_store_short v[0:1], v2, off offset:128
	s_endpgm
	.section	.rodata,"a",@progbits
	.p2align	6, 0x0
	.amdhsa_kernel _ZN12_GLOBAL__N_121softmax_warp_backwardIfN3c104HalfEfLi7ELb0ELb0ELi64EEEvPT0_PKT_S7_iiiPKb
		.amdhsa_group_segment_fixed_size 0
		.amdhsa_private_segment_fixed_size 0
		.amdhsa_kernarg_size 304
		.amdhsa_user_sgpr_count 6
		.amdhsa_user_sgpr_private_segment_buffer 1
		.amdhsa_user_sgpr_dispatch_ptr 0
		.amdhsa_user_sgpr_queue_ptr 0
		.amdhsa_user_sgpr_kernarg_segment_ptr 1
		.amdhsa_user_sgpr_dispatch_id 0
		.amdhsa_user_sgpr_flat_scratch_init 0
		.amdhsa_user_sgpr_private_segment_size 0
		.amdhsa_wavefront_size32 1
		.amdhsa_uses_dynamic_stack 0
		.amdhsa_system_sgpr_private_segment_wavefront_offset 0
		.amdhsa_system_sgpr_workgroup_id_x 1
		.amdhsa_system_sgpr_workgroup_id_y 0
		.amdhsa_system_sgpr_workgroup_id_z 0
		.amdhsa_system_sgpr_workgroup_info 0
		.amdhsa_system_vgpr_workitem_id 1
		.amdhsa_next_free_vgpr 17
		.amdhsa_next_free_sgpr 16
		.amdhsa_reserve_vcc 1
		.amdhsa_reserve_flat_scratch 0
		.amdhsa_float_round_mode_32 0
		.amdhsa_float_round_mode_16_64 0
		.amdhsa_float_denorm_mode_32 3
		.amdhsa_float_denorm_mode_16_64 3
		.amdhsa_dx10_clamp 1
		.amdhsa_ieee_mode 1
		.amdhsa_fp16_overflow 0
		.amdhsa_workgroup_processor_mode 1
		.amdhsa_memory_ordered 1
		.amdhsa_forward_progress 1
		.amdhsa_shared_vgpr_count 0
		.amdhsa_exception_fp_ieee_invalid_op 0
		.amdhsa_exception_fp_denorm_src 0
		.amdhsa_exception_fp_ieee_div_zero 0
		.amdhsa_exception_fp_ieee_overflow 0
		.amdhsa_exception_fp_ieee_underflow 0
		.amdhsa_exception_fp_ieee_inexact 0
		.amdhsa_exception_int_div_zero 0
	.end_amdhsa_kernel
	.section	.text._ZN12_GLOBAL__N_121softmax_warp_backwardIfN3c104HalfEfLi7ELb0ELb0ELi64EEEvPT0_PKT_S7_iiiPKb,"axG",@progbits,_ZN12_GLOBAL__N_121softmax_warp_backwardIfN3c104HalfEfLi7ELb0ELb0ELi64EEEvPT0_PKT_S7_iiiPKb,comdat
.Lfunc_end608:
	.size	_ZN12_GLOBAL__N_121softmax_warp_backwardIfN3c104HalfEfLi7ELb0ELb0ELi64EEEvPT0_PKT_S7_iiiPKb, .Lfunc_end608-_ZN12_GLOBAL__N_121softmax_warp_backwardIfN3c104HalfEfLi7ELb0ELb0ELi64EEEvPT0_PKT_S7_iiiPKb
                                        ; -- End function
	.set _ZN12_GLOBAL__N_121softmax_warp_backwardIfN3c104HalfEfLi7ELb0ELb0ELi64EEEvPT0_PKT_S7_iiiPKb.num_vgpr, 17
	.set _ZN12_GLOBAL__N_121softmax_warp_backwardIfN3c104HalfEfLi7ELb0ELb0ELi64EEEvPT0_PKT_S7_iiiPKb.num_agpr, 0
	.set _ZN12_GLOBAL__N_121softmax_warp_backwardIfN3c104HalfEfLi7ELb0ELb0ELi64EEEvPT0_PKT_S7_iiiPKb.numbered_sgpr, 16
	.set _ZN12_GLOBAL__N_121softmax_warp_backwardIfN3c104HalfEfLi7ELb0ELb0ELi64EEEvPT0_PKT_S7_iiiPKb.num_named_barrier, 0
	.set _ZN12_GLOBAL__N_121softmax_warp_backwardIfN3c104HalfEfLi7ELb0ELb0ELi64EEEvPT0_PKT_S7_iiiPKb.private_seg_size, 0
	.set _ZN12_GLOBAL__N_121softmax_warp_backwardIfN3c104HalfEfLi7ELb0ELb0ELi64EEEvPT0_PKT_S7_iiiPKb.uses_vcc, 1
	.set _ZN12_GLOBAL__N_121softmax_warp_backwardIfN3c104HalfEfLi7ELb0ELb0ELi64EEEvPT0_PKT_S7_iiiPKb.uses_flat_scratch, 0
	.set _ZN12_GLOBAL__N_121softmax_warp_backwardIfN3c104HalfEfLi7ELb0ELb0ELi64EEEvPT0_PKT_S7_iiiPKb.has_dyn_sized_stack, 0
	.set _ZN12_GLOBAL__N_121softmax_warp_backwardIfN3c104HalfEfLi7ELb0ELb0ELi64EEEvPT0_PKT_S7_iiiPKb.has_recursion, 0
	.set _ZN12_GLOBAL__N_121softmax_warp_backwardIfN3c104HalfEfLi7ELb0ELb0ELi64EEEvPT0_PKT_S7_iiiPKb.has_indirect_call, 0
	.section	.AMDGPU.csdata,"",@progbits
; Kernel info:
; codeLenInByte = 1024
; TotalNumSgprs: 18
; NumVgprs: 17
; ScratchSize: 0
; MemoryBound: 0
; FloatMode: 240
; IeeeMode: 1
; LDSByteSize: 0 bytes/workgroup (compile time only)
; SGPRBlocks: 0
; VGPRBlocks: 2
; NumSGPRsForWavesPerEU: 18
; NumVGPRsForWavesPerEU: 17
; Occupancy: 16
; WaveLimiterHint : 0
; COMPUTE_PGM_RSRC2:SCRATCH_EN: 0
; COMPUTE_PGM_RSRC2:USER_SGPR: 6
; COMPUTE_PGM_RSRC2:TRAP_HANDLER: 0
; COMPUTE_PGM_RSRC2:TGID_X_EN: 1
; COMPUTE_PGM_RSRC2:TGID_Y_EN: 0
; COMPUTE_PGM_RSRC2:TGID_Z_EN: 0
; COMPUTE_PGM_RSRC2:TIDIG_COMP_CNT: 1
	.section	.text._ZN12_GLOBAL__N_121softmax_warp_backwardIfN3c104HalfEfLi7ELb0ELb0ELi32EEEvPT0_PKT_S7_iiiPKb,"axG",@progbits,_ZN12_GLOBAL__N_121softmax_warp_backwardIfN3c104HalfEfLi7ELb0ELb0ELi32EEEvPT0_PKT_S7_iiiPKb,comdat
	.globl	_ZN12_GLOBAL__N_121softmax_warp_backwardIfN3c104HalfEfLi7ELb0ELb0ELi32EEEvPT0_PKT_S7_iiiPKb ; -- Begin function _ZN12_GLOBAL__N_121softmax_warp_backwardIfN3c104HalfEfLi7ELb0ELb0ELi32EEEvPT0_PKT_S7_iiiPKb
	.p2align	8
	.type	_ZN12_GLOBAL__N_121softmax_warp_backwardIfN3c104HalfEfLi7ELb0ELb0ELi32EEEvPT0_PKT_S7_iiiPKb,@function
_ZN12_GLOBAL__N_121softmax_warp_backwardIfN3c104HalfEfLi7ELb0ELb0ELi32EEEvPT0_PKT_S7_iiiPKb: ; @_ZN12_GLOBAL__N_121softmax_warp_backwardIfN3c104HalfEfLi7ELb0ELb0ELi32EEEvPT0_PKT_S7_iiiPKb
; %bb.0:
	s_clause 0x1
	s_load_dword s0, s[4:5], 0x3c
	s_load_dwordx4 s[8:11], s[4:5], 0x18
	v_and_b32_e32 v6, 31, v0
	s_clause 0x1
	s_load_dwordx4 s[12:15], s[4:5], 0x0
	s_load_dwordx2 s[4:5], s[4:5], 0x10
	v_mov_b32_e32 v8, 0
	v_mov_b32_e32 v9, 0
	;; [unrolled: 1-line block ×3, first 2 shown]
	s_waitcnt lgkmcnt(0)
	s_lshr_b32 s0, s0, 16
	v_cmp_gt_i32_e32 vcc_lo, s10, v6
	s_and_b32 s0, s0, 0xffff
	s_mul_i32 s6, s6, s0
	v_add_lshl_u32 v2, s6, v1, 1
	v_mad_u64_u32 v[0:1], null, v2, s9, v[6:7]
	v_sub_nc_u32_e32 v7, s8, v2
	v_cmp_lt_i32_e64 s3, 0, v7
	v_ashrrev_i32_e32 v1, 31, v0
	s_and_b32 s1, s3, vcc_lo
	v_lshlrev_b64 v[2:3], 2, v[0:1]
	v_add_co_u32 v4, s0, s14, v2
	v_add_co_ci_u32_e64 v5, null, s15, v3, s0
	v_add_co_u32 v2, s0, s4, v2
	v_add_co_ci_u32_e64 v3, null, s5, v3, s0
	s_and_saveexec_b32 s0, s1
	s_cbranch_execz .LBB609_2
; %bb.1:
	global_load_dword v9, v[4:5], off
	global_load_dword v10, v[2:3], off
.LBB609_2:
	s_or_b32 exec_lo, exec_lo, s0
	v_or_b32_e32 v11, 32, v6
	v_mov_b32_e32 v12, 0
	v_cmp_gt_i32_e64 s0, s10, v11
	s_and_b32 s2, s3, s0
	s_and_saveexec_b32 s1, s2
	s_cbranch_execz .LBB609_4
; %bb.3:
	global_load_dword v8, v[4:5], off offset:128
	global_load_dword v12, v[2:3], off offset:128
.LBB609_4:
	s_or_b32 exec_lo, exec_lo, s1
	v_or_b32_e32 v11, 64, v6
	v_mov_b32_e32 v13, 0
	v_mov_b32_e32 v14, 0
	v_cmp_gt_i32_e64 s1, s10, v11
	v_mov_b32_e32 v11, 0
	s_and_b32 s4, s3, s1
	s_and_saveexec_b32 s2, s4
	s_cbranch_execz .LBB609_6
; %bb.5:
	global_load_dword v13, v[4:5], off offset:256
	global_load_dword v14, v[2:3], off offset:256
.LBB609_6:
	s_or_b32 exec_lo, exec_lo, s2
	v_or_b32_e32 v6, 0x60, v6
	v_mov_b32_e32 v15, 0
	v_cmp_gt_i32_e64 s2, s10, v6
	s_and_b32 s5, s3, s2
	s_and_saveexec_b32 s4, s5
	s_cbranch_execz .LBB609_8
; %bb.7:
	global_load_dword v11, v[4:5], off offset:384
	global_load_dword v15, v[2:3], off offset:384
.LBB609_8:
	s_or_b32 exec_lo, exec_lo, s4
	v_cmp_lt_i32_e64 s4, 1, v7
	v_mov_b32_e32 v6, 0
	v_mov_b32_e32 v16, 0
	v_mov_b32_e32 v17, 0
	s_and_b32 s5, s4, vcc_lo
	s_and_saveexec_b32 s6, s5
	s_cbranch_execz .LBB609_10
; %bb.9:
	s_mov_b32 s11, 0
	s_lshl_b64 s[8:9], s[10:11], 2
	v_add_co_u32 v16, s5, v4, s8
	v_add_co_ci_u32_e64 v17, null, s9, v5, s5
	v_add_co_u32 v18, s5, v2, s8
	v_add_co_ci_u32_e64 v19, null, s9, v3, s5
	global_load_dword v16, v[16:17], off
	global_load_dword v17, v[18:19], off
.LBB609_10:
	s_or_b32 exec_lo, exec_lo, s6
	v_mov_b32_e32 v19, 0
	s_and_b32 s5, s4, s0
	s_and_saveexec_b32 s6, s5
	s_cbranch_execz .LBB609_12
; %bb.11:
	s_mov_b32 s11, 0
	s_lshl_b64 s[8:9], s[10:11], 2
	v_add_co_u32 v18, s5, v4, s8
	v_add_co_ci_u32_e64 v19, null, s9, v5, s5
	v_add_co_u32 v20, s5, v2, s8
	v_add_co_ci_u32_e64 v21, null, s9, v3, s5
	global_load_dword v6, v[18:19], off offset:128
	global_load_dword v19, v[20:21], off offset:128
.LBB609_12:
	s_or_b32 exec_lo, exec_lo, s6
	v_mov_b32_e32 v18, 0
	v_mov_b32_e32 v20, 0
	;; [unrolled: 1-line block ×3, first 2 shown]
	s_and_b32 s5, s4, s1
	s_and_saveexec_b32 s6, s5
	s_cbranch_execz .LBB609_14
; %bb.13:
	s_mov_b32 s11, 0
	s_lshl_b64 s[8:9], s[10:11], 2
	v_add_co_u32 v20, s5, v4, s8
	v_add_co_ci_u32_e64 v21, null, s9, v5, s5
	v_add_co_u32 v22, s5, v2, s8
	v_add_co_ci_u32_e64 v23, null, s9, v3, s5
	global_load_dword v20, v[20:21], off offset:256
	global_load_dword v21, v[22:23], off offset:256
.LBB609_14:
	s_or_b32 exec_lo, exec_lo, s6
	v_mov_b32_e32 v22, 0
	s_and_b32 s4, s4, s2
	s_and_saveexec_b32 s5, s4
	s_cbranch_execz .LBB609_16
; %bb.15:
	s_mov_b32 s11, 0
	s_lshl_b64 s[6:7], s[10:11], 2
	v_add_co_u32 v4, s4, v4, s6
	v_add_co_ci_u32_e64 v5, null, s7, v5, s4
	v_add_co_u32 v2, s4, v2, s6
	v_add_co_ci_u32_e64 v3, null, s7, v3, s4
	global_load_dword v18, v[4:5], off offset:384
	global_load_dword v22, v[2:3], off offset:384
.LBB609_16:
	s_or_b32 exec_lo, exec_lo, s5
	v_mbcnt_lo_u32_b32 v3, -1, 0
	s_waitcnt vmcnt(1)
	v_add_f32_e32 v2, 0, v9
	v_add_f32_e32 v4, 0, v16
	v_xor_b32_e32 v5, 16, v3
	v_add_f32_e32 v2, v2, v8
	v_add_f32_e32 v4, v4, v6
	v_xor_b32_e32 v24, 8, v3
	v_cmp_gt_i32_e64 s4, 32, v5
	v_add_f32_e32 v2, v2, v13
	v_add_f32_e32 v4, v4, v20
	v_cndmask_b32_e64 v5, v3, v5, s4
	v_add_f32_e32 v2, v2, v11
	v_add_f32_e32 v4, v4, v18
	v_cmp_gt_i32_e64 s4, 32, v24
	v_lshlrev_b32_e32 v5, 2, v5
	v_cndmask_b32_e64 v24, v3, v24, s4
	ds_bpermute_b32 v23, v5, v2
	ds_bpermute_b32 v5, v5, v4
	v_lshlrev_b32_e32 v24, 2, v24
	s_waitcnt lgkmcnt(1)
	v_add_f32_e32 v2, v2, v23
	s_waitcnt lgkmcnt(0)
	v_add_f32_e32 v4, v4, v5
	ds_bpermute_b32 v5, v24, v2
	ds_bpermute_b32 v23, v24, v4
	v_xor_b32_e32 v24, 4, v3
	v_cmp_gt_i32_e64 s4, 32, v24
	v_cndmask_b32_e64 v24, v3, v24, s4
	v_lshlrev_b32_e32 v24, 2, v24
	s_waitcnt lgkmcnt(1)
	v_add_f32_e32 v2, v2, v5
	s_waitcnt lgkmcnt(0)
	v_add_f32_e32 v4, v4, v23
	ds_bpermute_b32 v5, v24, v2
	ds_bpermute_b32 v23, v24, v4
	v_xor_b32_e32 v24, 2, v3
	v_cmp_gt_i32_e64 s4, 32, v24
	v_cndmask_b32_e64 v24, v3, v24, s4
	;; [unrolled: 10-line block ×3, first 2 shown]
	v_lshlrev_b32_e32 v3, 2, v3
	s_waitcnt lgkmcnt(1)
	v_add_f32_e32 v4, v2, v4
	s_waitcnt lgkmcnt(0)
	v_add_f32_e32 v2, v5, v23
	ds_bpermute_b32 v5, v3, v4
	ds_bpermute_b32 v3, v3, v2
	s_and_saveexec_b32 s4, s3
	s_cbranch_execz .LBB609_22
; %bb.17:
	v_lshlrev_b64 v[0:1], 1, v[0:1]
	s_waitcnt lgkmcnt(1)
	v_add_f32_e32 v4, v4, v5
	v_add_co_u32 v0, s3, s12, v0
	v_add_co_ci_u32_e64 v1, null, s13, v1, s3
	s_and_saveexec_b32 s3, vcc_lo
	s_cbranch_execnz .LBB609_23
; %bb.18:
	s_or_b32 exec_lo, exec_lo, s3
	s_and_saveexec_b32 s3, s0
	s_cbranch_execnz .LBB609_24
.LBB609_19:
	s_or_b32 exec_lo, exec_lo, s3
	s_and_saveexec_b32 s3, s1
	s_cbranch_execnz .LBB609_25
.LBB609_20:
	s_or_b32 exec_lo, exec_lo, s3
	s_and_saveexec_b32 s3, s2
	s_cbranch_execnz .LBB609_26
.LBB609_21:
	s_or_b32 exec_lo, exec_lo, s3
	v_cmp_ne_u32_e64 s3, 1, v7
	s_and_b32 exec_lo, exec_lo, s3
	s_cbranch_execnz .LBB609_27
.LBB609_22:
	s_endpgm
.LBB609_23:
	s_waitcnt vmcnt(0)
	v_fma_mixlo_f16 v5, -v4, v10, v9
	global_store_short v[0:1], v5, off
	s_or_b32 exec_lo, exec_lo, s3
	s_and_saveexec_b32 s3, s0
	s_cbranch_execz .LBB609_19
.LBB609_24:
	s_waitcnt vmcnt(0)
	v_fma_mixlo_f16 v5, -v4, v12, v8
	global_store_short v[0:1], v5, off offset:64
	s_or_b32 exec_lo, exec_lo, s3
	s_and_saveexec_b32 s3, s1
	s_cbranch_execz .LBB609_20
.LBB609_25:
	s_waitcnt vmcnt(0)
	v_fma_mixlo_f16 v5, -v4, v14, v13
	global_store_short v[0:1], v5, off offset:128
	s_or_b32 exec_lo, exec_lo, s3
	s_and_saveexec_b32 s3, s2
	s_cbranch_execz .LBB609_21
.LBB609_26:
	s_waitcnt vmcnt(0)
	v_fma_mixlo_f16 v4, -v4, v15, v11
	global_store_short v[0:1], v4, off offset:192
	s_or_b32 exec_lo, exec_lo, s3
	v_cmp_ne_u32_e64 s3, 1, v7
	s_and_b32 exec_lo, exec_lo, s3
	s_cbranch_execz .LBB609_22
.LBB609_27:
	s_waitcnt lgkmcnt(0)
	v_add_f32_e32 v2, v2, v3
	s_and_saveexec_b32 s3, vcc_lo
	s_cbranch_execnz .LBB609_31
; %bb.28:
	s_or_b32 exec_lo, exec_lo, s3
	s_and_saveexec_b32 s3, s0
	s_cbranch_execnz .LBB609_32
.LBB609_29:
	s_or_b32 exec_lo, exec_lo, s3
	s_and_saveexec_b32 s0, s1
	s_cbranch_execnz .LBB609_33
.LBB609_30:
	s_or_b32 exec_lo, exec_lo, s0
	s_and_b32 exec_lo, exec_lo, s2
	s_cbranch_execz .LBB609_22
	s_branch .LBB609_34
.LBB609_31:
	s_mov_b32 s11, 0
	s_waitcnt vmcnt(0)
	v_fma_mixlo_f16 v5, -v2, v17, v16
	s_lshl_b64 s[4:5], s[10:11], 1
	v_add_co_u32 v3, vcc_lo, v0, s4
	v_add_co_ci_u32_e64 v4, null, s5, v1, vcc_lo
	global_store_short v[3:4], v5, off
	s_or_b32 exec_lo, exec_lo, s3
	s_and_saveexec_b32 s3, s0
	s_cbranch_execz .LBB609_29
.LBB609_32:
	s_mov_b32 s11, 0
	s_waitcnt vmcnt(0)
	v_fma_mixlo_f16 v5, -v2, v19, v6
	s_lshl_b64 s[4:5], s[10:11], 1
	v_add_co_u32 v3, vcc_lo, v0, s4
	v_add_co_ci_u32_e64 v4, null, s5, v1, vcc_lo
	global_store_short v[3:4], v5, off offset:64
	s_or_b32 exec_lo, exec_lo, s3
	s_and_saveexec_b32 s0, s1
	s_cbranch_execz .LBB609_30
.LBB609_33:
	s_mov_b32 s11, 0
	s_waitcnt vmcnt(0)
	v_fma_mixlo_f16 v5, -v2, v21, v20
	s_lshl_b64 s[4:5], s[10:11], 1
	v_add_co_u32 v3, vcc_lo, v0, s4
	v_add_co_ci_u32_e64 v4, null, s5, v1, vcc_lo
	global_store_short v[3:4], v5, off offset:128
	s_or_b32 exec_lo, exec_lo, s0
	s_and_b32 exec_lo, exec_lo, s2
	s_cbranch_execz .LBB609_22
.LBB609_34:
	s_mov_b32 s11, 0
	s_waitcnt vmcnt(0)
	v_fma_mixlo_f16 v2, -v2, v22, v18
	s_lshl_b64 s[0:1], s[10:11], 1
	v_add_co_u32 v0, vcc_lo, v0, s0
	v_add_co_ci_u32_e64 v1, null, s1, v1, vcc_lo
	global_store_short v[0:1], v2, off offset:192
	s_endpgm
	.section	.rodata,"a",@progbits
	.p2align	6, 0x0
	.amdhsa_kernel _ZN12_GLOBAL__N_121softmax_warp_backwardIfN3c104HalfEfLi7ELb0ELb0ELi32EEEvPT0_PKT_S7_iiiPKb
		.amdhsa_group_segment_fixed_size 0
		.amdhsa_private_segment_fixed_size 0
		.amdhsa_kernarg_size 304
		.amdhsa_user_sgpr_count 6
		.amdhsa_user_sgpr_private_segment_buffer 1
		.amdhsa_user_sgpr_dispatch_ptr 0
		.amdhsa_user_sgpr_queue_ptr 0
		.amdhsa_user_sgpr_kernarg_segment_ptr 1
		.amdhsa_user_sgpr_dispatch_id 0
		.amdhsa_user_sgpr_flat_scratch_init 0
		.amdhsa_user_sgpr_private_segment_size 0
		.amdhsa_wavefront_size32 1
		.amdhsa_uses_dynamic_stack 0
		.amdhsa_system_sgpr_private_segment_wavefront_offset 0
		.amdhsa_system_sgpr_workgroup_id_x 1
		.amdhsa_system_sgpr_workgroup_id_y 0
		.amdhsa_system_sgpr_workgroup_id_z 0
		.amdhsa_system_sgpr_workgroup_info 0
		.amdhsa_system_vgpr_workitem_id 1
		.amdhsa_next_free_vgpr 25
		.amdhsa_next_free_sgpr 16
		.amdhsa_reserve_vcc 1
		.amdhsa_reserve_flat_scratch 0
		.amdhsa_float_round_mode_32 0
		.amdhsa_float_round_mode_16_64 0
		.amdhsa_float_denorm_mode_32 3
		.amdhsa_float_denorm_mode_16_64 3
		.amdhsa_dx10_clamp 1
		.amdhsa_ieee_mode 1
		.amdhsa_fp16_overflow 0
		.amdhsa_workgroup_processor_mode 1
		.amdhsa_memory_ordered 1
		.amdhsa_forward_progress 1
		.amdhsa_shared_vgpr_count 0
		.amdhsa_exception_fp_ieee_invalid_op 0
		.amdhsa_exception_fp_denorm_src 0
		.amdhsa_exception_fp_ieee_div_zero 0
		.amdhsa_exception_fp_ieee_overflow 0
		.amdhsa_exception_fp_ieee_underflow 0
		.amdhsa_exception_fp_ieee_inexact 0
		.amdhsa_exception_int_div_zero 0
	.end_amdhsa_kernel
	.section	.text._ZN12_GLOBAL__N_121softmax_warp_backwardIfN3c104HalfEfLi7ELb0ELb0ELi32EEEvPT0_PKT_S7_iiiPKb,"axG",@progbits,_ZN12_GLOBAL__N_121softmax_warp_backwardIfN3c104HalfEfLi7ELb0ELb0ELi32EEEvPT0_PKT_S7_iiiPKb,comdat
.Lfunc_end609:
	.size	_ZN12_GLOBAL__N_121softmax_warp_backwardIfN3c104HalfEfLi7ELb0ELb0ELi32EEEvPT0_PKT_S7_iiiPKb, .Lfunc_end609-_ZN12_GLOBAL__N_121softmax_warp_backwardIfN3c104HalfEfLi7ELb0ELb0ELi32EEEvPT0_PKT_S7_iiiPKb
                                        ; -- End function
	.set _ZN12_GLOBAL__N_121softmax_warp_backwardIfN3c104HalfEfLi7ELb0ELb0ELi32EEEvPT0_PKT_S7_iiiPKb.num_vgpr, 25
	.set _ZN12_GLOBAL__N_121softmax_warp_backwardIfN3c104HalfEfLi7ELb0ELb0ELi32EEEvPT0_PKT_S7_iiiPKb.num_agpr, 0
	.set _ZN12_GLOBAL__N_121softmax_warp_backwardIfN3c104HalfEfLi7ELb0ELb0ELi32EEEvPT0_PKT_S7_iiiPKb.numbered_sgpr, 16
	.set _ZN12_GLOBAL__N_121softmax_warp_backwardIfN3c104HalfEfLi7ELb0ELb0ELi32EEEvPT0_PKT_S7_iiiPKb.num_named_barrier, 0
	.set _ZN12_GLOBAL__N_121softmax_warp_backwardIfN3c104HalfEfLi7ELb0ELb0ELi32EEEvPT0_PKT_S7_iiiPKb.private_seg_size, 0
	.set _ZN12_GLOBAL__N_121softmax_warp_backwardIfN3c104HalfEfLi7ELb0ELb0ELi32EEEvPT0_PKT_S7_iiiPKb.uses_vcc, 1
	.set _ZN12_GLOBAL__N_121softmax_warp_backwardIfN3c104HalfEfLi7ELb0ELb0ELi32EEEvPT0_PKT_S7_iiiPKb.uses_flat_scratch, 0
	.set _ZN12_GLOBAL__N_121softmax_warp_backwardIfN3c104HalfEfLi7ELb0ELb0ELi32EEEvPT0_PKT_S7_iiiPKb.has_dyn_sized_stack, 0
	.set _ZN12_GLOBAL__N_121softmax_warp_backwardIfN3c104HalfEfLi7ELb0ELb0ELi32EEEvPT0_PKT_S7_iiiPKb.has_recursion, 0
	.set _ZN12_GLOBAL__N_121softmax_warp_backwardIfN3c104HalfEfLi7ELb0ELb0ELi32EEEvPT0_PKT_S7_iiiPKb.has_indirect_call, 0
	.section	.AMDGPU.csdata,"",@progbits
; Kernel info:
; codeLenInByte = 1492
; TotalNumSgprs: 18
; NumVgprs: 25
; ScratchSize: 0
; MemoryBound: 0
; FloatMode: 240
; IeeeMode: 1
; LDSByteSize: 0 bytes/workgroup (compile time only)
; SGPRBlocks: 0
; VGPRBlocks: 3
; NumSGPRsForWavesPerEU: 18
; NumVGPRsForWavesPerEU: 25
; Occupancy: 16
; WaveLimiterHint : 0
; COMPUTE_PGM_RSRC2:SCRATCH_EN: 0
; COMPUTE_PGM_RSRC2:USER_SGPR: 6
; COMPUTE_PGM_RSRC2:TRAP_HANDLER: 0
; COMPUTE_PGM_RSRC2:TGID_X_EN: 1
; COMPUTE_PGM_RSRC2:TGID_Y_EN: 0
; COMPUTE_PGM_RSRC2:TGID_Z_EN: 0
; COMPUTE_PGM_RSRC2:TIDIG_COMP_CNT: 1
	.section	.text._ZN12_GLOBAL__N_121softmax_warp_backwardIfN3c104HalfEfLi8ELb0ELb0ELi64EEEvPT0_PKT_S7_iiiPKb,"axG",@progbits,_ZN12_GLOBAL__N_121softmax_warp_backwardIfN3c104HalfEfLi8ELb0ELb0ELi64EEEvPT0_PKT_S7_iiiPKb,comdat
	.globl	_ZN12_GLOBAL__N_121softmax_warp_backwardIfN3c104HalfEfLi8ELb0ELb0ELi64EEEvPT0_PKT_S7_iiiPKb ; -- Begin function _ZN12_GLOBAL__N_121softmax_warp_backwardIfN3c104HalfEfLi8ELb0ELb0ELi64EEEvPT0_PKT_S7_iiiPKb
	.p2align	8
	.type	_ZN12_GLOBAL__N_121softmax_warp_backwardIfN3c104HalfEfLi8ELb0ELb0ELi64EEEvPT0_PKT_S7_iiiPKb,@function
_ZN12_GLOBAL__N_121softmax_warp_backwardIfN3c104HalfEfLi8ELb0ELb0ELi64EEEvPT0_PKT_S7_iiiPKb: ; @_ZN12_GLOBAL__N_121softmax_warp_backwardIfN3c104HalfEfLi8ELb0ELb0ELi64EEEvPT0_PKT_S7_iiiPKb
; %bb.0:
	s_clause 0x1
	s_load_dword s7, s[4:5], 0x3c
	s_load_dwordx4 s[0:3], s[4:5], 0x18
	v_and_b32_e32 v6, 63, v0
	s_clause 0x1
	s_load_dwordx4 s[8:11], s[4:5], 0x0
	s_load_dwordx2 s[4:5], s[4:5], 0x10
	v_mov_b32_e32 v9, 0
	s_waitcnt lgkmcnt(0)
	s_lshr_b32 s3, s7, 16
	v_cmp_gt_i32_e32 vcc_lo, s2, v6
	v_mad_u64_u32 v[2:3], null, s6, s3, v[1:2]
	v_mad_u64_u32 v[0:1], null, v2, s1, v[6:7]
	v_sub_nc_u32_e32 v8, s0, v2
	v_mov_b32_e32 v7, 0
	v_cmp_lt_i32_e64 s3, 0, v8
	v_ashrrev_i32_e32 v1, 31, v0
	s_and_b32 s1, s3, vcc_lo
	v_lshlrev_b64 v[4:5], 2, v[0:1]
	v_add_co_u32 v2, s0, s10, v4
	v_add_co_ci_u32_e64 v3, null, s11, v5, s0
	v_add_co_u32 v4, s0, s4, v4
	v_add_co_ci_u32_e64 v5, null, s5, v5, s0
	s_and_saveexec_b32 s0, s1
	s_cbranch_execz .LBB610_2
; %bb.1:
	global_load_dword v9, v[2:3], off
	global_load_dword v7, v[4:5], off
.LBB610_2:
	s_or_b32 exec_lo, exec_lo, s0
	v_or_b32_e32 v10, 64, v6
	v_cmp_gt_i32_e64 s0, s2, v10
	s_and_b32 s1, s3, s0
	s_xor_b32 s1, s1, -1
	s_and_saveexec_b32 s4, s1
	s_xor_b32 s1, exec_lo, s4
                                        ; implicit-def: $vgpr11
                                        ; implicit-def: $vgpr12
                                        ; implicit-def: $vgpr10
; %bb.3:
	s_mov_b32 s4, 0
                                        ; implicit-def: $vgpr11
                                        ; implicit-def: $vgpr10
	v_mov_b32_e32 v12, s4
; %bb.4:
	s_or_saveexec_b32 s1, s1
	v_mov_b32_e32 v13, 0
	s_xor_b32 exec_lo, exec_lo, s1
	s_cbranch_execz .LBB610_6
; %bb.5:
	global_load_dword v12, v[2:3], off offset:256
	global_load_dword v13, v[4:5], off offset:256
.LBB610_6:
	s_or_b32 exec_lo, exec_lo, s1
	v_or_b32_e32 v14, 0x80, v6
	v_cmp_gt_i32_e64 s1, s2, v14
	s_and_b32 s4, s3, s1
	s_xor_b32 s4, s4, -1
	s_and_saveexec_b32 s5, s4
	s_xor_b32 s4, exec_lo, s5
; %bb.7:
	s_mov_b32 s5, 0
	v_mov_b32_e32 v11, s5
; %bb.8:
	s_or_saveexec_b32 s4, s4
	v_mov_b32_e32 v14, 0
	s_xor_b32 exec_lo, exec_lo, s4
	s_cbranch_execz .LBB610_10
; %bb.9:
	global_load_dword v11, v[2:3], off offset:512
	global_load_dword v14, v[4:5], off offset:512
.LBB610_10:
	s_or_b32 exec_lo, exec_lo, s4
	v_or_b32_e32 v6, 0xc0, v6
	v_cmp_gt_i32_e64 s2, s2, v6
	s_and_b32 s3, s3, s2
	s_xor_b32 s3, s3, -1
	s_and_saveexec_b32 s4, s3
	s_xor_b32 s3, exec_lo, s4
; %bb.11:
	s_mov_b32 s4, 0
                                        ; implicit-def: $vgpr2_vgpr3
                                        ; implicit-def: $vgpr4_vgpr5
	v_mov_b32_e32 v10, s4
; %bb.12:
	s_or_saveexec_b32 s3, s3
	v_mov_b32_e32 v6, 0
	s_xor_b32 exec_lo, exec_lo, s3
	s_cbranch_execz .LBB610_14
; %bb.13:
	global_load_dword v10, v[2:3], off offset:768
	global_load_dword v6, v[4:5], off offset:768
.LBB610_14:
	s_or_b32 exec_lo, exec_lo, s3
	v_mbcnt_lo_u32_b32 v3, -1, 0
	s_waitcnt vmcnt(1)
	v_add_f32_e32 v2, 0, v9
	s_mov_b32 s4, exec_lo
	v_or_b32_e32 v4, 32, v3
	v_add_f32_e32 v2, v2, v12
	v_xor_b32_e32 v5, 16, v3
	v_cmp_gt_i32_e64 s3, 64, v4
	v_add_f32_e32 v2, v2, v11
	v_cndmask_b32_e64 v4, v3, v4, s3
	v_add_f32_e32 v2, v2, v10
	v_cmp_gt_i32_e64 s3, 64, v5
	v_lshlrev_b32_e32 v4, 2, v4
	v_cndmask_b32_e64 v5, v3, v5, s3
	ds_bpermute_b32 v4, v4, v2
	v_lshlrev_b32_e32 v5, 2, v5
	s_waitcnt lgkmcnt(0)
	v_add_f32_e32 v2, v2, v4
	ds_bpermute_b32 v4, v5, v2
	v_xor_b32_e32 v5, 8, v3
	v_cmp_gt_i32_e64 s3, 64, v5
	v_cndmask_b32_e64 v5, v3, v5, s3
	v_lshlrev_b32_e32 v5, 2, v5
	s_waitcnt lgkmcnt(0)
	v_add_f32_e32 v2, v2, v4
	ds_bpermute_b32 v4, v5, v2
	v_xor_b32_e32 v5, 4, v3
	v_cmp_gt_i32_e64 s3, 64, v5
	v_cndmask_b32_e64 v5, v3, v5, s3
	;; [unrolled: 7-line block ×4, first 2 shown]
	v_lshlrev_b32_e32 v3, 2, v3
	s_waitcnt lgkmcnt(0)
	v_add_f32_e32 v2, v2, v4
	ds_bpermute_b32 v3, v3, v2
	v_cmpx_lt_i32_e32 0, v8
	s_cbranch_execz .LBB610_20
; %bb.15:
	v_lshlrev_b64 v[0:1], 1, v[0:1]
	s_waitcnt lgkmcnt(0)
	v_add_f32_e32 v2, v2, v3
	v_add_co_u32 v0, s3, s8, v0
	v_add_co_ci_u32_e64 v1, null, s9, v1, s3
	s_and_saveexec_b32 s3, vcc_lo
	s_cbranch_execnz .LBB610_21
; %bb.16:
	s_or_b32 exec_lo, exec_lo, s3
	s_and_saveexec_b32 s3, s0
	s_cbranch_execnz .LBB610_22
.LBB610_17:
	s_or_b32 exec_lo, exec_lo, s3
	s_and_saveexec_b32 s0, s1
	s_cbranch_execnz .LBB610_23
.LBB610_18:
	s_or_b32 exec_lo, exec_lo, s0
	s_and_b32 exec_lo, exec_lo, s2
	s_cbranch_execz .LBB610_20
.LBB610_19:
	s_waitcnt vmcnt(0)
	v_fma_mixlo_f16 v2, -v2, v6, v10
	global_store_short v[0:1], v2, off offset:384
.LBB610_20:
	s_endpgm
.LBB610_21:
	s_waitcnt vmcnt(0)
	v_fma_mixlo_f16 v3, -v2, v7, v9
	global_store_short v[0:1], v3, off
	s_or_b32 exec_lo, exec_lo, s3
	s_and_saveexec_b32 s3, s0
	s_cbranch_execz .LBB610_17
.LBB610_22:
	s_waitcnt vmcnt(0)
	v_fma_mixlo_f16 v3, -v2, v13, v12
	global_store_short v[0:1], v3, off offset:128
	s_or_b32 exec_lo, exec_lo, s3
	s_and_saveexec_b32 s0, s1
	s_cbranch_execz .LBB610_18
.LBB610_23:
	s_waitcnt vmcnt(0)
	v_fma_mixlo_f16 v3, -v2, v14, v11
	global_store_short v[0:1], v3, off offset:256
	s_or_b32 exec_lo, exec_lo, s0
	s_and_b32 exec_lo, exec_lo, s2
	s_cbranch_execnz .LBB610_19
	s_branch .LBB610_20
	.section	.rodata,"a",@progbits
	.p2align	6, 0x0
	.amdhsa_kernel _ZN12_GLOBAL__N_121softmax_warp_backwardIfN3c104HalfEfLi8ELb0ELb0ELi64EEEvPT0_PKT_S7_iiiPKb
		.amdhsa_group_segment_fixed_size 0
		.amdhsa_private_segment_fixed_size 0
		.amdhsa_kernarg_size 304
		.amdhsa_user_sgpr_count 6
		.amdhsa_user_sgpr_private_segment_buffer 1
		.amdhsa_user_sgpr_dispatch_ptr 0
		.amdhsa_user_sgpr_queue_ptr 0
		.amdhsa_user_sgpr_kernarg_segment_ptr 1
		.amdhsa_user_sgpr_dispatch_id 0
		.amdhsa_user_sgpr_flat_scratch_init 0
		.amdhsa_user_sgpr_private_segment_size 0
		.amdhsa_wavefront_size32 1
		.amdhsa_uses_dynamic_stack 0
		.amdhsa_system_sgpr_private_segment_wavefront_offset 0
		.amdhsa_system_sgpr_workgroup_id_x 1
		.amdhsa_system_sgpr_workgroup_id_y 0
		.amdhsa_system_sgpr_workgroup_id_z 0
		.amdhsa_system_sgpr_workgroup_info 0
		.amdhsa_system_vgpr_workitem_id 1
		.amdhsa_next_free_vgpr 15
		.amdhsa_next_free_sgpr 12
		.amdhsa_reserve_vcc 1
		.amdhsa_reserve_flat_scratch 0
		.amdhsa_float_round_mode_32 0
		.amdhsa_float_round_mode_16_64 0
		.amdhsa_float_denorm_mode_32 3
		.amdhsa_float_denorm_mode_16_64 3
		.amdhsa_dx10_clamp 1
		.amdhsa_ieee_mode 1
		.amdhsa_fp16_overflow 0
		.amdhsa_workgroup_processor_mode 1
		.amdhsa_memory_ordered 1
		.amdhsa_forward_progress 1
		.amdhsa_shared_vgpr_count 0
		.amdhsa_exception_fp_ieee_invalid_op 0
		.amdhsa_exception_fp_denorm_src 0
		.amdhsa_exception_fp_ieee_div_zero 0
		.amdhsa_exception_fp_ieee_overflow 0
		.amdhsa_exception_fp_ieee_underflow 0
		.amdhsa_exception_fp_ieee_inexact 0
		.amdhsa_exception_int_div_zero 0
	.end_amdhsa_kernel
	.section	.text._ZN12_GLOBAL__N_121softmax_warp_backwardIfN3c104HalfEfLi8ELb0ELb0ELi64EEEvPT0_PKT_S7_iiiPKb,"axG",@progbits,_ZN12_GLOBAL__N_121softmax_warp_backwardIfN3c104HalfEfLi8ELb0ELb0ELi64EEEvPT0_PKT_S7_iiiPKb,comdat
.Lfunc_end610:
	.size	_ZN12_GLOBAL__N_121softmax_warp_backwardIfN3c104HalfEfLi8ELb0ELb0ELi64EEEvPT0_PKT_S7_iiiPKb, .Lfunc_end610-_ZN12_GLOBAL__N_121softmax_warp_backwardIfN3c104HalfEfLi8ELb0ELb0ELi64EEEvPT0_PKT_S7_iiiPKb
                                        ; -- End function
	.set _ZN12_GLOBAL__N_121softmax_warp_backwardIfN3c104HalfEfLi8ELb0ELb0ELi64EEEvPT0_PKT_S7_iiiPKb.num_vgpr, 15
	.set _ZN12_GLOBAL__N_121softmax_warp_backwardIfN3c104HalfEfLi8ELb0ELb0ELi64EEEvPT0_PKT_S7_iiiPKb.num_agpr, 0
	.set _ZN12_GLOBAL__N_121softmax_warp_backwardIfN3c104HalfEfLi8ELb0ELb0ELi64EEEvPT0_PKT_S7_iiiPKb.numbered_sgpr, 12
	.set _ZN12_GLOBAL__N_121softmax_warp_backwardIfN3c104HalfEfLi8ELb0ELb0ELi64EEEvPT0_PKT_S7_iiiPKb.num_named_barrier, 0
	.set _ZN12_GLOBAL__N_121softmax_warp_backwardIfN3c104HalfEfLi8ELb0ELb0ELi64EEEvPT0_PKT_S7_iiiPKb.private_seg_size, 0
	.set _ZN12_GLOBAL__N_121softmax_warp_backwardIfN3c104HalfEfLi8ELb0ELb0ELi64EEEvPT0_PKT_S7_iiiPKb.uses_vcc, 1
	.set _ZN12_GLOBAL__N_121softmax_warp_backwardIfN3c104HalfEfLi8ELb0ELb0ELi64EEEvPT0_PKT_S7_iiiPKb.uses_flat_scratch, 0
	.set _ZN12_GLOBAL__N_121softmax_warp_backwardIfN3c104HalfEfLi8ELb0ELb0ELi64EEEvPT0_PKT_S7_iiiPKb.has_dyn_sized_stack, 0
	.set _ZN12_GLOBAL__N_121softmax_warp_backwardIfN3c104HalfEfLi8ELb0ELb0ELi64EEEvPT0_PKT_S7_iiiPKb.has_recursion, 0
	.set _ZN12_GLOBAL__N_121softmax_warp_backwardIfN3c104HalfEfLi8ELb0ELb0ELi64EEEvPT0_PKT_S7_iiiPKb.has_indirect_call, 0
	.section	.AMDGPU.csdata,"",@progbits
; Kernel info:
; codeLenInByte = 864
; TotalNumSgprs: 14
; NumVgprs: 15
; ScratchSize: 0
; MemoryBound: 0
; FloatMode: 240
; IeeeMode: 1
; LDSByteSize: 0 bytes/workgroup (compile time only)
; SGPRBlocks: 0
; VGPRBlocks: 1
; NumSGPRsForWavesPerEU: 14
; NumVGPRsForWavesPerEU: 15
; Occupancy: 16
; WaveLimiterHint : 0
; COMPUTE_PGM_RSRC2:SCRATCH_EN: 0
; COMPUTE_PGM_RSRC2:USER_SGPR: 6
; COMPUTE_PGM_RSRC2:TRAP_HANDLER: 0
; COMPUTE_PGM_RSRC2:TGID_X_EN: 1
; COMPUTE_PGM_RSRC2:TGID_Y_EN: 0
; COMPUTE_PGM_RSRC2:TGID_Z_EN: 0
; COMPUTE_PGM_RSRC2:TIDIG_COMP_CNT: 1
	.section	.text._ZN12_GLOBAL__N_121softmax_warp_backwardIfN3c104HalfEfLi8ELb0ELb0ELi32EEEvPT0_PKT_S7_iiiPKb,"axG",@progbits,_ZN12_GLOBAL__N_121softmax_warp_backwardIfN3c104HalfEfLi8ELb0ELb0ELi32EEEvPT0_PKT_S7_iiiPKb,comdat
	.globl	_ZN12_GLOBAL__N_121softmax_warp_backwardIfN3c104HalfEfLi8ELb0ELb0ELi32EEEvPT0_PKT_S7_iiiPKb ; -- Begin function _ZN12_GLOBAL__N_121softmax_warp_backwardIfN3c104HalfEfLi8ELb0ELb0ELi32EEEvPT0_PKT_S7_iiiPKb
	.p2align	8
	.type	_ZN12_GLOBAL__N_121softmax_warp_backwardIfN3c104HalfEfLi8ELb0ELb0ELi32EEEvPT0_PKT_S7_iiiPKb,@function
_ZN12_GLOBAL__N_121softmax_warp_backwardIfN3c104HalfEfLi8ELb0ELb0ELi32EEEvPT0_PKT_S7_iiiPKb: ; @_ZN12_GLOBAL__N_121softmax_warp_backwardIfN3c104HalfEfLi8ELb0ELb0ELi32EEEvPT0_PKT_S7_iiiPKb
; %bb.0:
	s_clause 0x1
	s_load_dword s0, s[4:5], 0x3c
	s_load_dwordx4 s[12:15], s[4:5], 0x18
	v_and_b32_e32 v6, 31, v0
	s_clause 0x1
	s_load_dwordx4 s[8:11], s[4:5], 0x0
	s_load_dwordx2 s[4:5], s[4:5], 0x10
	v_mov_b32_e32 v10, 0
	v_mov_b32_e32 v13, 0
	s_waitcnt lgkmcnt(0)
	s_lshr_b32 s0, s0, 16
	v_cmp_gt_i32_e32 vcc_lo, s14, v6
	v_mad_u64_u32 v[2:3], null, s6, s0, v[1:2]
	v_mad_u64_u32 v[0:1], null, v2, s13, v[6:7]
	v_sub_nc_u32_e32 v11, s12, v2
	v_cmp_lt_i32_e64 s3, 0, v11
	v_ashrrev_i32_e32 v1, 31, v0
	s_and_b32 s1, s3, vcc_lo
	v_lshlrev_b64 v[4:5], 2, v[0:1]
	v_add_co_u32 v2, s0, s10, v4
	v_add_co_ci_u32_e64 v3, null, s11, v5, s0
	v_add_co_u32 v4, s0, s4, v4
	v_add_co_ci_u32_e64 v5, null, s5, v5, s0
	s_and_saveexec_b32 s0, s1
	s_cbranch_execz .LBB611_2
; %bb.1:
	global_load_dword v13, v[2:3], off
	global_load_dword v10, v[4:5], off
.LBB611_2:
	s_or_b32 exec_lo, exec_lo, s0
	v_or_b32_e32 v7, 32, v6
	v_cmp_gt_i32_e64 s0, s14, v7
	s_and_b32 s1, s3, s0
	s_xor_b32 s1, s1, -1
	s_and_saveexec_b32 s2, s1
	s_xor_b32 s1, exec_lo, s2
                                        ; implicit-def: $vgpr7
                                        ; implicit-def: $vgpr9
                                        ; implicit-def: $vgpr12
                                        ; implicit-def: $vgpr14
                                        ; implicit-def: $vgpr15
                                        ; implicit-def: $vgpr16
                                        ; implicit-def: $vgpr8
; %bb.3:
	s_mov_b32 s2, 0
                                        ; implicit-def: $vgpr7
                                        ; implicit-def: $vgpr9
                                        ; implicit-def: $vgpr12
                                        ; implicit-def: $vgpr14
                                        ; implicit-def: $vgpr15
                                        ; implicit-def: $vgpr8
	v_mov_b32_e32 v16, s2
; %bb.4:
	s_or_saveexec_b32 s1, s1
	v_mov_b32_e32 v17, 0
	s_xor_b32 exec_lo, exec_lo, s1
	s_cbranch_execz .LBB611_6
; %bb.5:
	global_load_dword v16, v[2:3], off offset:128
	global_load_dword v17, v[4:5], off offset:128
.LBB611_6:
	s_or_b32 exec_lo, exec_lo, s1
	v_or_b32_e32 v18, 64, v6
	v_cmp_gt_i32_e64 s1, s14, v18
	s_and_b32 s2, s3, s1
	s_xor_b32 s2, s2, -1
	s_and_saveexec_b32 s4, s2
	s_xor_b32 s2, exec_lo, s4
; %bb.7:
	s_mov_b32 s4, 0
	v_mov_b32_e32 v15, s4
; %bb.8:
	s_or_saveexec_b32 s2, s2
	v_mov_b32_e32 v18, 0
	s_xor_b32 exec_lo, exec_lo, s2
	s_cbranch_execz .LBB611_10
; %bb.9:
	global_load_dword v15, v[2:3], off offset:256
	global_load_dword v18, v[4:5], off offset:256
.LBB611_10:
	s_or_b32 exec_lo, exec_lo, s2
	v_or_b32_e32 v19, 0x60, v6
	v_cmp_gt_i32_e64 s2, s14, v19
	s_and_b32 s4, s3, s2
	s_xor_b32 s4, s4, -1
	s_and_saveexec_b32 s5, s4
	s_xor_b32 s4, exec_lo, s5
; %bb.11:
	s_mov_b32 s5, 0
	;; [unrolled: 19-line block ×6, first 2 shown]
                                        ; implicit-def: $vgpr2_vgpr3
                                        ; implicit-def: $vgpr4_vgpr5
	v_mov_b32_e32 v8, s10
; %bb.28:
	s_or_saveexec_b32 s3, s3
	v_mov_b32_e32 v6, 0
	s_xor_b32 exec_lo, exec_lo, s3
	s_cbranch_execz .LBB611_30
; %bb.29:
	global_load_dword v8, v[2:3], off offset:896
	global_load_dword v6, v[4:5], off offset:896
.LBB611_30:
	s_or_b32 exec_lo, exec_lo, s3
	s_waitcnt vmcnt(1)
	v_add_f32_e32 v2, 0, v13
	v_mbcnt_lo_u32_b32 v3, -1, 0
	s_mov_b32 s10, exec_lo
	v_add_f32_e32 v2, v2, v16
	v_xor_b32_e32 v4, 16, v3
	v_xor_b32_e32 v5, 8, v3
	v_add_f32_e32 v2, v2, v15
	v_cmp_gt_i32_e64 s3, 32, v4
	v_add_f32_e32 v2, v2, v14
	v_cndmask_b32_e64 v4, v3, v4, s3
	v_cmp_gt_i32_e64 s3, 32, v5
	v_add_f32_e32 v2, v2, v12
	v_lshlrev_b32_e32 v4, 2, v4
	v_cndmask_b32_e64 v5, v3, v5, s3
	v_add_f32_e32 v2, v2, v9
	v_lshlrev_b32_e32 v5, 2, v5
	v_add_f32_e32 v2, v2, v7
	v_add_f32_e32 v2, v2, v8
	ds_bpermute_b32 v4, v4, v2
	s_waitcnt lgkmcnt(0)
	v_add_f32_e32 v2, v2, v4
	ds_bpermute_b32 v4, v5, v2
	v_xor_b32_e32 v5, 4, v3
	v_cmp_gt_i32_e64 s3, 32, v5
	v_cndmask_b32_e64 v5, v3, v5, s3
	v_lshlrev_b32_e32 v5, 2, v5
	s_waitcnt lgkmcnt(0)
	v_add_f32_e32 v2, v2, v4
	ds_bpermute_b32 v4, v5, v2
	v_xor_b32_e32 v5, 2, v3
	v_cmp_gt_i32_e64 s3, 32, v5
	v_cndmask_b32_e64 v5, v3, v5, s3
	v_lshlrev_b32_e32 v5, 2, v5
	;; [unrolled: 7-line block ×3, first 2 shown]
	s_waitcnt lgkmcnt(0)
	v_add_f32_e32 v2, v2, v4
	ds_bpermute_b32 v3, v3, v2
	v_cmpx_lt_i32_e32 0, v11
	s_cbranch_execz .LBB611_40
; %bb.31:
	v_lshlrev_b64 v[0:1], 1, v[0:1]
	s_waitcnt lgkmcnt(0)
	v_add_f32_e32 v2, v2, v3
	v_add_co_u32 v0, s3, s8, v0
	v_add_co_ci_u32_e64 v1, null, s9, v1, s3
	s_and_saveexec_b32 s3, vcc_lo
	s_cbranch_execnz .LBB611_41
; %bb.32:
	s_or_b32 exec_lo, exec_lo, s3
	s_and_saveexec_b32 s3, s0
	s_cbranch_execnz .LBB611_42
.LBB611_33:
	s_or_b32 exec_lo, exec_lo, s3
	s_and_saveexec_b32 s0, s1
	s_cbranch_execnz .LBB611_43
.LBB611_34:
	s_or_b32 exec_lo, exec_lo, s0
	s_and_saveexec_b32 s0, s2
	s_cbranch_execnz .LBB611_44
.LBB611_35:
	s_or_b32 exec_lo, exec_lo, s0
	s_and_saveexec_b32 s0, s4
	s_cbranch_execnz .LBB611_45
.LBB611_36:
	s_or_b32 exec_lo, exec_lo, s0
	s_and_saveexec_b32 s0, s5
	s_cbranch_execnz .LBB611_46
.LBB611_37:
	s_or_b32 exec_lo, exec_lo, s0
	s_and_saveexec_b32 s0, s6
	s_cbranch_execnz .LBB611_47
.LBB611_38:
	s_or_b32 exec_lo, exec_lo, s0
	s_and_b32 exec_lo, exec_lo, s7
	s_cbranch_execz .LBB611_40
.LBB611_39:
	s_waitcnt vmcnt(0)
	v_fma_mixlo_f16 v2, -v2, v6, v8
	global_store_short v[0:1], v2, off offset:448
.LBB611_40:
	s_endpgm
.LBB611_41:
	s_waitcnt vmcnt(0)
	v_fma_mixlo_f16 v3, -v2, v10, v13
	global_store_short v[0:1], v3, off
	s_or_b32 exec_lo, exec_lo, s3
	s_and_saveexec_b32 s3, s0
	s_cbranch_execz .LBB611_33
.LBB611_42:
	s_waitcnt vmcnt(0)
	v_fma_mixlo_f16 v3, -v2, v17, v16
	global_store_short v[0:1], v3, off offset:64
	s_or_b32 exec_lo, exec_lo, s3
	s_and_saveexec_b32 s0, s1
	s_cbranch_execz .LBB611_34
.LBB611_43:
	s_waitcnt vmcnt(0)
	v_fma_mixlo_f16 v3, -v2, v18, v15
	global_store_short v[0:1], v3, off offset:128
	s_or_b32 exec_lo, exec_lo, s0
	s_and_saveexec_b32 s0, s2
	s_cbranch_execz .LBB611_35
.LBB611_44:
	s_waitcnt vmcnt(0)
	v_fma_mixlo_f16 v3, -v2, v19, v14
	global_store_short v[0:1], v3, off offset:192
	s_or_b32 exec_lo, exec_lo, s0
	s_and_saveexec_b32 s0, s4
	s_cbranch_execz .LBB611_36
.LBB611_45:
	s_waitcnt vmcnt(0)
	v_fma_mixlo_f16 v3, -v2, v20, v12
	global_store_short v[0:1], v3, off offset:256
	s_or_b32 exec_lo, exec_lo, s0
	s_and_saveexec_b32 s0, s5
	s_cbranch_execz .LBB611_37
.LBB611_46:
	s_waitcnt vmcnt(0)
	v_fma_mixlo_f16 v3, -v2, v21, v9
	global_store_short v[0:1], v3, off offset:320
	s_or_b32 exec_lo, exec_lo, s0
	s_and_saveexec_b32 s0, s6
	s_cbranch_execz .LBB611_38
.LBB611_47:
	s_waitcnt vmcnt(0)
	v_fma_mixlo_f16 v3, -v2, v22, v7
	global_store_short v[0:1], v3, off offset:384
	s_or_b32 exec_lo, exec_lo, s0
	s_and_b32 exec_lo, exec_lo, s7
	s_cbranch_execnz .LBB611_39
	s_branch .LBB611_40
	.section	.rodata,"a",@progbits
	.p2align	6, 0x0
	.amdhsa_kernel _ZN12_GLOBAL__N_121softmax_warp_backwardIfN3c104HalfEfLi8ELb0ELb0ELi32EEEvPT0_PKT_S7_iiiPKb
		.amdhsa_group_segment_fixed_size 0
		.amdhsa_private_segment_fixed_size 0
		.amdhsa_kernarg_size 304
		.amdhsa_user_sgpr_count 6
		.amdhsa_user_sgpr_private_segment_buffer 1
		.amdhsa_user_sgpr_dispatch_ptr 0
		.amdhsa_user_sgpr_queue_ptr 0
		.amdhsa_user_sgpr_kernarg_segment_ptr 1
		.amdhsa_user_sgpr_dispatch_id 0
		.amdhsa_user_sgpr_flat_scratch_init 0
		.amdhsa_user_sgpr_private_segment_size 0
		.amdhsa_wavefront_size32 1
		.amdhsa_uses_dynamic_stack 0
		.amdhsa_system_sgpr_private_segment_wavefront_offset 0
		.amdhsa_system_sgpr_workgroup_id_x 1
		.amdhsa_system_sgpr_workgroup_id_y 0
		.amdhsa_system_sgpr_workgroup_id_z 0
		.amdhsa_system_sgpr_workgroup_info 0
		.amdhsa_system_vgpr_workitem_id 1
		.amdhsa_next_free_vgpr 23
		.amdhsa_next_free_sgpr 16
		.amdhsa_reserve_vcc 1
		.amdhsa_reserve_flat_scratch 0
		.amdhsa_float_round_mode_32 0
		.amdhsa_float_round_mode_16_64 0
		.amdhsa_float_denorm_mode_32 3
		.amdhsa_float_denorm_mode_16_64 3
		.amdhsa_dx10_clamp 1
		.amdhsa_ieee_mode 1
		.amdhsa_fp16_overflow 0
		.amdhsa_workgroup_processor_mode 1
		.amdhsa_memory_ordered 1
		.amdhsa_forward_progress 1
		.amdhsa_shared_vgpr_count 0
		.amdhsa_exception_fp_ieee_invalid_op 0
		.amdhsa_exception_fp_denorm_src 0
		.amdhsa_exception_fp_ieee_div_zero 0
		.amdhsa_exception_fp_ieee_overflow 0
		.amdhsa_exception_fp_ieee_underflow 0
		.amdhsa_exception_fp_ieee_inexact 0
		.amdhsa_exception_int_div_zero 0
	.end_amdhsa_kernel
	.section	.text._ZN12_GLOBAL__N_121softmax_warp_backwardIfN3c104HalfEfLi8ELb0ELb0ELi32EEEvPT0_PKT_S7_iiiPKb,"axG",@progbits,_ZN12_GLOBAL__N_121softmax_warp_backwardIfN3c104HalfEfLi8ELb0ELb0ELi32EEEvPT0_PKT_S7_iiiPKb,comdat
.Lfunc_end611:
	.size	_ZN12_GLOBAL__N_121softmax_warp_backwardIfN3c104HalfEfLi8ELb0ELb0ELi32EEEvPT0_PKT_S7_iiiPKb, .Lfunc_end611-_ZN12_GLOBAL__N_121softmax_warp_backwardIfN3c104HalfEfLi8ELb0ELb0ELi32EEEvPT0_PKT_S7_iiiPKb
                                        ; -- End function
	.set _ZN12_GLOBAL__N_121softmax_warp_backwardIfN3c104HalfEfLi8ELb0ELb0ELi32EEEvPT0_PKT_S7_iiiPKb.num_vgpr, 23
	.set _ZN12_GLOBAL__N_121softmax_warp_backwardIfN3c104HalfEfLi8ELb0ELb0ELi32EEEvPT0_PKT_S7_iiiPKb.num_agpr, 0
	.set _ZN12_GLOBAL__N_121softmax_warp_backwardIfN3c104HalfEfLi8ELb0ELb0ELi32EEEvPT0_PKT_S7_iiiPKb.numbered_sgpr, 16
	.set _ZN12_GLOBAL__N_121softmax_warp_backwardIfN3c104HalfEfLi8ELb0ELb0ELi32EEEvPT0_PKT_S7_iiiPKb.num_named_barrier, 0
	.set _ZN12_GLOBAL__N_121softmax_warp_backwardIfN3c104HalfEfLi8ELb0ELb0ELi32EEEvPT0_PKT_S7_iiiPKb.private_seg_size, 0
	.set _ZN12_GLOBAL__N_121softmax_warp_backwardIfN3c104HalfEfLi8ELb0ELb0ELi32EEEvPT0_PKT_S7_iiiPKb.uses_vcc, 1
	.set _ZN12_GLOBAL__N_121softmax_warp_backwardIfN3c104HalfEfLi8ELb0ELb0ELi32EEEvPT0_PKT_S7_iiiPKb.uses_flat_scratch, 0
	.set _ZN12_GLOBAL__N_121softmax_warp_backwardIfN3c104HalfEfLi8ELb0ELb0ELi32EEEvPT0_PKT_S7_iiiPKb.has_dyn_sized_stack, 0
	.set _ZN12_GLOBAL__N_121softmax_warp_backwardIfN3c104HalfEfLi8ELb0ELb0ELi32EEEvPT0_PKT_S7_iiiPKb.has_recursion, 0
	.set _ZN12_GLOBAL__N_121softmax_warp_backwardIfN3c104HalfEfLi8ELb0ELb0ELi32EEEvPT0_PKT_S7_iiiPKb.has_indirect_call, 0
	.section	.AMDGPU.csdata,"",@progbits
; Kernel info:
; codeLenInByte = 1316
; TotalNumSgprs: 18
; NumVgprs: 23
; ScratchSize: 0
; MemoryBound: 0
; FloatMode: 240
; IeeeMode: 1
; LDSByteSize: 0 bytes/workgroup (compile time only)
; SGPRBlocks: 0
; VGPRBlocks: 2
; NumSGPRsForWavesPerEU: 18
; NumVGPRsForWavesPerEU: 23
; Occupancy: 16
; WaveLimiterHint : 0
; COMPUTE_PGM_RSRC2:SCRATCH_EN: 0
; COMPUTE_PGM_RSRC2:USER_SGPR: 6
; COMPUTE_PGM_RSRC2:TRAP_HANDLER: 0
; COMPUTE_PGM_RSRC2:TGID_X_EN: 1
; COMPUTE_PGM_RSRC2:TGID_Y_EN: 0
; COMPUTE_PGM_RSRC2:TGID_Z_EN: 0
; COMPUTE_PGM_RSRC2:TIDIG_COMP_CNT: 1
	.section	.text._ZN12_GLOBAL__N_121softmax_warp_backwardIfN3c104HalfEfLi9ELb0ELb0ELi64EEEvPT0_PKT_S7_iiiPKb,"axG",@progbits,_ZN12_GLOBAL__N_121softmax_warp_backwardIfN3c104HalfEfLi9ELb0ELb0ELi64EEEvPT0_PKT_S7_iiiPKb,comdat
	.globl	_ZN12_GLOBAL__N_121softmax_warp_backwardIfN3c104HalfEfLi9ELb0ELb0ELi64EEEvPT0_PKT_S7_iiiPKb ; -- Begin function _ZN12_GLOBAL__N_121softmax_warp_backwardIfN3c104HalfEfLi9ELb0ELb0ELi64EEEvPT0_PKT_S7_iiiPKb
	.p2align	8
	.type	_ZN12_GLOBAL__N_121softmax_warp_backwardIfN3c104HalfEfLi9ELb0ELb0ELi64EEEvPT0_PKT_S7_iiiPKb,@function
_ZN12_GLOBAL__N_121softmax_warp_backwardIfN3c104HalfEfLi9ELb0ELb0ELi64EEEvPT0_PKT_S7_iiiPKb: ; @_ZN12_GLOBAL__N_121softmax_warp_backwardIfN3c104HalfEfLi9ELb0ELb0ELi64EEEvPT0_PKT_S7_iiiPKb
; %bb.0:
	s_clause 0x1
	s_load_dword s0, s[4:5], 0x3c
	s_load_dwordx4 s[12:15], s[4:5], 0x18
	v_and_b32_e32 v6, 63, v0
	s_clause 0x1
	s_load_dwordx4 s[8:11], s[4:5], 0x0
	s_load_dwordx2 s[4:5], s[4:5], 0x10
	v_mov_b32_e32 v10, 0
	v_mov_b32_e32 v13, 0
	s_waitcnt lgkmcnt(0)
	s_lshr_b32 s0, s0, 16
	v_cmp_gt_i32_e32 vcc_lo, s14, v6
	v_mad_u64_u32 v[2:3], null, s6, s0, v[1:2]
	v_mad_u64_u32 v[0:1], null, v2, s13, v[6:7]
	v_sub_nc_u32_e32 v11, s12, v2
	v_cmp_lt_i32_e64 s3, 0, v11
	v_ashrrev_i32_e32 v1, 31, v0
	s_and_b32 s1, s3, vcc_lo
	v_lshlrev_b64 v[4:5], 2, v[0:1]
	v_add_co_u32 v2, s0, s10, v4
	v_add_co_ci_u32_e64 v3, null, s11, v5, s0
	v_add_co_u32 v4, s0, s4, v4
	v_add_co_ci_u32_e64 v5, null, s5, v5, s0
	s_and_saveexec_b32 s0, s1
	s_cbranch_execz .LBB612_2
; %bb.1:
	global_load_dword v13, v[2:3], off
	global_load_dword v10, v[4:5], off
.LBB612_2:
	s_or_b32 exec_lo, exec_lo, s0
	v_or_b32_e32 v7, 64, v6
	v_cmp_gt_i32_e64 s0, s14, v7
	s_and_b32 s1, s3, s0
	s_xor_b32 s1, s1, -1
	s_and_saveexec_b32 s2, s1
	s_xor_b32 s1, exec_lo, s2
                                        ; implicit-def: $vgpr7
                                        ; implicit-def: $vgpr9
                                        ; implicit-def: $vgpr12
                                        ; implicit-def: $vgpr14
                                        ; implicit-def: $vgpr15
                                        ; implicit-def: $vgpr16
                                        ; implicit-def: $vgpr8
; %bb.3:
	s_mov_b32 s2, 0
                                        ; implicit-def: $vgpr7
                                        ; implicit-def: $vgpr9
                                        ; implicit-def: $vgpr12
                                        ; implicit-def: $vgpr14
                                        ; implicit-def: $vgpr15
                                        ; implicit-def: $vgpr8
	v_mov_b32_e32 v16, s2
; %bb.4:
	s_or_saveexec_b32 s1, s1
	v_mov_b32_e32 v17, 0
	s_xor_b32 exec_lo, exec_lo, s1
	s_cbranch_execz .LBB612_6
; %bb.5:
	global_load_dword v16, v[2:3], off offset:256
	global_load_dword v17, v[4:5], off offset:256
.LBB612_6:
	s_or_b32 exec_lo, exec_lo, s1
	v_or_b32_e32 v18, 0x80, v6
	v_cmp_gt_i32_e64 s1, s14, v18
	s_and_b32 s2, s3, s1
	s_xor_b32 s2, s2, -1
	s_and_saveexec_b32 s4, s2
	s_xor_b32 s2, exec_lo, s4
; %bb.7:
	s_mov_b32 s4, 0
	v_mov_b32_e32 v15, s4
; %bb.8:
	s_or_saveexec_b32 s2, s2
	v_mov_b32_e32 v18, 0
	s_xor_b32 exec_lo, exec_lo, s2
	s_cbranch_execz .LBB612_10
; %bb.9:
	global_load_dword v15, v[2:3], off offset:512
	global_load_dword v18, v[4:5], off offset:512
.LBB612_10:
	s_or_b32 exec_lo, exec_lo, s2
	v_or_b32_e32 v19, 0xc0, v6
	v_cmp_gt_i32_e64 s2, s14, v19
	s_and_b32 s4, s3, s2
	s_xor_b32 s4, s4, -1
	s_and_saveexec_b32 s5, s4
	s_xor_b32 s4, exec_lo, s5
; %bb.11:
	s_mov_b32 s5, 0
	;; [unrolled: 19-line block ×6, first 2 shown]
                                        ; implicit-def: $vgpr2_vgpr3
                                        ; implicit-def: $vgpr4_vgpr5
	v_mov_b32_e32 v8, s10
; %bb.28:
	s_or_saveexec_b32 s3, s3
	v_mov_b32_e32 v6, 0
	s_xor_b32 exec_lo, exec_lo, s3
	s_cbranch_execz .LBB612_30
; %bb.29:
	global_load_dword v8, v[2:3], off offset:1792
	global_load_dword v6, v[4:5], off offset:1792
.LBB612_30:
	s_or_b32 exec_lo, exec_lo, s3
	s_waitcnt vmcnt(1)
	v_add_f32_e32 v2, 0, v13
	v_mbcnt_lo_u32_b32 v3, -1, 0
	s_mov_b32 s10, exec_lo
	v_add_f32_e32 v2, v2, v16
	v_or_b32_e32 v4, 32, v3
	v_xor_b32_e32 v5, 16, v3
	v_add_f32_e32 v2, v2, v15
	v_cmp_gt_i32_e64 s3, 64, v4
	v_add_f32_e32 v2, v2, v14
	v_cndmask_b32_e64 v4, v3, v4, s3
	v_cmp_gt_i32_e64 s3, 64, v5
	v_add_f32_e32 v2, v2, v12
	v_lshlrev_b32_e32 v4, 2, v4
	v_cndmask_b32_e64 v5, v3, v5, s3
	v_add_f32_e32 v2, v2, v9
	v_lshlrev_b32_e32 v5, 2, v5
	v_add_f32_e32 v2, v2, v7
	v_add_f32_e32 v2, v2, v8
	ds_bpermute_b32 v4, v4, v2
	s_waitcnt lgkmcnt(0)
	v_add_f32_e32 v2, v2, v4
	ds_bpermute_b32 v4, v5, v2
	v_xor_b32_e32 v5, 8, v3
	v_cmp_gt_i32_e64 s3, 64, v5
	v_cndmask_b32_e64 v5, v3, v5, s3
	v_lshlrev_b32_e32 v5, 2, v5
	s_waitcnt lgkmcnt(0)
	v_add_f32_e32 v2, v2, v4
	ds_bpermute_b32 v4, v5, v2
	v_xor_b32_e32 v5, 4, v3
	v_cmp_gt_i32_e64 s3, 64, v5
	v_cndmask_b32_e64 v5, v3, v5, s3
	v_lshlrev_b32_e32 v5, 2, v5
	;; [unrolled: 7-line block ×4, first 2 shown]
	s_waitcnt lgkmcnt(0)
	v_add_f32_e32 v2, v2, v4
	ds_bpermute_b32 v3, v3, v2
	v_cmpx_lt_i32_e32 0, v11
	s_cbranch_execz .LBB612_40
; %bb.31:
	v_lshlrev_b64 v[0:1], 1, v[0:1]
	s_waitcnt lgkmcnt(0)
	v_add_f32_e32 v2, v2, v3
	v_add_co_u32 v0, s3, s8, v0
	v_add_co_ci_u32_e64 v1, null, s9, v1, s3
	s_and_saveexec_b32 s3, vcc_lo
	s_cbranch_execnz .LBB612_41
; %bb.32:
	s_or_b32 exec_lo, exec_lo, s3
	s_and_saveexec_b32 s3, s0
	s_cbranch_execnz .LBB612_42
.LBB612_33:
	s_or_b32 exec_lo, exec_lo, s3
	s_and_saveexec_b32 s0, s1
	s_cbranch_execnz .LBB612_43
.LBB612_34:
	s_or_b32 exec_lo, exec_lo, s0
	s_and_saveexec_b32 s0, s2
	s_cbranch_execnz .LBB612_44
.LBB612_35:
	s_or_b32 exec_lo, exec_lo, s0
	s_and_saveexec_b32 s0, s4
	s_cbranch_execnz .LBB612_45
.LBB612_36:
	s_or_b32 exec_lo, exec_lo, s0
	s_and_saveexec_b32 s0, s5
	s_cbranch_execnz .LBB612_46
.LBB612_37:
	s_or_b32 exec_lo, exec_lo, s0
	s_and_saveexec_b32 s0, s6
	s_cbranch_execnz .LBB612_47
.LBB612_38:
	s_or_b32 exec_lo, exec_lo, s0
	s_and_b32 exec_lo, exec_lo, s7
	s_cbranch_execz .LBB612_40
.LBB612_39:
	s_waitcnt vmcnt(0)
	v_fma_mixlo_f16 v2, -v2, v6, v8
	global_store_short v[0:1], v2, off offset:896
.LBB612_40:
	s_endpgm
.LBB612_41:
	s_waitcnt vmcnt(0)
	v_fma_mixlo_f16 v3, -v2, v10, v13
	global_store_short v[0:1], v3, off
	s_or_b32 exec_lo, exec_lo, s3
	s_and_saveexec_b32 s3, s0
	s_cbranch_execz .LBB612_33
.LBB612_42:
	s_waitcnt vmcnt(0)
	v_fma_mixlo_f16 v3, -v2, v17, v16
	global_store_short v[0:1], v3, off offset:128
	s_or_b32 exec_lo, exec_lo, s3
	s_and_saveexec_b32 s0, s1
	s_cbranch_execz .LBB612_34
.LBB612_43:
	s_waitcnt vmcnt(0)
	v_fma_mixlo_f16 v3, -v2, v18, v15
	global_store_short v[0:1], v3, off offset:256
	s_or_b32 exec_lo, exec_lo, s0
	s_and_saveexec_b32 s0, s2
	s_cbranch_execz .LBB612_35
.LBB612_44:
	s_waitcnt vmcnt(0)
	v_fma_mixlo_f16 v3, -v2, v19, v14
	global_store_short v[0:1], v3, off offset:384
	s_or_b32 exec_lo, exec_lo, s0
	s_and_saveexec_b32 s0, s4
	s_cbranch_execz .LBB612_36
.LBB612_45:
	s_waitcnt vmcnt(0)
	v_fma_mixlo_f16 v3, -v2, v20, v12
	global_store_short v[0:1], v3, off offset:512
	s_or_b32 exec_lo, exec_lo, s0
	s_and_saveexec_b32 s0, s5
	s_cbranch_execz .LBB612_37
.LBB612_46:
	s_waitcnt vmcnt(0)
	v_fma_mixlo_f16 v3, -v2, v21, v9
	global_store_short v[0:1], v3, off offset:640
	s_or_b32 exec_lo, exec_lo, s0
	s_and_saveexec_b32 s0, s6
	s_cbranch_execz .LBB612_38
.LBB612_47:
	s_waitcnt vmcnt(0)
	v_fma_mixlo_f16 v3, -v2, v22, v7
	global_store_short v[0:1], v3, off offset:768
	s_or_b32 exec_lo, exec_lo, s0
	s_and_b32 exec_lo, exec_lo, s7
	s_cbranch_execnz .LBB612_39
	s_branch .LBB612_40
	.section	.rodata,"a",@progbits
	.p2align	6, 0x0
	.amdhsa_kernel _ZN12_GLOBAL__N_121softmax_warp_backwardIfN3c104HalfEfLi9ELb0ELb0ELi64EEEvPT0_PKT_S7_iiiPKb
		.amdhsa_group_segment_fixed_size 0
		.amdhsa_private_segment_fixed_size 0
		.amdhsa_kernarg_size 304
		.amdhsa_user_sgpr_count 6
		.amdhsa_user_sgpr_private_segment_buffer 1
		.amdhsa_user_sgpr_dispatch_ptr 0
		.amdhsa_user_sgpr_queue_ptr 0
		.amdhsa_user_sgpr_kernarg_segment_ptr 1
		.amdhsa_user_sgpr_dispatch_id 0
		.amdhsa_user_sgpr_flat_scratch_init 0
		.amdhsa_user_sgpr_private_segment_size 0
		.amdhsa_wavefront_size32 1
		.amdhsa_uses_dynamic_stack 0
		.amdhsa_system_sgpr_private_segment_wavefront_offset 0
		.amdhsa_system_sgpr_workgroup_id_x 1
		.amdhsa_system_sgpr_workgroup_id_y 0
		.amdhsa_system_sgpr_workgroup_id_z 0
		.amdhsa_system_sgpr_workgroup_info 0
		.amdhsa_system_vgpr_workitem_id 1
		.amdhsa_next_free_vgpr 23
		.amdhsa_next_free_sgpr 16
		.amdhsa_reserve_vcc 1
		.amdhsa_reserve_flat_scratch 0
		.amdhsa_float_round_mode_32 0
		.amdhsa_float_round_mode_16_64 0
		.amdhsa_float_denorm_mode_32 3
		.amdhsa_float_denorm_mode_16_64 3
		.amdhsa_dx10_clamp 1
		.amdhsa_ieee_mode 1
		.amdhsa_fp16_overflow 0
		.amdhsa_workgroup_processor_mode 1
		.amdhsa_memory_ordered 1
		.amdhsa_forward_progress 1
		.amdhsa_shared_vgpr_count 0
		.amdhsa_exception_fp_ieee_invalid_op 0
		.amdhsa_exception_fp_denorm_src 0
		.amdhsa_exception_fp_ieee_div_zero 0
		.amdhsa_exception_fp_ieee_overflow 0
		.amdhsa_exception_fp_ieee_underflow 0
		.amdhsa_exception_fp_ieee_inexact 0
		.amdhsa_exception_int_div_zero 0
	.end_amdhsa_kernel
	.section	.text._ZN12_GLOBAL__N_121softmax_warp_backwardIfN3c104HalfEfLi9ELb0ELb0ELi64EEEvPT0_PKT_S7_iiiPKb,"axG",@progbits,_ZN12_GLOBAL__N_121softmax_warp_backwardIfN3c104HalfEfLi9ELb0ELb0ELi64EEEvPT0_PKT_S7_iiiPKb,comdat
.Lfunc_end612:
	.size	_ZN12_GLOBAL__N_121softmax_warp_backwardIfN3c104HalfEfLi9ELb0ELb0ELi64EEEvPT0_PKT_S7_iiiPKb, .Lfunc_end612-_ZN12_GLOBAL__N_121softmax_warp_backwardIfN3c104HalfEfLi9ELb0ELb0ELi64EEEvPT0_PKT_S7_iiiPKb
                                        ; -- End function
	.set _ZN12_GLOBAL__N_121softmax_warp_backwardIfN3c104HalfEfLi9ELb0ELb0ELi64EEEvPT0_PKT_S7_iiiPKb.num_vgpr, 23
	.set _ZN12_GLOBAL__N_121softmax_warp_backwardIfN3c104HalfEfLi9ELb0ELb0ELi64EEEvPT0_PKT_S7_iiiPKb.num_agpr, 0
	.set _ZN12_GLOBAL__N_121softmax_warp_backwardIfN3c104HalfEfLi9ELb0ELb0ELi64EEEvPT0_PKT_S7_iiiPKb.numbered_sgpr, 16
	.set _ZN12_GLOBAL__N_121softmax_warp_backwardIfN3c104HalfEfLi9ELb0ELb0ELi64EEEvPT0_PKT_S7_iiiPKb.num_named_barrier, 0
	.set _ZN12_GLOBAL__N_121softmax_warp_backwardIfN3c104HalfEfLi9ELb0ELb0ELi64EEEvPT0_PKT_S7_iiiPKb.private_seg_size, 0
	.set _ZN12_GLOBAL__N_121softmax_warp_backwardIfN3c104HalfEfLi9ELb0ELb0ELi64EEEvPT0_PKT_S7_iiiPKb.uses_vcc, 1
	.set _ZN12_GLOBAL__N_121softmax_warp_backwardIfN3c104HalfEfLi9ELb0ELb0ELi64EEEvPT0_PKT_S7_iiiPKb.uses_flat_scratch, 0
	.set _ZN12_GLOBAL__N_121softmax_warp_backwardIfN3c104HalfEfLi9ELb0ELb0ELi64EEEvPT0_PKT_S7_iiiPKb.has_dyn_sized_stack, 0
	.set _ZN12_GLOBAL__N_121softmax_warp_backwardIfN3c104HalfEfLi9ELb0ELb0ELi64EEEvPT0_PKT_S7_iiiPKb.has_recursion, 0
	.set _ZN12_GLOBAL__N_121softmax_warp_backwardIfN3c104HalfEfLi9ELb0ELb0ELi64EEEvPT0_PKT_S7_iiiPKb.has_indirect_call, 0
	.section	.AMDGPU.csdata,"",@progbits
; Kernel info:
; codeLenInByte = 1360
; TotalNumSgprs: 18
; NumVgprs: 23
; ScratchSize: 0
; MemoryBound: 0
; FloatMode: 240
; IeeeMode: 1
; LDSByteSize: 0 bytes/workgroup (compile time only)
; SGPRBlocks: 0
; VGPRBlocks: 2
; NumSGPRsForWavesPerEU: 18
; NumVGPRsForWavesPerEU: 23
; Occupancy: 16
; WaveLimiterHint : 0
; COMPUTE_PGM_RSRC2:SCRATCH_EN: 0
; COMPUTE_PGM_RSRC2:USER_SGPR: 6
; COMPUTE_PGM_RSRC2:TRAP_HANDLER: 0
; COMPUTE_PGM_RSRC2:TGID_X_EN: 1
; COMPUTE_PGM_RSRC2:TGID_Y_EN: 0
; COMPUTE_PGM_RSRC2:TGID_Z_EN: 0
; COMPUTE_PGM_RSRC2:TIDIG_COMP_CNT: 1
	.section	.text._ZN12_GLOBAL__N_121softmax_warp_backwardIfN3c104HalfEfLi9ELb0ELb0ELi32EEEvPT0_PKT_S7_iiiPKb,"axG",@progbits,_ZN12_GLOBAL__N_121softmax_warp_backwardIfN3c104HalfEfLi9ELb0ELb0ELi32EEEvPT0_PKT_S7_iiiPKb,comdat
	.globl	_ZN12_GLOBAL__N_121softmax_warp_backwardIfN3c104HalfEfLi9ELb0ELb0ELi32EEEvPT0_PKT_S7_iiiPKb ; -- Begin function _ZN12_GLOBAL__N_121softmax_warp_backwardIfN3c104HalfEfLi9ELb0ELb0ELi32EEEvPT0_PKT_S7_iiiPKb
	.p2align	8
	.type	_ZN12_GLOBAL__N_121softmax_warp_backwardIfN3c104HalfEfLi9ELb0ELb0ELi32EEEvPT0_PKT_S7_iiiPKb,@function
_ZN12_GLOBAL__N_121softmax_warp_backwardIfN3c104HalfEfLi9ELb0ELb0ELi32EEEvPT0_PKT_S7_iiiPKb: ; @_ZN12_GLOBAL__N_121softmax_warp_backwardIfN3c104HalfEfLi9ELb0ELb0ELi32EEEvPT0_PKT_S7_iiiPKb
; %bb.0:
	s_clause 0x1
	s_load_dword s0, s[4:5], 0x3c
	s_load_dwordx4 s[20:23], s[4:5], 0x18
	v_and_b32_e32 v6, 31, v0
	s_clause 0x1
	s_load_dwordx4 s[16:19], s[4:5], 0x0
	s_load_dwordx2 s[4:5], s[4:5], 0x10
	v_mov_b32_e32 v17, 0
	v_mov_b32_e32 v19, 0
	s_waitcnt lgkmcnt(0)
	s_lshr_b32 s0, s0, 16
	v_cmp_gt_i32_e32 vcc_lo, s22, v6
	v_mad_u64_u32 v[2:3], null, s6, s0, v[1:2]
	v_mad_u64_u32 v[0:1], null, v2, s21, v[6:7]
	v_sub_nc_u32_e32 v18, s20, v2
	v_cmp_lt_i32_e64 s3, 0, v18
	v_ashrrev_i32_e32 v1, 31, v0
	s_and_b32 s1, s3, vcc_lo
	v_lshlrev_b64 v[4:5], 2, v[0:1]
	v_add_co_u32 v2, s0, s18, v4
	v_add_co_ci_u32_e64 v3, null, s19, v5, s0
	v_add_co_u32 v4, s0, s4, v4
	v_add_co_ci_u32_e64 v5, null, s5, v5, s0
	s_and_saveexec_b32 s0, s1
	s_cbranch_execz .LBB613_2
; %bb.1:
	global_load_dword v19, v[2:3], off
	global_load_dword v17, v[4:5], off
.LBB613_2:
	s_or_b32 exec_lo, exec_lo, s0
	v_or_b32_e32 v7, 32, v6
	v_cmp_gt_i32_e64 s0, s22, v7
	s_and_b32 s1, s3, s0
	s_xor_b32 s1, s1, -1
	s_and_saveexec_b32 s2, s1
	s_xor_b32 s1, exec_lo, s2
                                        ; implicit-def: $vgpr7
                                        ; implicit-def: $vgpr8
                                        ; implicit-def: $vgpr10
                                        ; implicit-def: $vgpr11
                                        ; implicit-def: $vgpr12
                                        ; implicit-def: $vgpr13
                                        ; implicit-def: $vgpr14
                                        ; implicit-def: $vgpr15
                                        ; implicit-def: $vgpr16
                                        ; implicit-def: $vgpr20
                                        ; implicit-def: $vgpr21
                                        ; implicit-def: $vgpr22
                                        ; implicit-def: $vgpr24
                                        ; implicit-def: $vgpr23
                                        ; implicit-def: $vgpr9
; %bb.3:
	s_mov_b32 s2, 0
                                        ; implicit-def: $vgpr7
                                        ; implicit-def: $vgpr8
                                        ; implicit-def: $vgpr10
                                        ; implicit-def: $vgpr11
                                        ; implicit-def: $vgpr12
                                        ; implicit-def: $vgpr13
                                        ; implicit-def: $vgpr14
                                        ; implicit-def: $vgpr15
                                        ; implicit-def: $vgpr16
                                        ; implicit-def: $vgpr20
                                        ; implicit-def: $vgpr21
                                        ; implicit-def: $vgpr22
                                        ; implicit-def: $vgpr24
                                        ; implicit-def: $vgpr9
	v_mov_b32_e32 v23, s2
; %bb.4:
	s_or_saveexec_b32 s1, s1
	v_mov_b32_e32 v25, 0
	s_xor_b32 exec_lo, exec_lo, s1
	s_cbranch_execz .LBB613_6
; %bb.5:
	global_load_dword v23, v[2:3], off offset:128
	global_load_dword v25, v[4:5], off offset:128
.LBB613_6:
	s_or_b32 exec_lo, exec_lo, s1
	v_or_b32_e32 v26, 64, v6
	v_cmp_gt_i32_e64 s1, s22, v26
	s_and_b32 s2, s3, s1
	s_xor_b32 s2, s2, -1
	s_and_saveexec_b32 s4, s2
	s_xor_b32 s2, exec_lo, s4
; %bb.7:
	s_mov_b32 s4, 0
	v_mov_b32_e32 v24, s4
; %bb.8:
	s_or_saveexec_b32 s2, s2
	v_mov_b32_e32 v26, 0
	s_xor_b32 exec_lo, exec_lo, s2
	s_cbranch_execz .LBB613_10
; %bb.9:
	global_load_dword v24, v[2:3], off offset:256
	global_load_dword v26, v[4:5], off offset:256
.LBB613_10:
	s_or_b32 exec_lo, exec_lo, s2
	v_or_b32_e32 v27, 0x60, v6
	v_cmp_gt_i32_e64 s2, s22, v27
	s_and_b32 s4, s3, s2
	s_xor_b32 s4, s4, -1
	s_and_saveexec_b32 s5, s4
	s_xor_b32 s4, exec_lo, s5
; %bb.11:
	s_mov_b32 s5, 0
	;; [unrolled: 19-line block ×14, first 2 shown]
                                        ; implicit-def: $vgpr2_vgpr3
                                        ; implicit-def: $vgpr4_vgpr5
	v_mov_b32_e32 v9, s18
; %bb.60:
	s_or_saveexec_b32 s3, s3
	v_mov_b32_e32 v6, 0
	s_xor_b32 exec_lo, exec_lo, s3
	s_cbranch_execz .LBB613_62
; %bb.61:
	global_load_dword v9, v[2:3], off offset:1920
	global_load_dword v6, v[4:5], off offset:1920
.LBB613_62:
	s_or_b32 exec_lo, exec_lo, s3
	s_waitcnt vmcnt(1)
	v_add_f32_e32 v2, 0, v19
	v_mbcnt_lo_u32_b32 v3, -1, 0
	s_mov_b32 s18, exec_lo
	v_add_f32_e32 v2, v2, v23
	v_xor_b32_e32 v4, 16, v3
	v_xor_b32_e32 v5, 8, v3
	v_add_f32_e32 v2, v2, v24
	v_cmp_gt_i32_e64 s3, 32, v4
	v_add_f32_e32 v2, v2, v22
	v_cndmask_b32_e64 v4, v3, v4, s3
	v_cmp_gt_i32_e64 s3, 32, v5
	v_add_f32_e32 v2, v2, v21
	v_lshlrev_b32_e32 v4, 2, v4
	v_cndmask_b32_e64 v5, v3, v5, s3
	v_add_f32_e32 v2, v2, v20
	v_lshlrev_b32_e32 v5, 2, v5
	v_add_f32_e32 v2, v2, v16
	v_add_f32_e32 v2, v2, v15
	;; [unrolled: 1-line block ×10, first 2 shown]
	ds_bpermute_b32 v4, v4, v2
	s_waitcnt lgkmcnt(0)
	v_add_f32_e32 v2, v2, v4
	ds_bpermute_b32 v4, v5, v2
	v_xor_b32_e32 v5, 4, v3
	v_cmp_gt_i32_e64 s3, 32, v5
	v_cndmask_b32_e64 v5, v3, v5, s3
	v_lshlrev_b32_e32 v5, 2, v5
	s_waitcnt lgkmcnt(0)
	v_add_f32_e32 v2, v2, v4
	ds_bpermute_b32 v4, v5, v2
	v_xor_b32_e32 v5, 2, v3
	v_cmp_gt_i32_e64 s3, 32, v5
	v_cndmask_b32_e64 v5, v3, v5, s3
	v_lshlrev_b32_e32 v5, 2, v5
	;; [unrolled: 7-line block ×3, first 2 shown]
	s_waitcnt lgkmcnt(0)
	v_add_f32_e32 v2, v2, v4
	ds_bpermute_b32 v3, v3, v2
	v_cmpx_lt_i32_e32 0, v18
	s_cbranch_execz .LBB613_80
; %bb.63:
	v_lshlrev_b64 v[0:1], 1, v[0:1]
	s_waitcnt lgkmcnt(0)
	v_add_f32_e32 v2, v2, v3
	v_add_co_u32 v0, s3, s16, v0
	v_add_co_ci_u32_e64 v1, null, s17, v1, s3
	s_and_saveexec_b32 s3, vcc_lo
	s_cbranch_execnz .LBB613_81
; %bb.64:
	s_or_b32 exec_lo, exec_lo, s3
	s_and_saveexec_b32 s3, s0
	s_cbranch_execnz .LBB613_82
.LBB613_65:
	s_or_b32 exec_lo, exec_lo, s3
	s_and_saveexec_b32 s0, s1
	s_cbranch_execnz .LBB613_83
.LBB613_66:
	s_or_b32 exec_lo, exec_lo, s0
	s_and_saveexec_b32 s0, s2
	s_cbranch_execnz .LBB613_84
.LBB613_67:
	s_or_b32 exec_lo, exec_lo, s0
	s_and_saveexec_b32 s0, s4
	s_cbranch_execnz .LBB613_85
.LBB613_68:
	s_or_b32 exec_lo, exec_lo, s0
	s_and_saveexec_b32 s0, s5
	s_cbranch_execnz .LBB613_86
.LBB613_69:
	s_or_b32 exec_lo, exec_lo, s0
	s_and_saveexec_b32 s0, s6
	s_cbranch_execnz .LBB613_87
.LBB613_70:
	s_or_b32 exec_lo, exec_lo, s0
	s_and_saveexec_b32 s0, s7
	s_cbranch_execnz .LBB613_88
.LBB613_71:
	s_or_b32 exec_lo, exec_lo, s0
	s_and_saveexec_b32 s0, s8
	s_cbranch_execnz .LBB613_89
.LBB613_72:
	s_or_b32 exec_lo, exec_lo, s0
	s_and_saveexec_b32 s0, s9
	s_cbranch_execnz .LBB613_90
.LBB613_73:
	s_or_b32 exec_lo, exec_lo, s0
	s_and_saveexec_b32 s0, s10
	s_cbranch_execnz .LBB613_91
.LBB613_74:
	s_or_b32 exec_lo, exec_lo, s0
	s_and_saveexec_b32 s0, s11
	s_cbranch_execnz .LBB613_92
.LBB613_75:
	s_or_b32 exec_lo, exec_lo, s0
	s_and_saveexec_b32 s0, s12
	s_cbranch_execnz .LBB613_93
.LBB613_76:
	s_or_b32 exec_lo, exec_lo, s0
	s_and_saveexec_b32 s0, s13
	s_cbranch_execnz .LBB613_94
.LBB613_77:
	s_or_b32 exec_lo, exec_lo, s0
	s_and_saveexec_b32 s0, s14
	s_cbranch_execnz .LBB613_95
.LBB613_78:
	s_or_b32 exec_lo, exec_lo, s0
	s_and_b32 exec_lo, exec_lo, s15
	s_cbranch_execz .LBB613_80
.LBB613_79:
	s_waitcnt vmcnt(0)
	v_fma_mixlo_f16 v2, -v2, v6, v9
	global_store_short v[0:1], v2, off offset:960
.LBB613_80:
	s_endpgm
.LBB613_81:
	s_waitcnt vmcnt(0)
	v_fma_mixlo_f16 v3, -v2, v17, v19
	global_store_short v[0:1], v3, off
	s_or_b32 exec_lo, exec_lo, s3
	s_and_saveexec_b32 s3, s0
	s_cbranch_execz .LBB613_65
.LBB613_82:
	s_waitcnt vmcnt(0)
	v_fma_mixlo_f16 v3, -v2, v25, v23
	global_store_short v[0:1], v3, off offset:64
	s_or_b32 exec_lo, exec_lo, s3
	s_and_saveexec_b32 s0, s1
	s_cbranch_execz .LBB613_66
.LBB613_83:
	s_waitcnt vmcnt(0)
	v_fma_mixlo_f16 v3, -v2, v26, v24
	global_store_short v[0:1], v3, off offset:128
	s_or_b32 exec_lo, exec_lo, s0
	s_and_saveexec_b32 s0, s2
	s_cbranch_execz .LBB613_67
.LBB613_84:
	s_waitcnt vmcnt(0)
	v_fma_mixlo_f16 v3, -v2, v27, v22
	global_store_short v[0:1], v3, off offset:192
	s_or_b32 exec_lo, exec_lo, s0
	s_and_saveexec_b32 s0, s4
	s_cbranch_execz .LBB613_68
.LBB613_85:
	s_waitcnt vmcnt(0)
	v_fma_mixlo_f16 v3, -v2, v28, v21
	global_store_short v[0:1], v3, off offset:256
	s_or_b32 exec_lo, exec_lo, s0
	s_and_saveexec_b32 s0, s5
	s_cbranch_execz .LBB613_69
.LBB613_86:
	s_waitcnt vmcnt(0)
	v_fma_mixlo_f16 v3, -v2, v29, v20
	global_store_short v[0:1], v3, off offset:320
	s_or_b32 exec_lo, exec_lo, s0
	s_and_saveexec_b32 s0, s6
	s_cbranch_execz .LBB613_70
.LBB613_87:
	s_waitcnt vmcnt(0)
	v_fma_mixlo_f16 v3, -v2, v30, v16
	global_store_short v[0:1], v3, off offset:384
	s_or_b32 exec_lo, exec_lo, s0
	s_and_saveexec_b32 s0, s7
	s_cbranch_execz .LBB613_71
.LBB613_88:
	s_waitcnt vmcnt(0)
	v_fma_mixlo_f16 v3, -v2, v31, v15
	global_store_short v[0:1], v3, off offset:448
	s_or_b32 exec_lo, exec_lo, s0
	s_and_saveexec_b32 s0, s8
	s_cbranch_execz .LBB613_72
.LBB613_89:
	s_waitcnt vmcnt(0)
	v_fma_mixlo_f16 v3, -v2, v32, v14
	global_store_short v[0:1], v3, off offset:512
	s_or_b32 exec_lo, exec_lo, s0
	s_and_saveexec_b32 s0, s9
	s_cbranch_execz .LBB613_73
.LBB613_90:
	s_waitcnt vmcnt(0)
	v_fma_mixlo_f16 v3, -v2, v33, v13
	global_store_short v[0:1], v3, off offset:576
	s_or_b32 exec_lo, exec_lo, s0
	s_and_saveexec_b32 s0, s10
	s_cbranch_execz .LBB613_74
.LBB613_91:
	s_waitcnt vmcnt(0)
	v_fma_mixlo_f16 v3, -v2, v34, v12
	global_store_short v[0:1], v3, off offset:640
	s_or_b32 exec_lo, exec_lo, s0
	s_and_saveexec_b32 s0, s11
	s_cbranch_execz .LBB613_75
.LBB613_92:
	s_waitcnt vmcnt(0)
	v_fma_mixlo_f16 v3, -v2, v35, v11
	global_store_short v[0:1], v3, off offset:704
	s_or_b32 exec_lo, exec_lo, s0
	s_and_saveexec_b32 s0, s12
	s_cbranch_execz .LBB613_76
.LBB613_93:
	s_waitcnt vmcnt(0)
	v_fma_mixlo_f16 v3, -v2, v36, v10
	global_store_short v[0:1], v3, off offset:768
	s_or_b32 exec_lo, exec_lo, s0
	s_and_saveexec_b32 s0, s13
	s_cbranch_execz .LBB613_77
.LBB613_94:
	s_waitcnt vmcnt(0)
	v_fma_mixlo_f16 v3, -v2, v37, v8
	global_store_short v[0:1], v3, off offset:832
	s_or_b32 exec_lo, exec_lo, s0
	s_and_saveexec_b32 s0, s14
	s_cbranch_execz .LBB613_78
.LBB613_95:
	s_waitcnt vmcnt(0)
	v_fma_mixlo_f16 v3, -v2, v38, v7
	global_store_short v[0:1], v3, off offset:896
	s_or_b32 exec_lo, exec_lo, s0
	s_and_b32 exec_lo, exec_lo, s15
	s_cbranch_execnz .LBB613_79
	s_branch .LBB613_80
	.section	.rodata,"a",@progbits
	.p2align	6, 0x0
	.amdhsa_kernel _ZN12_GLOBAL__N_121softmax_warp_backwardIfN3c104HalfEfLi9ELb0ELb0ELi32EEEvPT0_PKT_S7_iiiPKb
		.amdhsa_group_segment_fixed_size 0
		.amdhsa_private_segment_fixed_size 0
		.amdhsa_kernarg_size 304
		.amdhsa_user_sgpr_count 6
		.amdhsa_user_sgpr_private_segment_buffer 1
		.amdhsa_user_sgpr_dispatch_ptr 0
		.amdhsa_user_sgpr_queue_ptr 0
		.amdhsa_user_sgpr_kernarg_segment_ptr 1
		.amdhsa_user_sgpr_dispatch_id 0
		.amdhsa_user_sgpr_flat_scratch_init 0
		.amdhsa_user_sgpr_private_segment_size 0
		.amdhsa_wavefront_size32 1
		.amdhsa_uses_dynamic_stack 0
		.amdhsa_system_sgpr_private_segment_wavefront_offset 0
		.amdhsa_system_sgpr_workgroup_id_x 1
		.amdhsa_system_sgpr_workgroup_id_y 0
		.amdhsa_system_sgpr_workgroup_id_z 0
		.amdhsa_system_sgpr_workgroup_info 0
		.amdhsa_system_vgpr_workitem_id 1
		.amdhsa_next_free_vgpr 39
		.amdhsa_next_free_sgpr 24
		.amdhsa_reserve_vcc 1
		.amdhsa_reserve_flat_scratch 0
		.amdhsa_float_round_mode_32 0
		.amdhsa_float_round_mode_16_64 0
		.amdhsa_float_denorm_mode_32 3
		.amdhsa_float_denorm_mode_16_64 3
		.amdhsa_dx10_clamp 1
		.amdhsa_ieee_mode 1
		.amdhsa_fp16_overflow 0
		.amdhsa_workgroup_processor_mode 1
		.amdhsa_memory_ordered 1
		.amdhsa_forward_progress 1
		.amdhsa_shared_vgpr_count 0
		.amdhsa_exception_fp_ieee_invalid_op 0
		.amdhsa_exception_fp_denorm_src 0
		.amdhsa_exception_fp_ieee_div_zero 0
		.amdhsa_exception_fp_ieee_overflow 0
		.amdhsa_exception_fp_ieee_underflow 0
		.amdhsa_exception_fp_ieee_inexact 0
		.amdhsa_exception_int_div_zero 0
	.end_amdhsa_kernel
	.section	.text._ZN12_GLOBAL__N_121softmax_warp_backwardIfN3c104HalfEfLi9ELb0ELb0ELi32EEEvPT0_PKT_S7_iiiPKb,"axG",@progbits,_ZN12_GLOBAL__N_121softmax_warp_backwardIfN3c104HalfEfLi9ELb0ELb0ELi32EEEvPT0_PKT_S7_iiiPKb,comdat
.Lfunc_end613:
	.size	_ZN12_GLOBAL__N_121softmax_warp_backwardIfN3c104HalfEfLi9ELb0ELb0ELi32EEEvPT0_PKT_S7_iiiPKb, .Lfunc_end613-_ZN12_GLOBAL__N_121softmax_warp_backwardIfN3c104HalfEfLi9ELb0ELb0ELi32EEEvPT0_PKT_S7_iiiPKb
                                        ; -- End function
	.set _ZN12_GLOBAL__N_121softmax_warp_backwardIfN3c104HalfEfLi9ELb0ELb0ELi32EEEvPT0_PKT_S7_iiiPKb.num_vgpr, 39
	.set _ZN12_GLOBAL__N_121softmax_warp_backwardIfN3c104HalfEfLi9ELb0ELb0ELi32EEEvPT0_PKT_S7_iiiPKb.num_agpr, 0
	.set _ZN12_GLOBAL__N_121softmax_warp_backwardIfN3c104HalfEfLi9ELb0ELb0ELi32EEEvPT0_PKT_S7_iiiPKb.numbered_sgpr, 24
	.set _ZN12_GLOBAL__N_121softmax_warp_backwardIfN3c104HalfEfLi9ELb0ELb0ELi32EEEvPT0_PKT_S7_iiiPKb.num_named_barrier, 0
	.set _ZN12_GLOBAL__N_121softmax_warp_backwardIfN3c104HalfEfLi9ELb0ELb0ELi32EEEvPT0_PKT_S7_iiiPKb.private_seg_size, 0
	.set _ZN12_GLOBAL__N_121softmax_warp_backwardIfN3c104HalfEfLi9ELb0ELb0ELi32EEEvPT0_PKT_S7_iiiPKb.uses_vcc, 1
	.set _ZN12_GLOBAL__N_121softmax_warp_backwardIfN3c104HalfEfLi9ELb0ELb0ELi32EEEvPT0_PKT_S7_iiiPKb.uses_flat_scratch, 0
	.set _ZN12_GLOBAL__N_121softmax_warp_backwardIfN3c104HalfEfLi9ELb0ELb0ELi32EEEvPT0_PKT_S7_iiiPKb.has_dyn_sized_stack, 0
	.set _ZN12_GLOBAL__N_121softmax_warp_backwardIfN3c104HalfEfLi9ELb0ELb0ELi32EEEvPT0_PKT_S7_iiiPKb.has_recursion, 0
	.set _ZN12_GLOBAL__N_121softmax_warp_backwardIfN3c104HalfEfLi9ELb0ELb0ELi32EEEvPT0_PKT_S7_iiiPKb.has_indirect_call, 0
	.section	.AMDGPU.csdata,"",@progbits
; Kernel info:
; codeLenInByte = 2308
; TotalNumSgprs: 26
; NumVgprs: 39
; ScratchSize: 0
; MemoryBound: 0
; FloatMode: 240
; IeeeMode: 1
; LDSByteSize: 0 bytes/workgroup (compile time only)
; SGPRBlocks: 0
; VGPRBlocks: 4
; NumSGPRsForWavesPerEU: 26
; NumVGPRsForWavesPerEU: 39
; Occupancy: 16
; WaveLimiterHint : 0
; COMPUTE_PGM_RSRC2:SCRATCH_EN: 0
; COMPUTE_PGM_RSRC2:USER_SGPR: 6
; COMPUTE_PGM_RSRC2:TRAP_HANDLER: 0
; COMPUTE_PGM_RSRC2:TGID_X_EN: 1
; COMPUTE_PGM_RSRC2:TGID_Y_EN: 0
; COMPUTE_PGM_RSRC2:TGID_Z_EN: 0
; COMPUTE_PGM_RSRC2:TIDIG_COMP_CNT: 1
	.section	.text._ZN12_GLOBAL__N_121softmax_warp_backwardIfN3c104HalfEfLi10ELb0ELb0ELi64EEEvPT0_PKT_S7_iiiPKb,"axG",@progbits,_ZN12_GLOBAL__N_121softmax_warp_backwardIfN3c104HalfEfLi10ELb0ELb0ELi64EEEvPT0_PKT_S7_iiiPKb,comdat
	.globl	_ZN12_GLOBAL__N_121softmax_warp_backwardIfN3c104HalfEfLi10ELb0ELb0ELi64EEEvPT0_PKT_S7_iiiPKb ; -- Begin function _ZN12_GLOBAL__N_121softmax_warp_backwardIfN3c104HalfEfLi10ELb0ELb0ELi64EEEvPT0_PKT_S7_iiiPKb
	.p2align	8
	.type	_ZN12_GLOBAL__N_121softmax_warp_backwardIfN3c104HalfEfLi10ELb0ELb0ELi64EEEvPT0_PKT_S7_iiiPKb,@function
_ZN12_GLOBAL__N_121softmax_warp_backwardIfN3c104HalfEfLi10ELb0ELb0ELi64EEEvPT0_PKT_S7_iiiPKb: ; @_ZN12_GLOBAL__N_121softmax_warp_backwardIfN3c104HalfEfLi10ELb0ELb0ELi64EEEvPT0_PKT_S7_iiiPKb
; %bb.0:
	s_clause 0x1
	s_load_dword s0, s[4:5], 0x3c
	s_load_dwordx4 s[20:23], s[4:5], 0x18
	v_and_b32_e32 v7, 63, v0
	s_clause 0x1
	s_load_dwordx4 s[16:19], s[4:5], 0x0
	s_load_dwordx2 s[2:3], s[4:5], 0x10
	v_mov_b32_e32 v18, 0
	v_mov_b32_e32 v20, 0
	s_waitcnt lgkmcnt(0)
	s_lshr_b32 s0, s0, 16
	v_cmp_gt_i32_e32 vcc_lo, s22, v7
	v_mad_u64_u32 v[3:4], null, s6, s0, v[1:2]
	v_mad_u64_u32 v[1:2], null, v3, s21, v[7:8]
	v_sub_nc_u32_e32 v19, s20, v3
	v_cmp_lt_i32_e64 s4, 0, v19
	v_ashrrev_i32_e32 v2, 31, v1
	s_and_b32 s1, s4, vcc_lo
	v_lshlrev_b64 v[3:4], 2, v[1:2]
	v_add_co_u32 v5, s0, s18, v3
	v_add_co_ci_u32_e64 v6, null, s19, v4, s0
	v_add_co_u32 v3, s0, s2, v3
	v_add_co_ci_u32_e64 v4, null, s3, v4, s0
	s_and_saveexec_b32 s0, s1
	s_cbranch_execz .LBB614_2
; %bb.1:
	global_load_dword v20, v[5:6], off
	global_load_dword v18, v[3:4], off
.LBB614_2:
	s_or_b32 exec_lo, exec_lo, s0
	v_or_b32_e32 v8, 64, v7
	v_cmp_gt_i32_e64 s0, s22, v8
	s_and_b32 s1, s4, s0
	s_xor_b32 s1, s1, -1
	s_and_saveexec_b32 s2, s1
	s_xor_b32 s1, exec_lo, s2
                                        ; implicit-def: $vgpr8
                                        ; implicit-def: $vgpr9
                                        ; implicit-def: $vgpr11
                                        ; implicit-def: $vgpr12
                                        ; implicit-def: $vgpr13
                                        ; implicit-def: $vgpr14
                                        ; implicit-def: $vgpr15
                                        ; implicit-def: $vgpr16
                                        ; implicit-def: $vgpr17
                                        ; implicit-def: $vgpr21
                                        ; implicit-def: $vgpr22
                                        ; implicit-def: $vgpr23
                                        ; implicit-def: $vgpr25
                                        ; implicit-def: $vgpr24
                                        ; implicit-def: $vgpr10
; %bb.3:
	s_mov_b32 s2, 0
                                        ; implicit-def: $vgpr8
                                        ; implicit-def: $vgpr9
                                        ; implicit-def: $vgpr11
                                        ; implicit-def: $vgpr12
                                        ; implicit-def: $vgpr13
                                        ; implicit-def: $vgpr14
                                        ; implicit-def: $vgpr15
                                        ; implicit-def: $vgpr16
                                        ; implicit-def: $vgpr17
                                        ; implicit-def: $vgpr21
                                        ; implicit-def: $vgpr22
                                        ; implicit-def: $vgpr23
                                        ; implicit-def: $vgpr25
                                        ; implicit-def: $vgpr10
	v_mov_b32_e32 v24, s2
; %bb.4:
	s_or_saveexec_b32 s1, s1
	v_mov_b32_e32 v26, 0
	s_xor_b32 exec_lo, exec_lo, s1
	s_cbranch_execz .LBB614_6
; %bb.5:
	global_load_dword v24, v[5:6], off offset:256
	global_load_dword v26, v[3:4], off offset:256
.LBB614_6:
	s_or_b32 exec_lo, exec_lo, s1
	v_or_b32_e32 v27, 0x80, v7
	v_cmp_gt_i32_e64 s1, s22, v27
	s_and_b32 s2, s4, s1
	s_xor_b32 s2, s2, -1
	s_and_saveexec_b32 s3, s2
	s_xor_b32 s2, exec_lo, s3
; %bb.7:
	s_mov_b32 s3, 0
	v_mov_b32_e32 v25, s3
; %bb.8:
	s_or_saveexec_b32 s2, s2
	v_mov_b32_e32 v27, 0
	s_xor_b32 exec_lo, exec_lo, s2
	s_cbranch_execz .LBB614_10
; %bb.9:
	global_load_dword v25, v[5:6], off offset:512
	global_load_dword v27, v[3:4], off offset:512
.LBB614_10:
	s_or_b32 exec_lo, exec_lo, s2
	v_or_b32_e32 v28, 0xc0, v7
	v_cmp_gt_i32_e64 s2, s22, v28
	s_and_b32 s3, s4, s2
	s_xor_b32 s3, s3, -1
	s_and_saveexec_b32 s5, s3
	s_xor_b32 s3, exec_lo, s5
; %bb.11:
	s_mov_b32 s5, 0
	v_mov_b32_e32 v23, s5
; %bb.12:
	s_or_saveexec_b32 s3, s3
	v_mov_b32_e32 v28, 0
	s_xor_b32 exec_lo, exec_lo, s3
	s_cbranch_execz .LBB614_14
; %bb.13:
	global_load_dword v23, v[5:6], off offset:768
	global_load_dword v28, v[3:4], off offset:768
.LBB614_14:
	s_or_b32 exec_lo, exec_lo, s3
	v_or_b32_e32 v29, 0x100, v7
	v_cmp_gt_i32_e64 s3, s22, v29
	s_and_b32 s5, s4, s3
	s_xor_b32 s5, s5, -1
	s_and_saveexec_b32 s6, s5
	s_xor_b32 s5, exec_lo, s6
; %bb.15:
	s_mov_b32 s6, 0
	v_mov_b32_e32 v22, s6
; %bb.16:
	s_or_saveexec_b32 s5, s5
	v_mov_b32_e32 v29, 0
	s_xor_b32 exec_lo, exec_lo, s5
	s_cbranch_execz .LBB614_18
; %bb.17:
	global_load_dword v22, v[5:6], off offset:1024
	global_load_dword v29, v[3:4], off offset:1024
.LBB614_18:
	s_or_b32 exec_lo, exec_lo, s5
	v_or_b32_e32 v30, 0x140, v7
	v_cmp_gt_i32_e64 s5, s22, v30
	s_and_b32 s6, s4, s5
	s_xor_b32 s6, s6, -1
	s_and_saveexec_b32 s7, s6
	s_xor_b32 s6, exec_lo, s7
; %bb.19:
	s_mov_b32 s7, 0
	v_mov_b32_e32 v21, s7
; %bb.20:
	s_or_saveexec_b32 s6, s6
	v_mov_b32_e32 v30, 0
	s_xor_b32 exec_lo, exec_lo, s6
	s_cbranch_execz .LBB614_22
; %bb.21:
	global_load_dword v21, v[5:6], off offset:1280
	global_load_dword v30, v[3:4], off offset:1280
.LBB614_22:
	s_or_b32 exec_lo, exec_lo, s6
	v_or_b32_e32 v31, 0x180, v7
	v_cmp_gt_i32_e64 s6, s22, v31
	s_and_b32 s7, s4, s6
	s_xor_b32 s7, s7, -1
	s_and_saveexec_b32 s8, s7
	s_xor_b32 s7, exec_lo, s8
; %bb.23:
	s_mov_b32 s8, 0
	v_mov_b32_e32 v17, s8
; %bb.24:
	s_or_saveexec_b32 s7, s7
	v_mov_b32_e32 v31, 0
	s_xor_b32 exec_lo, exec_lo, s7
	s_cbranch_execz .LBB614_26
; %bb.25:
	global_load_dword v17, v[5:6], off offset:1536
	global_load_dword v31, v[3:4], off offset:1536
.LBB614_26:
	s_or_b32 exec_lo, exec_lo, s7
	v_or_b32_e32 v32, 0x1c0, v7
	v_cmp_gt_i32_e64 s7, s22, v32
	s_and_b32 s8, s4, s7
	s_xor_b32 s8, s8, -1
	s_and_saveexec_b32 s9, s8
	s_xor_b32 s8, exec_lo, s9
; %bb.27:
	s_mov_b32 s9, 0
	v_mov_b32_e32 v16, s9
; %bb.28:
	s_or_saveexec_b32 s8, s8
	v_mov_b32_e32 v32, 0
	s_xor_b32 exec_lo, exec_lo, s8
	s_cbranch_execz .LBB614_30
; %bb.29:
	global_load_dword v16, v[5:6], off offset:1792
	global_load_dword v32, v[3:4], off offset:1792
.LBB614_30:
	s_or_b32 exec_lo, exec_lo, s8
	v_or_b32_e32 v33, 0x200, v7
	v_cmp_gt_i32_e64 s8, s22, v33
	s_and_b32 s9, s4, s8
	s_xor_b32 s9, s9, -1
	s_and_saveexec_b32 s10, s9
	s_xor_b32 s9, exec_lo, s10
; %bb.31:
	s_mov_b32 s10, 0
	v_mov_b32_e32 v15, s10
; %bb.32:
	s_or_saveexec_b32 s10, s9
	v_mov_b32_e32 v33, 0
	s_xor_b32 exec_lo, exec_lo, s10
	s_cbranch_execz .LBB614_34
; %bb.33:
	v_add_co_u32 v33, s9, 0x800, v5
	v_add_co_ci_u32_e64 v34, null, 0, v6, s9
	v_add_co_u32 v35, s9, 0x800, v3
	v_add_co_ci_u32_e64 v36, null, 0, v4, s9
	global_load_dword v15, v[33:34], off
	global_load_dword v33, v[35:36], off
.LBB614_34:
	s_or_b32 exec_lo, exec_lo, s10
	v_or_b32_e32 v34, 0x240, v7
	v_cmp_gt_i32_e64 s9, s22, v34
	s_and_b32 s10, s4, s9
	s_xor_b32 s10, s10, -1
	s_and_saveexec_b32 s11, s10
	s_xor_b32 s10, exec_lo, s11
; %bb.35:
	s_mov_b32 s11, 0
	v_mov_b32_e32 v14, s11
; %bb.36:
	s_or_saveexec_b32 s11, s10
	v_mov_b32_e32 v34, 0
	s_xor_b32 exec_lo, exec_lo, s11
	s_cbranch_execz .LBB614_38
; %bb.37:
	v_add_co_u32 v34, s10, 0x800, v5
	v_add_co_ci_u32_e64 v35, null, 0, v6, s10
	v_add_co_u32 v36, s10, 0x800, v3
	v_add_co_ci_u32_e64 v37, null, 0, v4, s10
	global_load_dword v14, v[34:35], off offset:256
	global_load_dword v34, v[36:37], off offset:256
.LBB614_38:
	s_or_b32 exec_lo, exec_lo, s11
	v_or_b32_e32 v35, 0x280, v7
	v_cmp_gt_i32_e64 s10, s22, v35
	s_and_b32 s11, s4, s10
	s_xor_b32 s11, s11, -1
	s_and_saveexec_b32 s12, s11
	s_xor_b32 s11, exec_lo, s12
; %bb.39:
	s_mov_b32 s12, 0
	v_mov_b32_e32 v13, s12
; %bb.40:
	s_or_saveexec_b32 s12, s11
	v_mov_b32_e32 v35, 0
	s_xor_b32 exec_lo, exec_lo, s12
	s_cbranch_execz .LBB614_42
; %bb.41:
	v_add_co_u32 v35, s11, 0x800, v5
	v_add_co_ci_u32_e64 v36, null, 0, v6, s11
	v_add_co_u32 v37, s11, 0x800, v3
	v_add_co_ci_u32_e64 v38, null, 0, v4, s11
	global_load_dword v13, v[35:36], off offset:512
	global_load_dword v35, v[37:38], off offset:512
.LBB614_42:
	s_or_b32 exec_lo, exec_lo, s12
	v_or_b32_e32 v36, 0x2c0, v7
	v_cmp_gt_i32_e64 s11, s22, v36
	s_and_b32 s12, s4, s11
	s_xor_b32 s12, s12, -1
	s_and_saveexec_b32 s13, s12
	s_xor_b32 s12, exec_lo, s13
; %bb.43:
	s_mov_b32 s13, 0
	v_mov_b32_e32 v12, s13
; %bb.44:
	s_or_saveexec_b32 s13, s12
	v_mov_b32_e32 v36, 0
	s_xor_b32 exec_lo, exec_lo, s13
	s_cbranch_execz .LBB614_46
; %bb.45:
	v_add_co_u32 v36, s12, 0x800, v5
	v_add_co_ci_u32_e64 v37, null, 0, v6, s12
	v_add_co_u32 v38, s12, 0x800, v3
	v_add_co_ci_u32_e64 v39, null, 0, v4, s12
	global_load_dword v12, v[36:37], off offset:768
	global_load_dword v36, v[38:39], off offset:768
.LBB614_46:
	s_or_b32 exec_lo, exec_lo, s13
	v_or_b32_e32 v37, 0x300, v7
	v_cmp_gt_i32_e64 s12, s22, v37
	s_and_b32 s13, s4, s12
	s_xor_b32 s13, s13, -1
	s_and_saveexec_b32 s14, s13
	s_xor_b32 s13, exec_lo, s14
; %bb.47:
	s_mov_b32 s14, 0
	v_mov_b32_e32 v11, s14
; %bb.48:
	s_or_saveexec_b32 s14, s13
	v_mov_b32_e32 v37, 0
	s_xor_b32 exec_lo, exec_lo, s14
	s_cbranch_execz .LBB614_50
; %bb.49:
	v_add_co_u32 v37, s13, 0x800, v5
	v_add_co_ci_u32_e64 v38, null, 0, v6, s13
	v_add_co_u32 v39, s13, 0x800, v3
	v_add_co_ci_u32_e64 v40, null, 0, v4, s13
	global_load_dword v11, v[37:38], off offset:1024
	global_load_dword v37, v[39:40], off offset:1024
.LBB614_50:
	s_or_b32 exec_lo, exec_lo, s14
	v_or_b32_e32 v38, 0x340, v7
	v_cmp_gt_i32_e64 s13, s22, v38
	s_and_b32 s14, s4, s13
	s_xor_b32 s14, s14, -1
	s_and_saveexec_b32 s15, s14
	s_xor_b32 s14, exec_lo, s15
; %bb.51:
	s_mov_b32 s15, 0
	v_mov_b32_e32 v9, s15
; %bb.52:
	s_or_saveexec_b32 s15, s14
	v_mov_b32_e32 v38, 0
	s_xor_b32 exec_lo, exec_lo, s15
	s_cbranch_execz .LBB614_54
; %bb.53:
	v_add_co_u32 v38, s14, 0x800, v5
	v_add_co_ci_u32_e64 v39, null, 0, v6, s14
	v_add_co_u32 v40, s14, 0x800, v3
	v_add_co_ci_u32_e64 v41, null, 0, v4, s14
	global_load_dword v9, v[38:39], off offset:1280
	global_load_dword v38, v[40:41], off offset:1280
.LBB614_54:
	s_or_b32 exec_lo, exec_lo, s15
	v_or_b32_e32 v7, 0x380, v7
	v_cmp_gt_i32_e64 s14, s22, v7
	s_and_b32 s15, s4, s14
	s_xor_b32 s15, s15, -1
	s_and_saveexec_b32 s18, s15
	s_xor_b32 s15, exec_lo, s18
; %bb.55:
	s_mov_b32 s18, 0
	v_mov_b32_e32 v8, s18
; %bb.56:
	s_or_saveexec_b32 s18, s15
	v_mov_b32_e32 v7, 0
	s_xor_b32 exec_lo, exec_lo, s18
	s_cbranch_execz .LBB614_58
; %bb.57:
	v_add_co_u32 v7, s15, 0x800, v5
	v_add_co_ci_u32_e64 v8, null, 0, v6, s15
	v_add_co_u32 v39, s15, 0x800, v3
	v_add_co_ci_u32_e64 v40, null, 0, v4, s15
	global_load_dword v8, v[7:8], off offset:1536
	global_load_dword v7, v[39:40], off offset:1536
.LBB614_58:
	s_or_b32 exec_lo, exec_lo, s18
	v_or_b32_e32 v0, 0x3c0, v0
	v_cmp_gt_i32_e64 s15, s22, v0
	s_and_b32 s4, s4, s15
	s_xor_b32 s4, s4, -1
	s_and_saveexec_b32 s18, s4
	s_xor_b32 s4, exec_lo, s18
; %bb.59:
	s_mov_b32 s18, 0
                                        ; implicit-def: $vgpr5
                                        ; implicit-def: $vgpr3
	v_mov_b32_e32 v10, s18
; %bb.60:
	s_or_saveexec_b32 s18, s4
	v_mov_b32_e32 v39, 0
	s_xor_b32 exec_lo, exec_lo, s18
	s_cbranch_execz .LBB614_62
; %bb.61:
	v_add_co_u32 v5, s4, 0x800, v5
	v_add_co_ci_u32_e64 v6, null, 0, v6, s4
	v_add_co_u32 v3, s4, 0x800, v3
	v_add_co_ci_u32_e64 v4, null, 0, v4, s4
	global_load_dword v10, v[5:6], off offset:1792
	global_load_dword v39, v[3:4], off offset:1792
.LBB614_62:
	s_or_b32 exec_lo, exec_lo, s18
	s_waitcnt vmcnt(1)
	v_add_f32_e32 v0, 0, v20
	v_mbcnt_lo_u32_b32 v3, -1, 0
	s_mov_b32 s18, exec_lo
	v_add_f32_e32 v0, v0, v24
	v_or_b32_e32 v4, 32, v3
	v_xor_b32_e32 v5, 16, v3
	v_add_f32_e32 v0, v0, v25
	v_cmp_gt_i32_e64 s4, 64, v4
	v_add_f32_e32 v0, v0, v23
	v_cndmask_b32_e64 v4, v3, v4, s4
	v_cmp_gt_i32_e64 s4, 64, v5
	v_add_f32_e32 v0, v0, v22
	v_lshlrev_b32_e32 v4, 2, v4
	v_cndmask_b32_e64 v5, v3, v5, s4
	v_add_f32_e32 v0, v0, v21
	v_lshlrev_b32_e32 v5, 2, v5
	v_add_f32_e32 v0, v0, v17
	v_add_f32_e32 v0, v0, v16
	;; [unrolled: 1-line block ×10, first 2 shown]
	ds_bpermute_b32 v4, v4, v0
	s_waitcnt lgkmcnt(0)
	v_add_f32_e32 v0, v0, v4
	ds_bpermute_b32 v4, v5, v0
	v_xor_b32_e32 v5, 8, v3
	v_cmp_gt_i32_e64 s4, 64, v5
	v_cndmask_b32_e64 v5, v3, v5, s4
	v_lshlrev_b32_e32 v5, 2, v5
	s_waitcnt lgkmcnt(0)
	v_add_f32_e32 v0, v0, v4
	ds_bpermute_b32 v4, v5, v0
	v_xor_b32_e32 v5, 4, v3
	v_cmp_gt_i32_e64 s4, 64, v5
	v_cndmask_b32_e64 v5, v3, v5, s4
	v_lshlrev_b32_e32 v5, 2, v5
	;; [unrolled: 7-line block ×3, first 2 shown]
	s_waitcnt lgkmcnt(0)
	v_add_f32_e32 v0, v0, v4
	ds_bpermute_b32 v4, v5, v0
	v_xor_b32_e32 v5, 1, v3
	v_cmp_gt_i32_e64 s4, 64, v5
	v_cndmask_b32_e64 v5, v3, v5, s4
	s_waitcnt lgkmcnt(0)
	v_add_f32_e32 v3, v0, v4
	v_lshlrev_b32_e32 v0, 2, v5
	ds_bpermute_b32 v4, v0, v3
	v_cmpx_lt_i32_e32 0, v19
	s_cbranch_execz .LBB614_80
; %bb.63:
	v_lshlrev_b64 v[0:1], 1, v[1:2]
	s_waitcnt lgkmcnt(0)
	v_add_f32_e32 v2, v3, v4
	v_add_co_u32 v0, s4, s16, v0
	v_add_co_ci_u32_e64 v1, null, s17, v1, s4
	s_and_saveexec_b32 s4, vcc_lo
	s_cbranch_execnz .LBB614_81
; %bb.64:
	s_or_b32 exec_lo, exec_lo, s4
	s_and_saveexec_b32 s4, s0
	s_cbranch_execnz .LBB614_82
.LBB614_65:
	s_or_b32 exec_lo, exec_lo, s4
	s_and_saveexec_b32 s0, s1
	s_cbranch_execnz .LBB614_83
.LBB614_66:
	s_or_b32 exec_lo, exec_lo, s0
	s_and_saveexec_b32 s0, s2
	s_cbranch_execnz .LBB614_84
.LBB614_67:
	s_or_b32 exec_lo, exec_lo, s0
	s_and_saveexec_b32 s0, s3
	s_cbranch_execnz .LBB614_85
.LBB614_68:
	s_or_b32 exec_lo, exec_lo, s0
	s_and_saveexec_b32 s0, s5
	s_cbranch_execnz .LBB614_86
.LBB614_69:
	s_or_b32 exec_lo, exec_lo, s0
	s_and_saveexec_b32 s0, s6
	s_cbranch_execnz .LBB614_87
.LBB614_70:
	s_or_b32 exec_lo, exec_lo, s0
	s_and_saveexec_b32 s0, s7
	s_cbranch_execnz .LBB614_88
.LBB614_71:
	s_or_b32 exec_lo, exec_lo, s0
	s_and_saveexec_b32 s0, s8
	s_cbranch_execnz .LBB614_89
.LBB614_72:
	s_or_b32 exec_lo, exec_lo, s0
	s_and_saveexec_b32 s0, s9
	s_cbranch_execnz .LBB614_90
.LBB614_73:
	s_or_b32 exec_lo, exec_lo, s0
	s_and_saveexec_b32 s0, s10
	s_cbranch_execnz .LBB614_91
.LBB614_74:
	s_or_b32 exec_lo, exec_lo, s0
	s_and_saveexec_b32 s0, s11
	s_cbranch_execnz .LBB614_92
.LBB614_75:
	s_or_b32 exec_lo, exec_lo, s0
	s_and_saveexec_b32 s0, s12
	s_cbranch_execnz .LBB614_93
.LBB614_76:
	s_or_b32 exec_lo, exec_lo, s0
	s_and_saveexec_b32 s0, s13
	s_cbranch_execnz .LBB614_94
.LBB614_77:
	s_or_b32 exec_lo, exec_lo, s0
	s_and_saveexec_b32 s0, s14
	s_cbranch_execnz .LBB614_95
.LBB614_78:
	s_or_b32 exec_lo, exec_lo, s0
	s_and_b32 exec_lo, exec_lo, s15
	s_cbranch_execz .LBB614_80
.LBB614_79:
	s_waitcnt vmcnt(0)
	v_fma_mixlo_f16 v2, -v2, v39, v10
	global_store_short v[0:1], v2, off offset:1920
.LBB614_80:
	s_endpgm
.LBB614_81:
	s_waitcnt vmcnt(0)
	v_fma_mixlo_f16 v3, -v2, v18, v20
	global_store_short v[0:1], v3, off
	s_or_b32 exec_lo, exec_lo, s4
	s_and_saveexec_b32 s4, s0
	s_cbranch_execz .LBB614_65
.LBB614_82:
	s_waitcnt vmcnt(0)
	v_fma_mixlo_f16 v3, -v2, v26, v24
	global_store_short v[0:1], v3, off offset:128
	s_or_b32 exec_lo, exec_lo, s4
	s_and_saveexec_b32 s0, s1
	s_cbranch_execz .LBB614_66
.LBB614_83:
	s_waitcnt vmcnt(0)
	v_fma_mixlo_f16 v3, -v2, v27, v25
	global_store_short v[0:1], v3, off offset:256
	s_or_b32 exec_lo, exec_lo, s0
	s_and_saveexec_b32 s0, s2
	s_cbranch_execz .LBB614_67
.LBB614_84:
	s_waitcnt vmcnt(0)
	v_fma_mixlo_f16 v3, -v2, v28, v23
	global_store_short v[0:1], v3, off offset:384
	s_or_b32 exec_lo, exec_lo, s0
	s_and_saveexec_b32 s0, s3
	s_cbranch_execz .LBB614_68
.LBB614_85:
	s_waitcnt vmcnt(0)
	v_fma_mixlo_f16 v3, -v2, v29, v22
	global_store_short v[0:1], v3, off offset:512
	s_or_b32 exec_lo, exec_lo, s0
	s_and_saveexec_b32 s0, s5
	s_cbranch_execz .LBB614_69
.LBB614_86:
	s_waitcnt vmcnt(0)
	v_fma_mixlo_f16 v3, -v2, v30, v21
	global_store_short v[0:1], v3, off offset:640
	s_or_b32 exec_lo, exec_lo, s0
	s_and_saveexec_b32 s0, s6
	s_cbranch_execz .LBB614_70
.LBB614_87:
	s_waitcnt vmcnt(0)
	v_fma_mixlo_f16 v3, -v2, v31, v17
	global_store_short v[0:1], v3, off offset:768
	s_or_b32 exec_lo, exec_lo, s0
	s_and_saveexec_b32 s0, s7
	s_cbranch_execz .LBB614_71
.LBB614_88:
	s_waitcnt vmcnt(0)
	v_fma_mixlo_f16 v3, -v2, v32, v16
	global_store_short v[0:1], v3, off offset:896
	s_or_b32 exec_lo, exec_lo, s0
	s_and_saveexec_b32 s0, s8
	s_cbranch_execz .LBB614_72
.LBB614_89:
	s_waitcnt vmcnt(0)
	v_fma_mixlo_f16 v3, -v2, v33, v15
	global_store_short v[0:1], v3, off offset:1024
	s_or_b32 exec_lo, exec_lo, s0
	s_and_saveexec_b32 s0, s9
	s_cbranch_execz .LBB614_73
.LBB614_90:
	s_waitcnt vmcnt(0)
	v_fma_mixlo_f16 v3, -v2, v34, v14
	global_store_short v[0:1], v3, off offset:1152
	s_or_b32 exec_lo, exec_lo, s0
	s_and_saveexec_b32 s0, s10
	s_cbranch_execz .LBB614_74
.LBB614_91:
	s_waitcnt vmcnt(0)
	v_fma_mixlo_f16 v3, -v2, v35, v13
	global_store_short v[0:1], v3, off offset:1280
	s_or_b32 exec_lo, exec_lo, s0
	s_and_saveexec_b32 s0, s11
	s_cbranch_execz .LBB614_75
.LBB614_92:
	s_waitcnt vmcnt(0)
	v_fma_mixlo_f16 v3, -v2, v36, v12
	global_store_short v[0:1], v3, off offset:1408
	s_or_b32 exec_lo, exec_lo, s0
	s_and_saveexec_b32 s0, s12
	s_cbranch_execz .LBB614_76
.LBB614_93:
	s_waitcnt vmcnt(0)
	v_fma_mixlo_f16 v3, -v2, v37, v11
	global_store_short v[0:1], v3, off offset:1536
	s_or_b32 exec_lo, exec_lo, s0
	s_and_saveexec_b32 s0, s13
	s_cbranch_execz .LBB614_77
.LBB614_94:
	s_waitcnt vmcnt(0)
	v_fma_mixlo_f16 v3, -v2, v38, v9
	global_store_short v[0:1], v3, off offset:1664
	s_or_b32 exec_lo, exec_lo, s0
	s_and_saveexec_b32 s0, s14
	s_cbranch_execz .LBB614_78
.LBB614_95:
	s_waitcnt vmcnt(0)
	v_fma_mixlo_f16 v3, -v2, v7, v8
	global_store_short v[0:1], v3, off offset:1792
	s_or_b32 exec_lo, exec_lo, s0
	s_and_b32 exec_lo, exec_lo, s15
	s_cbranch_execnz .LBB614_79
	s_branch .LBB614_80
	.section	.rodata,"a",@progbits
	.p2align	6, 0x0
	.amdhsa_kernel _ZN12_GLOBAL__N_121softmax_warp_backwardIfN3c104HalfEfLi10ELb0ELb0ELi64EEEvPT0_PKT_S7_iiiPKb
		.amdhsa_group_segment_fixed_size 0
		.amdhsa_private_segment_fixed_size 0
		.amdhsa_kernarg_size 304
		.amdhsa_user_sgpr_count 6
		.amdhsa_user_sgpr_private_segment_buffer 1
		.amdhsa_user_sgpr_dispatch_ptr 0
		.amdhsa_user_sgpr_queue_ptr 0
		.amdhsa_user_sgpr_kernarg_segment_ptr 1
		.amdhsa_user_sgpr_dispatch_id 0
		.amdhsa_user_sgpr_flat_scratch_init 0
		.amdhsa_user_sgpr_private_segment_size 0
		.amdhsa_wavefront_size32 1
		.amdhsa_uses_dynamic_stack 0
		.amdhsa_system_sgpr_private_segment_wavefront_offset 0
		.amdhsa_system_sgpr_workgroup_id_x 1
		.amdhsa_system_sgpr_workgroup_id_y 0
		.amdhsa_system_sgpr_workgroup_id_z 0
		.amdhsa_system_sgpr_workgroup_info 0
		.amdhsa_system_vgpr_workitem_id 1
		.amdhsa_next_free_vgpr 42
		.amdhsa_next_free_sgpr 24
		.amdhsa_reserve_vcc 1
		.amdhsa_reserve_flat_scratch 0
		.amdhsa_float_round_mode_32 0
		.amdhsa_float_round_mode_16_64 0
		.amdhsa_float_denorm_mode_32 3
		.amdhsa_float_denorm_mode_16_64 3
		.amdhsa_dx10_clamp 1
		.amdhsa_ieee_mode 1
		.amdhsa_fp16_overflow 0
		.amdhsa_workgroup_processor_mode 1
		.amdhsa_memory_ordered 1
		.amdhsa_forward_progress 1
		.amdhsa_shared_vgpr_count 0
		.amdhsa_exception_fp_ieee_invalid_op 0
		.amdhsa_exception_fp_denorm_src 0
		.amdhsa_exception_fp_ieee_div_zero 0
		.amdhsa_exception_fp_ieee_overflow 0
		.amdhsa_exception_fp_ieee_underflow 0
		.amdhsa_exception_fp_ieee_inexact 0
		.amdhsa_exception_int_div_zero 0
	.end_amdhsa_kernel
	.section	.text._ZN12_GLOBAL__N_121softmax_warp_backwardIfN3c104HalfEfLi10ELb0ELb0ELi64EEEvPT0_PKT_S7_iiiPKb,"axG",@progbits,_ZN12_GLOBAL__N_121softmax_warp_backwardIfN3c104HalfEfLi10ELb0ELb0ELi64EEEvPT0_PKT_S7_iiiPKb,comdat
.Lfunc_end614:
	.size	_ZN12_GLOBAL__N_121softmax_warp_backwardIfN3c104HalfEfLi10ELb0ELb0ELi64EEEvPT0_PKT_S7_iiiPKb, .Lfunc_end614-_ZN12_GLOBAL__N_121softmax_warp_backwardIfN3c104HalfEfLi10ELb0ELb0ELi64EEEvPT0_PKT_S7_iiiPKb
                                        ; -- End function
	.set _ZN12_GLOBAL__N_121softmax_warp_backwardIfN3c104HalfEfLi10ELb0ELb0ELi64EEEvPT0_PKT_S7_iiiPKb.num_vgpr, 42
	.set _ZN12_GLOBAL__N_121softmax_warp_backwardIfN3c104HalfEfLi10ELb0ELb0ELi64EEEvPT0_PKT_S7_iiiPKb.num_agpr, 0
	.set _ZN12_GLOBAL__N_121softmax_warp_backwardIfN3c104HalfEfLi10ELb0ELb0ELi64EEEvPT0_PKT_S7_iiiPKb.numbered_sgpr, 24
	.set _ZN12_GLOBAL__N_121softmax_warp_backwardIfN3c104HalfEfLi10ELb0ELb0ELi64EEEvPT0_PKT_S7_iiiPKb.num_named_barrier, 0
	.set _ZN12_GLOBAL__N_121softmax_warp_backwardIfN3c104HalfEfLi10ELb0ELb0ELi64EEEvPT0_PKT_S7_iiiPKb.private_seg_size, 0
	.set _ZN12_GLOBAL__N_121softmax_warp_backwardIfN3c104HalfEfLi10ELb0ELb0ELi64EEEvPT0_PKT_S7_iiiPKb.uses_vcc, 1
	.set _ZN12_GLOBAL__N_121softmax_warp_backwardIfN3c104HalfEfLi10ELb0ELb0ELi64EEEvPT0_PKT_S7_iiiPKb.uses_flat_scratch, 0
	.set _ZN12_GLOBAL__N_121softmax_warp_backwardIfN3c104HalfEfLi10ELb0ELb0ELi64EEEvPT0_PKT_S7_iiiPKb.has_dyn_sized_stack, 0
	.set _ZN12_GLOBAL__N_121softmax_warp_backwardIfN3c104HalfEfLi10ELb0ELb0ELi64EEEvPT0_PKT_S7_iiiPKb.has_recursion, 0
	.set _ZN12_GLOBAL__N_121softmax_warp_backwardIfN3c104HalfEfLi10ELb0ELb0ELi64EEEvPT0_PKT_S7_iiiPKb.has_indirect_call, 0
	.section	.AMDGPU.csdata,"",@progbits
; Kernel info:
; codeLenInByte = 2672
; TotalNumSgprs: 26
; NumVgprs: 42
; ScratchSize: 0
; MemoryBound: 0
; FloatMode: 240
; IeeeMode: 1
; LDSByteSize: 0 bytes/workgroup (compile time only)
; SGPRBlocks: 0
; VGPRBlocks: 5
; NumSGPRsForWavesPerEU: 26
; NumVGPRsForWavesPerEU: 42
; Occupancy: 16
; WaveLimiterHint : 0
; COMPUTE_PGM_RSRC2:SCRATCH_EN: 0
; COMPUTE_PGM_RSRC2:USER_SGPR: 6
; COMPUTE_PGM_RSRC2:TRAP_HANDLER: 0
; COMPUTE_PGM_RSRC2:TGID_X_EN: 1
; COMPUTE_PGM_RSRC2:TGID_Y_EN: 0
; COMPUTE_PGM_RSRC2:TGID_Z_EN: 0
; COMPUTE_PGM_RSRC2:TIDIG_COMP_CNT: 1
	.section	.text._ZN12_GLOBAL__N_121softmax_warp_backwardIfN3c104HalfEfLi10ELb0ELb0ELi32EEEvPT0_PKT_S7_iiiPKb,"axG",@progbits,_ZN12_GLOBAL__N_121softmax_warp_backwardIfN3c104HalfEfLi10ELb0ELb0ELi32EEEvPT0_PKT_S7_iiiPKb,comdat
	.globl	_ZN12_GLOBAL__N_121softmax_warp_backwardIfN3c104HalfEfLi10ELb0ELb0ELi32EEEvPT0_PKT_S7_iiiPKb ; -- Begin function _ZN12_GLOBAL__N_121softmax_warp_backwardIfN3c104HalfEfLi10ELb0ELb0ELi32EEEvPT0_PKT_S7_iiiPKb
	.p2align	8
	.type	_ZN12_GLOBAL__N_121softmax_warp_backwardIfN3c104HalfEfLi10ELb0ELb0ELi32EEEvPT0_PKT_S7_iiiPKb,@function
_ZN12_GLOBAL__N_121softmax_warp_backwardIfN3c104HalfEfLi10ELb0ELb0ELi32EEEvPT0_PKT_S7_iiiPKb: ; @_ZN12_GLOBAL__N_121softmax_warp_backwardIfN3c104HalfEfLi10ELb0ELb0ELi32EEEvPT0_PKT_S7_iiiPKb
; %bb.0:
	s_clause 0x1
	s_load_dword s0, s[4:5], 0x3c
	s_load_dwordx4 s[40:43], s[4:5], 0x18
	v_and_b32_e32 v7, 31, v0
	s_clause 0x1
	s_load_dwordx4 s[36:39], s[4:5], 0x0
	s_load_dwordx2 s[4:5], s[4:5], 0x10
	v_mov_b32_e32 v31, 0
	v_mov_b32_e32 v34, 0
	s_waitcnt lgkmcnt(0)
	s_lshr_b32 s0, s0, 16
	v_cmp_gt_i32_e32 vcc_lo, s42, v7
	v_mad_u64_u32 v[3:4], null, s6, s0, v[1:2]
	v_mad_u64_u32 v[1:2], null, v3, s41, v[7:8]
	v_sub_nc_u32_e32 v32, s40, v3
	v_cmp_lt_i32_e64 s3, 0, v32
	v_ashrrev_i32_e32 v2, 31, v1
	s_and_b32 s1, s3, vcc_lo
	v_lshlrev_b64 v[3:4], 2, v[1:2]
	v_add_co_u32 v5, s0, s38, v3
	v_add_co_ci_u32_e64 v6, null, s39, v4, s0
	v_add_co_u32 v3, s0, s4, v3
	v_add_co_ci_u32_e64 v4, null, s5, v4, s0
	s_and_saveexec_b32 s0, s1
	s_cbranch_execz .LBB615_2
; %bb.1:
	global_load_dword v34, v[5:6], off
	global_load_dword v31, v[3:4], off
.LBB615_2:
	s_or_b32 exec_lo, exec_lo, s0
	v_or_b32_e32 v8, 32, v7
	v_cmp_gt_i32_e64 s0, s42, v8
	s_and_b32 s1, s3, s0
	s_xor_b32 s1, s1, -1
	s_mov_b32 s2, exec_lo
	s_and_b32 s4, s2, s1
                                        ; implicit-def: $vgpr8
                                        ; implicit-def: $vgpr9
                                        ; implicit-def: $vgpr10
                                        ; implicit-def: $vgpr11
                                        ; implicit-def: $vgpr12
                                        ; implicit-def: $vgpr14
                                        ; implicit-def: $vgpr15
                                        ; implicit-def: $vgpr16
                                        ; implicit-def: $vgpr17
                                        ; implicit-def: $vgpr18
                                        ; implicit-def: $vgpr19
                                        ; implicit-def: $vgpr20
                                        ; implicit-def: $vgpr21
                                        ; implicit-def: $vgpr22
                                        ; implicit-def: $vgpr23
                                        ; implicit-def: $vgpr24
                                        ; implicit-def: $vgpr25
                                        ; implicit-def: $vgpr26
                                        ; implicit-def: $vgpr27
                                        ; implicit-def: $vgpr28
                                        ; implicit-def: $vgpr29
                                        ; implicit-def: $vgpr30
                                        ; implicit-def: $vgpr33
                                        ; implicit-def: $vgpr35
                                        ; implicit-def: $vgpr36
                                        ; implicit-def: $vgpr37
                                        ; implicit-def: $vgpr38
                                        ; implicit-def: $vgpr40
                                        ; implicit-def: $vgpr41
                                        ; implicit-def: $vgpr39
                                        ; implicit-def: $vgpr13
	s_xor_b32 s1, s4, s2
	s_mov_b32 exec_lo, s4
; %bb.3:
	s_mov_b32 s2, 0
                                        ; implicit-def: $vgpr8
                                        ; implicit-def: $vgpr9
                                        ; implicit-def: $vgpr10
                                        ; implicit-def: $vgpr11
                                        ; implicit-def: $vgpr12
                                        ; implicit-def: $vgpr14
                                        ; implicit-def: $vgpr15
                                        ; implicit-def: $vgpr16
                                        ; implicit-def: $vgpr17
                                        ; implicit-def: $vgpr18
                                        ; implicit-def: $vgpr19
                                        ; implicit-def: $vgpr20
                                        ; implicit-def: $vgpr21
                                        ; implicit-def: $vgpr22
                                        ; implicit-def: $vgpr23
                                        ; implicit-def: $vgpr24
                                        ; implicit-def: $vgpr25
                                        ; implicit-def: $vgpr26
                                        ; implicit-def: $vgpr27
                                        ; implicit-def: $vgpr28
                                        ; implicit-def: $vgpr29
                                        ; implicit-def: $vgpr30
                                        ; implicit-def: $vgpr33
                                        ; implicit-def: $vgpr35
                                        ; implicit-def: $vgpr36
                                        ; implicit-def: $vgpr37
                                        ; implicit-def: $vgpr38
                                        ; implicit-def: $vgpr40
                                        ; implicit-def: $vgpr41
                                        ; implicit-def: $vgpr13
	v_mov_b32_e32 v39, s2
; %bb.4:
	s_or_saveexec_b32 s1, s1
	v_mov_b32_e32 v42, 0
	s_xor_b32 exec_lo, exec_lo, s1
	s_cbranch_execz .LBB615_6
; %bb.5:
	global_load_dword v39, v[5:6], off offset:128
	global_load_dword v42, v[3:4], off offset:128
.LBB615_6:
	s_or_b32 exec_lo, exec_lo, s1
	v_or_b32_e32 v43, 64, v7
	v_cmp_gt_i32_e64 s1, s42, v43
	s_and_b32 s2, s3, s1
	s_xor_b32 s2, s2, -1
	s_and_saveexec_b32 s4, s2
	s_xor_b32 s2, exec_lo, s4
; %bb.7:
	s_mov_b32 s4, 0
	v_mov_b32_e32 v41, s4
; %bb.8:
	s_or_saveexec_b32 s2, s2
	v_mov_b32_e32 v43, 0
	s_xor_b32 exec_lo, exec_lo, s2
	s_cbranch_execz .LBB615_10
; %bb.9:
	global_load_dword v41, v[5:6], off offset:256
	global_load_dword v43, v[3:4], off offset:256
.LBB615_10:
	s_or_b32 exec_lo, exec_lo, s2
	v_or_b32_e32 v44, 0x60, v7
	v_cmp_gt_i32_e64 s2, s42, v44
	s_and_b32 s4, s3, s2
	s_xor_b32 s4, s4, -1
	s_and_saveexec_b32 s5, s4
	s_xor_b32 s4, exec_lo, s5
; %bb.11:
	s_mov_b32 s5, 0
	;; [unrolled: 19-line block ×15, first 2 shown]
	v_mov_b32_e32 v23, s18
; %bb.64:
	s_or_saveexec_b32 s18, s17
	v_mov_b32_e32 v57, 0
	s_xor_b32 exec_lo, exec_lo, s18
	s_cbranch_execz .LBB615_66
; %bb.65:
	v_add_co_u32 v57, s17, 0x800, v5
	v_add_co_ci_u32_e64 v58, null, 0, v6, s17
	v_add_co_u32 v59, s17, 0x800, v3
	v_add_co_ci_u32_e64 v60, null, 0, v4, s17
	global_load_dword v23, v[57:58], off
	global_load_dword v57, v[59:60], off
.LBB615_66:
	s_or_b32 exec_lo, exec_lo, s18
	v_or_b32_e32 v58, 0x220, v7
	v_cmp_gt_i32_e64 s17, s42, v58
	s_and_b32 s18, s3, s17
	s_xor_b32 s18, s18, -1
	s_and_saveexec_b32 s19, s18
	s_xor_b32 s18, exec_lo, s19
; %bb.67:
	s_mov_b32 s19, 0
	v_mov_b32_e32 v22, s19
; %bb.68:
	s_or_saveexec_b32 s19, s18
	v_mov_b32_e32 v58, 0
	s_xor_b32 exec_lo, exec_lo, s19
	s_cbranch_execz .LBB615_70
; %bb.69:
	v_add_co_u32 v58, s18, 0x800, v5
	v_add_co_ci_u32_e64 v59, null, 0, v6, s18
	v_add_co_u32 v60, s18, 0x800, v3
	v_add_co_ci_u32_e64 v61, null, 0, v4, s18
	global_load_dword v22, v[58:59], off offset:128
	global_load_dword v58, v[60:61], off offset:128
.LBB615_70:
	s_or_b32 exec_lo, exec_lo, s19
	v_or_b32_e32 v59, 0x240, v7
	v_cmp_gt_i32_e64 s18, s42, v59
	s_and_b32 s19, s3, s18
	s_xor_b32 s19, s19, -1
	s_and_saveexec_b32 s20, s19
	s_xor_b32 s19, exec_lo, s20
; %bb.71:
	s_mov_b32 s20, 0
	v_mov_b32_e32 v21, s20
; %bb.72:
	s_or_saveexec_b32 s20, s19
	v_mov_b32_e32 v59, 0
	s_xor_b32 exec_lo, exec_lo, s20
	s_cbranch_execz .LBB615_74
; %bb.73:
	v_add_co_u32 v59, s19, 0x800, v5
	v_add_co_ci_u32_e64 v60, null, 0, v6, s19
	v_add_co_u32 v61, s19, 0x800, v3
	v_add_co_ci_u32_e64 v62, null, 0, v4, s19
	global_load_dword v21, v[59:60], off offset:256
	global_load_dword v59, v[61:62], off offset:256
.LBB615_74:
	;; [unrolled: 23-line block ×3, first 2 shown]
	s_or_b32 exec_lo, exec_lo, s21
	v_or_b32_e32 v61, 0x280, v7
	v_cmp_gt_i32_e64 s20, s42, v61
	s_and_b32 s21, s3, s20
	s_xor_b32 s21, s21, -1
	s_and_saveexec_b32 s22, s21
	s_xor_b32 s21, exec_lo, s22
; %bb.79:
	s_mov_b32 s22, 0
	v_mov_b32_e32 v19, s22
; %bb.80:
	s_or_saveexec_b32 s22, s21
	v_mov_b32_e32 v61, 0
	s_xor_b32 exec_lo, exec_lo, s22
	s_cbranch_execz .LBB615_82
; %bb.81:
	v_add_co_u32 v61, s21, 0x800, v5
	v_add_co_ci_u32_e64 v62, null, 0, v6, s21
	global_load_dword v19, v[61:62], off offset:512
	v_add_co_u32 v61, s21, 0x800, v3
	v_add_co_ci_u32_e64 v62, null, 0, v4, s21
	global_load_dword v61, v[61:62], off offset:512
.LBB615_82:
	s_or_b32 exec_lo, exec_lo, s22
	v_or_b32_e32 v62, 0x2a0, v7
	v_cmp_gt_i32_e64 s21, s42, v62
	s_and_b32 s22, s3, s21
	s_xor_b32 s22, s22, -1
	s_and_saveexec_b32 s23, s22
	s_xor_b32 s22, exec_lo, s23
; %bb.83:
	s_mov_b32 s23, 0
	v_mov_b32_e32 v18, s23
; %bb.84:
	s_or_saveexec_b32 s23, s22
	v_mov_b32_e32 v62, 0
	s_xor_b32 exec_lo, exec_lo, s23
	s_cbranch_execz .LBB615_86
; %bb.85:
	v_add_co_u32 v62, s22, 0x800, v5
	v_add_co_ci_u32_e64 v63, null, 0, v6, s22
	v_add_co_u32 v64, s22, 0x800, v3
	v_add_co_ci_u32_e64 v65, null, 0, v4, s22
	global_load_dword v18, v[62:63], off offset:640
	global_load_dword v62, v[64:65], off offset:640
.LBB615_86:
	s_or_b32 exec_lo, exec_lo, s23
	v_or_b32_e32 v63, 0x2c0, v7
	v_cmp_gt_i32_e64 s22, s42, v63
	s_and_b32 s23, s3, s22
	s_xor_b32 s23, s23, -1
	s_and_saveexec_b32 s24, s23
	s_xor_b32 s23, exec_lo, s24
; %bb.87:
	s_mov_b32 s24, 0
	v_mov_b32_e32 v17, s24
; %bb.88:
	s_or_saveexec_b32 s24, s23
	v_mov_b32_e32 v63, 0
	s_xor_b32 exec_lo, exec_lo, s24
	s_cbranch_execz .LBB615_90
; %bb.89:
	v_add_co_u32 v63, s23, 0x800, v5
	v_add_co_ci_u32_e64 v64, null, 0, v6, s23
	v_add_co_u32 v65, s23, 0x800, v3
	v_add_co_ci_u32_e64 v66, null, 0, v4, s23
	global_load_dword v17, v[63:64], off offset:768
	global_load_dword v63, v[65:66], off offset:768
.LBB615_90:
	s_or_b32 exec_lo, exec_lo, s24
	v_or_b32_e32 v64, 0x2e0, v7
	v_cmp_gt_i32_e64 s23, s42, v64
	s_and_b32 s24, s3, s23
	s_xor_b32 s24, s24, -1
	s_and_saveexec_b32 s25, s24
	s_xor_b32 s24, exec_lo, s25
; %bb.91:
	s_mov_b32 s25, 0
	v_mov_b32_e32 v16, s25
; %bb.92:
	s_or_saveexec_b32 s25, s24
	v_mov_b32_e32 v64, 0
	s_xor_b32 exec_lo, exec_lo, s25
	s_cbranch_execz .LBB615_94
; %bb.93:
	v_add_co_u32 v64, s24, 0x800, v5
	v_add_co_ci_u32_e64 v65, null, 0, v6, s24
	v_add_co_u32 v66, s24, 0x800, v3
	v_add_co_ci_u32_e64 v67, null, 0, v4, s24
	global_load_dword v16, v[64:65], off offset:896
	global_load_dword v64, v[66:67], off offset:896
.LBB615_94:
	s_or_b32 exec_lo, exec_lo, s25
	v_or_b32_e32 v65, 0x300, v7
	v_cmp_gt_i32_e64 s24, s42, v65
	s_and_b32 s25, s3, s24
	s_xor_b32 s25, s25, -1
	s_and_saveexec_b32 s26, s25
	s_xor_b32 s25, exec_lo, s26
; %bb.95:
	s_mov_b32 s26, 0
	v_mov_b32_e32 v15, s26
; %bb.96:
	s_or_saveexec_b32 s26, s25
	v_mov_b32_e32 v65, 0
	s_xor_b32 exec_lo, exec_lo, s26
	s_cbranch_execz .LBB615_98
; %bb.97:
	v_add_co_u32 v65, s25, 0x800, v5
	v_add_co_ci_u32_e64 v66, null, 0, v6, s25
	v_add_co_u32 v67, s25, 0x800, v3
	v_add_co_ci_u32_e64 v68, null, 0, v4, s25
	global_load_dword v15, v[65:66], off offset:1024
	global_load_dword v65, v[67:68], off offset:1024
.LBB615_98:
	s_or_b32 exec_lo, exec_lo, s26
	v_or_b32_e32 v66, 0x320, v7
	v_cmp_gt_i32_e64 s25, s42, v66
	s_and_b32 s26, s3, s25
	s_xor_b32 s26, s26, -1
	s_and_saveexec_b32 s27, s26
	s_xor_b32 s26, exec_lo, s27
; %bb.99:
	s_mov_b32 s27, 0
	v_mov_b32_e32 v14, s27
; %bb.100:
	s_or_saveexec_b32 s27, s26
	v_mov_b32_e32 v66, 0
	s_xor_b32 exec_lo, exec_lo, s27
	s_cbranch_execz .LBB615_102
; %bb.101:
	v_add_co_u32 v66, s26, 0x800, v5
	v_add_co_ci_u32_e64 v67, null, 0, v6, s26
	v_add_co_u32 v68, s26, 0x800, v3
	v_add_co_ci_u32_e64 v69, null, 0, v4, s26
	global_load_dword v14, v[66:67], off offset:1152
	global_load_dword v66, v[68:69], off offset:1152
.LBB615_102:
	s_or_b32 exec_lo, exec_lo, s27
	v_or_b32_e32 v67, 0x340, v7
	v_cmp_gt_i32_e64 s26, s42, v67
	s_and_b32 s27, s3, s26
	s_xor_b32 s27, s27, -1
	s_and_saveexec_b32 s28, s27
	s_xor_b32 s27, exec_lo, s28
; %bb.103:
	s_mov_b32 s28, 0
	v_mov_b32_e32 v12, s28
; %bb.104:
	s_or_saveexec_b32 s28, s27
	v_mov_b32_e32 v67, 0
	s_xor_b32 exec_lo, exec_lo, s28
	s_cbranch_execz .LBB615_106
; %bb.105:
	v_add_co_u32 v67, s27, 0x800, v5
	v_add_co_ci_u32_e64 v68, null, 0, v6, s27
	v_add_co_u32 v69, s27, 0x800, v3
	v_add_co_ci_u32_e64 v70, null, 0, v4, s27
	global_load_dword v12, v[67:68], off offset:1280
	global_load_dword v67, v[69:70], off offset:1280
.LBB615_106:
	s_or_b32 exec_lo, exec_lo, s28
	v_or_b32_e32 v68, 0x360, v7
	v_cmp_gt_i32_e64 s27, s42, v68
	s_and_b32 s28, s3, s27
	s_xor_b32 s28, s28, -1
	s_and_saveexec_b32 s29, s28
	s_xor_b32 s28, exec_lo, s29
; %bb.107:
	s_mov_b32 s29, 0
	v_mov_b32_e32 v11, s29
; %bb.108:
	s_or_saveexec_b32 s29, s28
	v_mov_b32_e32 v68, 0
	s_xor_b32 exec_lo, exec_lo, s29
	s_cbranch_execz .LBB615_110
; %bb.109:
	v_add_co_u32 v68, s28, 0x800, v5
	v_add_co_ci_u32_e64 v69, null, 0, v6, s28
	v_add_co_u32 v70, s28, 0x800, v3
	v_add_co_ci_u32_e64 v71, null, 0, v4, s28
	global_load_dword v11, v[68:69], off offset:1408
	global_load_dword v68, v[70:71], off offset:1408
.LBB615_110:
	s_or_b32 exec_lo, exec_lo, s29
	v_or_b32_e32 v69, 0x380, v7
	v_cmp_gt_i32_e64 s28, s42, v69
	s_and_b32 s29, s3, s28
	s_xor_b32 s29, s29, -1
	s_and_saveexec_b32 s30, s29
	s_xor_b32 s29, exec_lo, s30
; %bb.111:
	s_mov_b32 s30, 0
	v_mov_b32_e32 v10, s30
; %bb.112:
	s_or_saveexec_b32 s30, s29
	v_mov_b32_e32 v69, 0
	s_xor_b32 exec_lo, exec_lo, s30
	s_cbranch_execz .LBB615_114
; %bb.113:
	v_add_co_u32 v69, s29, 0x800, v5
	v_add_co_ci_u32_e64 v70, null, 0, v6, s29
	v_add_co_u32 v71, s29, 0x800, v3
	v_add_co_ci_u32_e64 v72, null, 0, v4, s29
	global_load_dword v10, v[69:70], off offset:1536
	global_load_dword v69, v[71:72], off offset:1536
.LBB615_114:
	s_or_b32 exec_lo, exec_lo, s30
	v_or_b32_e32 v70, 0x3a0, v7
	v_cmp_gt_i32_e64 s29, s42, v70
	s_and_b32 s30, s3, s29
	s_xor_b32 s30, s30, -1
	s_and_saveexec_b32 s31, s30
	s_xor_b32 s30, exec_lo, s31
; %bb.115:
	s_mov_b32 s31, 0
	v_mov_b32_e32 v9, s31
; %bb.116:
	s_or_saveexec_b32 s31, s30
	v_mov_b32_e32 v70, 0
	s_xor_b32 exec_lo, exec_lo, s31
	s_cbranch_execz .LBB615_118
; %bb.117:
	v_add_co_u32 v70, s30, 0x800, v5
	v_add_co_ci_u32_e64 v71, null, 0, v6, s30
	v_add_co_u32 v72, s30, 0x800, v3
	v_add_co_ci_u32_e64 v73, null, 0, v4, s30
	global_load_dword v9, v[70:71], off offset:1664
	global_load_dword v70, v[72:73], off offset:1664
.LBB615_118:
	s_or_b32 exec_lo, exec_lo, s31
	v_or_b32_e32 v7, 0x3c0, v7
	v_cmp_gt_i32_e64 s30, s42, v7
	s_and_b32 s31, s3, s30
	s_xor_b32 s31, s31, -1
	s_and_saveexec_b32 s33, s31
	s_xor_b32 s31, exec_lo, s33
; %bb.119:
	s_mov_b32 s33, 0
	v_mov_b32_e32 v8, s33
; %bb.120:
	s_or_saveexec_b32 s33, s31
	v_mov_b32_e32 v7, 0
	s_xor_b32 exec_lo, exec_lo, s33
	s_cbranch_execz .LBB615_122
; %bb.121:
	v_add_co_u32 v7, s31, 0x800, v5
	v_add_co_ci_u32_e64 v8, null, 0, v6, s31
	v_add_co_u32 v71, s31, 0x800, v3
	v_add_co_ci_u32_e64 v72, null, 0, v4, s31
	global_load_dword v8, v[7:8], off offset:1792
	global_load_dword v7, v[71:72], off offset:1792
.LBB615_122:
	s_or_b32 exec_lo, exec_lo, s33
	v_or_b32_e32 v0, 0x3e0, v0
	v_cmp_gt_i32_e64 s31, s42, v0
	s_and_b32 s3, s3, s31
	s_xor_b32 s3, s3, -1
	s_and_saveexec_b32 s33, s3
	s_xor_b32 s3, exec_lo, s33
; %bb.123:
	s_mov_b32 s33, 0
                                        ; implicit-def: $vgpr5
                                        ; implicit-def: $vgpr3
	v_mov_b32_e32 v13, s33
; %bb.124:
	s_or_saveexec_b32 s33, s3
	v_mov_b32_e32 v71, 0
	s_xor_b32 exec_lo, exec_lo, s33
	s_cbranch_execz .LBB615_126
; %bb.125:
	v_add_co_u32 v5, s3, 0x800, v5
	v_add_co_ci_u32_e64 v6, null, 0, v6, s3
	v_add_co_u32 v3, s3, 0x800, v3
	v_add_co_ci_u32_e64 v4, null, 0, v4, s3
	global_load_dword v13, v[5:6], off offset:1920
	global_load_dword v71, v[3:4], off offset:1920
.LBB615_126:
	s_or_b32 exec_lo, exec_lo, s33
	s_waitcnt vmcnt(1)
	v_add_f32_e32 v0, 0, v34
	v_mbcnt_lo_u32_b32 v3, -1, 0
	s_mov_b32 s33, exec_lo
	v_add_f32_e32 v0, v0, v39
	v_xor_b32_e32 v4, 16, v3
	v_xor_b32_e32 v5, 8, v3
	v_add_f32_e32 v0, v0, v41
	v_cmp_gt_i32_e64 s3, 32, v4
	v_add_f32_e32 v0, v0, v40
	v_cndmask_b32_e64 v4, v3, v4, s3
	v_cmp_gt_i32_e64 s3, 32, v5
	v_add_f32_e32 v0, v0, v38
	v_lshlrev_b32_e32 v4, 2, v4
	v_cndmask_b32_e64 v5, v3, v5, s3
	v_add_f32_e32 v0, v0, v37
	v_lshlrev_b32_e32 v5, 2, v5
	v_add_f32_e32 v0, v0, v36
	v_add_f32_e32 v0, v0, v35
	;; [unrolled: 1-line block ×26, first 2 shown]
	ds_bpermute_b32 v4, v4, v0
	s_waitcnt lgkmcnt(0)
	v_add_f32_e32 v0, v0, v4
	ds_bpermute_b32 v4, v5, v0
	v_xor_b32_e32 v5, 4, v3
	v_cmp_gt_i32_e64 s3, 32, v5
	v_cndmask_b32_e64 v5, v3, v5, s3
	v_lshlrev_b32_e32 v5, 2, v5
	s_waitcnt lgkmcnt(0)
	v_add_f32_e32 v0, v0, v4
	ds_bpermute_b32 v4, v5, v0
	v_xor_b32_e32 v5, 2, v3
	v_cmp_gt_i32_e64 s3, 32, v5
	v_cndmask_b32_e64 v5, v3, v5, s3
	v_lshlrev_b32_e32 v5, 2, v5
	s_waitcnt lgkmcnt(0)
	v_add_f32_e32 v0, v0, v4
	ds_bpermute_b32 v4, v5, v0
	v_xor_b32_e32 v5, 1, v3
	v_cmp_gt_i32_e64 s3, 32, v5
	v_cndmask_b32_e64 v5, v3, v5, s3
	s_waitcnt lgkmcnt(0)
	v_add_f32_e32 v3, v0, v4
	v_lshlrev_b32_e32 v0, 2, v5
	ds_bpermute_b32 v4, v0, v3
	v_cmpx_lt_i32_e32 0, v32
	s_cbranch_execz .LBB615_160
; %bb.127:
	v_lshlrev_b64 v[0:1], 1, v[1:2]
	s_waitcnt lgkmcnt(0)
	v_add_f32_e32 v2, v3, v4
	v_add_co_u32 v0, s3, s36, v0
	v_add_co_ci_u32_e64 v1, null, s37, v1, s3
	s_and_saveexec_b32 s3, vcc_lo
	s_cbranch_execnz .LBB615_161
; %bb.128:
	s_or_b32 exec_lo, exec_lo, s3
	s_and_saveexec_b32 s3, s0
	s_cbranch_execnz .LBB615_162
.LBB615_129:
	s_or_b32 exec_lo, exec_lo, s3
	s_and_saveexec_b32 s0, s1
	s_cbranch_execnz .LBB615_163
.LBB615_130:
	s_or_b32 exec_lo, exec_lo, s0
	s_and_saveexec_b32 s0, s2
	s_cbranch_execnz .LBB615_164
.LBB615_131:
	s_or_b32 exec_lo, exec_lo, s0
	s_and_saveexec_b32 s0, s4
	s_cbranch_execnz .LBB615_165
.LBB615_132:
	s_or_b32 exec_lo, exec_lo, s0
	s_and_saveexec_b32 s0, s5
	s_cbranch_execnz .LBB615_166
.LBB615_133:
	s_or_b32 exec_lo, exec_lo, s0
	s_and_saveexec_b32 s0, s6
	s_cbranch_execnz .LBB615_167
.LBB615_134:
	s_or_b32 exec_lo, exec_lo, s0
	s_and_saveexec_b32 s0, s7
	s_cbranch_execnz .LBB615_168
.LBB615_135:
	s_or_b32 exec_lo, exec_lo, s0
	s_and_saveexec_b32 s0, s8
	s_cbranch_execnz .LBB615_169
.LBB615_136:
	s_or_b32 exec_lo, exec_lo, s0
	s_and_saveexec_b32 s0, s9
	s_cbranch_execnz .LBB615_170
.LBB615_137:
	s_or_b32 exec_lo, exec_lo, s0
	s_and_saveexec_b32 s0, s10
	s_cbranch_execnz .LBB615_171
.LBB615_138:
	s_or_b32 exec_lo, exec_lo, s0
	s_and_saveexec_b32 s0, s11
	s_cbranch_execnz .LBB615_172
.LBB615_139:
	s_or_b32 exec_lo, exec_lo, s0
	s_and_saveexec_b32 s0, s12
	s_cbranch_execnz .LBB615_173
.LBB615_140:
	s_or_b32 exec_lo, exec_lo, s0
	s_and_saveexec_b32 s0, s13
	s_cbranch_execnz .LBB615_174
.LBB615_141:
	s_or_b32 exec_lo, exec_lo, s0
	s_and_saveexec_b32 s0, s14
	s_cbranch_execnz .LBB615_175
.LBB615_142:
	s_or_b32 exec_lo, exec_lo, s0
	s_and_saveexec_b32 s0, s15
	s_cbranch_execnz .LBB615_176
.LBB615_143:
	s_or_b32 exec_lo, exec_lo, s0
	s_and_saveexec_b32 s0, s16
	s_cbranch_execnz .LBB615_177
.LBB615_144:
	s_or_b32 exec_lo, exec_lo, s0
	s_and_saveexec_b32 s0, s17
	s_cbranch_execnz .LBB615_178
.LBB615_145:
	s_or_b32 exec_lo, exec_lo, s0
	s_and_saveexec_b32 s0, s18
	s_cbranch_execnz .LBB615_179
.LBB615_146:
	s_or_b32 exec_lo, exec_lo, s0
	s_and_saveexec_b32 s0, s19
	s_cbranch_execnz .LBB615_180
.LBB615_147:
	s_or_b32 exec_lo, exec_lo, s0
	s_and_saveexec_b32 s0, s20
	s_cbranch_execnz .LBB615_181
.LBB615_148:
	s_or_b32 exec_lo, exec_lo, s0
	s_and_saveexec_b32 s0, s21
	s_cbranch_execnz .LBB615_182
.LBB615_149:
	s_or_b32 exec_lo, exec_lo, s0
	s_and_saveexec_b32 s0, s22
	s_cbranch_execnz .LBB615_183
.LBB615_150:
	s_or_b32 exec_lo, exec_lo, s0
	s_and_saveexec_b32 s0, s23
	s_cbranch_execnz .LBB615_184
.LBB615_151:
	s_or_b32 exec_lo, exec_lo, s0
	s_and_saveexec_b32 s0, s24
	s_cbranch_execnz .LBB615_185
.LBB615_152:
	s_or_b32 exec_lo, exec_lo, s0
	s_and_saveexec_b32 s0, s25
	s_cbranch_execnz .LBB615_186
.LBB615_153:
	s_or_b32 exec_lo, exec_lo, s0
	s_and_saveexec_b32 s0, s26
	s_cbranch_execnz .LBB615_187
.LBB615_154:
	s_or_b32 exec_lo, exec_lo, s0
	s_and_saveexec_b32 s0, s27
	s_cbranch_execnz .LBB615_188
.LBB615_155:
	s_or_b32 exec_lo, exec_lo, s0
	s_and_saveexec_b32 s0, s28
	s_cbranch_execnz .LBB615_189
.LBB615_156:
	s_or_b32 exec_lo, exec_lo, s0
	s_and_saveexec_b32 s0, s29
	s_cbranch_execnz .LBB615_190
.LBB615_157:
	s_or_b32 exec_lo, exec_lo, s0
	s_and_saveexec_b32 s0, s30
	s_cbranch_execnz .LBB615_191
.LBB615_158:
	s_or_b32 exec_lo, exec_lo, s0
	s_and_b32 exec_lo, exec_lo, s31
	s_cbranch_execz .LBB615_160
.LBB615_159:
	s_waitcnt vmcnt(0)
	v_fma_mixlo_f16 v2, -v2, v71, v13
	global_store_short v[0:1], v2, off offset:1984
.LBB615_160:
	s_endpgm
.LBB615_161:
	s_waitcnt vmcnt(0)
	v_fma_mixlo_f16 v3, -v2, v31, v34
	global_store_short v[0:1], v3, off
	s_or_b32 exec_lo, exec_lo, s3
	s_and_saveexec_b32 s3, s0
	s_cbranch_execz .LBB615_129
.LBB615_162:
	s_waitcnt vmcnt(0)
	v_fma_mixlo_f16 v3, -v2, v42, v39
	global_store_short v[0:1], v3, off offset:64
	s_or_b32 exec_lo, exec_lo, s3
	s_and_saveexec_b32 s0, s1
	s_cbranch_execz .LBB615_130
.LBB615_163:
	s_waitcnt vmcnt(0)
	v_fma_mixlo_f16 v3, -v2, v43, v41
	global_store_short v[0:1], v3, off offset:128
	s_or_b32 exec_lo, exec_lo, s0
	s_and_saveexec_b32 s0, s2
	s_cbranch_execz .LBB615_131
.LBB615_164:
	s_waitcnt vmcnt(0)
	v_fma_mixlo_f16 v3, -v2, v44, v40
	global_store_short v[0:1], v3, off offset:192
	s_or_b32 exec_lo, exec_lo, s0
	s_and_saveexec_b32 s0, s4
	s_cbranch_execz .LBB615_132
.LBB615_165:
	s_waitcnt vmcnt(0)
	v_fma_mixlo_f16 v3, -v2, v45, v38
	global_store_short v[0:1], v3, off offset:256
	s_or_b32 exec_lo, exec_lo, s0
	s_and_saveexec_b32 s0, s5
	s_cbranch_execz .LBB615_133
.LBB615_166:
	s_waitcnt vmcnt(0)
	v_fma_mixlo_f16 v3, -v2, v46, v37
	global_store_short v[0:1], v3, off offset:320
	s_or_b32 exec_lo, exec_lo, s0
	s_and_saveexec_b32 s0, s6
	s_cbranch_execz .LBB615_134
.LBB615_167:
	s_waitcnt vmcnt(0)
	v_fma_mixlo_f16 v3, -v2, v47, v36
	global_store_short v[0:1], v3, off offset:384
	s_or_b32 exec_lo, exec_lo, s0
	s_and_saveexec_b32 s0, s7
	s_cbranch_execz .LBB615_135
.LBB615_168:
	s_waitcnt vmcnt(0)
	v_fma_mixlo_f16 v3, -v2, v48, v35
	global_store_short v[0:1], v3, off offset:448
	s_or_b32 exec_lo, exec_lo, s0
	s_and_saveexec_b32 s0, s8
	s_cbranch_execz .LBB615_136
.LBB615_169:
	s_waitcnt vmcnt(0)
	v_fma_mixlo_f16 v3, -v2, v49, v33
	global_store_short v[0:1], v3, off offset:512
	s_or_b32 exec_lo, exec_lo, s0
	s_and_saveexec_b32 s0, s9
	s_cbranch_execz .LBB615_137
.LBB615_170:
	s_waitcnt vmcnt(0)
	v_fma_mixlo_f16 v3, -v2, v50, v30
	global_store_short v[0:1], v3, off offset:576
	s_or_b32 exec_lo, exec_lo, s0
	s_and_saveexec_b32 s0, s10
	s_cbranch_execz .LBB615_138
.LBB615_171:
	s_waitcnt vmcnt(0)
	v_fma_mixlo_f16 v3, -v2, v51, v29
	global_store_short v[0:1], v3, off offset:640
	s_or_b32 exec_lo, exec_lo, s0
	s_and_saveexec_b32 s0, s11
	s_cbranch_execz .LBB615_139
.LBB615_172:
	s_waitcnt vmcnt(0)
	v_fma_mixlo_f16 v3, -v2, v52, v28
	global_store_short v[0:1], v3, off offset:704
	s_or_b32 exec_lo, exec_lo, s0
	s_and_saveexec_b32 s0, s12
	s_cbranch_execz .LBB615_140
.LBB615_173:
	s_waitcnt vmcnt(0)
	v_fma_mixlo_f16 v3, -v2, v53, v27
	global_store_short v[0:1], v3, off offset:768
	s_or_b32 exec_lo, exec_lo, s0
	s_and_saveexec_b32 s0, s13
	s_cbranch_execz .LBB615_141
.LBB615_174:
	s_waitcnt vmcnt(0)
	v_fma_mixlo_f16 v3, -v2, v54, v26
	global_store_short v[0:1], v3, off offset:832
	s_or_b32 exec_lo, exec_lo, s0
	s_and_saveexec_b32 s0, s14
	s_cbranch_execz .LBB615_142
.LBB615_175:
	s_waitcnt vmcnt(0)
	v_fma_mixlo_f16 v3, -v2, v55, v25
	global_store_short v[0:1], v3, off offset:896
	s_or_b32 exec_lo, exec_lo, s0
	s_and_saveexec_b32 s0, s15
	s_cbranch_execz .LBB615_143
.LBB615_176:
	s_waitcnt vmcnt(0)
	v_fma_mixlo_f16 v3, -v2, v56, v24
	global_store_short v[0:1], v3, off offset:960
	s_or_b32 exec_lo, exec_lo, s0
	s_and_saveexec_b32 s0, s16
	s_cbranch_execz .LBB615_144
.LBB615_177:
	s_waitcnt vmcnt(0)
	v_fma_mixlo_f16 v3, -v2, v57, v23
	global_store_short v[0:1], v3, off offset:1024
	s_or_b32 exec_lo, exec_lo, s0
	s_and_saveexec_b32 s0, s17
	s_cbranch_execz .LBB615_145
.LBB615_178:
	s_waitcnt vmcnt(0)
	v_fma_mixlo_f16 v3, -v2, v58, v22
	global_store_short v[0:1], v3, off offset:1088
	s_or_b32 exec_lo, exec_lo, s0
	s_and_saveexec_b32 s0, s18
	s_cbranch_execz .LBB615_146
.LBB615_179:
	s_waitcnt vmcnt(0)
	v_fma_mixlo_f16 v3, -v2, v59, v21
	global_store_short v[0:1], v3, off offset:1152
	s_or_b32 exec_lo, exec_lo, s0
	s_and_saveexec_b32 s0, s19
	s_cbranch_execz .LBB615_147
.LBB615_180:
	s_waitcnt vmcnt(0)
	v_fma_mixlo_f16 v3, -v2, v60, v20
	global_store_short v[0:1], v3, off offset:1216
	s_or_b32 exec_lo, exec_lo, s0
	s_and_saveexec_b32 s0, s20
	s_cbranch_execz .LBB615_148
.LBB615_181:
	s_waitcnt vmcnt(0)
	v_fma_mixlo_f16 v3, -v2, v61, v19
	global_store_short v[0:1], v3, off offset:1280
	s_or_b32 exec_lo, exec_lo, s0
	s_and_saveexec_b32 s0, s21
	s_cbranch_execz .LBB615_149
.LBB615_182:
	s_waitcnt vmcnt(0)
	v_fma_mixlo_f16 v3, -v2, v62, v18
	global_store_short v[0:1], v3, off offset:1344
	s_or_b32 exec_lo, exec_lo, s0
	s_and_saveexec_b32 s0, s22
	s_cbranch_execz .LBB615_150
.LBB615_183:
	s_waitcnt vmcnt(0)
	v_fma_mixlo_f16 v3, -v2, v63, v17
	global_store_short v[0:1], v3, off offset:1408
	s_or_b32 exec_lo, exec_lo, s0
	s_and_saveexec_b32 s0, s23
	s_cbranch_execz .LBB615_151
.LBB615_184:
	s_waitcnt vmcnt(0)
	v_fma_mixlo_f16 v3, -v2, v64, v16
	global_store_short v[0:1], v3, off offset:1472
	s_or_b32 exec_lo, exec_lo, s0
	s_and_saveexec_b32 s0, s24
	s_cbranch_execz .LBB615_152
.LBB615_185:
	s_waitcnt vmcnt(0)
	v_fma_mixlo_f16 v3, -v2, v65, v15
	global_store_short v[0:1], v3, off offset:1536
	s_or_b32 exec_lo, exec_lo, s0
	s_and_saveexec_b32 s0, s25
	s_cbranch_execz .LBB615_153
.LBB615_186:
	s_waitcnt vmcnt(0)
	v_fma_mixlo_f16 v3, -v2, v66, v14
	global_store_short v[0:1], v3, off offset:1600
	s_or_b32 exec_lo, exec_lo, s0
	s_and_saveexec_b32 s0, s26
	s_cbranch_execz .LBB615_154
.LBB615_187:
	s_waitcnt vmcnt(0)
	v_fma_mixlo_f16 v3, -v2, v67, v12
	global_store_short v[0:1], v3, off offset:1664
	s_or_b32 exec_lo, exec_lo, s0
	s_and_saveexec_b32 s0, s27
	s_cbranch_execz .LBB615_155
.LBB615_188:
	s_waitcnt vmcnt(0)
	v_fma_mixlo_f16 v3, -v2, v68, v11
	global_store_short v[0:1], v3, off offset:1728
	s_or_b32 exec_lo, exec_lo, s0
	s_and_saveexec_b32 s0, s28
	s_cbranch_execz .LBB615_156
.LBB615_189:
	s_waitcnt vmcnt(0)
	v_fma_mixlo_f16 v3, -v2, v69, v10
	global_store_short v[0:1], v3, off offset:1792
	s_or_b32 exec_lo, exec_lo, s0
	s_and_saveexec_b32 s0, s29
	s_cbranch_execz .LBB615_157
.LBB615_190:
	s_waitcnt vmcnt(0)
	v_fma_mixlo_f16 v3, -v2, v70, v9
	global_store_short v[0:1], v3, off offset:1856
	s_or_b32 exec_lo, exec_lo, s0
	s_and_saveexec_b32 s0, s30
	s_cbranch_execz .LBB615_158
.LBB615_191:
	s_waitcnt vmcnt(0)
	v_fma_mixlo_f16 v3, -v2, v7, v8
	global_store_short v[0:1], v3, off offset:1920
	s_or_b32 exec_lo, exec_lo, s0
	s_and_b32 exec_lo, exec_lo, s31
	s_cbranch_execnz .LBB615_159
	s_branch .LBB615_160
	.section	.rodata,"a",@progbits
	.p2align	6, 0x0
	.amdhsa_kernel _ZN12_GLOBAL__N_121softmax_warp_backwardIfN3c104HalfEfLi10ELb0ELb0ELi32EEEvPT0_PKT_S7_iiiPKb
		.amdhsa_group_segment_fixed_size 0
		.amdhsa_private_segment_fixed_size 0
		.amdhsa_kernarg_size 304
		.amdhsa_user_sgpr_count 6
		.amdhsa_user_sgpr_private_segment_buffer 1
		.amdhsa_user_sgpr_dispatch_ptr 0
		.amdhsa_user_sgpr_queue_ptr 0
		.amdhsa_user_sgpr_kernarg_segment_ptr 1
		.amdhsa_user_sgpr_dispatch_id 0
		.amdhsa_user_sgpr_flat_scratch_init 0
		.amdhsa_user_sgpr_private_segment_size 0
		.amdhsa_wavefront_size32 1
		.amdhsa_uses_dynamic_stack 0
		.amdhsa_system_sgpr_private_segment_wavefront_offset 0
		.amdhsa_system_sgpr_workgroup_id_x 1
		.amdhsa_system_sgpr_workgroup_id_y 0
		.amdhsa_system_sgpr_workgroup_id_z 0
		.amdhsa_system_sgpr_workgroup_info 0
		.amdhsa_system_vgpr_workitem_id 1
		.amdhsa_next_free_vgpr 74
		.amdhsa_next_free_sgpr 44
		.amdhsa_reserve_vcc 1
		.amdhsa_reserve_flat_scratch 0
		.amdhsa_float_round_mode_32 0
		.amdhsa_float_round_mode_16_64 0
		.amdhsa_float_denorm_mode_32 3
		.amdhsa_float_denorm_mode_16_64 3
		.amdhsa_dx10_clamp 1
		.amdhsa_ieee_mode 1
		.amdhsa_fp16_overflow 0
		.amdhsa_workgroup_processor_mode 1
		.amdhsa_memory_ordered 1
		.amdhsa_forward_progress 1
		.amdhsa_shared_vgpr_count 0
		.amdhsa_exception_fp_ieee_invalid_op 0
		.amdhsa_exception_fp_denorm_src 0
		.amdhsa_exception_fp_ieee_div_zero 0
		.amdhsa_exception_fp_ieee_overflow 0
		.amdhsa_exception_fp_ieee_underflow 0
		.amdhsa_exception_fp_ieee_inexact 0
		.amdhsa_exception_int_div_zero 0
	.end_amdhsa_kernel
	.section	.text._ZN12_GLOBAL__N_121softmax_warp_backwardIfN3c104HalfEfLi10ELb0ELb0ELi32EEEvPT0_PKT_S7_iiiPKb,"axG",@progbits,_ZN12_GLOBAL__N_121softmax_warp_backwardIfN3c104HalfEfLi10ELb0ELb0ELi32EEEvPT0_PKT_S7_iiiPKb,comdat
.Lfunc_end615:
	.size	_ZN12_GLOBAL__N_121softmax_warp_backwardIfN3c104HalfEfLi10ELb0ELb0ELi32EEEvPT0_PKT_S7_iiiPKb, .Lfunc_end615-_ZN12_GLOBAL__N_121softmax_warp_backwardIfN3c104HalfEfLi10ELb0ELb0ELi32EEEvPT0_PKT_S7_iiiPKb
                                        ; -- End function
	.set _ZN12_GLOBAL__N_121softmax_warp_backwardIfN3c104HalfEfLi10ELb0ELb0ELi32EEEvPT0_PKT_S7_iiiPKb.num_vgpr, 74
	.set _ZN12_GLOBAL__N_121softmax_warp_backwardIfN3c104HalfEfLi10ELb0ELb0ELi32EEEvPT0_PKT_S7_iiiPKb.num_agpr, 0
	.set _ZN12_GLOBAL__N_121softmax_warp_backwardIfN3c104HalfEfLi10ELb0ELb0ELi32EEEvPT0_PKT_S7_iiiPKb.numbered_sgpr, 44
	.set _ZN12_GLOBAL__N_121softmax_warp_backwardIfN3c104HalfEfLi10ELb0ELb0ELi32EEEvPT0_PKT_S7_iiiPKb.num_named_barrier, 0
	.set _ZN12_GLOBAL__N_121softmax_warp_backwardIfN3c104HalfEfLi10ELb0ELb0ELi32EEEvPT0_PKT_S7_iiiPKb.private_seg_size, 0
	.set _ZN12_GLOBAL__N_121softmax_warp_backwardIfN3c104HalfEfLi10ELb0ELb0ELi32EEEvPT0_PKT_S7_iiiPKb.uses_vcc, 1
	.set _ZN12_GLOBAL__N_121softmax_warp_backwardIfN3c104HalfEfLi10ELb0ELb0ELi32EEEvPT0_PKT_S7_iiiPKb.uses_flat_scratch, 0
	.set _ZN12_GLOBAL__N_121softmax_warp_backwardIfN3c104HalfEfLi10ELb0ELb0ELi32EEEvPT0_PKT_S7_iiiPKb.has_dyn_sized_stack, 0
	.set _ZN12_GLOBAL__N_121softmax_warp_backwardIfN3c104HalfEfLi10ELb0ELb0ELi32EEEvPT0_PKT_S7_iiiPKb.has_recursion, 0
	.set _ZN12_GLOBAL__N_121softmax_warp_backwardIfN3c104HalfEfLi10ELb0ELb0ELi32EEEvPT0_PKT_S7_iiiPKb.has_indirect_call, 0
	.section	.AMDGPU.csdata,"",@progbits
; Kernel info:
; codeLenInByte = 4940
; TotalNumSgprs: 46
; NumVgprs: 74
; ScratchSize: 0
; MemoryBound: 0
; FloatMode: 240
; IeeeMode: 1
; LDSByteSize: 0 bytes/workgroup (compile time only)
; SGPRBlocks: 0
; VGPRBlocks: 9
; NumSGPRsForWavesPerEU: 46
; NumVGPRsForWavesPerEU: 74
; Occupancy: 12
; WaveLimiterHint : 0
; COMPUTE_PGM_RSRC2:SCRATCH_EN: 0
; COMPUTE_PGM_RSRC2:USER_SGPR: 6
; COMPUTE_PGM_RSRC2:TRAP_HANDLER: 0
; COMPUTE_PGM_RSRC2:TGID_X_EN: 1
; COMPUTE_PGM_RSRC2:TGID_Y_EN: 0
; COMPUTE_PGM_RSRC2:TGID_Z_EN: 0
; COMPUTE_PGM_RSRC2:TIDIG_COMP_CNT: 1
	.section	.text._ZN2at6native12_GLOBAL__N_124cunn_SoftMaxBackwardSmemILi4EN3c104HalfEffNS1_23SoftMaxBackwardEpilogueEEEvPT0_PKT2_SA_l,"axG",@progbits,_ZN2at6native12_GLOBAL__N_124cunn_SoftMaxBackwardSmemILi4EN3c104HalfEffNS1_23SoftMaxBackwardEpilogueEEEvPT0_PKT2_SA_l,comdat
	.globl	_ZN2at6native12_GLOBAL__N_124cunn_SoftMaxBackwardSmemILi4EN3c104HalfEffNS1_23SoftMaxBackwardEpilogueEEEvPT0_PKT2_SA_l ; -- Begin function _ZN2at6native12_GLOBAL__N_124cunn_SoftMaxBackwardSmemILi4EN3c104HalfEffNS1_23SoftMaxBackwardEpilogueEEEvPT0_PKT2_SA_l
	.p2align	8
	.type	_ZN2at6native12_GLOBAL__N_124cunn_SoftMaxBackwardSmemILi4EN3c104HalfEffNS1_23SoftMaxBackwardEpilogueEEEvPT0_PKT2_SA_l,@function
_ZN2at6native12_GLOBAL__N_124cunn_SoftMaxBackwardSmemILi4EN3c104HalfEffNS1_23SoftMaxBackwardEpilogueEEEvPT0_PKT2_SA_l: ; @_ZN2at6native12_GLOBAL__N_124cunn_SoftMaxBackwardSmemILi4EN3c104HalfEffNS1_23SoftMaxBackwardEpilogueEEEvPT0_PKT2_SA_l
; %bb.0:
	s_load_dwordx8 s[8:15], s[4:5], 0x0
	v_mov_b32_e32 v2, 0
	v_lshlrev_b32_e32 v1, 2, v0
	v_lshl_add_u32 v5, v0, 4, 0
	s_waitcnt lgkmcnt(0)
	v_cmp_gt_i64_e32 vcc_lo, s[14:15], v[1:2]
	s_mul_i32 s0, s15, s6
	s_mul_hi_u32 s1, s14, s6
	s_mul_i32 s2, s14, s6
	s_add_i32 s3, s1, s0
	s_and_saveexec_b32 s1, vcc_lo
	s_cbranch_execz .LBB616_4
; %bb.1:
	s_load_dword s0, s[4:5], 0x2c
	s_lshl_b64 s[6:7], s[2:3], 2
	v_lshl_add_u32 v6, v0, 4, 0
	s_add_u32 s6, s12, s6
	s_addc_u32 s7, s13, s7
	v_mov_b32_e32 v2, 0
	v_mov_b32_e32 v3, v0
	s_mov_b32 s13, 0
	s_waitcnt lgkmcnt(0)
	s_and_b32 s12, s0, 0xffff
	v_add_lshl_u32 v1, v0, s12, 2
	s_lshl_b32 s16, s12, 2
	s_lshl_b32 s17, s12, 4
	.p2align	6
.LBB616_2:                              ; =>This Inner Loop Header: Depth=1
	v_ashrrev_i32_e32 v4, 31, v3
	v_lshlrev_b64 v[7:8], 4, v[3:4]
	v_add_nc_u32_e32 v3, s12, v3
	v_add_co_u32 v7, s0, s6, v7
	v_add_co_ci_u32_e64 v8, null, s7, v8, s0
	global_load_dwordx4 v[7:10], v[7:8], off
	s_waitcnt vmcnt(0)
	v_add_f32_e32 v2, v2, v7
	ds_write_b128 v6, v[7:10]
	v_add_nc_u32_e32 v6, s17, v6
	v_add_f32_e32 v4, v2, v8
	v_ashrrev_i32_e32 v2, 31, v1
	v_add_f32_e32 v4, v4, v9
	v_cmp_le_i64_e64 s0, s[14:15], v[1:2]
	v_add_nc_u32_e32 v1, s16, v1
	v_add_f32_e32 v2, v4, v10
	s_or_b32 s13, s0, s13
	s_andn2_b32 exec_lo, exec_lo, s13
	s_cbranch_execnz .LBB616_2
; %bb.3:
	s_or_b32 exec_lo, exec_lo, s13
.LBB616_4:
	s_or_b32 exec_lo, exec_lo, s1
	v_mbcnt_lo_u32_b32 v6, -1, 0
	s_lshl_b32 s1, s14, 2
	s_mov_b32 s6, exec_lo
	s_add_i32 s1, s1, 0
	s_waitcnt lgkmcnt(0)
	v_lshl_or_b32 v1, v6, 2, 64
	v_cmp_gt_u32_e64 s0, 24, v6
	s_barrier
	buffer_gl0_inv
	ds_bpermute_b32 v4, v1, v2
	v_cndmask_b32_e64 v3, 0, 8, s0
	v_cmp_gt_u32_e64 s0, 28, v6
	v_add_lshl_u32 v3, v3, v6, 2
	s_waitcnt lgkmcnt(0)
	v_add_f32_e32 v4, v2, v4
	v_cndmask_b32_e64 v2, 0, 4, s0
	v_cmp_gt_u32_e64 s0, 30, v6
	ds_bpermute_b32 v7, v3, v4
	v_add_lshl_u32 v2, v2, v6, 2
	s_waitcnt lgkmcnt(0)
	v_add_f32_e32 v7, v4, v7
	v_cndmask_b32_e64 v4, 0, 2, s0
	v_cmp_ne_u32_e64 s0, 31, v6
	ds_bpermute_b32 v8, v2, v7
	v_add_lshl_u32 v4, v4, v6, 2
	v_add_co_ci_u32_e64 v6, null, 0, v6, s0
	v_lshlrev_b32_e32 v6, 2, v6
	s_waitcnt lgkmcnt(0)
	v_add_f32_e32 v7, v7, v8
	ds_bpermute_b32 v8, v4, v7
	s_waitcnt lgkmcnt(0)
	v_add_f32_e32 v8, v7, v8
	v_and_b32_e32 v7, 31, v0
	ds_bpermute_b32 v9, v6, v8
	v_cmpx_eq_u32_e32 0, v7
	s_cbranch_execz .LBB616_6
; %bb.5:
	v_lshrrev_b32_e32 v10, 3, v0
	s_waitcnt lgkmcnt(0)
	v_add_f32_e32 v8, v8, v9
	v_add_nc_u32_e32 v10, s1, v10
	ds_write_b32 v10, v8
.LBB616_6:
	s_or_b32 exec_lo, exec_lo, s6
	s_waitcnt lgkmcnt(0)
	s_barrier
	buffer_gl0_inv
	s_load_dword s4, s[4:5], 0x2c
	v_mov_b32_e32 v8, 0
	s_mov_b32 s5, exec_lo
	s_waitcnt lgkmcnt(0)
	s_bfe_u32 s0, s4, 0xb0005
	v_cmpx_gt_u32_e64 s0, v0
; %bb.7:
	v_lshl_add_u32 v7, v7, 2, s1
	ds_read_b32 v8, v7
; %bb.8:
	s_or_b32 exec_lo, exec_lo, s5
	s_mov_b32 s5, exec_lo
	v_cmpx_gt_u32_e32 32, v0
	s_cbranch_execz .LBB616_10
; %bb.9:
	s_waitcnt lgkmcnt(0)
	ds_bpermute_b32 v1, v1, v8
	s_waitcnt lgkmcnt(0)
	v_add_f32_e32 v1, v8, v1
	ds_bpermute_b32 v3, v3, v1
	s_waitcnt lgkmcnt(0)
	v_add_f32_e32 v1, v1, v3
	;; [unrolled: 3-line block ×5, first 2 shown]
.LBB616_10:
	s_or_b32 exec_lo, exec_lo, s5
	s_mov_b32 s5, exec_lo
	v_cmpx_eq_u32_e32 0, v0
	s_cbranch_execz .LBB616_12
; %bb.11:
	v_mov_b32_e32 v1, s1
	s_waitcnt lgkmcnt(0)
	ds_write_b32 v1, v8
.LBB616_12:
	s_or_b32 exec_lo, exec_lo, s5
	s_waitcnt lgkmcnt(0)
	s_barrier
	buffer_gl0_inv
	s_and_saveexec_b32 s0, vcc_lo
	s_cbranch_execz .LBB616_15
; %bb.13:
	v_mov_b32_e32 v1, s1
	s_lshl_b64 s[6:7], s[2:3], 1
	s_and_b32 s1, 0xffff, s4
	s_add_u32 s4, s8, s6
	s_addc_u32 s5, s9, s7
	ds_read_b32 v4, v1
	s_lshl_b64 s[2:3], s[2:3], 2
	v_add_lshl_u32 v2, v0, s1, 2
	s_add_u32 s2, s10, s2
	s_addc_u32 s3, s11, s3
	s_lshl_b32 s6, s1, 2
	s_mov_b32 s7, 0
	s_lshl_b32 s8, s1, 4
	s_inst_prefetch 0x1
	.p2align	6
.LBB616_14:                             ; =>This Inner Loop Header: Depth=1
	v_ashrrev_i32_e32 v1, 31, v0
	ds_read_b128 v[10:13], v5
	v_ashrrev_i32_e32 v3, 31, v2
	v_add_nc_u32_e32 v5, s8, v5
	v_lshlrev_b64 v[6:7], 4, v[0:1]
	v_lshlrev_b64 v[14:15], 3, v[0:1]
	v_add_nc_u32_e32 v0, s1, v0
	v_add_co_u32 v6, vcc_lo, s2, v6
	v_add_co_ci_u32_e64 v7, null, s3, v7, vcc_lo
	v_cmp_le_i64_e32 vcc_lo, s[14:15], v[2:3]
	v_add_co_u32 v14, s0, s4, v14
	global_load_dwordx4 v[6:9], v[6:7], off
	v_add_co_ci_u32_e64 v15, null, s5, v15, s0
	v_add_nc_u32_e32 v2, s6, v2
	s_or_b32 s7, vcc_lo, s7
	s_waitcnt vmcnt(0) lgkmcnt(0)
	v_fma_mixlo_f16 v16, -v4, v6, v10
	v_fma_mixlo_f16 v17, -v4, v8, v12
	v_fma_mixhi_f16 v16, -v4, v7, v11
	v_fma_mixhi_f16 v17, -v4, v9, v13
	global_store_dwordx2 v[14:15], v[16:17], off
	s_andn2_b32 exec_lo, exec_lo, s7
	s_cbranch_execnz .LBB616_14
.LBB616_15:
	s_inst_prefetch 0x2
	s_endpgm
	.section	.rodata,"a",@progbits
	.p2align	6, 0x0
	.amdhsa_kernel _ZN2at6native12_GLOBAL__N_124cunn_SoftMaxBackwardSmemILi4EN3c104HalfEffNS1_23SoftMaxBackwardEpilogueEEEvPT0_PKT2_SA_l
		.amdhsa_group_segment_fixed_size 0
		.amdhsa_private_segment_fixed_size 0
		.amdhsa_kernarg_size 288
		.amdhsa_user_sgpr_count 6
		.amdhsa_user_sgpr_private_segment_buffer 1
		.amdhsa_user_sgpr_dispatch_ptr 0
		.amdhsa_user_sgpr_queue_ptr 0
		.amdhsa_user_sgpr_kernarg_segment_ptr 1
		.amdhsa_user_sgpr_dispatch_id 0
		.amdhsa_user_sgpr_flat_scratch_init 0
		.amdhsa_user_sgpr_private_segment_size 0
		.amdhsa_wavefront_size32 1
		.amdhsa_uses_dynamic_stack 0
		.amdhsa_system_sgpr_private_segment_wavefront_offset 0
		.amdhsa_system_sgpr_workgroup_id_x 1
		.amdhsa_system_sgpr_workgroup_id_y 0
		.amdhsa_system_sgpr_workgroup_id_z 0
		.amdhsa_system_sgpr_workgroup_info 0
		.amdhsa_system_vgpr_workitem_id 0
		.amdhsa_next_free_vgpr 18
		.amdhsa_next_free_sgpr 18
		.amdhsa_reserve_vcc 1
		.amdhsa_reserve_flat_scratch 0
		.amdhsa_float_round_mode_32 0
		.amdhsa_float_round_mode_16_64 0
		.amdhsa_float_denorm_mode_32 3
		.amdhsa_float_denorm_mode_16_64 3
		.amdhsa_dx10_clamp 1
		.amdhsa_ieee_mode 1
		.amdhsa_fp16_overflow 0
		.amdhsa_workgroup_processor_mode 1
		.amdhsa_memory_ordered 1
		.amdhsa_forward_progress 1
		.amdhsa_shared_vgpr_count 0
		.amdhsa_exception_fp_ieee_invalid_op 0
		.amdhsa_exception_fp_denorm_src 0
		.amdhsa_exception_fp_ieee_div_zero 0
		.amdhsa_exception_fp_ieee_overflow 0
		.amdhsa_exception_fp_ieee_underflow 0
		.amdhsa_exception_fp_ieee_inexact 0
		.amdhsa_exception_int_div_zero 0
	.end_amdhsa_kernel
	.section	.text._ZN2at6native12_GLOBAL__N_124cunn_SoftMaxBackwardSmemILi4EN3c104HalfEffNS1_23SoftMaxBackwardEpilogueEEEvPT0_PKT2_SA_l,"axG",@progbits,_ZN2at6native12_GLOBAL__N_124cunn_SoftMaxBackwardSmemILi4EN3c104HalfEffNS1_23SoftMaxBackwardEpilogueEEEvPT0_PKT2_SA_l,comdat
.Lfunc_end616:
	.size	_ZN2at6native12_GLOBAL__N_124cunn_SoftMaxBackwardSmemILi4EN3c104HalfEffNS1_23SoftMaxBackwardEpilogueEEEvPT0_PKT2_SA_l, .Lfunc_end616-_ZN2at6native12_GLOBAL__N_124cunn_SoftMaxBackwardSmemILi4EN3c104HalfEffNS1_23SoftMaxBackwardEpilogueEEEvPT0_PKT2_SA_l
                                        ; -- End function
	.set _ZN2at6native12_GLOBAL__N_124cunn_SoftMaxBackwardSmemILi4EN3c104HalfEffNS1_23SoftMaxBackwardEpilogueEEEvPT0_PKT2_SA_l.num_vgpr, 18
	.set _ZN2at6native12_GLOBAL__N_124cunn_SoftMaxBackwardSmemILi4EN3c104HalfEffNS1_23SoftMaxBackwardEpilogueEEEvPT0_PKT2_SA_l.num_agpr, 0
	.set _ZN2at6native12_GLOBAL__N_124cunn_SoftMaxBackwardSmemILi4EN3c104HalfEffNS1_23SoftMaxBackwardEpilogueEEEvPT0_PKT2_SA_l.numbered_sgpr, 18
	.set _ZN2at6native12_GLOBAL__N_124cunn_SoftMaxBackwardSmemILi4EN3c104HalfEffNS1_23SoftMaxBackwardEpilogueEEEvPT0_PKT2_SA_l.num_named_barrier, 0
	.set _ZN2at6native12_GLOBAL__N_124cunn_SoftMaxBackwardSmemILi4EN3c104HalfEffNS1_23SoftMaxBackwardEpilogueEEEvPT0_PKT2_SA_l.private_seg_size, 0
	.set _ZN2at6native12_GLOBAL__N_124cunn_SoftMaxBackwardSmemILi4EN3c104HalfEffNS1_23SoftMaxBackwardEpilogueEEEvPT0_PKT2_SA_l.uses_vcc, 1
	.set _ZN2at6native12_GLOBAL__N_124cunn_SoftMaxBackwardSmemILi4EN3c104HalfEffNS1_23SoftMaxBackwardEpilogueEEEvPT0_PKT2_SA_l.uses_flat_scratch, 0
	.set _ZN2at6native12_GLOBAL__N_124cunn_SoftMaxBackwardSmemILi4EN3c104HalfEffNS1_23SoftMaxBackwardEpilogueEEEvPT0_PKT2_SA_l.has_dyn_sized_stack, 0
	.set _ZN2at6native12_GLOBAL__N_124cunn_SoftMaxBackwardSmemILi4EN3c104HalfEffNS1_23SoftMaxBackwardEpilogueEEEvPT0_PKT2_SA_l.has_recursion, 0
	.set _ZN2at6native12_GLOBAL__N_124cunn_SoftMaxBackwardSmemILi4EN3c104HalfEffNS1_23SoftMaxBackwardEpilogueEEEvPT0_PKT2_SA_l.has_indirect_call, 0
	.section	.AMDGPU.csdata,"",@progbits
; Kernel info:
; codeLenInByte = 984
; TotalNumSgprs: 20
; NumVgprs: 18
; ScratchSize: 0
; MemoryBound: 0
; FloatMode: 240
; IeeeMode: 1
; LDSByteSize: 0 bytes/workgroup (compile time only)
; SGPRBlocks: 0
; VGPRBlocks: 2
; NumSGPRsForWavesPerEU: 20
; NumVGPRsForWavesPerEU: 18
; Occupancy: 16
; WaveLimiterHint : 0
; COMPUTE_PGM_RSRC2:SCRATCH_EN: 0
; COMPUTE_PGM_RSRC2:USER_SGPR: 6
; COMPUTE_PGM_RSRC2:TRAP_HANDLER: 0
; COMPUTE_PGM_RSRC2:TGID_X_EN: 1
; COMPUTE_PGM_RSRC2:TGID_Y_EN: 0
; COMPUTE_PGM_RSRC2:TGID_Z_EN: 0
; COMPUTE_PGM_RSRC2:TIDIG_COMP_CNT: 0
	.section	.text._ZN2at6native12_GLOBAL__N_120cunn_SoftMaxBackwardILi4EN3c104HalfEffNS1_23SoftMaxBackwardEpilogueEEEvPT0_PKT2_SA_l,"axG",@progbits,_ZN2at6native12_GLOBAL__N_120cunn_SoftMaxBackwardILi4EN3c104HalfEffNS1_23SoftMaxBackwardEpilogueEEEvPT0_PKT2_SA_l,comdat
	.globl	_ZN2at6native12_GLOBAL__N_120cunn_SoftMaxBackwardILi4EN3c104HalfEffNS1_23SoftMaxBackwardEpilogueEEEvPT0_PKT2_SA_l ; -- Begin function _ZN2at6native12_GLOBAL__N_120cunn_SoftMaxBackwardILi4EN3c104HalfEffNS1_23SoftMaxBackwardEpilogueEEEvPT0_PKT2_SA_l
	.p2align	8
	.type	_ZN2at6native12_GLOBAL__N_120cunn_SoftMaxBackwardILi4EN3c104HalfEffNS1_23SoftMaxBackwardEpilogueEEEvPT0_PKT2_SA_l,@function
_ZN2at6native12_GLOBAL__N_120cunn_SoftMaxBackwardILi4EN3c104HalfEffNS1_23SoftMaxBackwardEpilogueEEEvPT0_PKT2_SA_l: ; @_ZN2at6native12_GLOBAL__N_120cunn_SoftMaxBackwardILi4EN3c104HalfEffNS1_23SoftMaxBackwardEpilogueEEEvPT0_PKT2_SA_l
; %bb.0:
	s_load_dwordx8 s[8:15], s[4:5], 0x0
	s_mov_b32 s27, 0
	s_waitcnt lgkmcnt(0)
	s_mul_i32 s0, s15, s6
	s_mul_hi_u32 s1, s14, s6
	s_mul_i32 s18, s14, s6
	s_add_i32 s19, s1, s0
	v_cmp_lt_i64_e64 s7, 0x7ffffffe, s[14:15]
	s_lshl_b64 s[22:23], s[18:19], 2
	s_mov_b64 s[16:17], s[14:15]
	s_add_u32 s2, s12, s22
	s_addc_u32 s3, s13, s23
	s_bfe_u32 s26, s2, 0x20002
	s_cmp_lg_u32 s26, 0
	s_cselect_b32 s30, -1, 0
	s_and_b32 vcc_lo, exec_lo, s7
	s_cbranch_vccz .LBB617_16
; %bb.1:
	v_mov_b32_e32 v1, 0
	s_add_u32 s0, s4, 32
	s_addc_u32 s1, s5, 0
	s_and_b32 vcc_lo, exec_lo, s30
	s_cbranch_vccz .LBB617_39
; %bb.2:
	s_lshl_b32 s0, s26, 2
	v_mov_b32_e32 v6, v1
	s_sub_u32 s24, s2, s0
	s_mov_b32 s28, 0
	s_subb_u32 s25, s3, 0
	s_mov_b32 s0, exec_lo
	v_cmpx_le_u64_e64 s[26:27], v[0:1]
	s_cbranch_execz .LBB617_4
; %bb.3:
	v_lshlrev_b32_e32 v2, 2, v0
	global_load_dword v2, v2, s[24:25]
	s_waitcnt vmcnt(0)
	v_add_f32_e32 v6, 0, v2
.LBB617_4:
	s_or_b32 exec_lo, exec_lo, s0
	s_load_dword s20, s[4:5], 0x2c
	s_add_u32 s21, s26, s14
	s_addc_u32 s29, 0, s15
	s_add_u32 s0, s4, 32
	s_addc_u32 s1, s5, 0
	s_waitcnt lgkmcnt(0)
	s_and_b32 s31, s20, 0xffff
	s_sub_u32 s20, s21, s31
	s_subb_u32 s21, s29, 0
	s_lshl_b32 s29, s31, 2
	s_add_u32 s24, s24, s29
	s_addc_u32 s25, s25, 0
	s_and_b32 vcc_lo, exec_lo, s28
	s_cbranch_vccz .LBB617_6
.LBB617_5:
	v_mov_b32_e32 v6, 0
	s_mov_b64 s[20:21], s[16:17]
	s_mov_b64 s[24:25], s[2:3]
.LBB617_6:
	s_load_dword s28, s[0:1], 0x0
	v_mov_b32_e32 v2, 0
	s_waitcnt lgkmcnt(0)
	s_cmp_lt_u32 s6, s28
	s_cselect_b32 s28, 12, 18
	s_add_u32 s0, s0, s28
	s_addc_u32 s1, s1, 0
	global_load_ushort v2, v2, s[0:1]
	s_mov_b32 s0, 0
	s_waitcnt vmcnt(0)
	v_readfirstlane_b32 s1, v2
	v_and_b32_e32 v7, 0xffff, v2
	s_and_b32 s28, 0xffff, s1
	s_mov_b32 s1, s21
	s_lshl_b32 s31, s28, 2
	s_cmp_lg_u64 s[0:1], 0
	s_cbranch_scc0 .LBB617_40
; %bb.7:
	v_cvt_f32_u32_e32 v2, s31
	s_sub_u32 s29, 0, s31
	s_subb_u32 s33, 0, 0
	v_fmamk_f32 v2, 0, 0x4f800000, v2
	v_rcp_f32_e32 v2, v2
	v_mul_f32_e32 v2, 0x5f7ffffc, v2
	v_mul_f32_e32 v3, 0x2f800000, v2
	v_trunc_f32_e32 v3, v3
	v_fmamk_f32 v2, v3, 0xcf800000, v2
	v_cvt_u32_f32_e32 v3, v3
	v_cvt_u32_f32_e32 v2, v2
	v_readfirstlane_b32 s1, v3
	v_readfirstlane_b32 s28, v2
	s_mul_i32 s34, s29, s1
	s_mul_hi_u32 s36, s29, s28
	s_mul_i32 s35, s33, s28
	s_add_i32 s34, s36, s34
	s_mul_i32 s37, s29, s28
	s_add_i32 s34, s34, s35
	s_mul_hi_u32 s36, s28, s37
	s_mul_i32 s39, s28, s34
	s_mul_hi_u32 s38, s1, s37
	s_mul_i32 s35, s1, s37
	s_mul_hi_u32 s37, s28, s34
	s_add_u32 s36, s36, s39
	s_addc_u32 s37, 0, s37
	s_mul_hi_u32 s40, s1, s34
	s_add_u32 s35, s36, s35
	s_mul_i32 s34, s1, s34
	s_addc_u32 s35, s37, s38
	s_addc_u32 s36, s40, 0
	s_add_u32 s34, s35, s34
	s_addc_u32 s35, 0, s36
	s_add_u32 s28, s28, s34
	s_cselect_b32 s34, -1, 0
	s_mul_hi_u32 s36, s29, s28
	s_cmp_lg_u32 s34, 0
	s_mul_i32 s34, s29, s28
	s_addc_u32 s1, s1, s35
	s_mul_i32 s33, s33, s28
	s_mul_i32 s29, s29, s1
	s_mul_hi_u32 s35, s28, s34
	s_add_i32 s29, s36, s29
	s_mul_hi_u32 s36, s1, s34
	s_add_i32 s29, s29, s33
	s_mul_i32 s33, s1, s34
	s_mul_i32 s38, s28, s29
	s_mul_hi_u32 s37, s28, s29
	s_add_u32 s35, s35, s38
	s_addc_u32 s37, 0, s37
	s_mul_hi_u32 s34, s1, s29
	s_add_u32 s33, s35, s33
	s_mul_i32 s29, s1, s29
	s_addc_u32 s33, s37, s36
	s_addc_u32 s34, s34, 0
	s_add_u32 s29, s33, s29
	s_addc_u32 s33, 0, s34
	s_add_u32 s28, s28, s29
	s_cselect_b32 s29, -1, 0
	s_mul_hi_u32 s34, s20, s28
	s_cmp_lg_u32 s29, 0
	s_mul_hi_u32 s29, s21, s28
	s_addc_u32 s1, s1, s33
	s_mul_i32 s28, s21, s28
	s_mul_i32 s35, s20, s1
	s_mul_hi_u32 s33, s20, s1
	s_add_u32 s34, s34, s35
	s_addc_u32 s33, 0, s33
	s_mul_hi_u32 s36, s21, s1
	s_add_u32 s28, s34, s28
	s_mul_i32 s1, s21, s1
	s_addc_u32 s28, s33, s29
	s_addc_u32 s29, s36, 0
	s_add_u32 s1, s28, s1
	s_addc_u32 s28, 0, s29
	s_mul_hi_u32 s29, s31, s1
	s_mul_i32 s28, s31, s28
	s_mul_i32 s1, s31, s1
	s_add_i32 s29, s29, s28
	s_sub_u32 s1, s20, s1
	s_cselect_b32 s28, -1, 0
	s_cmp_lg_u32 s28, 0
	s_subb_u32 s28, s21, s29
	s_sub_u32 s29, s1, s31
	s_cselect_b32 s33, -1, 0
	s_cmp_lg_u32 s33, 0
	s_subb_u32 s33, s28, 0
	;; [unrolled: 4-line block ×3, first 2 shown]
	s_cmp_ge_u32 s29, s31
	s_cselect_b32 s36, -1, 0
	s_cmp_eq_u32 s33, 0
	s_cselect_b32 s36, s36, -1
	s_cmp_lg_u32 s36, 0
	s_cselect_b32 s33, s35, s33
	s_cselect_b32 s34, s34, s29
	s_cmp_ge_u32 s1, s31
	s_cselect_b32 s29, -1, 0
	s_cmp_eq_u32 s28, 0
	s_cselect_b32 s29, s29, -1
	s_cmp_lg_u32 s29, 0
	s_cselect_b32 s29, s33, s28
	s_cselect_b32 s28, s34, s1
	s_andn2_b32 vcc_lo, exec_lo, s0
	s_cbranch_vccnz .LBB617_9
.LBB617_8:
	v_cvt_f32_u32_e32 v2, s31
	s_sub_i32 s1, 0, s31
	s_mov_b32 s29, 0
	v_rcp_iflag_f32_e32 v2, v2
	v_mul_f32_e32 v2, 0x4f7ffffe, v2
	v_cvt_u32_f32_e32 v2, v2
	v_readfirstlane_b32 s0, v2
	s_mul_i32 s1, s1, s0
	s_mul_hi_u32 s1, s0, s1
	s_add_i32 s0, s0, s1
	s_mul_hi_u32 s0, s20, s0
	s_mul_i32 s0, s0, s31
	s_sub_i32 s0, s20, s0
	s_sub_i32 s1, s0, s31
	s_cmp_ge_u32 s0, s31
	s_cselect_b32 s0, s1, s0
	s_sub_i32 s1, s0, s31
	s_cmp_ge_u32 s0, s31
	s_cselect_b32 s28, s1, s0
.LBB617_9:
	v_lshlrev_b32_e32 v2, 4, v0
	v_mov_b32_e32 v5, v1
	v_lshlrev_b32_e32 v8, 4, v7
	v_mov_b32_e32 v4, v0
	s_sub_u32 s28, s20, s28
	v_add_co_u32 v2, s0, s24, v2
	v_add_co_ci_u32_e64 v3, null, s25, 0, s0
	s_subb_u32 s29, s21, s29
	v_add_co_u32 v2, vcc_lo, v2, 8
	v_add_co_ci_u32_e64 v3, null, 0, v3, vcc_lo
	s_mov_b32 s1, 0
	.p2align	6
.LBB617_10:                             ; =>This Inner Loop Header: Depth=1
	global_load_dwordx4 v[9:12], v[2:3], off offset:-8
	v_add_co_u32 v4, vcc_lo, v4, v7
	v_add_co_ci_u32_e64 v5, null, 0, v5, vcc_lo
	v_add_co_u32 v2, s0, v2, v8
	v_add_co_ci_u32_e64 v3, null, 0, v3, s0
	v_lshlrev_b64 v[13:14], 2, v[4:5]
	v_cmp_le_i64_e32 vcc_lo, s[28:29], v[13:14]
	s_or_b32 s1, vcc_lo, s1
	s_waitcnt vmcnt(0)
	v_add_f32_e32 v1, v6, v9
	v_add_f32_e32 v1, v1, v10
	;; [unrolled: 1-line block ×4, first 2 shown]
	s_andn2_b32 exec_lo, exec_lo, s1
	s_cbranch_execnz .LBB617_10
; %bb.11:
	s_or_b32 exec_lo, exec_lo, s1
	v_add_co_u32 v1, s0, s28, v0
	v_add_co_ci_u32_e64 v2, null, s29, 0, s0
	s_mov_b32 s0, exec_lo
	v_cmpx_gt_u64_e64 s[20:21], v[1:2]
	s_cbranch_execz .LBB617_15
; %bb.12:
	s_mov_b32 s1, 0
	.p2align	6
.LBB617_13:                             ; =>This Inner Loop Header: Depth=1
	v_lshlrev_b64 v[3:4], 2, v[1:2]
	v_add_co_u32 v3, vcc_lo, s24, v3
	v_add_co_ci_u32_e64 v4, null, s25, v4, vcc_lo
	v_add_co_u32 v1, vcc_lo, v1, v7
	v_add_co_ci_u32_e64 v2, null, 0, v2, vcc_lo
	global_load_dword v3, v[3:4], off
	v_cmp_le_i64_e32 vcc_lo, s[20:21], v[1:2]
	s_or_b32 s1, vcc_lo, s1
	s_waitcnt vmcnt(0)
	v_add_f32_e32 v6, v6, v3
	s_andn2_b32 exec_lo, exec_lo, s1
	s_cbranch_execnz .LBB617_13
; %bb.14:
	s_or_b32 exec_lo, exec_lo, s1
.LBB617_15:
	s_or_b32 exec_lo, exec_lo, s0
	s_branch .LBB617_31
.LBB617_16:
                                        ; implicit-def: $vgpr6
	s_cbranch_execz .LBB617_31
; %bb.17:
	s_add_u32 s20, s4, 32
	s_addc_u32 s21, s5, 0
	s_and_b32 vcc_lo, exec_lo, s30
	s_cbranch_vccz .LBB617_41
; %bb.18:
	s_lshl_b64 s[0:1], s[26:27], 2
	v_cmp_le_u32_e32 vcc_lo, s26, v0
	s_sub_u32 s24, s2, s0
	s_subb_u32 s25, s3, s1
	s_add_i32 s1, s26, s14
	v_mov_b32_e32 v6, 0
	v_cmp_gt_i32_e64 s0, s1, v0
	s_and_b32 s20, vcc_lo, s0
	s_and_saveexec_b32 s0, s20
	s_cbranch_execz .LBB617_20
; %bb.19:
	v_lshlrev_b32_e32 v1, 2, v0
	global_load_dword v1, v1, s[24:25]
	s_waitcnt vmcnt(0)
	v_add_f32_e32 v6, 0, v1
.LBB617_20:
	s_or_b32 exec_lo, exec_lo, s0
	s_load_dword s0, s[4:5], 0x2c
	s_add_u32 s20, s4, 32
	s_addc_u32 s21, s5, 0
	s_waitcnt lgkmcnt(0)
	s_and_b32 s0, s0, 0xffff
	v_sub_nc_u32_e64 v1, s1, s0 clamp
	s_lshl_b32 s0, s0, 2
	s_add_u32 s0, s24, s0
	s_addc_u32 s1, s25, 0
	v_readfirstlane_b32 s28, v1
	s_branch .LBB617_22
.LBB617_21:
	v_mov_b32_e32 v6, 0
	s_mov_b32 s28, s14
	s_mov_b64 s[0:1], s[2:3]
.LBB617_22:
	s_load_dword s24, s[20:21], 0x0
	v_mov_b32_e32 v1, 0
	s_waitcnt lgkmcnt(0)
	s_cmp_lt_u32 s6, s24
	s_cselect_b32 s24, 12, 18
	s_add_u32 s20, s20, s24
	s_addc_u32 s21, s21, 0
	global_load_ushort v3, v1, s[20:21]
	s_waitcnt vmcnt(0)
	v_readfirstlane_b32 s20, v3
	s_lshl_b32 s20, s20, 2
	v_cvt_f32_u32_e32 v1, s20
	s_sub_i32 s24, 0, s20
	v_rcp_iflag_f32_e32 v1, v1
	v_mul_f32_e32 v1, 0x4f7ffffe, v1
	v_cvt_u32_f32_e32 v1, v1
	v_readfirstlane_b32 s21, v1
	v_lshlrev_b32_e32 v1, 2, v0
	s_mul_i32 s24, s24, s21
	s_mul_hi_u32 s24, s21, s24
	s_add_i32 s21, s21, s24
	s_mul_hi_u32 s21, s28, s21
	s_mul_i32 s21, s21, s20
	s_sub_i32 s21, s28, s21
	s_sub_i32 s24, s21, s20
	s_cmp_ge_u32 s21, s20
	s_cselect_b32 s21, s24, s21
	s_sub_i32 s24, s21, s20
	s_cmp_ge_u32 s21, s20
	s_cselect_b32 s20, s24, s21
	s_mov_b32 s24, 0
	s_sub_i32 s20, s28, s20
	s_mov_b32 s21, exec_lo
	v_cmpx_gt_i32_e64 s20, v1
	s_cbranch_execz .LBB617_26
; %bb.23:
	v_mov_b32_e32 v1, v0
	.p2align	6
.LBB617_24:                             ; =>This Inner Loop Header: Depth=1
	v_ashrrev_i32_e32 v2, 31, v1
	v_lshlrev_b64 v[4:5], 4, v[1:2]
	v_add_nc_u32_e32 v1, v1, v3
	v_add_co_u32 v4, vcc_lo, s0, v4
	v_add_co_ci_u32_e64 v5, null, s1, v5, vcc_lo
	global_load_dwordx4 v[7:10], v[4:5], off
	v_lshlrev_b32_e32 v4, 2, v1
	v_cmp_le_i32_e32 vcc_lo, s20, v4
	s_or_b32 s24, vcc_lo, s24
	s_waitcnt vmcnt(0)
	v_add_f32_e32 v2, v6, v7
	v_add_f32_e32 v2, v2, v8
	;; [unrolled: 1-line block ×4, first 2 shown]
	s_andn2_b32 exec_lo, exec_lo, s24
	s_cbranch_execnz .LBB617_24
; %bb.25:
	s_or_b32 exec_lo, exec_lo, s24
.LBB617_26:
	s_or_b32 exec_lo, exec_lo, s21
	v_add_nc_u32_e32 v1, s20, v0
	s_mov_b32 s20, exec_lo
	v_cmpx_gt_i32_e64 s28, v1
	s_cbranch_execz .LBB617_30
; %bb.27:
	s_mov_b32 s21, 0
.LBB617_28:                             ; =>This Inner Loop Header: Depth=1
	v_ashrrev_i32_e32 v2, 31, v1
	v_lshlrev_b64 v[4:5], 2, v[1:2]
	v_add_nc_u32_e32 v1, v1, v3
	v_add_co_u32 v4, vcc_lo, s0, v4
	v_add_co_ci_u32_e64 v5, null, s1, v5, vcc_lo
	v_cmp_le_i32_e32 vcc_lo, s28, v1
	global_load_dword v2, v[4:5], off
	s_or_b32 s21, vcc_lo, s21
	s_waitcnt vmcnt(0)
	v_add_f32_e32 v6, v6, v2
	s_andn2_b32 exec_lo, exec_lo, s21
	s_cbranch_execnz .LBB617_28
; %bb.29:
	s_or_b32 exec_lo, exec_lo, s21
.LBB617_30:
	s_or_b32 exec_lo, exec_lo, s20
.LBB617_31:
	v_lshl_add_u32 v1, v0, 2, 0
	s_barrier
	buffer_gl0_inv
	ds_write_b32 v1, v6
	s_waitcnt lgkmcnt(0)
	s_barrier
	buffer_gl0_inv
	s_load_dword s1, s[4:5], 0x2c
	s_add_u32 s4, s4, 32
	s_addc_u32 s5, s5, 0
	s_waitcnt lgkmcnt(0)
	s_bfe_u32 s0, s1, 0xb0005
	s_and_b32 s0, s0, 0xffff
	s_min_u32 s20, s0, 32
	v_cmp_gt_u32_e32 vcc_lo, s20, v0
	s_and_saveexec_b32 s20, vcc_lo
	s_cbranch_execz .LBB617_33
; %bb.32:
	v_mad_u32_u24 v10, 0x7c, v0, v1
	ds_read2_b32 v[2:3], v10 offset1:1
	ds_read2_b32 v[4:5], v10 offset0:2 offset1:3
	ds_read2_b32 v[6:7], v10 offset0:4 offset1:5
	;; [unrolled: 1-line block ×3, first 2 shown]
	s_waitcnt lgkmcnt(3)
	v_add_f32_e32 v2, 0, v2
	v_add_f32_e32 v2, v2, v3
	s_waitcnt lgkmcnt(2)
	v_add_f32_e32 v2, v2, v4
	v_add_f32_e32 v4, v2, v5
	ds_read2_b32 v[2:3], v10 offset0:8 offset1:9
	s_waitcnt lgkmcnt(2)
	v_add_f32_e32 v4, v4, v6
	v_add_f32_e32 v6, v4, v7
	ds_read2_b32 v[4:5], v10 offset0:10 offset1:11
	;; [unrolled: 4-line block ×3, first 2 shown]
	ds_read2_b32 v[8:9], v10 offset0:14 offset1:15
	s_waitcnt lgkmcnt(3)
	v_add_f32_e32 v2, v11, v2
	v_add_f32_e32 v2, v2, v3
	s_waitcnt lgkmcnt(2)
	v_add_f32_e32 v2, v2, v4
	v_add_f32_e32 v4, v2, v5
	ds_read2_b32 v[2:3], v10 offset0:16 offset1:17
	s_waitcnt lgkmcnt(2)
	v_add_f32_e32 v4, v4, v6
	v_add_f32_e32 v6, v4, v7
	ds_read2_b32 v[4:5], v10 offset0:18 offset1:19
	;; [unrolled: 4-line block ×3, first 2 shown]
	ds_read2_b32 v[8:9], v10 offset0:22 offset1:23
	s_waitcnt lgkmcnt(3)
	v_add_f32_e32 v2, v11, v2
	v_add_f32_e32 v2, v2, v3
	s_waitcnt lgkmcnt(2)
	v_add_f32_e32 v2, v2, v4
	v_add_f32_e32 v2, v2, v5
	s_waitcnt lgkmcnt(1)
	v_add_f32_e32 v4, v2, v6
	ds_read2_b32 v[2:3], v10 offset0:24 offset1:25
	v_add_f32_e32 v4, v4, v7
	s_waitcnt lgkmcnt(1)
	v_add_f32_e32 v6, v4, v8
	ds_read2_b32 v[4:5], v10 offset0:26 offset1:27
	v_add_f32_e32 v11, v6, v9
	ds_read2_b32 v[6:7], v10 offset0:28 offset1:29
	ds_read2_b32 v[8:9], v10 offset0:30 offset1:31
	s_waitcnt lgkmcnt(3)
	v_add_f32_e32 v2, v11, v2
	v_add_f32_e32 v2, v2, v3
	s_waitcnt lgkmcnt(2)
	v_add_f32_e32 v2, v2, v4
	v_add_f32_e32 v2, v2, v5
	;; [unrolled: 3-line block ×4, first 2 shown]
	ds_write_b32 v1, v2
.LBB617_33:
	s_or_b32 exec_lo, exec_lo, s20
	s_and_b32 s33, 0xffff, s1
	s_mov_b32 s1, exec_lo
	s_waitcnt lgkmcnt(0)
	s_barrier
	buffer_gl0_inv
	v_cmpx_eq_u32_e32 0, v0
	s_cbranch_execz .LBB617_46
; %bb.34:
	v_mov_b32_e32 v1, 0
	s_cmp_lt_u32 s33, 32
	s_cbranch_scc1 .LBB617_45
; %bb.35:
	s_add_i32 s20, s0, -1
	v_mov_b32_e32 v1, 0
	s_and_b32 s20, s20, 0xffff
	s_cmp_lt_u32 s20, 7
	s_cbranch_scc1 .LBB617_42
; %bb.36:
	s_and_b32 s20, s0, 0x7f8
	s_mov_b32 s21, 0
	s_mov_b32 s24, 0
	.p2align	6
.LBB617_37:                             ; =>This Inner Loop Header: Depth=1
	v_mov_b32_e32 v8, s24
	s_add_i32 s21, s21, 8
	s_add_i32 s24, s24, 32
	s_cmp_eq_u32 s20, s21
	ds_read2_b32 v[2:3], v8 offset1:1
	ds_read2_b32 v[4:5], v8 offset0:2 offset1:3
	ds_read2_b32 v[6:7], v8 offset0:4 offset1:5
	;; [unrolled: 1-line block ×3, first 2 shown]
	s_waitcnt lgkmcnt(3)
	v_add_f32_e32 v1, v1, v2
	v_add_f32_e32 v1, v1, v3
	s_waitcnt lgkmcnt(2)
	v_add_f32_e32 v1, v1, v4
	v_add_f32_e32 v1, v1, v5
	;; [unrolled: 3-line block ×4, first 2 shown]
	s_cbranch_scc0 .LBB617_37
; %bb.38:
	s_and_b32 s0, s0, 7
	s_cmp_eq_u32 s0, 0
	s_cbranch_scc0 .LBB617_43
	s_branch .LBB617_45
.LBB617_39:
                                        ; implicit-def: $sgpr24_sgpr25
                                        ; implicit-def: $sgpr20_sgpr21
                                        ; implicit-def: $vgpr6
	s_cbranch_execnz .LBB617_5
	s_branch .LBB617_6
.LBB617_40:
                                        ; implicit-def: $sgpr28_sgpr29
	s_branch .LBB617_8
.LBB617_41:
                                        ; implicit-def: $sgpr0_sgpr1
                                        ; implicit-def: $sgpr28
                                        ; implicit-def: $vgpr6
	s_cbranch_execnz .LBB617_21
	s_branch .LBB617_22
.LBB617_42:
	s_mov_b32 s20, 0
	s_and_b32 s0, s0, 7
	s_cmp_eq_u32 s0, 0
	s_cbranch_scc1 .LBB617_45
.LBB617_43:
	s_lshl_b32 s20, s20, 2
	s_add_i32 s20, s20, 0
.LBB617_44:                             ; =>This Inner Loop Header: Depth=1
	v_mov_b32_e32 v2, s20
	s_add_i32 s0, s0, -1
	s_add_i32 s20, s20, 4
	s_cmp_lg_u32 s0, 0
	ds_read_b32 v2, v2
	s_waitcnt lgkmcnt(0)
	v_add_f32_e32 v1, v1, v2
	s_cbranch_scc1 .LBB617_44
.LBB617_45:
	v_mov_b32_e32 v2, 0
	ds_write_b32 v2, v1
.LBB617_46:
	s_or_b32 exec_lo, exec_lo, s1
	v_mov_b32_e32 v1, 0
	s_waitcnt lgkmcnt(0)
	s_barrier
	buffer_gl0_inv
	s_lshl_b64 s[28:29], s[18:19], 1
	ds_read_b32 v8, v1
	s_add_u32 s18, s8, s28
	s_addc_u32 s19, s9, s29
	s_add_u32 s20, s10, s22
	s_addc_u32 s21, s11, s23
	s_lshr_b64 s[0:1], s[18:19], 1
	s_mov_b32 s25, 0
	s_and_b32 s24, s0, 7
	s_bfe_u32 s0, s20, 0x20002
	s_mov_b32 s1, s25
	s_cmp_eq_u64 s[24:25], s[0:1]
	s_cselect_b32 s0, -1, 0
	s_cmp_eq_u64 s[24:25], s[26:27]
	s_cselect_b32 s1, -1, 0
	s_and_b32 s0, s0, s1
	s_andn2_b32 vcc_lo, exec_lo, s0
	s_mov_b32 s0, -1
	s_cbranch_vccz .LBB617_65
; %bb.47:
	s_and_b32 vcc_lo, exec_lo, s7
	s_cbranch_vccz .LBB617_56
; %bb.48:
	s_lshl_b32 s1, s33, 2
	s_mov_b32 s39, 0
	v_cvt_f32_u32_e32 v1, s1
	s_sub_i32 s26, 0, s1
	s_mov_b32 s38, exec_lo
	v_rcp_iflag_f32_e32 v1, v1
	v_mul_f32_e32 v1, 0x4f7ffffe, v1
	v_cvt_u32_f32_e32 v1, v1
	v_readfirstlane_b32 s0, v1
	v_mov_b32_e32 v1, 0
	s_mul_i32 s26, s26, s0
	v_mov_b32_e32 v3, v1
	s_mul_hi_u32 s26, s0, s26
	v_mov_b32_e32 v2, v0
	s_add_i32 s0, s0, s26
	s_mul_hi_u32 s0, s14, s0
	s_mul_i32 s0, s0, s1
	s_sub_i32 s0, s14, s0
	s_sub_i32 s26, s0, s1
	s_cmp_ge_u32 s0, s1
	s_cselect_b32 s0, s26, s0
	s_sub_i32 s26, s0, s1
	s_cmp_ge_u32 s0, s1
	s_cselect_b32 s0, s26, s0
	s_bfe_i64 s[26:27], s[14:15], 0x200000
	s_sub_u32 s30, s26, s0
	s_subb_u32 s31, s27, 0
	v_cmpx_gt_i64_e64 s[30:31], v[0:1]
	s_cbranch_execz .LBB617_52
; %bb.49:
	s_lshl_b32 s40, s33, 1
	s_lshl_b32 s41, s33, 4
	s_add_u32 s0, s22, s1
	s_addc_u32 s34, s23, 0
	s_add_u32 s42, s10, s0
	s_addc_u32 s43, s11, s34
	s_lshl_b32 s44, s33, 3
	s_mul_i32 s37, s33, 12
	s_add_u32 s35, s22, s44
	s_addc_u32 s36, s23, 0
	s_add_u32 s45, s10, s35
	s_addc_u32 s46, s11, s36
	;; [unrolled: 2-line block ×5, first 2 shown]
	s_add_u32 s51, s12, s35
	v_lshlrev_b64 v[2:3], 1, v[0:1]
	s_addc_u32 s52, s13, s36
	s_add_u32 s53, s12, s37
	s_addc_u32 s54, s13, s54
	s_add_u32 s0, s8, s28
	s_addc_u32 s34, s9, s29
	v_add_co_u32 v6, vcc_lo, s0, v2
	v_lshlrev_b64 v[4:5], 2, v[0:1]
	v_add_co_ci_u32_e64 v7, null, s34, v3, vcc_lo
	v_mov_b32_e32 v3, v1
	v_mov_b32_e32 v2, v0
	s_mul_i32 s55, s33, 6
	s_mov_b64 s[34:35], s[2:3]
	s_mov_b64 s[36:37], s[20:21]
.LBB617_50:                             ; =>This Inner Loop Header: Depth=1
	v_add_co_u32 v9, vcc_lo, s36, v4
	v_add_co_ci_u32_e64 v10, null, s37, v5, vcc_lo
	v_add_co_u32 v11, vcc_lo, s34, v4
	v_add_co_ci_u32_e64 v12, null, s35, v5, vcc_lo
	;; [unrolled: 2-line block ×8, first 2 shown]
	global_load_dword v1, v[9:10], off
	global_load_dword v25, v[11:12], off
	;; [unrolled: 1-line block ×8, first 2 shown]
	v_add_co_u32 v9, vcc_lo, v6, s40
	v_add_co_ci_u32_e64 v10, null, 0, v7, vcc_lo
	v_add_co_u32 v11, vcc_lo, v6, s1
	s_add_u32 s36, s36, s41
	v_add_co_ci_u32_e64 v12, null, 0, v7, vcc_lo
	v_add_co_u32 v13, vcc_lo, v6, s55
	s_addc_u32 s37, s37, 0
	s_add_u32 s42, s42, s41
	v_add_co_ci_u32_e64 v14, null, 0, v7, vcc_lo
	v_add_co_u32 v2, vcc_lo, v2, s1
	s_addc_u32 s43, s43, 0
	s_add_u32 s45, s45, s41
	v_add_co_ci_u32_e64 v3, null, 0, v3, vcc_lo
	s_addc_u32 s46, s46, 0
	s_add_u32 s47, s47, s41
	s_addc_u32 s48, s48, 0
	s_add_u32 s34, s34, s41
	s_addc_u32 s35, s35, 0
	v_cmp_le_i64_e32 vcc_lo, s[30:31], v[2:3]
	s_add_u32 s49, s49, s41
	s_addc_u32 s50, s50, 0
	s_add_u32 s51, s51, s41
	s_addc_u32 s52, s52, 0
	;; [unrolled: 2-line block ×3, first 2 shown]
	s_or_b32 s39, vcc_lo, s39
	s_waitcnt vmcnt(6) lgkmcnt(0)
	v_fma_mixlo_f16 v1, -v8, v1, v25
	s_waitcnt vmcnt(4)
	v_fma_mixlo_f16 v15, -v8, v26, v15
	s_waitcnt vmcnt(2)
	v_fma_mixlo_f16 v16, -v8, v16, v17
	global_store_short v[6:7], v1, off
	v_add_co_u32 v6, s0, v6, s44
	v_add_co_ci_u32_e64 v7, null, 0, v7, s0
	s_waitcnt vmcnt(0)
	v_fma_mixlo_f16 v17, -v8, v18, v19
	global_store_short v[9:10], v15, off
	global_store_short v[11:12], v16, off
	;; [unrolled: 1-line block ×3, first 2 shown]
	s_andn2_b32 exec_lo, exec_lo, s39
	s_cbranch_execnz .LBB617_50
; %bb.51:
	s_or_b32 exec_lo, exec_lo, s39
.LBB617_52:
	s_or_b32 exec_lo, exec_lo, s38
	s_mov_b32 s30, exec_lo
	v_cmpx_gt_i64_e64 s[26:27], v[2:3]
	s_cbranch_execz .LBB617_55
; %bb.53:
	v_lshlrev_b64 v[4:5], 2, v[2:3]
	v_lshlrev_b64 v[9:10], 1, v[2:3]
	s_add_u32 s0, s8, s28
	s_addc_u32 s8, s9, s29
	s_lshl_b32 s9, s33, 1
	v_add_co_u32 v1, vcc_lo, s22, v4
	v_add_co_ci_u32_e64 v6, null, s23, v5, vcc_lo
	v_add_co_u32 v4, vcc_lo, s0, v9
	v_add_co_ci_u32_e64 v5, null, s8, v10, vcc_lo
	s_mov_b32 s8, 0
	.p2align	6
.LBB617_54:                             ; =>This Inner Loop Header: Depth=1
	v_add_co_u32 v9, vcc_lo, s12, v1
	v_add_co_ci_u32_e64 v10, null, s13, v6, vcc_lo
	v_add_co_u32 v11, vcc_lo, s10, v1
	v_add_co_ci_u32_e64 v12, null, s11, v6, vcc_lo
	global_load_dword v7, v[9:10], off
	global_load_dword v9, v[11:12], off
	v_add_co_u32 v2, vcc_lo, v2, s33
	v_add_co_ci_u32_e64 v3, null, 0, v3, vcc_lo
	v_add_co_u32 v1, vcc_lo, v1, s1
	v_add_co_ci_u32_e64 v6, null, 0, v6, vcc_lo
	v_cmp_le_i64_e32 vcc_lo, s[26:27], v[2:3]
	s_or_b32 s8, vcc_lo, s8
	s_waitcnt vmcnt(0) lgkmcnt(0)
	v_fma_mixlo_f16 v7, -v8, v9, v7
	global_store_short v[4:5], v7, off
	v_add_co_u32 v4, s0, v4, s9
	v_add_co_ci_u32_e64 v5, null, 0, v5, s0
	s_andn2_b32 exec_lo, exec_lo, s8
	s_cbranch_execnz .LBB617_54
.LBB617_55:
	s_or_b32 exec_lo, exec_lo, s30
	s_mov_b32 s0, 0
.LBB617_56:
	s_and_b32 vcc_lo, exec_lo, s0
	s_cbranch_vccz .LBB617_91
; %bb.57:
	s_lshl_b32 s0, s33, 2
	s_mov_b32 s9, 0
	v_cvt_f32_u32_e32 v1, s0
	s_sub_i32 s8, 0, s0
	v_rcp_iflag_f32_e32 v1, v1
	v_mul_f32_e32 v1, 0x4f7ffffe, v1
	v_cvt_u32_f32_e32 v1, v1
	v_readfirstlane_b32 s1, v1
	v_mov_b32_e32 v1, v0
	s_mul_i32 s8, s8, s1
	s_mul_hi_u32 s8, s1, s8
	s_add_i32 s1, s1, s8
	s_mul_hi_u32 s1, s14, s1
	s_mul_i32 s1, s1, s0
	s_sub_i32 s1, s14, s1
	s_sub_i32 s8, s1, s0
	s_cmp_ge_u32 s1, s0
	s_cselect_b32 s1, s8, s1
	s_sub_i32 s8, s1, s0
	s_cmp_ge_u32 s1, s0
	s_cselect_b32 s0, s8, s1
	s_mov_b32 s1, exec_lo
	s_sub_i32 s8, s14, s0
	v_cmpx_gt_i32_e64 s8, v0
	s_cbranch_execz .LBB617_61
; %bb.58:
	v_mov_b32_e32 v2, 0
	v_mov_b32_e32 v1, v0
	s_lshl_b32 s10, s33, 1
	s_mul_i32 s11, s33, 3
	s_add_i32 s12, s33, s33
.LBB617_59:                             ; =>This Inner Loop Header: Depth=1
	v_lshlrev_b64 v[11:12], 2, v[1:2]
	v_add_nc_u32_e32 v3, s33, v1
	v_mov_b32_e32 v4, v2
	v_add_nc_u32_e32 v5, s10, v1
	v_mov_b32_e32 v6, v2
	v_add_nc_u32_e32 v9, s11, v1
	v_add_co_u32 v19, vcc_lo, s20, v11
	v_lshlrev_b64 v[13:14], 2, v[3:4]
	v_add_co_ci_u32_e64 v20, null, s21, v12, vcc_lo
	v_add_co_u32 v11, vcc_lo, s2, v11
	v_add_co_ci_u32_e64 v12, null, s3, v12, vcc_lo
	v_mov_b32_e32 v10, v2
	v_lshlrev_b64 v[15:16], 2, v[5:6]
	global_load_dword v23, v[19:20], off
	global_load_dword v24, v[11:12], off
	v_add_co_u32 v11, vcc_lo, s20, v13
	v_lshlrev_b64 v[17:18], 2, v[9:10]
	v_add_co_ci_u32_e64 v12, null, s21, v14, vcc_lo
	v_add_co_u32 v13, vcc_lo, s2, v13
	v_add_co_ci_u32_e64 v14, null, s3, v14, vcc_lo
	v_add_co_u32 v19, vcc_lo, s20, v15
	;; [unrolled: 2-line block ×5, first 2 shown]
	v_add_co_ci_u32_e64 v18, null, s3, v18, vcc_lo
	global_load_dword v25, v[11:12], off
	global_load_dword v26, v[13:14], off
	;; [unrolled: 1-line block ×6, first 2 shown]
	v_lshlrev_b64 v[11:12], 1, v[1:2]
	v_lshlrev_b64 v[13:14], 1, v[3:4]
	;; [unrolled: 1-line block ×4, first 2 shown]
	v_add3_u32 v1, s12, s33, v3
	v_add_co_u32 v9, vcc_lo, s18, v11
	v_add_co_u32 v11, s0, s18, v13
	v_add_co_ci_u32_e64 v10, null, s19, v12, vcc_lo
	v_add_co_ci_u32_e64 v12, null, s19, v14, s0
	v_add_co_u32 v3, s0, s18, v4
	v_cmp_le_i32_e32 vcc_lo, s8, v1
	v_add_co_ci_u32_e64 v4, null, s19, v5, s0
	v_add_co_u32 v5, s0, s18, v6
	v_add_co_ci_u32_e64 v6, null, s19, v7, s0
	s_or_b32 s9, vcc_lo, s9
	s_waitcnt vmcnt(6) lgkmcnt(0)
	v_fma_mixlo_f16 v7, -v8, v23, v24
	s_waitcnt vmcnt(4)
	v_fma_mixlo_f16 v13, -v8, v25, v26
	s_waitcnt vmcnt(2)
	;; [unrolled: 2-line block ×3, first 2 shown]
	v_fma_mixlo_f16 v15, -v8, v16, v17
	global_store_short v[9:10], v7, off
	global_store_short v[11:12], v13, off
	;; [unrolled: 1-line block ×4, first 2 shown]
	s_andn2_b32 exec_lo, exec_lo, s9
	s_cbranch_execnz .LBB617_59
; %bb.60:
	s_or_b32 exec_lo, exec_lo, s9
.LBB617_61:
	s_or_b32 exec_lo, exec_lo, s1
	s_mov_b32 s1, exec_lo
	v_cmpx_gt_i32_e64 s14, v1
	s_cbranch_execz .LBB617_64
; %bb.62:
	s_mov_b32 s8, 0
	.p2align	6
.LBB617_63:                             ; =>This Inner Loop Header: Depth=1
	v_ashrrev_i32_e32 v2, 31, v1
	v_lshlrev_b64 v[3:4], 2, v[1:2]
	v_add_co_u32 v5, vcc_lo, s2, v3
	v_add_co_ci_u32_e64 v6, null, s3, v4, vcc_lo
	v_add_co_u32 v3, vcc_lo, s20, v3
	v_add_co_ci_u32_e64 v4, null, s21, v4, vcc_lo
	global_load_dword v5, v[5:6], off
	global_load_dword v4, v[3:4], off
	v_lshlrev_b64 v[2:3], 1, v[1:2]
	v_add_nc_u32_e32 v1, s33, v1
	v_cmp_le_i32_e32 vcc_lo, s14, v1
	v_add_co_u32 v2, s0, s18, v2
	v_add_co_ci_u32_e64 v3, null, s19, v3, s0
	s_or_b32 s8, vcc_lo, s8
	s_waitcnt vmcnt(0) lgkmcnt(0)
	v_fma_mixlo_f16 v4, -v8, v4, v5
	global_store_short v[2:3], v4, off
	s_andn2_b32 exec_lo, exec_lo, s8
	s_cbranch_execnz .LBB617_63
.LBB617_64:
	s_or_b32 exec_lo, exec_lo, s1
	s_mov_b32 s0, 0
.LBB617_65:
	s_andn2_b32 vcc_lo, exec_lo, s0
	s_cbranch_vccnz .LBB617_92
.LBB617_66:
	s_cmp_lg_u64 s[24:25], 0
	s_mov_b32 s1, -1
	s_cselect_b32 s26, -1, 0
	s_and_b32 vcc_lo, exec_lo, s7
	v_cndmask_b32_e64 v1, 0, 1, s26
	v_cmp_ne_u32_e64 s0, 1, v1
	s_cbranch_vccz .LBB617_80
; %bb.67:
	v_mov_b32_e32 v1, 0
	s_and_b32 vcc_lo, exec_lo, s0
	s_mov_b64 s[8:9], s[18:19]
	s_mov_b64 s[10:11], s[20:21]
	;; [unrolled: 1-line block ×3, first 2 shown]
	s_cbranch_vccnz .LBB617_71
; %bb.68:
	s_lshl_b32 s0, s24, 1
	s_mov_b32 s8, exec_lo
	s_sub_u32 s0, s18, s0
	s_subb_u32 s1, s19, 0
	s_lshl_b32 s7, s24, 2
	s_sub_u32 s10, s20, s7
	s_subb_u32 s11, s21, 0
	s_sub_u32 s7, s2, s7
	s_subb_u32 s13, s3, 0
	v_cmpx_le_u64_e64 s[24:25], v[0:1]
	s_cbranch_execz .LBB617_70
; %bb.69:
	v_lshlrev_b64 v[2:3], 2, v[0:1]
	v_add_co_u32 v4, vcc_lo, s7, v2
	v_add_co_ci_u32_e64 v5, null, s13, v3, vcc_lo
	v_add_co_u32 v2, vcc_lo, s10, v2
	v_add_co_ci_u32_e64 v3, null, s11, v3, vcc_lo
	global_load_dword v4, v[4:5], off
	global_load_dword v5, v[2:3], off
	v_lshlrev_b64 v[2:3], 1, v[0:1]
	v_add_co_u32 v2, vcc_lo, s0, v2
	v_add_co_ci_u32_e64 v3, null, s1, v3, vcc_lo
	s_waitcnt vmcnt(0) lgkmcnt(0)
	v_fma_mixlo_f16 v4, -v8, v5, v4
	global_store_short v[2:3], v4, off
.LBB617_70:
	s_or_b32 exec_lo, exec_lo, s8
	s_add_u32 s8, s24, s14
	s_addc_u32 s9, 0, s15
	s_sub_u32 s16, s8, s33
	s_subb_u32 s17, s9, 0
	s_lshl_b32 s8, s33, 1
	s_add_u32 s8, s0, s8
	s_addc_u32 s9, s1, 0
	s_lshl_b32 s0, s33, 2
	s_add_u32 s10, s10, s0
	s_addc_u32 s11, s11, 0
	s_add_u32 s12, s7, s0
	s_addc_u32 s13, s13, 0
.LBB617_71:
	s_load_dword s0, s[4:5], 0x0
	v_mov_b32_e32 v2, 0
	s_waitcnt lgkmcnt(0)
	s_cmp_lt_u32 s6, s0
	s_cselect_b32 s0, 12, 18
	s_add_u32 s0, s4, s0
	s_addc_u32 s1, s5, 0
	global_load_ushort v2, v2, s[0:1]
	s_mov_b32 s0, 0
	s_waitcnt vmcnt(0)
	v_readfirstlane_b32 s1, v2
	v_and_b32_e32 v9, 0xffff, v2
	s_and_b32 s7, 0xffff, s1
	s_mov_b32 s1, s17
	s_lshl_b32 s7, s7, 2
	s_cmp_lg_u64 s[0:1], 0
	s_cbranch_scc0 .LBB617_93
; %bb.72:
	v_cvt_f32_u32_e32 v2, s7
	s_sub_u32 s22, 0, s7
	s_subb_u32 s23, 0, 0
	v_fmamk_f32 v2, 0, 0x4f800000, v2
	v_rcp_f32_e32 v2, v2
	v_mul_f32_e32 v2, 0x5f7ffffc, v2
	v_mul_f32_e32 v3, 0x2f800000, v2
	v_trunc_f32_e32 v3, v3
	v_fmamk_f32 v2, v3, 0xcf800000, v2
	v_cvt_u32_f32_e32 v3, v3
	v_cvt_u32_f32_e32 v2, v2
	v_readfirstlane_b32 s1, v3
	v_readfirstlane_b32 s15, v2
	s_mul_i32 s25, s22, s1
	s_mul_hi_u32 s28, s22, s15
	s_mul_i32 s27, s23, s15
	s_add_i32 s25, s28, s25
	s_mul_i32 s29, s22, s15
	s_add_i32 s25, s25, s27
	s_mul_hi_u32 s28, s15, s29
	s_mul_i32 s31, s15, s25
	s_mul_hi_u32 s30, s1, s29
	s_mul_i32 s27, s1, s29
	s_mul_hi_u32 s29, s15, s25
	s_add_u32 s28, s28, s31
	s_addc_u32 s29, 0, s29
	s_mul_hi_u32 s34, s1, s25
	s_add_u32 s27, s28, s27
	s_mul_i32 s25, s1, s25
	s_addc_u32 s27, s29, s30
	s_addc_u32 s28, s34, 0
	s_add_u32 s25, s27, s25
	s_addc_u32 s27, 0, s28
	s_add_u32 s15, s15, s25
	s_cselect_b32 s25, -1, 0
	s_mul_hi_u32 s28, s22, s15
	s_cmp_lg_u32 s25, 0
	s_mul_i32 s25, s22, s15
	s_addc_u32 s1, s1, s27
	s_mul_i32 s23, s23, s15
	s_mul_i32 s22, s22, s1
	s_mul_hi_u32 s27, s15, s25
	s_add_i32 s22, s28, s22
	s_mul_hi_u32 s28, s1, s25
	s_add_i32 s22, s22, s23
	s_mul_i32 s23, s1, s25
	s_mul_i32 s30, s15, s22
	s_mul_hi_u32 s29, s15, s22
	s_add_u32 s27, s27, s30
	s_addc_u32 s29, 0, s29
	s_mul_hi_u32 s25, s1, s22
	s_add_u32 s23, s27, s23
	s_mul_i32 s22, s1, s22
	s_addc_u32 s23, s29, s28
	s_addc_u32 s25, s25, 0
	s_add_u32 s22, s23, s22
	s_addc_u32 s23, 0, s25
	s_add_u32 s15, s15, s22
	s_cselect_b32 s22, -1, 0
	s_mul_hi_u32 s25, s16, s15
	s_cmp_lg_u32 s22, 0
	s_mul_hi_u32 s22, s17, s15
	s_addc_u32 s1, s1, s23
	s_mul_i32 s15, s17, s15
	s_mul_i32 s27, s16, s1
	s_mul_hi_u32 s23, s16, s1
	s_add_u32 s25, s25, s27
	s_addc_u32 s23, 0, s23
	s_mul_hi_u32 s28, s17, s1
	s_add_u32 s15, s25, s15
	s_mul_i32 s1, s17, s1
	s_addc_u32 s15, s23, s22
	s_addc_u32 s22, s28, 0
	s_add_u32 s1, s15, s1
	s_addc_u32 s15, 0, s22
	s_mul_hi_u32 s22, s7, s1
	s_mul_i32 s15, s7, s15
	s_mul_i32 s1, s7, s1
	s_add_i32 s22, s22, s15
	s_sub_u32 s1, s16, s1
	s_cselect_b32 s15, -1, 0
	s_cmp_lg_u32 s15, 0
	s_subb_u32 s15, s17, s22
	s_sub_u32 s22, s1, s7
	s_cselect_b32 s23, -1, 0
	s_cmp_lg_u32 s23, 0
	s_subb_u32 s23, s15, 0
	;; [unrolled: 4-line block ×3, first 2 shown]
	s_cmp_ge_u32 s22, s7
	s_cselect_b32 s28, -1, 0
	s_cmp_eq_u32 s23, 0
	s_cselect_b32 s28, s28, -1
	s_cmp_lg_u32 s28, 0
	s_cselect_b32 s23, s27, s23
	s_cselect_b32 s22, s25, s22
	s_cmp_ge_u32 s1, s7
	s_cselect_b32 s25, -1, 0
	s_cmp_eq_u32 s15, 0
	s_cselect_b32 s25, s25, -1
	s_cmp_lg_u32 s25, 0
	s_cselect_b32 s23, s23, s15
	s_cselect_b32 s22, s22, s1
	s_andn2_b32 vcc_lo, exec_lo, s0
	s_cbranch_vccnz .LBB617_74
.LBB617_73:
	v_cvt_f32_u32_e32 v2, s7
	s_sub_i32 s1, 0, s7
	s_mov_b32 s23, 0
	v_rcp_iflag_f32_e32 v2, v2
	v_mul_f32_e32 v2, 0x4f7ffffe, v2
	v_cvt_u32_f32_e32 v2, v2
	v_readfirstlane_b32 s0, v2
	s_mul_i32 s1, s1, s0
	s_mul_hi_u32 s1, s0, s1
	s_add_i32 s0, s0, s1
	s_mul_hi_u32 s0, s16, s0
	s_mul_i32 s0, s0, s7
	s_sub_i32 s0, s16, s0
	s_sub_i32 s1, s0, s7
	s_cmp_ge_u32 s0, s7
	s_cselect_b32 s0, s1, s0
	s_sub_i32 s1, s0, s7
	s_cmp_ge_u32 s0, s7
	s_cselect_b32 s22, s1, s0
.LBB617_74:
	v_lshlrev_b64 v[4:5], 3, v[0:1]
	v_lshlrev_b64 v[2:3], 4, v[0:1]
	v_mov_b32_e32 v7, v1
	v_lshlrev_b32_e32 v10, 3, v9
	v_lshlrev_b32_e32 v11, 4, v9
	v_mov_b32_e32 v6, v0
	v_add_co_u32 v4, vcc_lo, s8, v4
	v_add_co_ci_u32_e64 v5, null, s9, v5, vcc_lo
	v_or_b32_e32 v2, 8, v2
	v_add_co_u32 v4, vcc_lo, v4, 4
	v_add_co_ci_u32_e64 v5, null, 0, v5, vcc_lo
	s_sub_u32 s22, s16, s22
	s_subb_u32 s23, s17, s23
	s_mov_b32 s1, 0
	s_inst_prefetch 0x1
	.p2align	6
.LBB617_75:                             ; =>This Inner Loop Header: Depth=1
	v_add_co_u32 v12, vcc_lo, s10, v2
	v_add_co_ci_u32_e64 v13, null, s11, v3, vcc_lo
	v_add_co_u32 v16, vcc_lo, s12, v2
	v_add_co_ci_u32_e64 v17, null, s13, v3, vcc_lo
	global_load_dwordx4 v[12:15], v[12:13], off offset:-8
	global_load_dwordx4 v[16:19], v[16:17], off offset:-8
	v_add_co_u32 v6, vcc_lo, v6, v9
	v_add_co_ci_u32_e64 v7, null, 0, v7, vcc_lo
	v_add_co_u32 v2, vcc_lo, v2, v11
	v_add_co_ci_u32_e64 v3, null, 0, v3, vcc_lo
	v_lshlrev_b64 v[20:21], 2, v[6:7]
	v_cmp_le_i64_e32 vcc_lo, s[22:23], v[20:21]
	s_or_b32 s1, vcc_lo, s1
	s_waitcnt vmcnt(0)
	v_fma_mixlo_f16 v21, -v8, v14, v18
	v_fma_mixlo_f16 v20, -v8, v12, v16
	v_fma_mixhi_f16 v21, -v8, v15, v19
	v_fma_mixhi_f16 v20, -v8, v13, v17
	global_store_dwordx2 v[4:5], v[20:21], off offset:-4
	v_add_co_u32 v4, s0, v4, v10
	v_add_co_ci_u32_e64 v5, null, 0, v5, s0
	s_andn2_b32 exec_lo, exec_lo, s1
	s_cbranch_execnz .LBB617_75
; %bb.76:
	s_inst_prefetch 0x2
	s_or_b32 exec_lo, exec_lo, s1
	v_add_co_u32 v1, s0, s22, v0
	v_add_co_ci_u32_e64 v2, null, s23, 0, s0
	s_mov_b32 s1, exec_lo
	v_cmpx_gt_u64_e64 s[16:17], v[1:2]
	s_cbranch_execz .LBB617_79
; %bb.77:
	s_mov_b32 s7, 0
	.p2align	6
.LBB617_78:                             ; =>This Inner Loop Header: Depth=1
	v_lshlrev_b64 v[3:4], 2, v[1:2]
	v_add_co_u32 v5, vcc_lo, s12, v3
	v_add_co_ci_u32_e64 v6, null, s13, v4, vcc_lo
	v_add_co_u32 v3, vcc_lo, s10, v3
	v_add_co_ci_u32_e64 v4, null, s11, v4, vcc_lo
	global_load_dword v5, v[5:6], off
	global_load_dword v6, v[3:4], off
	v_lshlrev_b64 v[3:4], 1, v[1:2]
	v_add_co_u32 v1, vcc_lo, v1, v9
	v_add_co_ci_u32_e64 v2, null, 0, v2, vcc_lo
	v_add_co_u32 v3, s0, s8, v3
	v_cmp_le_i64_e32 vcc_lo, s[16:17], v[1:2]
	v_add_co_ci_u32_e64 v4, null, s9, v4, s0
	s_or_b32 s7, vcc_lo, s7
	s_waitcnt vmcnt(0)
	v_fma_mixlo_f16 v5, -v8, v6, v5
	global_store_short v[3:4], v5, off
	s_andn2_b32 exec_lo, exec_lo, s7
	s_cbranch_execnz .LBB617_78
.LBB617_79:
	s_or_b32 exec_lo, exec_lo, s1
	s_mov_b32 s1, 0
.LBB617_80:
	s_and_b32 vcc_lo, exec_lo, s1
	s_cbranch_vccz .LBB617_92
; %bb.81:
	s_andn2_b32 vcc_lo, exec_lo, s26
	s_cbranch_vccnz .LBB617_85
; %bb.82:
	s_lshl_b32 s0, s24, 1
	s_sub_u32 s7, s18, s0
	s_subb_u32 s8, s19, 0
	s_lshl_b32 s1, s24, 2
	s_sub_u32 s0, s20, s1
	s_subb_u32 s9, s21, 0
	s_sub_u32 s1, s2, s1
	s_subb_u32 s3, s3, 0
	s_mov_b32 s2, exec_lo
	v_cmpx_le_u32_e64 s24, v0
	s_cbranch_execz .LBB617_84
; %bb.83:
	v_mov_b32_e32 v1, 0
	v_lshlrev_b64 v[2:3], 2, v[0:1]
	v_add_co_u32 v4, vcc_lo, s1, v2
	v_add_co_ci_u32_e64 v5, null, s3, v3, vcc_lo
	v_add_co_u32 v2, vcc_lo, s0, v2
	v_add_co_ci_u32_e64 v3, null, s9, v3, vcc_lo
	global_load_dword v4, v[4:5], off
	global_load_dword v3, v[2:3], off
	v_lshlrev_b64 v[1:2], 1, v[0:1]
	v_add_co_u32 v1, vcc_lo, s7, v1
	v_add_co_ci_u32_e64 v2, null, s8, v2, vcc_lo
	s_waitcnt vmcnt(0) lgkmcnt(0)
	v_fma_mixlo_f16 v3, -v8, v3, v4
	global_store_short v[1:2], v3, off
.LBB617_84:
	s_or_b32 exec_lo, exec_lo, s2
	s_add_i32 s2, s24, s14
	s_lshl_b32 s10, s33, 1
	v_sub_nc_u32_e64 v1, s2, s33 clamp
	s_add_u32 s18, s7, s10
	s_addc_u32 s19, s8, 0
	s_lshl_b32 s2, s33, 2
	s_add_u32 s20, s0, s2
	v_readfirstlane_b32 s14, v1
	s_addc_u32 s21, s9, 0
	s_add_u32 s2, s1, s2
	s_addc_u32 s3, s3, 0
.LBB617_85:
	s_load_dword s0, s[4:5], 0x0
	v_mov_b32_e32 v1, 0
	s_waitcnt lgkmcnt(0)
	s_cmp_lt_u32 s6, s0
	s_cselect_b32 s0, 12, 18
	s_add_u32 s0, s4, s0
	s_addc_u32 s1, s5, 0
	global_load_ushort v3, v1, s[0:1]
	s_waitcnt vmcnt(0)
	v_readfirstlane_b32 s0, v3
	s_lshl_b32 s0, s0, 2
	v_cvt_f32_u32_e32 v1, s0
	s_sub_i32 s4, 0, s0
	v_rcp_iflag_f32_e32 v1, v1
	v_mul_f32_e32 v1, 0x4f7ffffe, v1
	v_cvt_u32_f32_e32 v1, v1
	v_readfirstlane_b32 s1, v1
	v_lshlrev_b32_e32 v1, 2, v0
	s_mul_i32 s4, s4, s1
	s_mul_hi_u32 s4, s1, s4
	s_add_i32 s1, s1, s4
	s_mul_hi_u32 s1, s14, s1
	s_mul_i32 s1, s1, s0
	s_sub_i32 s1, s14, s1
	s_sub_i32 s4, s1, s0
	s_cmp_ge_u32 s1, s0
	s_cselect_b32 s1, s4, s1
	s_sub_i32 s4, s1, s0
	s_cmp_ge_u32 s1, s0
	s_cselect_b32 s0, s4, s1
	s_mov_b32 s4, 0
	s_sub_i32 s0, s14, s0
	s_mov_b32 s1, exec_lo
	v_cmpx_gt_i32_e64 s0, v1
	s_cbranch_execz .LBB617_88
; %bb.86:
	v_mov_b32_e32 v1, v0
	s_inst_prefetch 0x1
	.p2align	6
.LBB617_87:                             ; =>This Inner Loop Header: Depth=1
	v_ashrrev_i32_e32 v2, 31, v1
	v_lshlrev_b64 v[4:5], 4, v[1:2]
	v_lshlrev_b64 v[13:14], 3, v[1:2]
	v_add_nc_u32_e32 v1, v1, v3
	v_add_co_u32 v6, vcc_lo, s20, v4
	v_add_co_ci_u32_e64 v7, null, s21, v5, vcc_lo
	v_add_co_u32 v9, vcc_lo, s2, v4
	v_add_co_ci_u32_e64 v10, null, s3, v5, vcc_lo
	global_load_dwordx4 v[4:7], v[6:7], off
	global_load_dwordx4 v[9:12], v[9:10], off
	v_lshlrev_b32_e32 v2, 2, v1
	v_add_co_u32 v13, vcc_lo, s18, v13
	v_add_co_ci_u32_e64 v14, null, s19, v14, vcc_lo
	v_cmp_le_i32_e32 vcc_lo, s0, v2
	s_or_b32 s4, vcc_lo, s4
	s_waitcnt vmcnt(0)
	v_fma_mixlo_f16 v15, -v8, v4, v9
	v_fma_mixlo_f16 v16, -v8, v6, v11
	v_fma_mixhi_f16 v15, -v8, v5, v10
	v_fma_mixhi_f16 v16, -v8, v7, v12
	global_store_dwordx2 v[13:14], v[15:16], off
	s_andn2_b32 exec_lo, exec_lo, s4
	s_cbranch_execnz .LBB617_87
.LBB617_88:
	s_inst_prefetch 0x2
	s_or_b32 exec_lo, exec_lo, s1
	v_add_nc_u32_e32 v0, s0, v0
	s_mov_b32 s0, exec_lo
	v_cmpx_gt_i32_e64 s14, v0
	s_cbranch_execz .LBB617_92
; %bb.89:
	s_mov_b32 s1, 0
	.p2align	6
.LBB617_90:                             ; =>This Inner Loop Header: Depth=1
	v_ashrrev_i32_e32 v1, 31, v0
	v_lshlrev_b64 v[4:5], 2, v[0:1]
	v_lshlrev_b64 v[1:2], 1, v[0:1]
	v_add_nc_u32_e32 v0, v0, v3
	v_add_co_u32 v6, vcc_lo, s2, v4
	v_add_co_ci_u32_e64 v7, null, s3, v5, vcc_lo
	v_add_co_u32 v4, vcc_lo, s20, v4
	v_add_co_ci_u32_e64 v5, null, s21, v5, vcc_lo
	global_load_dword v6, v[6:7], off
	global_load_dword v4, v[4:5], off
	v_cmp_le_i32_e32 vcc_lo, s14, v0
	v_add_co_u32 v1, s0, s18, v1
	v_add_co_ci_u32_e64 v2, null, s19, v2, s0
	s_or_b32 s1, vcc_lo, s1
	s_waitcnt vmcnt(0)
	v_fma_mixlo_f16 v4, -v8, v4, v6
	global_store_short v[1:2], v4, off
	s_andn2_b32 exec_lo, exec_lo, s1
	s_cbranch_execnz .LBB617_90
	s_branch .LBB617_92
.LBB617_91:
	s_cbranch_execz .LBB617_66
.LBB617_92:
	s_endpgm
.LBB617_93:
                                        ; implicit-def: $sgpr22_sgpr23
	s_branch .LBB617_73
	.section	.rodata,"a",@progbits
	.p2align	6, 0x0
	.amdhsa_kernel _ZN2at6native12_GLOBAL__N_120cunn_SoftMaxBackwardILi4EN3c104HalfEffNS1_23SoftMaxBackwardEpilogueEEEvPT0_PKT2_SA_l
		.amdhsa_group_segment_fixed_size 0
		.amdhsa_private_segment_fixed_size 0
		.amdhsa_kernarg_size 288
		.amdhsa_user_sgpr_count 6
		.amdhsa_user_sgpr_private_segment_buffer 1
		.amdhsa_user_sgpr_dispatch_ptr 0
		.amdhsa_user_sgpr_queue_ptr 0
		.amdhsa_user_sgpr_kernarg_segment_ptr 1
		.amdhsa_user_sgpr_dispatch_id 0
		.amdhsa_user_sgpr_flat_scratch_init 0
		.amdhsa_user_sgpr_private_segment_size 0
		.amdhsa_wavefront_size32 1
		.amdhsa_uses_dynamic_stack 0
		.amdhsa_system_sgpr_private_segment_wavefront_offset 0
		.amdhsa_system_sgpr_workgroup_id_x 1
		.amdhsa_system_sgpr_workgroup_id_y 0
		.amdhsa_system_sgpr_workgroup_id_z 0
		.amdhsa_system_sgpr_workgroup_info 0
		.amdhsa_system_vgpr_workitem_id 0
		.amdhsa_next_free_vgpr 27
		.amdhsa_next_free_sgpr 56
		.amdhsa_reserve_vcc 1
		.amdhsa_reserve_flat_scratch 0
		.amdhsa_float_round_mode_32 0
		.amdhsa_float_round_mode_16_64 0
		.amdhsa_float_denorm_mode_32 3
		.amdhsa_float_denorm_mode_16_64 3
		.amdhsa_dx10_clamp 1
		.amdhsa_ieee_mode 1
		.amdhsa_fp16_overflow 0
		.amdhsa_workgroup_processor_mode 1
		.amdhsa_memory_ordered 1
		.amdhsa_forward_progress 1
		.amdhsa_shared_vgpr_count 0
		.amdhsa_exception_fp_ieee_invalid_op 0
		.amdhsa_exception_fp_denorm_src 0
		.amdhsa_exception_fp_ieee_div_zero 0
		.amdhsa_exception_fp_ieee_overflow 0
		.amdhsa_exception_fp_ieee_underflow 0
		.amdhsa_exception_fp_ieee_inexact 0
		.amdhsa_exception_int_div_zero 0
	.end_amdhsa_kernel
	.section	.text._ZN2at6native12_GLOBAL__N_120cunn_SoftMaxBackwardILi4EN3c104HalfEffNS1_23SoftMaxBackwardEpilogueEEEvPT0_PKT2_SA_l,"axG",@progbits,_ZN2at6native12_GLOBAL__N_120cunn_SoftMaxBackwardILi4EN3c104HalfEffNS1_23SoftMaxBackwardEpilogueEEEvPT0_PKT2_SA_l,comdat
.Lfunc_end617:
	.size	_ZN2at6native12_GLOBAL__N_120cunn_SoftMaxBackwardILi4EN3c104HalfEffNS1_23SoftMaxBackwardEpilogueEEEvPT0_PKT2_SA_l, .Lfunc_end617-_ZN2at6native12_GLOBAL__N_120cunn_SoftMaxBackwardILi4EN3c104HalfEffNS1_23SoftMaxBackwardEpilogueEEEvPT0_PKT2_SA_l
                                        ; -- End function
	.set _ZN2at6native12_GLOBAL__N_120cunn_SoftMaxBackwardILi4EN3c104HalfEffNS1_23SoftMaxBackwardEpilogueEEEvPT0_PKT2_SA_l.num_vgpr, 27
	.set _ZN2at6native12_GLOBAL__N_120cunn_SoftMaxBackwardILi4EN3c104HalfEffNS1_23SoftMaxBackwardEpilogueEEEvPT0_PKT2_SA_l.num_agpr, 0
	.set _ZN2at6native12_GLOBAL__N_120cunn_SoftMaxBackwardILi4EN3c104HalfEffNS1_23SoftMaxBackwardEpilogueEEEvPT0_PKT2_SA_l.numbered_sgpr, 56
	.set _ZN2at6native12_GLOBAL__N_120cunn_SoftMaxBackwardILi4EN3c104HalfEffNS1_23SoftMaxBackwardEpilogueEEEvPT0_PKT2_SA_l.num_named_barrier, 0
	.set _ZN2at6native12_GLOBAL__N_120cunn_SoftMaxBackwardILi4EN3c104HalfEffNS1_23SoftMaxBackwardEpilogueEEEvPT0_PKT2_SA_l.private_seg_size, 0
	.set _ZN2at6native12_GLOBAL__N_120cunn_SoftMaxBackwardILi4EN3c104HalfEffNS1_23SoftMaxBackwardEpilogueEEEvPT0_PKT2_SA_l.uses_vcc, 1
	.set _ZN2at6native12_GLOBAL__N_120cunn_SoftMaxBackwardILi4EN3c104HalfEffNS1_23SoftMaxBackwardEpilogueEEEvPT0_PKT2_SA_l.uses_flat_scratch, 0
	.set _ZN2at6native12_GLOBAL__N_120cunn_SoftMaxBackwardILi4EN3c104HalfEffNS1_23SoftMaxBackwardEpilogueEEEvPT0_PKT2_SA_l.has_dyn_sized_stack, 0
	.set _ZN2at6native12_GLOBAL__N_120cunn_SoftMaxBackwardILi4EN3c104HalfEffNS1_23SoftMaxBackwardEpilogueEEEvPT0_PKT2_SA_l.has_recursion, 0
	.set _ZN2at6native12_GLOBAL__N_120cunn_SoftMaxBackwardILi4EN3c104HalfEffNS1_23SoftMaxBackwardEpilogueEEEvPT0_PKT2_SA_l.has_indirect_call, 0
	.section	.AMDGPU.csdata,"",@progbits
; Kernel info:
; codeLenInByte = 6540
; TotalNumSgprs: 58
; NumVgprs: 27
; ScratchSize: 0
; MemoryBound: 0
; FloatMode: 240
; IeeeMode: 1
; LDSByteSize: 0 bytes/workgroup (compile time only)
; SGPRBlocks: 0
; VGPRBlocks: 3
; NumSGPRsForWavesPerEU: 58
; NumVGPRsForWavesPerEU: 27
; Occupancy: 16
; WaveLimiterHint : 0
; COMPUTE_PGM_RSRC2:SCRATCH_EN: 0
; COMPUTE_PGM_RSRC2:USER_SGPR: 6
; COMPUTE_PGM_RSRC2:TRAP_HANDLER: 0
; COMPUTE_PGM_RSRC2:TGID_X_EN: 1
; COMPUTE_PGM_RSRC2:TGID_Y_EN: 0
; COMPUTE_PGM_RSRC2:TGID_Z_EN: 0
; COMPUTE_PGM_RSRC2:TIDIG_COMP_CNT: 0
	.section	.text._ZN12_GLOBAL__N_121softmax_warp_backwardIN3c108BFloat16ES2_fLi0ELb0ELb0ELi64EEEvPT0_PKT_S7_iiiPKb,"axG",@progbits,_ZN12_GLOBAL__N_121softmax_warp_backwardIN3c108BFloat16ES2_fLi0ELb0ELb0ELi64EEEvPT0_PKT_S7_iiiPKb,comdat
	.globl	_ZN12_GLOBAL__N_121softmax_warp_backwardIN3c108BFloat16ES2_fLi0ELb0ELb0ELi64EEEvPT0_PKT_S7_iiiPKb ; -- Begin function _ZN12_GLOBAL__N_121softmax_warp_backwardIN3c108BFloat16ES2_fLi0ELb0ELb0ELi64EEEvPT0_PKT_S7_iiiPKb
	.p2align	8
	.type	_ZN12_GLOBAL__N_121softmax_warp_backwardIN3c108BFloat16ES2_fLi0ELb0ELb0ELi64EEEvPT0_PKT_S7_iiiPKb,@function
_ZN12_GLOBAL__N_121softmax_warp_backwardIN3c108BFloat16ES2_fLi0ELb0ELb0ELi64EEEvPT0_PKT_S7_iiiPKb: ; @_ZN12_GLOBAL__N_121softmax_warp_backwardIN3c108BFloat16ES2_fLi0ELb0ELb0ELi64EEEvPT0_PKT_S7_iiiPKb
; %bb.0:
	s_clause 0x3
	s_load_dword s7, s[4:5], 0x3c
	s_load_dwordx4 s[0:3], s[4:5], 0x18
	s_load_dwordx4 s[8:11], s[4:5], 0x0
	s_load_dwordx2 s[4:5], s[4:5], 0x10
	v_mov_b32_e32 v7, 0
	v_mov_b32_e32 v8, 0
	s_waitcnt lgkmcnt(0)
	s_lshr_b32 s3, s7, 16
	s_and_b32 s3, s3, 0xffff
	s_cmp_gt_i32 s2, 0
	s_mul_i32 s6, s6, s3
	v_add_lshl_u32 v2, s6, v1, 1
	v_mul_lo_u32 v0, v2, s1
	v_sub_nc_u32_e32 v6, s0, v2
	s_cselect_b32 s1, -1, 0
	v_cmp_lt_i32_e32 vcc_lo, 0, v6
	v_ashrrev_i32_e32 v1, 31, v0
	s_and_b32 s3, s1, vcc_lo
	v_lshlrev_b64 v[0:1], 1, v[0:1]
	v_add_co_u32 v4, s0, s10, v0
	v_add_co_ci_u32_e64 v5, null, s11, v1, s0
	v_add_co_u32 v2, s0, s4, v0
	v_add_co_ci_u32_e64 v3, null, s5, v1, s0
	s_and_saveexec_b32 s0, s3
	s_cbranch_execz .LBB618_2
; %bb.1:
	global_load_ushort v7, v[4:5], off
	global_load_ushort v9, v[2:3], off
	s_waitcnt vmcnt(1)
	v_lshlrev_b32_e32 v8, 16, v7
	s_waitcnt vmcnt(0)
	v_lshlrev_b32_e32 v7, 16, v9
.LBB618_2:
	s_or_b32 exec_lo, exec_lo, s0
	v_cmp_gt_i32_e64 s0, 2, v6
	s_xor_b32 s3, s1, -1
	s_or_b32 s0, s3, s0
	s_and_saveexec_b32 s3, s0
	s_xor_b32 s0, exec_lo, s3
                                        ; implicit-def: $vgpr9
	s_cbranch_execnz .LBB618_6
; %bb.3:
	s_or_saveexec_b32 s4, s0
	v_mov_b32_e32 v10, 0
	s_xor_b32 exec_lo, exec_lo, s4
	s_cbranch_execnz .LBB618_7
.LBB618_4:
	s_or_b32 exec_lo, exec_lo, s4
	s_and_saveexec_b32 s0, vcc_lo
	s_cbranch_execnz .LBB618_8
.LBB618_5:
	s_endpgm
.LBB618_6:
	v_mov_b32_e32 v9, 0
                                        ; implicit-def: $vgpr2
                                        ; implicit-def: $vgpr4
	s_or_saveexec_b32 s4, s0
	v_mov_b32_e32 v10, 0
	s_xor_b32 exec_lo, exec_lo, s4
	s_cbranch_execz .LBB618_4
.LBB618_7:
	s_mov_b32 s3, 0
	s_lshl_b64 s[6:7], s[2:3], 1
	v_add_co_u32 v4, s0, v4, s6
	v_add_co_ci_u32_e64 v5, null, s7, v5, s0
	v_add_co_u32 v2, s0, v2, s6
	v_add_co_ci_u32_e64 v3, null, s7, v3, s0
	global_load_ushort v4, v[4:5], off
	global_load_ushort v2, v[2:3], off
	s_waitcnt vmcnt(1)
	v_lshlrev_b32_e32 v9, 16, v4
	s_waitcnt vmcnt(0)
	v_lshlrev_b32_e32 v10, 16, v2
	s_or_b32 exec_lo, exec_lo, s4
	s_and_saveexec_b32 s0, vcc_lo
	s_cbranch_execz .LBB618_5
.LBB618_8:
	v_add_co_u32 v0, vcc_lo, s8, v0
	v_add_co_ci_u32_e64 v1, null, s9, v1, vcc_lo
	s_andn2_b32 vcc_lo, exec_lo, s1
	s_cbranch_vccnz .LBB618_10
; %bb.9:
	v_add_f32_e32 v2, 0, v8
	v_fma_f32 v2, -v7, v2, v8
	v_bfe_u32 v3, v2, 16, 1
	v_cmp_o_f32_e32 vcc_lo, v2, v2
	v_add3_u32 v2, v2, v3, 0x7fff
	v_mov_b32_e32 v3, 0x7fc0
	v_cndmask_b32_sdwa v2, v3, v2, vcc_lo dst_sel:DWORD dst_unused:UNUSED_PAD src0_sel:DWORD src1_sel:WORD_1
	global_store_short v[0:1], v2, off
.LBB618_10:
	v_cmp_ne_u32_e32 vcc_lo, 1, v6
	s_and_b32 s0, vcc_lo, s1
	s_and_b32 exec_lo, exec_lo, s0
	s_cbranch_execz .LBB618_5
; %bb.11:
	v_add_f32_e32 v2, 0, v9
	s_mov_b32 s3, 0
	v_mov_b32_e32 v4, 0x7fc0
	s_lshl_b64 s[0:1], s[2:3], 1
	v_add_co_u32 v0, s0, v0, s0
	v_fma_f32 v2, -v10, v2, v9
	v_add_co_ci_u32_e64 v1, null, s1, v1, s0
	v_bfe_u32 v3, v2, 16, 1
	v_cmp_o_f32_e32 vcc_lo, v2, v2
	v_add3_u32 v2, v2, v3, 0x7fff
	v_cndmask_b32_sdwa v2, v4, v2, vcc_lo dst_sel:DWORD dst_unused:UNUSED_PAD src0_sel:DWORD src1_sel:WORD_1
	global_store_short v[0:1], v2, off
	s_endpgm
	.section	.rodata,"a",@progbits
	.p2align	6, 0x0
	.amdhsa_kernel _ZN12_GLOBAL__N_121softmax_warp_backwardIN3c108BFloat16ES2_fLi0ELb0ELb0ELi64EEEvPT0_PKT_S7_iiiPKb
		.amdhsa_group_segment_fixed_size 0
		.amdhsa_private_segment_fixed_size 0
		.amdhsa_kernarg_size 304
		.amdhsa_user_sgpr_count 6
		.amdhsa_user_sgpr_private_segment_buffer 1
		.amdhsa_user_sgpr_dispatch_ptr 0
		.amdhsa_user_sgpr_queue_ptr 0
		.amdhsa_user_sgpr_kernarg_segment_ptr 1
		.amdhsa_user_sgpr_dispatch_id 0
		.amdhsa_user_sgpr_flat_scratch_init 0
		.amdhsa_user_sgpr_private_segment_size 0
		.amdhsa_wavefront_size32 1
		.amdhsa_uses_dynamic_stack 0
		.amdhsa_system_sgpr_private_segment_wavefront_offset 0
		.amdhsa_system_sgpr_workgroup_id_x 1
		.amdhsa_system_sgpr_workgroup_id_y 0
		.amdhsa_system_sgpr_workgroup_id_z 0
		.amdhsa_system_sgpr_workgroup_info 0
		.amdhsa_system_vgpr_workitem_id 1
		.amdhsa_next_free_vgpr 11
		.amdhsa_next_free_sgpr 12
		.amdhsa_reserve_vcc 1
		.amdhsa_reserve_flat_scratch 0
		.amdhsa_float_round_mode_32 0
		.amdhsa_float_round_mode_16_64 0
		.amdhsa_float_denorm_mode_32 3
		.amdhsa_float_denorm_mode_16_64 3
		.amdhsa_dx10_clamp 1
		.amdhsa_ieee_mode 1
		.amdhsa_fp16_overflow 0
		.amdhsa_workgroup_processor_mode 1
		.amdhsa_memory_ordered 1
		.amdhsa_forward_progress 1
		.amdhsa_shared_vgpr_count 0
		.amdhsa_exception_fp_ieee_invalid_op 0
		.amdhsa_exception_fp_denorm_src 0
		.amdhsa_exception_fp_ieee_div_zero 0
		.amdhsa_exception_fp_ieee_overflow 0
		.amdhsa_exception_fp_ieee_underflow 0
		.amdhsa_exception_fp_ieee_inexact 0
		.amdhsa_exception_int_div_zero 0
	.end_amdhsa_kernel
	.section	.text._ZN12_GLOBAL__N_121softmax_warp_backwardIN3c108BFloat16ES2_fLi0ELb0ELb0ELi64EEEvPT0_PKT_S7_iiiPKb,"axG",@progbits,_ZN12_GLOBAL__N_121softmax_warp_backwardIN3c108BFloat16ES2_fLi0ELb0ELb0ELi64EEEvPT0_PKT_S7_iiiPKb,comdat
.Lfunc_end618:
	.size	_ZN12_GLOBAL__N_121softmax_warp_backwardIN3c108BFloat16ES2_fLi0ELb0ELb0ELi64EEEvPT0_PKT_S7_iiiPKb, .Lfunc_end618-_ZN12_GLOBAL__N_121softmax_warp_backwardIN3c108BFloat16ES2_fLi0ELb0ELb0ELi64EEEvPT0_PKT_S7_iiiPKb
                                        ; -- End function
	.set _ZN12_GLOBAL__N_121softmax_warp_backwardIN3c108BFloat16ES2_fLi0ELb0ELb0ELi64EEEvPT0_PKT_S7_iiiPKb.num_vgpr, 11
	.set _ZN12_GLOBAL__N_121softmax_warp_backwardIN3c108BFloat16ES2_fLi0ELb0ELb0ELi64EEEvPT0_PKT_S7_iiiPKb.num_agpr, 0
	.set _ZN12_GLOBAL__N_121softmax_warp_backwardIN3c108BFloat16ES2_fLi0ELb0ELb0ELi64EEEvPT0_PKT_S7_iiiPKb.numbered_sgpr, 12
	.set _ZN12_GLOBAL__N_121softmax_warp_backwardIN3c108BFloat16ES2_fLi0ELb0ELb0ELi64EEEvPT0_PKT_S7_iiiPKb.num_named_barrier, 0
	.set _ZN12_GLOBAL__N_121softmax_warp_backwardIN3c108BFloat16ES2_fLi0ELb0ELb0ELi64EEEvPT0_PKT_S7_iiiPKb.private_seg_size, 0
	.set _ZN12_GLOBAL__N_121softmax_warp_backwardIN3c108BFloat16ES2_fLi0ELb0ELb0ELi64EEEvPT0_PKT_S7_iiiPKb.uses_vcc, 1
	.set _ZN12_GLOBAL__N_121softmax_warp_backwardIN3c108BFloat16ES2_fLi0ELb0ELb0ELi64EEEvPT0_PKT_S7_iiiPKb.uses_flat_scratch, 0
	.set _ZN12_GLOBAL__N_121softmax_warp_backwardIN3c108BFloat16ES2_fLi0ELb0ELb0ELi64EEEvPT0_PKT_S7_iiiPKb.has_dyn_sized_stack, 0
	.set _ZN12_GLOBAL__N_121softmax_warp_backwardIN3c108BFloat16ES2_fLi0ELb0ELb0ELi64EEEvPT0_PKT_S7_iiiPKb.has_recursion, 0
	.set _ZN12_GLOBAL__N_121softmax_warp_backwardIN3c108BFloat16ES2_fLi0ELb0ELb0ELi64EEEvPT0_PKT_S7_iiiPKb.has_indirect_call, 0
	.section	.AMDGPU.csdata,"",@progbits
; Kernel info:
; codeLenInByte = 540
; TotalNumSgprs: 14
; NumVgprs: 11
; ScratchSize: 0
; MemoryBound: 0
; FloatMode: 240
; IeeeMode: 1
; LDSByteSize: 0 bytes/workgroup (compile time only)
; SGPRBlocks: 0
; VGPRBlocks: 1
; NumSGPRsForWavesPerEU: 14
; NumVGPRsForWavesPerEU: 11
; Occupancy: 16
; WaveLimiterHint : 0
; COMPUTE_PGM_RSRC2:SCRATCH_EN: 0
; COMPUTE_PGM_RSRC2:USER_SGPR: 6
; COMPUTE_PGM_RSRC2:TRAP_HANDLER: 0
; COMPUTE_PGM_RSRC2:TGID_X_EN: 1
; COMPUTE_PGM_RSRC2:TGID_Y_EN: 0
; COMPUTE_PGM_RSRC2:TGID_Z_EN: 0
; COMPUTE_PGM_RSRC2:TIDIG_COMP_CNT: 1
	.section	.text._ZN12_GLOBAL__N_121softmax_warp_backwardIN3c108BFloat16ES2_fLi0ELb0ELb0ELi32EEEvPT0_PKT_S7_iiiPKb,"axG",@progbits,_ZN12_GLOBAL__N_121softmax_warp_backwardIN3c108BFloat16ES2_fLi0ELb0ELb0ELi32EEEvPT0_PKT_S7_iiiPKb,comdat
	.globl	_ZN12_GLOBAL__N_121softmax_warp_backwardIN3c108BFloat16ES2_fLi0ELb0ELb0ELi32EEEvPT0_PKT_S7_iiiPKb ; -- Begin function _ZN12_GLOBAL__N_121softmax_warp_backwardIN3c108BFloat16ES2_fLi0ELb0ELb0ELi32EEEvPT0_PKT_S7_iiiPKb
	.p2align	8
	.type	_ZN12_GLOBAL__N_121softmax_warp_backwardIN3c108BFloat16ES2_fLi0ELb0ELb0ELi32EEEvPT0_PKT_S7_iiiPKb,@function
_ZN12_GLOBAL__N_121softmax_warp_backwardIN3c108BFloat16ES2_fLi0ELb0ELb0ELi32EEEvPT0_PKT_S7_iiiPKb: ; @_ZN12_GLOBAL__N_121softmax_warp_backwardIN3c108BFloat16ES2_fLi0ELb0ELb0ELi32EEEvPT0_PKT_S7_iiiPKb
; %bb.0:
	s_clause 0x3
	s_load_dword s7, s[4:5], 0x3c
	s_load_dwordx4 s[0:3], s[4:5], 0x18
	s_load_dwordx4 s[8:11], s[4:5], 0x0
	s_load_dwordx2 s[4:5], s[4:5], 0x10
	v_mov_b32_e32 v7, 0
	v_mov_b32_e32 v8, 0
	s_waitcnt lgkmcnt(0)
	s_lshr_b32 s3, s7, 16
	s_and_b32 s3, s3, 0xffff
	s_cmp_gt_i32 s2, 0
	s_mul_i32 s6, s6, s3
	v_add_lshl_u32 v2, s6, v1, 1
	v_mul_lo_u32 v0, v2, s1
	v_sub_nc_u32_e32 v6, s0, v2
	s_cselect_b32 s1, -1, 0
	v_cmp_lt_i32_e32 vcc_lo, 0, v6
	v_ashrrev_i32_e32 v1, 31, v0
	s_and_b32 s3, s1, vcc_lo
	v_lshlrev_b64 v[0:1], 1, v[0:1]
	v_add_co_u32 v4, s0, s10, v0
	v_add_co_ci_u32_e64 v5, null, s11, v1, s0
	v_add_co_u32 v2, s0, s4, v0
	v_add_co_ci_u32_e64 v3, null, s5, v1, s0
	s_and_saveexec_b32 s0, s3
	s_cbranch_execz .LBB619_2
; %bb.1:
	global_load_ushort v7, v[4:5], off
	global_load_ushort v9, v[2:3], off
	s_waitcnt vmcnt(1)
	v_lshlrev_b32_e32 v8, 16, v7
	s_waitcnt vmcnt(0)
	v_lshlrev_b32_e32 v7, 16, v9
.LBB619_2:
	s_or_b32 exec_lo, exec_lo, s0
	v_cmp_gt_i32_e64 s0, 2, v6
	s_xor_b32 s3, s1, -1
	s_or_b32 s0, s3, s0
	s_and_saveexec_b32 s3, s0
	s_xor_b32 s0, exec_lo, s3
                                        ; implicit-def: $vgpr9
	s_cbranch_execnz .LBB619_6
; %bb.3:
	s_or_saveexec_b32 s4, s0
	v_mov_b32_e32 v10, 0
	s_xor_b32 exec_lo, exec_lo, s4
	s_cbranch_execnz .LBB619_7
.LBB619_4:
	s_or_b32 exec_lo, exec_lo, s4
	s_and_saveexec_b32 s0, vcc_lo
	s_cbranch_execnz .LBB619_8
.LBB619_5:
	s_endpgm
.LBB619_6:
	v_mov_b32_e32 v9, 0
                                        ; implicit-def: $vgpr2
                                        ; implicit-def: $vgpr4
	s_or_saveexec_b32 s4, s0
	v_mov_b32_e32 v10, 0
	s_xor_b32 exec_lo, exec_lo, s4
	s_cbranch_execz .LBB619_4
.LBB619_7:
	s_mov_b32 s3, 0
	s_lshl_b64 s[6:7], s[2:3], 1
	v_add_co_u32 v4, s0, v4, s6
	v_add_co_ci_u32_e64 v5, null, s7, v5, s0
	v_add_co_u32 v2, s0, v2, s6
	v_add_co_ci_u32_e64 v3, null, s7, v3, s0
	global_load_ushort v4, v[4:5], off
	global_load_ushort v2, v[2:3], off
	s_waitcnt vmcnt(1)
	v_lshlrev_b32_e32 v9, 16, v4
	s_waitcnt vmcnt(0)
	v_lshlrev_b32_e32 v10, 16, v2
	s_or_b32 exec_lo, exec_lo, s4
	s_and_saveexec_b32 s0, vcc_lo
	s_cbranch_execz .LBB619_5
.LBB619_8:
	v_add_co_u32 v0, vcc_lo, s8, v0
	v_add_co_ci_u32_e64 v1, null, s9, v1, vcc_lo
	s_andn2_b32 vcc_lo, exec_lo, s1
	s_cbranch_vccnz .LBB619_10
; %bb.9:
	v_add_f32_e32 v2, 0, v8
	v_fma_f32 v2, -v7, v2, v8
	v_bfe_u32 v3, v2, 16, 1
	v_cmp_o_f32_e32 vcc_lo, v2, v2
	v_add3_u32 v2, v2, v3, 0x7fff
	v_mov_b32_e32 v3, 0x7fc0
	v_cndmask_b32_sdwa v2, v3, v2, vcc_lo dst_sel:DWORD dst_unused:UNUSED_PAD src0_sel:DWORD src1_sel:WORD_1
	global_store_short v[0:1], v2, off
.LBB619_10:
	v_cmp_ne_u32_e32 vcc_lo, 1, v6
	s_and_b32 s0, vcc_lo, s1
	s_and_b32 exec_lo, exec_lo, s0
	s_cbranch_execz .LBB619_5
; %bb.11:
	v_add_f32_e32 v2, 0, v9
	s_mov_b32 s3, 0
	v_mov_b32_e32 v4, 0x7fc0
	s_lshl_b64 s[0:1], s[2:3], 1
	v_add_co_u32 v0, s0, v0, s0
	v_fma_f32 v2, -v10, v2, v9
	v_add_co_ci_u32_e64 v1, null, s1, v1, s0
	v_bfe_u32 v3, v2, 16, 1
	v_cmp_o_f32_e32 vcc_lo, v2, v2
	v_add3_u32 v2, v2, v3, 0x7fff
	v_cndmask_b32_sdwa v2, v4, v2, vcc_lo dst_sel:DWORD dst_unused:UNUSED_PAD src0_sel:DWORD src1_sel:WORD_1
	global_store_short v[0:1], v2, off
	s_endpgm
	.section	.rodata,"a",@progbits
	.p2align	6, 0x0
	.amdhsa_kernel _ZN12_GLOBAL__N_121softmax_warp_backwardIN3c108BFloat16ES2_fLi0ELb0ELb0ELi32EEEvPT0_PKT_S7_iiiPKb
		.amdhsa_group_segment_fixed_size 0
		.amdhsa_private_segment_fixed_size 0
		.amdhsa_kernarg_size 304
		.amdhsa_user_sgpr_count 6
		.amdhsa_user_sgpr_private_segment_buffer 1
		.amdhsa_user_sgpr_dispatch_ptr 0
		.amdhsa_user_sgpr_queue_ptr 0
		.amdhsa_user_sgpr_kernarg_segment_ptr 1
		.amdhsa_user_sgpr_dispatch_id 0
		.amdhsa_user_sgpr_flat_scratch_init 0
		.amdhsa_user_sgpr_private_segment_size 0
		.amdhsa_wavefront_size32 1
		.amdhsa_uses_dynamic_stack 0
		.amdhsa_system_sgpr_private_segment_wavefront_offset 0
		.amdhsa_system_sgpr_workgroup_id_x 1
		.amdhsa_system_sgpr_workgroup_id_y 0
		.amdhsa_system_sgpr_workgroup_id_z 0
		.amdhsa_system_sgpr_workgroup_info 0
		.amdhsa_system_vgpr_workitem_id 1
		.amdhsa_next_free_vgpr 11
		.amdhsa_next_free_sgpr 12
		.amdhsa_reserve_vcc 1
		.amdhsa_reserve_flat_scratch 0
		.amdhsa_float_round_mode_32 0
		.amdhsa_float_round_mode_16_64 0
		.amdhsa_float_denorm_mode_32 3
		.amdhsa_float_denorm_mode_16_64 3
		.amdhsa_dx10_clamp 1
		.amdhsa_ieee_mode 1
		.amdhsa_fp16_overflow 0
		.amdhsa_workgroup_processor_mode 1
		.amdhsa_memory_ordered 1
		.amdhsa_forward_progress 1
		.amdhsa_shared_vgpr_count 0
		.amdhsa_exception_fp_ieee_invalid_op 0
		.amdhsa_exception_fp_denorm_src 0
		.amdhsa_exception_fp_ieee_div_zero 0
		.amdhsa_exception_fp_ieee_overflow 0
		.amdhsa_exception_fp_ieee_underflow 0
		.amdhsa_exception_fp_ieee_inexact 0
		.amdhsa_exception_int_div_zero 0
	.end_amdhsa_kernel
	.section	.text._ZN12_GLOBAL__N_121softmax_warp_backwardIN3c108BFloat16ES2_fLi0ELb0ELb0ELi32EEEvPT0_PKT_S7_iiiPKb,"axG",@progbits,_ZN12_GLOBAL__N_121softmax_warp_backwardIN3c108BFloat16ES2_fLi0ELb0ELb0ELi32EEEvPT0_PKT_S7_iiiPKb,comdat
.Lfunc_end619:
	.size	_ZN12_GLOBAL__N_121softmax_warp_backwardIN3c108BFloat16ES2_fLi0ELb0ELb0ELi32EEEvPT0_PKT_S7_iiiPKb, .Lfunc_end619-_ZN12_GLOBAL__N_121softmax_warp_backwardIN3c108BFloat16ES2_fLi0ELb0ELb0ELi32EEEvPT0_PKT_S7_iiiPKb
                                        ; -- End function
	.set _ZN12_GLOBAL__N_121softmax_warp_backwardIN3c108BFloat16ES2_fLi0ELb0ELb0ELi32EEEvPT0_PKT_S7_iiiPKb.num_vgpr, 11
	.set _ZN12_GLOBAL__N_121softmax_warp_backwardIN3c108BFloat16ES2_fLi0ELb0ELb0ELi32EEEvPT0_PKT_S7_iiiPKb.num_agpr, 0
	.set _ZN12_GLOBAL__N_121softmax_warp_backwardIN3c108BFloat16ES2_fLi0ELb0ELb0ELi32EEEvPT0_PKT_S7_iiiPKb.numbered_sgpr, 12
	.set _ZN12_GLOBAL__N_121softmax_warp_backwardIN3c108BFloat16ES2_fLi0ELb0ELb0ELi32EEEvPT0_PKT_S7_iiiPKb.num_named_barrier, 0
	.set _ZN12_GLOBAL__N_121softmax_warp_backwardIN3c108BFloat16ES2_fLi0ELb0ELb0ELi32EEEvPT0_PKT_S7_iiiPKb.private_seg_size, 0
	.set _ZN12_GLOBAL__N_121softmax_warp_backwardIN3c108BFloat16ES2_fLi0ELb0ELb0ELi32EEEvPT0_PKT_S7_iiiPKb.uses_vcc, 1
	.set _ZN12_GLOBAL__N_121softmax_warp_backwardIN3c108BFloat16ES2_fLi0ELb0ELb0ELi32EEEvPT0_PKT_S7_iiiPKb.uses_flat_scratch, 0
	.set _ZN12_GLOBAL__N_121softmax_warp_backwardIN3c108BFloat16ES2_fLi0ELb0ELb0ELi32EEEvPT0_PKT_S7_iiiPKb.has_dyn_sized_stack, 0
	.set _ZN12_GLOBAL__N_121softmax_warp_backwardIN3c108BFloat16ES2_fLi0ELb0ELb0ELi32EEEvPT0_PKT_S7_iiiPKb.has_recursion, 0
	.set _ZN12_GLOBAL__N_121softmax_warp_backwardIN3c108BFloat16ES2_fLi0ELb0ELb0ELi32EEEvPT0_PKT_S7_iiiPKb.has_indirect_call, 0
	.section	.AMDGPU.csdata,"",@progbits
; Kernel info:
; codeLenInByte = 540
; TotalNumSgprs: 14
; NumVgprs: 11
; ScratchSize: 0
; MemoryBound: 0
; FloatMode: 240
; IeeeMode: 1
; LDSByteSize: 0 bytes/workgroup (compile time only)
; SGPRBlocks: 0
; VGPRBlocks: 1
; NumSGPRsForWavesPerEU: 14
; NumVGPRsForWavesPerEU: 11
; Occupancy: 16
; WaveLimiterHint : 0
; COMPUTE_PGM_RSRC2:SCRATCH_EN: 0
; COMPUTE_PGM_RSRC2:USER_SGPR: 6
; COMPUTE_PGM_RSRC2:TRAP_HANDLER: 0
; COMPUTE_PGM_RSRC2:TGID_X_EN: 1
; COMPUTE_PGM_RSRC2:TGID_Y_EN: 0
; COMPUTE_PGM_RSRC2:TGID_Z_EN: 0
; COMPUTE_PGM_RSRC2:TIDIG_COMP_CNT: 1
	.section	.text._ZN12_GLOBAL__N_121softmax_warp_backwardIN3c108BFloat16ES2_fLi1ELb0ELb0ELi64EEEvPT0_PKT_S7_iiiPKb,"axG",@progbits,_ZN12_GLOBAL__N_121softmax_warp_backwardIN3c108BFloat16ES2_fLi1ELb0ELb0ELi64EEEvPT0_PKT_S7_iiiPKb,comdat
	.globl	_ZN12_GLOBAL__N_121softmax_warp_backwardIN3c108BFloat16ES2_fLi1ELb0ELb0ELi64EEEvPT0_PKT_S7_iiiPKb ; -- Begin function _ZN12_GLOBAL__N_121softmax_warp_backwardIN3c108BFloat16ES2_fLi1ELb0ELb0ELi64EEEvPT0_PKT_S7_iiiPKb
	.p2align	8
	.type	_ZN12_GLOBAL__N_121softmax_warp_backwardIN3c108BFloat16ES2_fLi1ELb0ELb0ELi64EEEvPT0_PKT_S7_iiiPKb,@function
_ZN12_GLOBAL__N_121softmax_warp_backwardIN3c108BFloat16ES2_fLi1ELb0ELb0ELi64EEEvPT0_PKT_S7_iiiPKb: ; @_ZN12_GLOBAL__N_121softmax_warp_backwardIN3c108BFloat16ES2_fLi1ELb0ELb0ELi64EEEvPT0_PKT_S7_iiiPKb
; %bb.0:
	s_clause 0x1
	s_load_dword s7, s[4:5], 0x3c
	s_load_dwordx4 s[0:3], s[4:5], 0x18
	v_and_b32_e32 v3, 1, v0
	s_clause 0x1
	s_load_dwordx4 s[8:11], s[4:5], 0x0
	s_load_dwordx2 s[4:5], s[4:5], 0x10
	v_mov_b32_e32 v7, 0
	v_mov_b32_e32 v8, 0
	s_waitcnt lgkmcnt(0)
	s_lshr_b32 s3, s7, 16
	s_and_b32 s3, s3, 0xffff
	s_mul_i32 s6, s6, s3
	v_add_lshl_u32 v2, s6, v1, 1
	v_mul_lo_u32 v1, v2, s1
	v_sub_nc_u32_e32 v6, s0, v2
	v_cmp_gt_i32_e64 s0, s2, v3
	v_cmp_lt_i32_e32 vcc_lo, 0, v6
	v_or_b32_e32 v0, v1, v3
	s_and_b32 s3, s0, vcc_lo
	v_ashrrev_i32_e32 v1, 31, v0
	v_lshlrev_b64 v[0:1], 1, v[0:1]
	v_add_co_u32 v4, s1, s10, v0
	v_add_co_ci_u32_e64 v5, null, s11, v1, s1
	v_add_co_u32 v2, s1, s4, v0
	v_add_co_ci_u32_e64 v3, null, s5, v1, s1
	s_and_saveexec_b32 s1, s3
	s_cbranch_execz .LBB620_2
; %bb.1:
	global_load_ushort v7, v[4:5], off
	global_load_ushort v9, v[2:3], off
	s_waitcnt vmcnt(1)
	v_lshlrev_b32_e32 v8, 16, v7
	s_waitcnt vmcnt(0)
	v_lshlrev_b32_e32 v7, 16, v9
.LBB620_2:
	s_or_b32 exec_lo, exec_lo, s1
	v_cmp_gt_i32_e64 s1, 2, v6
	s_xor_b32 s3, s0, -1
	s_or_b32 s1, s3, s1
	s_and_saveexec_b32 s3, s1
	s_xor_b32 s1, exec_lo, s3
                                        ; implicit-def: $vgpr9
; %bb.3:
	v_mov_b32_e32 v9, 0
                                        ; implicit-def: $vgpr2
                                        ; implicit-def: $vgpr4
; %bb.4:
	s_or_saveexec_b32 s4, s1
	v_mov_b32_e32 v10, 0
	s_xor_b32 exec_lo, exec_lo, s4
	s_cbranch_execz .LBB620_6
; %bb.5:
	s_mov_b32 s3, 0
	s_lshl_b64 s[6:7], s[2:3], 1
	v_add_co_u32 v4, s1, v4, s6
	v_add_co_ci_u32_e64 v5, null, s7, v5, s1
	v_add_co_u32 v2, s1, v2, s6
	v_add_co_ci_u32_e64 v3, null, s7, v3, s1
	global_load_ushort v4, v[4:5], off
	global_load_ushort v2, v[2:3], off
	s_waitcnt vmcnt(1)
	v_lshlrev_b32_e32 v9, 16, v4
	s_waitcnt vmcnt(0)
	v_lshlrev_b32_e32 v10, 16, v2
.LBB620_6:
	s_or_b32 exec_lo, exec_lo, s4
	v_mbcnt_lo_u32_b32 v2, -1, 0
	v_and_b32_e32 v3, 30, v2
	v_xor_b32_e32 v4, 1, v2
	v_add_nc_u32_e32 v3, 2, v3
	v_cmp_lt_i32_e64 s1, v4, v3
	v_cndmask_b32_e64 v2, v2, v4, s1
	v_add_f32_e32 v4, 0, v8
	v_lshlrev_b32_e32 v3, 2, v2
	v_add_f32_e32 v2, 0, v9
	ds_bpermute_b32 v5, v3, v4
	ds_bpermute_b32 v3, v3, v2
	s_and_saveexec_b32 s1, vcc_lo
	s_cbranch_execz .LBB620_11
; %bb.7:
	v_add_co_u32 v0, vcc_lo, s8, v0
	v_add_co_ci_u32_e64 v1, null, s9, v1, vcc_lo
	s_and_saveexec_b32 s1, s0
	s_cbranch_execz .LBB620_9
; %bb.8:
	s_waitcnt lgkmcnt(1)
	v_add_f32_e32 v4, v4, v5
	v_fma_f32 v4, -v7, v4, v8
	v_bfe_u32 v5, v4, 16, 1
	v_cmp_o_f32_e32 vcc_lo, v4, v4
	v_add3_u32 v4, v4, v5, 0x7fff
	v_mov_b32_e32 v5, 0x7fc0
	v_cndmask_b32_sdwa v4, v5, v4, vcc_lo dst_sel:DWORD dst_unused:UNUSED_PAD src0_sel:DWORD src1_sel:WORD_1
	global_store_short v[0:1], v4, off
.LBB620_9:
	s_or_b32 exec_lo, exec_lo, s1
	v_cmp_ne_u32_e32 vcc_lo, 1, v6
	s_and_b32 s0, vcc_lo, s0
	s_and_b32 exec_lo, exec_lo, s0
	s_cbranch_execz .LBB620_11
; %bb.10:
	s_waitcnt lgkmcnt(0)
	v_add_f32_e32 v2, v2, v3
	s_mov_b32 s3, 0
	v_mov_b32_e32 v4, 0x7fc0
	s_lshl_b64 s[0:1], s[2:3], 1
	v_add_co_u32 v0, s0, v0, s0
	v_fma_f32 v2, -v10, v2, v9
	v_add_co_ci_u32_e64 v1, null, s1, v1, s0
	v_bfe_u32 v3, v2, 16, 1
	v_cmp_o_f32_e32 vcc_lo, v2, v2
	v_add3_u32 v2, v2, v3, 0x7fff
	v_cndmask_b32_sdwa v2, v4, v2, vcc_lo dst_sel:DWORD dst_unused:UNUSED_PAD src0_sel:DWORD src1_sel:WORD_1
	global_store_short v[0:1], v2, off
.LBB620_11:
	s_endpgm
	.section	.rodata,"a",@progbits
	.p2align	6, 0x0
	.amdhsa_kernel _ZN12_GLOBAL__N_121softmax_warp_backwardIN3c108BFloat16ES2_fLi1ELb0ELb0ELi64EEEvPT0_PKT_S7_iiiPKb
		.amdhsa_group_segment_fixed_size 0
		.amdhsa_private_segment_fixed_size 0
		.amdhsa_kernarg_size 304
		.amdhsa_user_sgpr_count 6
		.amdhsa_user_sgpr_private_segment_buffer 1
		.amdhsa_user_sgpr_dispatch_ptr 0
		.amdhsa_user_sgpr_queue_ptr 0
		.amdhsa_user_sgpr_kernarg_segment_ptr 1
		.amdhsa_user_sgpr_dispatch_id 0
		.amdhsa_user_sgpr_flat_scratch_init 0
		.amdhsa_user_sgpr_private_segment_size 0
		.amdhsa_wavefront_size32 1
		.amdhsa_uses_dynamic_stack 0
		.amdhsa_system_sgpr_private_segment_wavefront_offset 0
		.amdhsa_system_sgpr_workgroup_id_x 1
		.amdhsa_system_sgpr_workgroup_id_y 0
		.amdhsa_system_sgpr_workgroup_id_z 0
		.amdhsa_system_sgpr_workgroup_info 0
		.amdhsa_system_vgpr_workitem_id 1
		.amdhsa_next_free_vgpr 11
		.amdhsa_next_free_sgpr 12
		.amdhsa_reserve_vcc 1
		.amdhsa_reserve_flat_scratch 0
		.amdhsa_float_round_mode_32 0
		.amdhsa_float_round_mode_16_64 0
		.amdhsa_float_denorm_mode_32 3
		.amdhsa_float_denorm_mode_16_64 3
		.amdhsa_dx10_clamp 1
		.amdhsa_ieee_mode 1
		.amdhsa_fp16_overflow 0
		.amdhsa_workgroup_processor_mode 1
		.amdhsa_memory_ordered 1
		.amdhsa_forward_progress 1
		.amdhsa_shared_vgpr_count 0
		.amdhsa_exception_fp_ieee_invalid_op 0
		.amdhsa_exception_fp_denorm_src 0
		.amdhsa_exception_fp_ieee_div_zero 0
		.amdhsa_exception_fp_ieee_overflow 0
		.amdhsa_exception_fp_ieee_underflow 0
		.amdhsa_exception_fp_ieee_inexact 0
		.amdhsa_exception_int_div_zero 0
	.end_amdhsa_kernel
	.section	.text._ZN12_GLOBAL__N_121softmax_warp_backwardIN3c108BFloat16ES2_fLi1ELb0ELb0ELi64EEEvPT0_PKT_S7_iiiPKb,"axG",@progbits,_ZN12_GLOBAL__N_121softmax_warp_backwardIN3c108BFloat16ES2_fLi1ELb0ELb0ELi64EEEvPT0_PKT_S7_iiiPKb,comdat
.Lfunc_end620:
	.size	_ZN12_GLOBAL__N_121softmax_warp_backwardIN3c108BFloat16ES2_fLi1ELb0ELb0ELi64EEEvPT0_PKT_S7_iiiPKb, .Lfunc_end620-_ZN12_GLOBAL__N_121softmax_warp_backwardIN3c108BFloat16ES2_fLi1ELb0ELb0ELi64EEEvPT0_PKT_S7_iiiPKb
                                        ; -- End function
	.set _ZN12_GLOBAL__N_121softmax_warp_backwardIN3c108BFloat16ES2_fLi1ELb0ELb0ELi64EEEvPT0_PKT_S7_iiiPKb.num_vgpr, 11
	.set _ZN12_GLOBAL__N_121softmax_warp_backwardIN3c108BFloat16ES2_fLi1ELb0ELb0ELi64EEEvPT0_PKT_S7_iiiPKb.num_agpr, 0
	.set _ZN12_GLOBAL__N_121softmax_warp_backwardIN3c108BFloat16ES2_fLi1ELb0ELb0ELi64EEEvPT0_PKT_S7_iiiPKb.numbered_sgpr, 12
	.set _ZN12_GLOBAL__N_121softmax_warp_backwardIN3c108BFloat16ES2_fLi1ELb0ELb0ELi64EEEvPT0_PKT_S7_iiiPKb.num_named_barrier, 0
	.set _ZN12_GLOBAL__N_121softmax_warp_backwardIN3c108BFloat16ES2_fLi1ELb0ELb0ELi64EEEvPT0_PKT_S7_iiiPKb.private_seg_size, 0
	.set _ZN12_GLOBAL__N_121softmax_warp_backwardIN3c108BFloat16ES2_fLi1ELb0ELb0ELi64EEEvPT0_PKT_S7_iiiPKb.uses_vcc, 1
	.set _ZN12_GLOBAL__N_121softmax_warp_backwardIN3c108BFloat16ES2_fLi1ELb0ELb0ELi64EEEvPT0_PKT_S7_iiiPKb.uses_flat_scratch, 0
	.set _ZN12_GLOBAL__N_121softmax_warp_backwardIN3c108BFloat16ES2_fLi1ELb0ELb0ELi64EEEvPT0_PKT_S7_iiiPKb.has_dyn_sized_stack, 0
	.set _ZN12_GLOBAL__N_121softmax_warp_backwardIN3c108BFloat16ES2_fLi1ELb0ELb0ELi64EEEvPT0_PKT_S7_iiiPKb.has_recursion, 0
	.set _ZN12_GLOBAL__N_121softmax_warp_backwardIN3c108BFloat16ES2_fLi1ELb0ELb0ELi64EEEvPT0_PKT_S7_iiiPKb.has_indirect_call, 0
	.section	.AMDGPU.csdata,"",@progbits
; Kernel info:
; codeLenInByte = 592
; TotalNumSgprs: 14
; NumVgprs: 11
; ScratchSize: 0
; MemoryBound: 0
; FloatMode: 240
; IeeeMode: 1
; LDSByteSize: 0 bytes/workgroup (compile time only)
; SGPRBlocks: 0
; VGPRBlocks: 1
; NumSGPRsForWavesPerEU: 14
; NumVGPRsForWavesPerEU: 11
; Occupancy: 16
; WaveLimiterHint : 0
; COMPUTE_PGM_RSRC2:SCRATCH_EN: 0
; COMPUTE_PGM_RSRC2:USER_SGPR: 6
; COMPUTE_PGM_RSRC2:TRAP_HANDLER: 0
; COMPUTE_PGM_RSRC2:TGID_X_EN: 1
; COMPUTE_PGM_RSRC2:TGID_Y_EN: 0
; COMPUTE_PGM_RSRC2:TGID_Z_EN: 0
; COMPUTE_PGM_RSRC2:TIDIG_COMP_CNT: 1
	.section	.text._ZN12_GLOBAL__N_121softmax_warp_backwardIN3c108BFloat16ES2_fLi1ELb0ELb0ELi32EEEvPT0_PKT_S7_iiiPKb,"axG",@progbits,_ZN12_GLOBAL__N_121softmax_warp_backwardIN3c108BFloat16ES2_fLi1ELb0ELb0ELi32EEEvPT0_PKT_S7_iiiPKb,comdat
	.globl	_ZN12_GLOBAL__N_121softmax_warp_backwardIN3c108BFloat16ES2_fLi1ELb0ELb0ELi32EEEvPT0_PKT_S7_iiiPKb ; -- Begin function _ZN12_GLOBAL__N_121softmax_warp_backwardIN3c108BFloat16ES2_fLi1ELb0ELb0ELi32EEEvPT0_PKT_S7_iiiPKb
	.p2align	8
	.type	_ZN12_GLOBAL__N_121softmax_warp_backwardIN3c108BFloat16ES2_fLi1ELb0ELb0ELi32EEEvPT0_PKT_S7_iiiPKb,@function
_ZN12_GLOBAL__N_121softmax_warp_backwardIN3c108BFloat16ES2_fLi1ELb0ELb0ELi32EEEvPT0_PKT_S7_iiiPKb: ; @_ZN12_GLOBAL__N_121softmax_warp_backwardIN3c108BFloat16ES2_fLi1ELb0ELb0ELi32EEEvPT0_PKT_S7_iiiPKb
; %bb.0:
	s_clause 0x1
	s_load_dword s7, s[4:5], 0x3c
	s_load_dwordx4 s[0:3], s[4:5], 0x18
	v_and_b32_e32 v3, 1, v0
	s_clause 0x1
	s_load_dwordx4 s[8:11], s[4:5], 0x0
	s_load_dwordx2 s[4:5], s[4:5], 0x10
	v_mov_b32_e32 v7, 0
	v_mov_b32_e32 v8, 0
	s_waitcnt lgkmcnt(0)
	s_lshr_b32 s3, s7, 16
	s_and_b32 s3, s3, 0xffff
	s_mul_i32 s6, s6, s3
	v_add_lshl_u32 v2, s6, v1, 1
	v_mul_lo_u32 v1, v2, s1
	v_sub_nc_u32_e32 v6, s0, v2
	v_cmp_gt_i32_e64 s0, s2, v3
	v_cmp_lt_i32_e32 vcc_lo, 0, v6
	v_or_b32_e32 v0, v1, v3
	s_and_b32 s3, s0, vcc_lo
	v_ashrrev_i32_e32 v1, 31, v0
	v_lshlrev_b64 v[0:1], 1, v[0:1]
	v_add_co_u32 v4, s1, s10, v0
	v_add_co_ci_u32_e64 v5, null, s11, v1, s1
	v_add_co_u32 v2, s1, s4, v0
	v_add_co_ci_u32_e64 v3, null, s5, v1, s1
	s_and_saveexec_b32 s1, s3
	s_cbranch_execz .LBB621_2
; %bb.1:
	global_load_ushort v7, v[4:5], off
	global_load_ushort v9, v[2:3], off
	s_waitcnt vmcnt(1)
	v_lshlrev_b32_e32 v8, 16, v7
	s_waitcnt vmcnt(0)
	v_lshlrev_b32_e32 v7, 16, v9
.LBB621_2:
	s_or_b32 exec_lo, exec_lo, s1
	v_cmp_gt_i32_e64 s1, 2, v6
	s_xor_b32 s3, s0, -1
	s_or_b32 s1, s3, s1
	s_and_saveexec_b32 s3, s1
	s_xor_b32 s1, exec_lo, s3
                                        ; implicit-def: $vgpr9
; %bb.3:
	v_mov_b32_e32 v9, 0
                                        ; implicit-def: $vgpr2
                                        ; implicit-def: $vgpr4
; %bb.4:
	s_or_saveexec_b32 s4, s1
	v_mov_b32_e32 v10, 0
	s_xor_b32 exec_lo, exec_lo, s4
	s_cbranch_execz .LBB621_6
; %bb.5:
	s_mov_b32 s3, 0
	s_lshl_b64 s[6:7], s[2:3], 1
	v_add_co_u32 v4, s1, v4, s6
	v_add_co_ci_u32_e64 v5, null, s7, v5, s1
	v_add_co_u32 v2, s1, v2, s6
	v_add_co_ci_u32_e64 v3, null, s7, v3, s1
	global_load_ushort v4, v[4:5], off
	global_load_ushort v2, v[2:3], off
	s_waitcnt vmcnt(1)
	v_lshlrev_b32_e32 v9, 16, v4
	s_waitcnt vmcnt(0)
	v_lshlrev_b32_e32 v10, 16, v2
.LBB621_6:
	s_or_b32 exec_lo, exec_lo, s4
	v_mbcnt_lo_u32_b32 v2, -1, 0
	v_and_b32_e32 v3, 30, v2
	v_xor_b32_e32 v4, 1, v2
	v_add_nc_u32_e32 v3, 2, v3
	v_cmp_lt_i32_e64 s1, v4, v3
	v_cndmask_b32_e64 v2, v2, v4, s1
	v_add_f32_e32 v4, 0, v8
	v_lshlrev_b32_e32 v3, 2, v2
	v_add_f32_e32 v2, 0, v9
	ds_bpermute_b32 v5, v3, v4
	ds_bpermute_b32 v3, v3, v2
	s_and_saveexec_b32 s1, vcc_lo
	s_cbranch_execz .LBB621_11
; %bb.7:
	v_add_co_u32 v0, vcc_lo, s8, v0
	v_add_co_ci_u32_e64 v1, null, s9, v1, vcc_lo
	s_and_saveexec_b32 s1, s0
	s_cbranch_execz .LBB621_9
; %bb.8:
	s_waitcnt lgkmcnt(1)
	v_add_f32_e32 v4, v4, v5
	v_fma_f32 v4, -v7, v4, v8
	v_bfe_u32 v5, v4, 16, 1
	v_cmp_o_f32_e32 vcc_lo, v4, v4
	v_add3_u32 v4, v4, v5, 0x7fff
	v_mov_b32_e32 v5, 0x7fc0
	v_cndmask_b32_sdwa v4, v5, v4, vcc_lo dst_sel:DWORD dst_unused:UNUSED_PAD src0_sel:DWORD src1_sel:WORD_1
	global_store_short v[0:1], v4, off
.LBB621_9:
	s_or_b32 exec_lo, exec_lo, s1
	v_cmp_ne_u32_e32 vcc_lo, 1, v6
	s_and_b32 s0, vcc_lo, s0
	s_and_b32 exec_lo, exec_lo, s0
	s_cbranch_execz .LBB621_11
; %bb.10:
	s_waitcnt lgkmcnt(0)
	v_add_f32_e32 v2, v2, v3
	s_mov_b32 s3, 0
	v_mov_b32_e32 v4, 0x7fc0
	s_lshl_b64 s[0:1], s[2:3], 1
	v_add_co_u32 v0, s0, v0, s0
	v_fma_f32 v2, -v10, v2, v9
	v_add_co_ci_u32_e64 v1, null, s1, v1, s0
	v_bfe_u32 v3, v2, 16, 1
	v_cmp_o_f32_e32 vcc_lo, v2, v2
	v_add3_u32 v2, v2, v3, 0x7fff
	v_cndmask_b32_sdwa v2, v4, v2, vcc_lo dst_sel:DWORD dst_unused:UNUSED_PAD src0_sel:DWORD src1_sel:WORD_1
	global_store_short v[0:1], v2, off
.LBB621_11:
	s_endpgm
	.section	.rodata,"a",@progbits
	.p2align	6, 0x0
	.amdhsa_kernel _ZN12_GLOBAL__N_121softmax_warp_backwardIN3c108BFloat16ES2_fLi1ELb0ELb0ELi32EEEvPT0_PKT_S7_iiiPKb
		.amdhsa_group_segment_fixed_size 0
		.amdhsa_private_segment_fixed_size 0
		.amdhsa_kernarg_size 304
		.amdhsa_user_sgpr_count 6
		.amdhsa_user_sgpr_private_segment_buffer 1
		.amdhsa_user_sgpr_dispatch_ptr 0
		.amdhsa_user_sgpr_queue_ptr 0
		.amdhsa_user_sgpr_kernarg_segment_ptr 1
		.amdhsa_user_sgpr_dispatch_id 0
		.amdhsa_user_sgpr_flat_scratch_init 0
		.amdhsa_user_sgpr_private_segment_size 0
		.amdhsa_wavefront_size32 1
		.amdhsa_uses_dynamic_stack 0
		.amdhsa_system_sgpr_private_segment_wavefront_offset 0
		.amdhsa_system_sgpr_workgroup_id_x 1
		.amdhsa_system_sgpr_workgroup_id_y 0
		.amdhsa_system_sgpr_workgroup_id_z 0
		.amdhsa_system_sgpr_workgroup_info 0
		.amdhsa_system_vgpr_workitem_id 1
		.amdhsa_next_free_vgpr 11
		.amdhsa_next_free_sgpr 12
		.amdhsa_reserve_vcc 1
		.amdhsa_reserve_flat_scratch 0
		.amdhsa_float_round_mode_32 0
		.amdhsa_float_round_mode_16_64 0
		.amdhsa_float_denorm_mode_32 3
		.amdhsa_float_denorm_mode_16_64 3
		.amdhsa_dx10_clamp 1
		.amdhsa_ieee_mode 1
		.amdhsa_fp16_overflow 0
		.amdhsa_workgroup_processor_mode 1
		.amdhsa_memory_ordered 1
		.amdhsa_forward_progress 1
		.amdhsa_shared_vgpr_count 0
		.amdhsa_exception_fp_ieee_invalid_op 0
		.amdhsa_exception_fp_denorm_src 0
		.amdhsa_exception_fp_ieee_div_zero 0
		.amdhsa_exception_fp_ieee_overflow 0
		.amdhsa_exception_fp_ieee_underflow 0
		.amdhsa_exception_fp_ieee_inexact 0
		.amdhsa_exception_int_div_zero 0
	.end_amdhsa_kernel
	.section	.text._ZN12_GLOBAL__N_121softmax_warp_backwardIN3c108BFloat16ES2_fLi1ELb0ELb0ELi32EEEvPT0_PKT_S7_iiiPKb,"axG",@progbits,_ZN12_GLOBAL__N_121softmax_warp_backwardIN3c108BFloat16ES2_fLi1ELb0ELb0ELi32EEEvPT0_PKT_S7_iiiPKb,comdat
.Lfunc_end621:
	.size	_ZN12_GLOBAL__N_121softmax_warp_backwardIN3c108BFloat16ES2_fLi1ELb0ELb0ELi32EEEvPT0_PKT_S7_iiiPKb, .Lfunc_end621-_ZN12_GLOBAL__N_121softmax_warp_backwardIN3c108BFloat16ES2_fLi1ELb0ELb0ELi32EEEvPT0_PKT_S7_iiiPKb
                                        ; -- End function
	.set _ZN12_GLOBAL__N_121softmax_warp_backwardIN3c108BFloat16ES2_fLi1ELb0ELb0ELi32EEEvPT0_PKT_S7_iiiPKb.num_vgpr, 11
	.set _ZN12_GLOBAL__N_121softmax_warp_backwardIN3c108BFloat16ES2_fLi1ELb0ELb0ELi32EEEvPT0_PKT_S7_iiiPKb.num_agpr, 0
	.set _ZN12_GLOBAL__N_121softmax_warp_backwardIN3c108BFloat16ES2_fLi1ELb0ELb0ELi32EEEvPT0_PKT_S7_iiiPKb.numbered_sgpr, 12
	.set _ZN12_GLOBAL__N_121softmax_warp_backwardIN3c108BFloat16ES2_fLi1ELb0ELb0ELi32EEEvPT0_PKT_S7_iiiPKb.num_named_barrier, 0
	.set _ZN12_GLOBAL__N_121softmax_warp_backwardIN3c108BFloat16ES2_fLi1ELb0ELb0ELi32EEEvPT0_PKT_S7_iiiPKb.private_seg_size, 0
	.set _ZN12_GLOBAL__N_121softmax_warp_backwardIN3c108BFloat16ES2_fLi1ELb0ELb0ELi32EEEvPT0_PKT_S7_iiiPKb.uses_vcc, 1
	.set _ZN12_GLOBAL__N_121softmax_warp_backwardIN3c108BFloat16ES2_fLi1ELb0ELb0ELi32EEEvPT0_PKT_S7_iiiPKb.uses_flat_scratch, 0
	.set _ZN12_GLOBAL__N_121softmax_warp_backwardIN3c108BFloat16ES2_fLi1ELb0ELb0ELi32EEEvPT0_PKT_S7_iiiPKb.has_dyn_sized_stack, 0
	.set _ZN12_GLOBAL__N_121softmax_warp_backwardIN3c108BFloat16ES2_fLi1ELb0ELb0ELi32EEEvPT0_PKT_S7_iiiPKb.has_recursion, 0
	.set _ZN12_GLOBAL__N_121softmax_warp_backwardIN3c108BFloat16ES2_fLi1ELb0ELb0ELi32EEEvPT0_PKT_S7_iiiPKb.has_indirect_call, 0
	.section	.AMDGPU.csdata,"",@progbits
; Kernel info:
; codeLenInByte = 592
; TotalNumSgprs: 14
; NumVgprs: 11
; ScratchSize: 0
; MemoryBound: 0
; FloatMode: 240
; IeeeMode: 1
; LDSByteSize: 0 bytes/workgroup (compile time only)
; SGPRBlocks: 0
; VGPRBlocks: 1
; NumSGPRsForWavesPerEU: 14
; NumVGPRsForWavesPerEU: 11
; Occupancy: 16
; WaveLimiterHint : 0
; COMPUTE_PGM_RSRC2:SCRATCH_EN: 0
; COMPUTE_PGM_RSRC2:USER_SGPR: 6
; COMPUTE_PGM_RSRC2:TRAP_HANDLER: 0
; COMPUTE_PGM_RSRC2:TGID_X_EN: 1
; COMPUTE_PGM_RSRC2:TGID_Y_EN: 0
; COMPUTE_PGM_RSRC2:TGID_Z_EN: 0
; COMPUTE_PGM_RSRC2:TIDIG_COMP_CNT: 1
	.section	.text._ZN12_GLOBAL__N_121softmax_warp_backwardIN3c108BFloat16ES2_fLi2ELb0ELb0ELi64EEEvPT0_PKT_S7_iiiPKb,"axG",@progbits,_ZN12_GLOBAL__N_121softmax_warp_backwardIN3c108BFloat16ES2_fLi2ELb0ELb0ELi64EEEvPT0_PKT_S7_iiiPKb,comdat
	.globl	_ZN12_GLOBAL__N_121softmax_warp_backwardIN3c108BFloat16ES2_fLi2ELb0ELb0ELi64EEEvPT0_PKT_S7_iiiPKb ; -- Begin function _ZN12_GLOBAL__N_121softmax_warp_backwardIN3c108BFloat16ES2_fLi2ELb0ELb0ELi64EEEvPT0_PKT_S7_iiiPKb
	.p2align	8
	.type	_ZN12_GLOBAL__N_121softmax_warp_backwardIN3c108BFloat16ES2_fLi2ELb0ELb0ELi64EEEvPT0_PKT_S7_iiiPKb,@function
_ZN12_GLOBAL__N_121softmax_warp_backwardIN3c108BFloat16ES2_fLi2ELb0ELb0ELi64EEEvPT0_PKT_S7_iiiPKb: ; @_ZN12_GLOBAL__N_121softmax_warp_backwardIN3c108BFloat16ES2_fLi2ELb0ELb0ELi64EEEvPT0_PKT_S7_iiiPKb
; %bb.0:
	s_clause 0x1
	s_load_dword s7, s[4:5], 0x3c
	s_load_dwordx4 s[0:3], s[4:5], 0x18
	v_and_b32_e32 v2, 3, v0
	s_clause 0x1
	s_load_dwordx4 s[8:11], s[4:5], 0x0
	s_load_dwordx2 s[4:5], s[4:5], 0x10
	v_mov_b32_e32 v7, 0
	v_mov_b32_e32 v8, 0
	s_waitcnt lgkmcnt(0)
	s_lshr_b32 s3, s7, 16
	s_and_b32 s3, s3, 0xffff
	s_mul_i32 s6, s6, s3
	v_add_lshl_u32 v3, s6, v1, 1
	v_mad_u64_u32 v[0:1], null, v3, s1, v[2:3]
	v_sub_nc_u32_e32 v6, s0, v3
	v_cmp_gt_i32_e64 s0, s2, v2
	v_cmp_lt_i32_e32 vcc_lo, 0, v6
	v_ashrrev_i32_e32 v1, 31, v0
	s_and_b32 s3, s0, vcc_lo
	v_lshlrev_b64 v[0:1], 1, v[0:1]
	v_add_co_u32 v4, s1, s10, v0
	v_add_co_ci_u32_e64 v5, null, s11, v1, s1
	v_add_co_u32 v2, s1, s4, v0
	v_add_co_ci_u32_e64 v3, null, s5, v1, s1
	s_and_saveexec_b32 s1, s3
	s_cbranch_execz .LBB622_2
; %bb.1:
	global_load_ushort v7, v[4:5], off
	global_load_ushort v9, v[2:3], off
	s_waitcnt vmcnt(1)
	v_lshlrev_b32_e32 v8, 16, v7
	s_waitcnt vmcnt(0)
	v_lshlrev_b32_e32 v7, 16, v9
.LBB622_2:
	s_or_b32 exec_lo, exec_lo, s1
	v_cmp_gt_i32_e64 s1, 2, v6
	s_xor_b32 s3, s0, -1
	s_or_b32 s1, s3, s1
	s_and_saveexec_b32 s3, s1
	s_xor_b32 s1, exec_lo, s3
                                        ; implicit-def: $vgpr9
; %bb.3:
	v_mov_b32_e32 v9, 0
                                        ; implicit-def: $vgpr2
                                        ; implicit-def: $vgpr4
; %bb.4:
	s_or_saveexec_b32 s4, s1
	v_mov_b32_e32 v10, 0
	s_xor_b32 exec_lo, exec_lo, s4
	s_cbranch_execz .LBB622_6
; %bb.5:
	s_mov_b32 s3, 0
	s_lshl_b64 s[6:7], s[2:3], 1
	v_add_co_u32 v4, s1, v4, s6
	v_add_co_ci_u32_e64 v5, null, s7, v5, s1
	v_add_co_u32 v2, s1, v2, s6
	v_add_co_ci_u32_e64 v3, null, s7, v3, s1
	global_load_ushort v4, v[4:5], off
	global_load_ushort v2, v[2:3], off
	s_waitcnt vmcnt(1)
	v_lshlrev_b32_e32 v9, 16, v4
	s_waitcnt vmcnt(0)
	v_lshlrev_b32_e32 v10, 16, v2
.LBB622_6:
	s_or_b32 exec_lo, exec_lo, s4
	v_mbcnt_lo_u32_b32 v2, -1, 0
	v_add_f32_e32 v5, 0, v8
	v_add_f32_e32 v11, 0, v9
	v_and_b32_e32 v3, 28, v2
	v_xor_b32_e32 v4, 2, v2
	v_add_nc_u32_e32 v3, 4, v3
	v_cmp_lt_i32_e64 s1, v4, v3
	v_cndmask_b32_e64 v4, v2, v4, s1
	v_lshlrev_b32_e32 v4, 2, v4
	ds_bpermute_b32 v12, v4, v5
	ds_bpermute_b32 v13, v4, v11
	v_xor_b32_e32 v4, 1, v2
	v_cmp_lt_i32_e64 s1, v4, v3
	v_cndmask_b32_e64 v2, v2, v4, s1
	v_lshlrev_b32_e32 v3, 2, v2
	s_waitcnt lgkmcnt(1)
	v_add_f32_e32 v4, v5, v12
	s_waitcnt lgkmcnt(0)
	v_add_f32_e32 v2, v11, v13
	ds_bpermute_b32 v5, v3, v4
	ds_bpermute_b32 v3, v3, v2
	s_and_saveexec_b32 s1, vcc_lo
	s_cbranch_execz .LBB622_11
; %bb.7:
	v_add_co_u32 v0, vcc_lo, s8, v0
	v_add_co_ci_u32_e64 v1, null, s9, v1, vcc_lo
	s_and_saveexec_b32 s1, s0
	s_cbranch_execz .LBB622_9
; %bb.8:
	s_waitcnt lgkmcnt(1)
	v_add_f32_e32 v4, v4, v5
	v_fma_f32 v4, -v7, v4, v8
	v_bfe_u32 v5, v4, 16, 1
	v_cmp_o_f32_e32 vcc_lo, v4, v4
	v_add3_u32 v4, v4, v5, 0x7fff
	v_mov_b32_e32 v5, 0x7fc0
	v_cndmask_b32_sdwa v4, v5, v4, vcc_lo dst_sel:DWORD dst_unused:UNUSED_PAD src0_sel:DWORD src1_sel:WORD_1
	global_store_short v[0:1], v4, off
.LBB622_9:
	s_or_b32 exec_lo, exec_lo, s1
	v_cmp_ne_u32_e32 vcc_lo, 1, v6
	s_and_b32 s0, vcc_lo, s0
	s_and_b32 exec_lo, exec_lo, s0
	s_cbranch_execz .LBB622_11
; %bb.10:
	s_waitcnt lgkmcnt(0)
	v_add_f32_e32 v2, v2, v3
	s_mov_b32 s3, 0
	v_mov_b32_e32 v4, 0x7fc0
	s_lshl_b64 s[0:1], s[2:3], 1
	v_add_co_u32 v0, s0, v0, s0
	v_fma_f32 v2, -v10, v2, v9
	v_add_co_ci_u32_e64 v1, null, s1, v1, s0
	v_bfe_u32 v3, v2, 16, 1
	v_cmp_o_f32_e32 vcc_lo, v2, v2
	v_add3_u32 v2, v2, v3, 0x7fff
	v_cndmask_b32_sdwa v2, v4, v2, vcc_lo dst_sel:DWORD dst_unused:UNUSED_PAD src0_sel:DWORD src1_sel:WORD_1
	global_store_short v[0:1], v2, off
.LBB622_11:
	s_endpgm
	.section	.rodata,"a",@progbits
	.p2align	6, 0x0
	.amdhsa_kernel _ZN12_GLOBAL__N_121softmax_warp_backwardIN3c108BFloat16ES2_fLi2ELb0ELb0ELi64EEEvPT0_PKT_S7_iiiPKb
		.amdhsa_group_segment_fixed_size 0
		.amdhsa_private_segment_fixed_size 0
		.amdhsa_kernarg_size 304
		.amdhsa_user_sgpr_count 6
		.amdhsa_user_sgpr_private_segment_buffer 1
		.amdhsa_user_sgpr_dispatch_ptr 0
		.amdhsa_user_sgpr_queue_ptr 0
		.amdhsa_user_sgpr_kernarg_segment_ptr 1
		.amdhsa_user_sgpr_dispatch_id 0
		.amdhsa_user_sgpr_flat_scratch_init 0
		.amdhsa_user_sgpr_private_segment_size 0
		.amdhsa_wavefront_size32 1
		.amdhsa_uses_dynamic_stack 0
		.amdhsa_system_sgpr_private_segment_wavefront_offset 0
		.amdhsa_system_sgpr_workgroup_id_x 1
		.amdhsa_system_sgpr_workgroup_id_y 0
		.amdhsa_system_sgpr_workgroup_id_z 0
		.amdhsa_system_sgpr_workgroup_info 0
		.amdhsa_system_vgpr_workitem_id 1
		.amdhsa_next_free_vgpr 14
		.amdhsa_next_free_sgpr 12
		.amdhsa_reserve_vcc 1
		.amdhsa_reserve_flat_scratch 0
		.amdhsa_float_round_mode_32 0
		.amdhsa_float_round_mode_16_64 0
		.amdhsa_float_denorm_mode_32 3
		.amdhsa_float_denorm_mode_16_64 3
		.amdhsa_dx10_clamp 1
		.amdhsa_ieee_mode 1
		.amdhsa_fp16_overflow 0
		.amdhsa_workgroup_processor_mode 1
		.amdhsa_memory_ordered 1
		.amdhsa_forward_progress 1
		.amdhsa_shared_vgpr_count 0
		.amdhsa_exception_fp_ieee_invalid_op 0
		.amdhsa_exception_fp_denorm_src 0
		.amdhsa_exception_fp_ieee_div_zero 0
		.amdhsa_exception_fp_ieee_overflow 0
		.amdhsa_exception_fp_ieee_underflow 0
		.amdhsa_exception_fp_ieee_inexact 0
		.amdhsa_exception_int_div_zero 0
	.end_amdhsa_kernel
	.section	.text._ZN12_GLOBAL__N_121softmax_warp_backwardIN3c108BFloat16ES2_fLi2ELb0ELb0ELi64EEEvPT0_PKT_S7_iiiPKb,"axG",@progbits,_ZN12_GLOBAL__N_121softmax_warp_backwardIN3c108BFloat16ES2_fLi2ELb0ELb0ELi64EEEvPT0_PKT_S7_iiiPKb,comdat
.Lfunc_end622:
	.size	_ZN12_GLOBAL__N_121softmax_warp_backwardIN3c108BFloat16ES2_fLi2ELb0ELb0ELi64EEEvPT0_PKT_S7_iiiPKb, .Lfunc_end622-_ZN12_GLOBAL__N_121softmax_warp_backwardIN3c108BFloat16ES2_fLi2ELb0ELb0ELi64EEEvPT0_PKT_S7_iiiPKb
                                        ; -- End function
	.set _ZN12_GLOBAL__N_121softmax_warp_backwardIN3c108BFloat16ES2_fLi2ELb0ELb0ELi64EEEvPT0_PKT_S7_iiiPKb.num_vgpr, 14
	.set _ZN12_GLOBAL__N_121softmax_warp_backwardIN3c108BFloat16ES2_fLi2ELb0ELb0ELi64EEEvPT0_PKT_S7_iiiPKb.num_agpr, 0
	.set _ZN12_GLOBAL__N_121softmax_warp_backwardIN3c108BFloat16ES2_fLi2ELb0ELb0ELi64EEEvPT0_PKT_S7_iiiPKb.numbered_sgpr, 12
	.set _ZN12_GLOBAL__N_121softmax_warp_backwardIN3c108BFloat16ES2_fLi2ELb0ELb0ELi64EEEvPT0_PKT_S7_iiiPKb.num_named_barrier, 0
	.set _ZN12_GLOBAL__N_121softmax_warp_backwardIN3c108BFloat16ES2_fLi2ELb0ELb0ELi64EEEvPT0_PKT_S7_iiiPKb.private_seg_size, 0
	.set _ZN12_GLOBAL__N_121softmax_warp_backwardIN3c108BFloat16ES2_fLi2ELb0ELb0ELi64EEEvPT0_PKT_S7_iiiPKb.uses_vcc, 1
	.set _ZN12_GLOBAL__N_121softmax_warp_backwardIN3c108BFloat16ES2_fLi2ELb0ELb0ELi64EEEvPT0_PKT_S7_iiiPKb.uses_flat_scratch, 0
	.set _ZN12_GLOBAL__N_121softmax_warp_backwardIN3c108BFloat16ES2_fLi2ELb0ELb0ELi64EEEvPT0_PKT_S7_iiiPKb.has_dyn_sized_stack, 0
	.set _ZN12_GLOBAL__N_121softmax_warp_backwardIN3c108BFloat16ES2_fLi2ELb0ELb0ELi64EEEvPT0_PKT_S7_iiiPKb.has_recursion, 0
	.set _ZN12_GLOBAL__N_121softmax_warp_backwardIN3c108BFloat16ES2_fLi2ELb0ELb0ELi64EEEvPT0_PKT_S7_iiiPKb.has_indirect_call, 0
	.section	.AMDGPU.csdata,"",@progbits
; Kernel info:
; codeLenInByte = 644
; TotalNumSgprs: 14
; NumVgprs: 14
; ScratchSize: 0
; MemoryBound: 0
; FloatMode: 240
; IeeeMode: 1
; LDSByteSize: 0 bytes/workgroup (compile time only)
; SGPRBlocks: 0
; VGPRBlocks: 1
; NumSGPRsForWavesPerEU: 14
; NumVGPRsForWavesPerEU: 14
; Occupancy: 16
; WaveLimiterHint : 0
; COMPUTE_PGM_RSRC2:SCRATCH_EN: 0
; COMPUTE_PGM_RSRC2:USER_SGPR: 6
; COMPUTE_PGM_RSRC2:TRAP_HANDLER: 0
; COMPUTE_PGM_RSRC2:TGID_X_EN: 1
; COMPUTE_PGM_RSRC2:TGID_Y_EN: 0
; COMPUTE_PGM_RSRC2:TGID_Z_EN: 0
; COMPUTE_PGM_RSRC2:TIDIG_COMP_CNT: 1
	.section	.text._ZN12_GLOBAL__N_121softmax_warp_backwardIN3c108BFloat16ES2_fLi2ELb0ELb0ELi32EEEvPT0_PKT_S7_iiiPKb,"axG",@progbits,_ZN12_GLOBAL__N_121softmax_warp_backwardIN3c108BFloat16ES2_fLi2ELb0ELb0ELi32EEEvPT0_PKT_S7_iiiPKb,comdat
	.globl	_ZN12_GLOBAL__N_121softmax_warp_backwardIN3c108BFloat16ES2_fLi2ELb0ELb0ELi32EEEvPT0_PKT_S7_iiiPKb ; -- Begin function _ZN12_GLOBAL__N_121softmax_warp_backwardIN3c108BFloat16ES2_fLi2ELb0ELb0ELi32EEEvPT0_PKT_S7_iiiPKb
	.p2align	8
	.type	_ZN12_GLOBAL__N_121softmax_warp_backwardIN3c108BFloat16ES2_fLi2ELb0ELb0ELi32EEEvPT0_PKT_S7_iiiPKb,@function
_ZN12_GLOBAL__N_121softmax_warp_backwardIN3c108BFloat16ES2_fLi2ELb0ELb0ELi32EEEvPT0_PKT_S7_iiiPKb: ; @_ZN12_GLOBAL__N_121softmax_warp_backwardIN3c108BFloat16ES2_fLi2ELb0ELb0ELi32EEEvPT0_PKT_S7_iiiPKb
; %bb.0:
	s_clause 0x1
	s_load_dword s7, s[4:5], 0x3c
	s_load_dwordx4 s[0:3], s[4:5], 0x18
	v_and_b32_e32 v2, 3, v0
	s_clause 0x1
	s_load_dwordx4 s[8:11], s[4:5], 0x0
	s_load_dwordx2 s[4:5], s[4:5], 0x10
	v_mov_b32_e32 v7, 0
	v_mov_b32_e32 v8, 0
	s_waitcnt lgkmcnt(0)
	s_lshr_b32 s3, s7, 16
	s_and_b32 s3, s3, 0xffff
	s_mul_i32 s6, s6, s3
	v_add_lshl_u32 v3, s6, v1, 1
	v_mad_u64_u32 v[0:1], null, v3, s1, v[2:3]
	v_sub_nc_u32_e32 v6, s0, v3
	v_cmp_gt_i32_e64 s0, s2, v2
	v_cmp_lt_i32_e32 vcc_lo, 0, v6
	v_ashrrev_i32_e32 v1, 31, v0
	s_and_b32 s3, s0, vcc_lo
	v_lshlrev_b64 v[0:1], 1, v[0:1]
	v_add_co_u32 v4, s1, s10, v0
	v_add_co_ci_u32_e64 v5, null, s11, v1, s1
	v_add_co_u32 v2, s1, s4, v0
	v_add_co_ci_u32_e64 v3, null, s5, v1, s1
	s_and_saveexec_b32 s1, s3
	s_cbranch_execz .LBB623_2
; %bb.1:
	global_load_ushort v7, v[4:5], off
	global_load_ushort v9, v[2:3], off
	s_waitcnt vmcnt(1)
	v_lshlrev_b32_e32 v8, 16, v7
	s_waitcnt vmcnt(0)
	v_lshlrev_b32_e32 v7, 16, v9
.LBB623_2:
	s_or_b32 exec_lo, exec_lo, s1
	v_cmp_gt_i32_e64 s1, 2, v6
	s_xor_b32 s3, s0, -1
	s_or_b32 s1, s3, s1
	s_and_saveexec_b32 s3, s1
	s_xor_b32 s1, exec_lo, s3
                                        ; implicit-def: $vgpr9
; %bb.3:
	v_mov_b32_e32 v9, 0
                                        ; implicit-def: $vgpr2
                                        ; implicit-def: $vgpr4
; %bb.4:
	s_or_saveexec_b32 s4, s1
	v_mov_b32_e32 v10, 0
	s_xor_b32 exec_lo, exec_lo, s4
	s_cbranch_execz .LBB623_6
; %bb.5:
	s_mov_b32 s3, 0
	s_lshl_b64 s[6:7], s[2:3], 1
	v_add_co_u32 v4, s1, v4, s6
	v_add_co_ci_u32_e64 v5, null, s7, v5, s1
	v_add_co_u32 v2, s1, v2, s6
	v_add_co_ci_u32_e64 v3, null, s7, v3, s1
	global_load_ushort v4, v[4:5], off
	global_load_ushort v2, v[2:3], off
	s_waitcnt vmcnt(1)
	v_lshlrev_b32_e32 v9, 16, v4
	s_waitcnt vmcnt(0)
	v_lshlrev_b32_e32 v10, 16, v2
.LBB623_6:
	s_or_b32 exec_lo, exec_lo, s4
	v_mbcnt_lo_u32_b32 v2, -1, 0
	v_add_f32_e32 v5, 0, v8
	v_add_f32_e32 v11, 0, v9
	v_and_b32_e32 v3, 28, v2
	v_xor_b32_e32 v4, 2, v2
	v_add_nc_u32_e32 v3, 4, v3
	v_cmp_lt_i32_e64 s1, v4, v3
	v_cndmask_b32_e64 v4, v2, v4, s1
	v_lshlrev_b32_e32 v4, 2, v4
	ds_bpermute_b32 v12, v4, v5
	ds_bpermute_b32 v13, v4, v11
	v_xor_b32_e32 v4, 1, v2
	v_cmp_lt_i32_e64 s1, v4, v3
	v_cndmask_b32_e64 v2, v2, v4, s1
	v_lshlrev_b32_e32 v3, 2, v2
	s_waitcnt lgkmcnt(1)
	v_add_f32_e32 v4, v5, v12
	s_waitcnt lgkmcnt(0)
	v_add_f32_e32 v2, v11, v13
	ds_bpermute_b32 v5, v3, v4
	ds_bpermute_b32 v3, v3, v2
	s_and_saveexec_b32 s1, vcc_lo
	s_cbranch_execz .LBB623_11
; %bb.7:
	v_add_co_u32 v0, vcc_lo, s8, v0
	v_add_co_ci_u32_e64 v1, null, s9, v1, vcc_lo
	s_and_saveexec_b32 s1, s0
	s_cbranch_execz .LBB623_9
; %bb.8:
	s_waitcnt lgkmcnt(1)
	v_add_f32_e32 v4, v4, v5
	v_fma_f32 v4, -v7, v4, v8
	v_bfe_u32 v5, v4, 16, 1
	v_cmp_o_f32_e32 vcc_lo, v4, v4
	v_add3_u32 v4, v4, v5, 0x7fff
	v_mov_b32_e32 v5, 0x7fc0
	v_cndmask_b32_sdwa v4, v5, v4, vcc_lo dst_sel:DWORD dst_unused:UNUSED_PAD src0_sel:DWORD src1_sel:WORD_1
	global_store_short v[0:1], v4, off
.LBB623_9:
	s_or_b32 exec_lo, exec_lo, s1
	v_cmp_ne_u32_e32 vcc_lo, 1, v6
	s_and_b32 s0, vcc_lo, s0
	s_and_b32 exec_lo, exec_lo, s0
	s_cbranch_execz .LBB623_11
; %bb.10:
	s_waitcnt lgkmcnt(0)
	v_add_f32_e32 v2, v2, v3
	s_mov_b32 s3, 0
	v_mov_b32_e32 v4, 0x7fc0
	s_lshl_b64 s[0:1], s[2:3], 1
	v_add_co_u32 v0, s0, v0, s0
	v_fma_f32 v2, -v10, v2, v9
	v_add_co_ci_u32_e64 v1, null, s1, v1, s0
	v_bfe_u32 v3, v2, 16, 1
	v_cmp_o_f32_e32 vcc_lo, v2, v2
	v_add3_u32 v2, v2, v3, 0x7fff
	v_cndmask_b32_sdwa v2, v4, v2, vcc_lo dst_sel:DWORD dst_unused:UNUSED_PAD src0_sel:DWORD src1_sel:WORD_1
	global_store_short v[0:1], v2, off
.LBB623_11:
	s_endpgm
	.section	.rodata,"a",@progbits
	.p2align	6, 0x0
	.amdhsa_kernel _ZN12_GLOBAL__N_121softmax_warp_backwardIN3c108BFloat16ES2_fLi2ELb0ELb0ELi32EEEvPT0_PKT_S7_iiiPKb
		.amdhsa_group_segment_fixed_size 0
		.amdhsa_private_segment_fixed_size 0
		.amdhsa_kernarg_size 304
		.amdhsa_user_sgpr_count 6
		.amdhsa_user_sgpr_private_segment_buffer 1
		.amdhsa_user_sgpr_dispatch_ptr 0
		.amdhsa_user_sgpr_queue_ptr 0
		.amdhsa_user_sgpr_kernarg_segment_ptr 1
		.amdhsa_user_sgpr_dispatch_id 0
		.amdhsa_user_sgpr_flat_scratch_init 0
		.amdhsa_user_sgpr_private_segment_size 0
		.amdhsa_wavefront_size32 1
		.amdhsa_uses_dynamic_stack 0
		.amdhsa_system_sgpr_private_segment_wavefront_offset 0
		.amdhsa_system_sgpr_workgroup_id_x 1
		.amdhsa_system_sgpr_workgroup_id_y 0
		.amdhsa_system_sgpr_workgroup_id_z 0
		.amdhsa_system_sgpr_workgroup_info 0
		.amdhsa_system_vgpr_workitem_id 1
		.amdhsa_next_free_vgpr 14
		.amdhsa_next_free_sgpr 12
		.amdhsa_reserve_vcc 1
		.amdhsa_reserve_flat_scratch 0
		.amdhsa_float_round_mode_32 0
		.amdhsa_float_round_mode_16_64 0
		.amdhsa_float_denorm_mode_32 3
		.amdhsa_float_denorm_mode_16_64 3
		.amdhsa_dx10_clamp 1
		.amdhsa_ieee_mode 1
		.amdhsa_fp16_overflow 0
		.amdhsa_workgroup_processor_mode 1
		.amdhsa_memory_ordered 1
		.amdhsa_forward_progress 1
		.amdhsa_shared_vgpr_count 0
		.amdhsa_exception_fp_ieee_invalid_op 0
		.amdhsa_exception_fp_denorm_src 0
		.amdhsa_exception_fp_ieee_div_zero 0
		.amdhsa_exception_fp_ieee_overflow 0
		.amdhsa_exception_fp_ieee_underflow 0
		.amdhsa_exception_fp_ieee_inexact 0
		.amdhsa_exception_int_div_zero 0
	.end_amdhsa_kernel
	.section	.text._ZN12_GLOBAL__N_121softmax_warp_backwardIN3c108BFloat16ES2_fLi2ELb0ELb0ELi32EEEvPT0_PKT_S7_iiiPKb,"axG",@progbits,_ZN12_GLOBAL__N_121softmax_warp_backwardIN3c108BFloat16ES2_fLi2ELb0ELb0ELi32EEEvPT0_PKT_S7_iiiPKb,comdat
.Lfunc_end623:
	.size	_ZN12_GLOBAL__N_121softmax_warp_backwardIN3c108BFloat16ES2_fLi2ELb0ELb0ELi32EEEvPT0_PKT_S7_iiiPKb, .Lfunc_end623-_ZN12_GLOBAL__N_121softmax_warp_backwardIN3c108BFloat16ES2_fLi2ELb0ELb0ELi32EEEvPT0_PKT_S7_iiiPKb
                                        ; -- End function
	.set _ZN12_GLOBAL__N_121softmax_warp_backwardIN3c108BFloat16ES2_fLi2ELb0ELb0ELi32EEEvPT0_PKT_S7_iiiPKb.num_vgpr, 14
	.set _ZN12_GLOBAL__N_121softmax_warp_backwardIN3c108BFloat16ES2_fLi2ELb0ELb0ELi32EEEvPT0_PKT_S7_iiiPKb.num_agpr, 0
	.set _ZN12_GLOBAL__N_121softmax_warp_backwardIN3c108BFloat16ES2_fLi2ELb0ELb0ELi32EEEvPT0_PKT_S7_iiiPKb.numbered_sgpr, 12
	.set _ZN12_GLOBAL__N_121softmax_warp_backwardIN3c108BFloat16ES2_fLi2ELb0ELb0ELi32EEEvPT0_PKT_S7_iiiPKb.num_named_barrier, 0
	.set _ZN12_GLOBAL__N_121softmax_warp_backwardIN3c108BFloat16ES2_fLi2ELb0ELb0ELi32EEEvPT0_PKT_S7_iiiPKb.private_seg_size, 0
	.set _ZN12_GLOBAL__N_121softmax_warp_backwardIN3c108BFloat16ES2_fLi2ELb0ELb0ELi32EEEvPT0_PKT_S7_iiiPKb.uses_vcc, 1
	.set _ZN12_GLOBAL__N_121softmax_warp_backwardIN3c108BFloat16ES2_fLi2ELb0ELb0ELi32EEEvPT0_PKT_S7_iiiPKb.uses_flat_scratch, 0
	.set _ZN12_GLOBAL__N_121softmax_warp_backwardIN3c108BFloat16ES2_fLi2ELb0ELb0ELi32EEEvPT0_PKT_S7_iiiPKb.has_dyn_sized_stack, 0
	.set _ZN12_GLOBAL__N_121softmax_warp_backwardIN3c108BFloat16ES2_fLi2ELb0ELb0ELi32EEEvPT0_PKT_S7_iiiPKb.has_recursion, 0
	.set _ZN12_GLOBAL__N_121softmax_warp_backwardIN3c108BFloat16ES2_fLi2ELb0ELb0ELi32EEEvPT0_PKT_S7_iiiPKb.has_indirect_call, 0
	.section	.AMDGPU.csdata,"",@progbits
; Kernel info:
; codeLenInByte = 644
; TotalNumSgprs: 14
; NumVgprs: 14
; ScratchSize: 0
; MemoryBound: 0
; FloatMode: 240
; IeeeMode: 1
; LDSByteSize: 0 bytes/workgroup (compile time only)
; SGPRBlocks: 0
; VGPRBlocks: 1
; NumSGPRsForWavesPerEU: 14
; NumVGPRsForWavesPerEU: 14
; Occupancy: 16
; WaveLimiterHint : 0
; COMPUTE_PGM_RSRC2:SCRATCH_EN: 0
; COMPUTE_PGM_RSRC2:USER_SGPR: 6
; COMPUTE_PGM_RSRC2:TRAP_HANDLER: 0
; COMPUTE_PGM_RSRC2:TGID_X_EN: 1
; COMPUTE_PGM_RSRC2:TGID_Y_EN: 0
; COMPUTE_PGM_RSRC2:TGID_Z_EN: 0
; COMPUTE_PGM_RSRC2:TIDIG_COMP_CNT: 1
	.section	.text._ZN12_GLOBAL__N_121softmax_warp_backwardIN3c108BFloat16ES2_fLi3ELb0ELb0ELi64EEEvPT0_PKT_S7_iiiPKb,"axG",@progbits,_ZN12_GLOBAL__N_121softmax_warp_backwardIN3c108BFloat16ES2_fLi3ELb0ELb0ELi64EEEvPT0_PKT_S7_iiiPKb,comdat
	.globl	_ZN12_GLOBAL__N_121softmax_warp_backwardIN3c108BFloat16ES2_fLi3ELb0ELb0ELi64EEEvPT0_PKT_S7_iiiPKb ; -- Begin function _ZN12_GLOBAL__N_121softmax_warp_backwardIN3c108BFloat16ES2_fLi3ELb0ELb0ELi64EEEvPT0_PKT_S7_iiiPKb
	.p2align	8
	.type	_ZN12_GLOBAL__N_121softmax_warp_backwardIN3c108BFloat16ES2_fLi3ELb0ELb0ELi64EEEvPT0_PKT_S7_iiiPKb,@function
_ZN12_GLOBAL__N_121softmax_warp_backwardIN3c108BFloat16ES2_fLi3ELb0ELb0ELi64EEEvPT0_PKT_S7_iiiPKb: ; @_ZN12_GLOBAL__N_121softmax_warp_backwardIN3c108BFloat16ES2_fLi3ELb0ELb0ELi64EEEvPT0_PKT_S7_iiiPKb
; %bb.0:
	s_clause 0x1
	s_load_dword s7, s[4:5], 0x3c
	s_load_dwordx4 s[0:3], s[4:5], 0x18
	v_and_b32_e32 v2, 7, v0
	s_clause 0x1
	s_load_dwordx4 s[8:11], s[4:5], 0x0
	s_load_dwordx2 s[4:5], s[4:5], 0x10
	v_mov_b32_e32 v7, 0
	v_mov_b32_e32 v8, 0
	s_waitcnt lgkmcnt(0)
	s_lshr_b32 s3, s7, 16
	s_and_b32 s3, s3, 0xffff
	s_mul_i32 s6, s6, s3
	v_add_lshl_u32 v3, s6, v1, 1
	v_mad_u64_u32 v[0:1], null, v3, s1, v[2:3]
	v_sub_nc_u32_e32 v6, s0, v3
	v_cmp_gt_i32_e64 s0, s2, v2
	v_cmp_lt_i32_e32 vcc_lo, 0, v6
	v_ashrrev_i32_e32 v1, 31, v0
	s_and_b32 s3, s0, vcc_lo
	v_lshlrev_b64 v[0:1], 1, v[0:1]
	v_add_co_u32 v4, s1, s10, v0
	v_add_co_ci_u32_e64 v5, null, s11, v1, s1
	v_add_co_u32 v2, s1, s4, v0
	v_add_co_ci_u32_e64 v3, null, s5, v1, s1
	s_and_saveexec_b32 s1, s3
	s_cbranch_execz .LBB624_2
; %bb.1:
	global_load_ushort v7, v[4:5], off
	global_load_ushort v9, v[2:3], off
	s_waitcnt vmcnt(1)
	v_lshlrev_b32_e32 v8, 16, v7
	s_waitcnt vmcnt(0)
	v_lshlrev_b32_e32 v7, 16, v9
.LBB624_2:
	s_or_b32 exec_lo, exec_lo, s1
	v_cmp_gt_i32_e64 s1, 2, v6
	s_xor_b32 s3, s0, -1
	s_or_b32 s1, s3, s1
	s_and_saveexec_b32 s3, s1
	s_xor_b32 s1, exec_lo, s3
                                        ; implicit-def: $vgpr9
; %bb.3:
	v_mov_b32_e32 v9, 0
                                        ; implicit-def: $vgpr2
                                        ; implicit-def: $vgpr4
; %bb.4:
	s_or_saveexec_b32 s4, s1
	v_mov_b32_e32 v10, 0
	s_xor_b32 exec_lo, exec_lo, s4
	s_cbranch_execz .LBB624_6
; %bb.5:
	s_mov_b32 s3, 0
	s_lshl_b64 s[6:7], s[2:3], 1
	v_add_co_u32 v4, s1, v4, s6
	v_add_co_ci_u32_e64 v5, null, s7, v5, s1
	v_add_co_u32 v2, s1, v2, s6
	v_add_co_ci_u32_e64 v3, null, s7, v3, s1
	global_load_ushort v4, v[4:5], off
	global_load_ushort v2, v[2:3], off
	s_waitcnt vmcnt(1)
	v_lshlrev_b32_e32 v9, 16, v4
	s_waitcnt vmcnt(0)
	v_lshlrev_b32_e32 v10, 16, v2
.LBB624_6:
	s_or_b32 exec_lo, exec_lo, s4
	v_mbcnt_lo_u32_b32 v2, -1, 0
	v_add_f32_e32 v5, 0, v8
	v_add_f32_e32 v11, 0, v9
	v_and_b32_e32 v3, 24, v2
	v_xor_b32_e32 v4, 4, v2
	v_xor_b32_e32 v13, 2, v2
	v_add_nc_u32_e32 v3, 8, v3
	v_cmp_lt_i32_e64 s1, v4, v3
	v_cndmask_b32_e64 v4, v2, v4, s1
	v_cmp_lt_i32_e64 s1, v13, v3
	v_lshlrev_b32_e32 v4, 2, v4
	v_cndmask_b32_e64 v13, v2, v13, s1
	ds_bpermute_b32 v12, v4, v5
	ds_bpermute_b32 v4, v4, v11
	v_lshlrev_b32_e32 v13, 2, v13
	s_waitcnt lgkmcnt(1)
	v_add_f32_e32 v5, v5, v12
	s_waitcnt lgkmcnt(0)
	v_add_f32_e32 v11, v11, v4
	ds_bpermute_b32 v4, v13, v5
	ds_bpermute_b32 v12, v13, v11
	v_xor_b32_e32 v13, 1, v2
	v_cmp_lt_i32_e64 s1, v13, v3
	v_cndmask_b32_e64 v2, v2, v13, s1
	v_lshlrev_b32_e32 v3, 2, v2
	s_waitcnt lgkmcnt(1)
	v_add_f32_e32 v4, v5, v4
	s_waitcnt lgkmcnt(0)
	v_add_f32_e32 v2, v11, v12
	ds_bpermute_b32 v5, v3, v4
	ds_bpermute_b32 v3, v3, v2
	s_and_saveexec_b32 s1, vcc_lo
	s_cbranch_execz .LBB624_11
; %bb.7:
	v_add_co_u32 v0, vcc_lo, s8, v0
	v_add_co_ci_u32_e64 v1, null, s9, v1, vcc_lo
	s_and_saveexec_b32 s1, s0
	s_cbranch_execz .LBB624_9
; %bb.8:
	s_waitcnt lgkmcnt(1)
	v_add_f32_e32 v4, v4, v5
	v_fma_f32 v4, -v7, v4, v8
	v_bfe_u32 v5, v4, 16, 1
	v_cmp_o_f32_e32 vcc_lo, v4, v4
	v_add3_u32 v4, v4, v5, 0x7fff
	v_mov_b32_e32 v5, 0x7fc0
	v_cndmask_b32_sdwa v4, v5, v4, vcc_lo dst_sel:DWORD dst_unused:UNUSED_PAD src0_sel:DWORD src1_sel:WORD_1
	global_store_short v[0:1], v4, off
.LBB624_9:
	s_or_b32 exec_lo, exec_lo, s1
	v_cmp_ne_u32_e32 vcc_lo, 1, v6
	s_and_b32 s0, vcc_lo, s0
	s_and_b32 exec_lo, exec_lo, s0
	s_cbranch_execz .LBB624_11
; %bb.10:
	s_waitcnt lgkmcnt(0)
	v_add_f32_e32 v2, v2, v3
	s_mov_b32 s3, 0
	v_mov_b32_e32 v4, 0x7fc0
	s_lshl_b64 s[0:1], s[2:3], 1
	v_add_co_u32 v0, s0, v0, s0
	v_fma_f32 v2, -v10, v2, v9
	v_add_co_ci_u32_e64 v1, null, s1, v1, s0
	v_bfe_u32 v3, v2, 16, 1
	v_cmp_o_f32_e32 vcc_lo, v2, v2
	v_add3_u32 v2, v2, v3, 0x7fff
	v_cndmask_b32_sdwa v2, v4, v2, vcc_lo dst_sel:DWORD dst_unused:UNUSED_PAD src0_sel:DWORD src1_sel:WORD_1
	global_store_short v[0:1], v2, off
.LBB624_11:
	s_endpgm
	.section	.rodata,"a",@progbits
	.p2align	6, 0x0
	.amdhsa_kernel _ZN12_GLOBAL__N_121softmax_warp_backwardIN3c108BFloat16ES2_fLi3ELb0ELb0ELi64EEEvPT0_PKT_S7_iiiPKb
		.amdhsa_group_segment_fixed_size 0
		.amdhsa_private_segment_fixed_size 0
		.amdhsa_kernarg_size 304
		.amdhsa_user_sgpr_count 6
		.amdhsa_user_sgpr_private_segment_buffer 1
		.amdhsa_user_sgpr_dispatch_ptr 0
		.amdhsa_user_sgpr_queue_ptr 0
		.amdhsa_user_sgpr_kernarg_segment_ptr 1
		.amdhsa_user_sgpr_dispatch_id 0
		.amdhsa_user_sgpr_flat_scratch_init 0
		.amdhsa_user_sgpr_private_segment_size 0
		.amdhsa_wavefront_size32 1
		.amdhsa_uses_dynamic_stack 0
		.amdhsa_system_sgpr_private_segment_wavefront_offset 0
		.amdhsa_system_sgpr_workgroup_id_x 1
		.amdhsa_system_sgpr_workgroup_id_y 0
		.amdhsa_system_sgpr_workgroup_id_z 0
		.amdhsa_system_sgpr_workgroup_info 0
		.amdhsa_system_vgpr_workitem_id 1
		.amdhsa_next_free_vgpr 14
		.amdhsa_next_free_sgpr 12
		.amdhsa_reserve_vcc 1
		.amdhsa_reserve_flat_scratch 0
		.amdhsa_float_round_mode_32 0
		.amdhsa_float_round_mode_16_64 0
		.amdhsa_float_denorm_mode_32 3
		.amdhsa_float_denorm_mode_16_64 3
		.amdhsa_dx10_clamp 1
		.amdhsa_ieee_mode 1
		.amdhsa_fp16_overflow 0
		.amdhsa_workgroup_processor_mode 1
		.amdhsa_memory_ordered 1
		.amdhsa_forward_progress 1
		.amdhsa_shared_vgpr_count 0
		.amdhsa_exception_fp_ieee_invalid_op 0
		.amdhsa_exception_fp_denorm_src 0
		.amdhsa_exception_fp_ieee_div_zero 0
		.amdhsa_exception_fp_ieee_overflow 0
		.amdhsa_exception_fp_ieee_underflow 0
		.amdhsa_exception_fp_ieee_inexact 0
		.amdhsa_exception_int_div_zero 0
	.end_amdhsa_kernel
	.section	.text._ZN12_GLOBAL__N_121softmax_warp_backwardIN3c108BFloat16ES2_fLi3ELb0ELb0ELi64EEEvPT0_PKT_S7_iiiPKb,"axG",@progbits,_ZN12_GLOBAL__N_121softmax_warp_backwardIN3c108BFloat16ES2_fLi3ELb0ELb0ELi64EEEvPT0_PKT_S7_iiiPKb,comdat
.Lfunc_end624:
	.size	_ZN12_GLOBAL__N_121softmax_warp_backwardIN3c108BFloat16ES2_fLi3ELb0ELb0ELi64EEEvPT0_PKT_S7_iiiPKb, .Lfunc_end624-_ZN12_GLOBAL__N_121softmax_warp_backwardIN3c108BFloat16ES2_fLi3ELb0ELb0ELi64EEEvPT0_PKT_S7_iiiPKb
                                        ; -- End function
	.set _ZN12_GLOBAL__N_121softmax_warp_backwardIN3c108BFloat16ES2_fLi3ELb0ELb0ELi64EEEvPT0_PKT_S7_iiiPKb.num_vgpr, 14
	.set _ZN12_GLOBAL__N_121softmax_warp_backwardIN3c108BFloat16ES2_fLi3ELb0ELb0ELi64EEEvPT0_PKT_S7_iiiPKb.num_agpr, 0
	.set _ZN12_GLOBAL__N_121softmax_warp_backwardIN3c108BFloat16ES2_fLi3ELb0ELb0ELi64EEEvPT0_PKT_S7_iiiPKb.numbered_sgpr, 12
	.set _ZN12_GLOBAL__N_121softmax_warp_backwardIN3c108BFloat16ES2_fLi3ELb0ELb0ELi64EEEvPT0_PKT_S7_iiiPKb.num_named_barrier, 0
	.set _ZN12_GLOBAL__N_121softmax_warp_backwardIN3c108BFloat16ES2_fLi3ELb0ELb0ELi64EEEvPT0_PKT_S7_iiiPKb.private_seg_size, 0
	.set _ZN12_GLOBAL__N_121softmax_warp_backwardIN3c108BFloat16ES2_fLi3ELb0ELb0ELi64EEEvPT0_PKT_S7_iiiPKb.uses_vcc, 1
	.set _ZN12_GLOBAL__N_121softmax_warp_backwardIN3c108BFloat16ES2_fLi3ELb0ELb0ELi64EEEvPT0_PKT_S7_iiiPKb.uses_flat_scratch, 0
	.set _ZN12_GLOBAL__N_121softmax_warp_backwardIN3c108BFloat16ES2_fLi3ELb0ELb0ELi64EEEvPT0_PKT_S7_iiiPKb.has_dyn_sized_stack, 0
	.set _ZN12_GLOBAL__N_121softmax_warp_backwardIN3c108BFloat16ES2_fLi3ELb0ELb0ELi64EEEvPT0_PKT_S7_iiiPKb.has_recursion, 0
	.set _ZN12_GLOBAL__N_121softmax_warp_backwardIN3c108BFloat16ES2_fLi3ELb0ELb0ELi64EEEvPT0_PKT_S7_iiiPKb.has_indirect_call, 0
	.section	.AMDGPU.csdata,"",@progbits
; Kernel info:
; codeLenInByte = 700
; TotalNumSgprs: 14
; NumVgprs: 14
; ScratchSize: 0
; MemoryBound: 0
; FloatMode: 240
; IeeeMode: 1
; LDSByteSize: 0 bytes/workgroup (compile time only)
; SGPRBlocks: 0
; VGPRBlocks: 1
; NumSGPRsForWavesPerEU: 14
; NumVGPRsForWavesPerEU: 14
; Occupancy: 16
; WaveLimiterHint : 0
; COMPUTE_PGM_RSRC2:SCRATCH_EN: 0
; COMPUTE_PGM_RSRC2:USER_SGPR: 6
; COMPUTE_PGM_RSRC2:TRAP_HANDLER: 0
; COMPUTE_PGM_RSRC2:TGID_X_EN: 1
; COMPUTE_PGM_RSRC2:TGID_Y_EN: 0
; COMPUTE_PGM_RSRC2:TGID_Z_EN: 0
; COMPUTE_PGM_RSRC2:TIDIG_COMP_CNT: 1
	.section	.text._ZN12_GLOBAL__N_121softmax_warp_backwardIN3c108BFloat16ES2_fLi3ELb0ELb0ELi32EEEvPT0_PKT_S7_iiiPKb,"axG",@progbits,_ZN12_GLOBAL__N_121softmax_warp_backwardIN3c108BFloat16ES2_fLi3ELb0ELb0ELi32EEEvPT0_PKT_S7_iiiPKb,comdat
	.globl	_ZN12_GLOBAL__N_121softmax_warp_backwardIN3c108BFloat16ES2_fLi3ELb0ELb0ELi32EEEvPT0_PKT_S7_iiiPKb ; -- Begin function _ZN12_GLOBAL__N_121softmax_warp_backwardIN3c108BFloat16ES2_fLi3ELb0ELb0ELi32EEEvPT0_PKT_S7_iiiPKb
	.p2align	8
	.type	_ZN12_GLOBAL__N_121softmax_warp_backwardIN3c108BFloat16ES2_fLi3ELb0ELb0ELi32EEEvPT0_PKT_S7_iiiPKb,@function
_ZN12_GLOBAL__N_121softmax_warp_backwardIN3c108BFloat16ES2_fLi3ELb0ELb0ELi32EEEvPT0_PKT_S7_iiiPKb: ; @_ZN12_GLOBAL__N_121softmax_warp_backwardIN3c108BFloat16ES2_fLi3ELb0ELb0ELi32EEEvPT0_PKT_S7_iiiPKb
; %bb.0:
	s_clause 0x1
	s_load_dword s7, s[4:5], 0x3c
	s_load_dwordx4 s[0:3], s[4:5], 0x18
	v_and_b32_e32 v2, 7, v0
	s_clause 0x1
	s_load_dwordx4 s[8:11], s[4:5], 0x0
	s_load_dwordx2 s[4:5], s[4:5], 0x10
	v_mov_b32_e32 v7, 0
	v_mov_b32_e32 v8, 0
	s_waitcnt lgkmcnt(0)
	s_lshr_b32 s3, s7, 16
	s_and_b32 s3, s3, 0xffff
	s_mul_i32 s6, s6, s3
	v_add_lshl_u32 v3, s6, v1, 1
	v_mad_u64_u32 v[0:1], null, v3, s1, v[2:3]
	v_sub_nc_u32_e32 v6, s0, v3
	v_cmp_gt_i32_e64 s0, s2, v2
	v_cmp_lt_i32_e32 vcc_lo, 0, v6
	v_ashrrev_i32_e32 v1, 31, v0
	s_and_b32 s3, s0, vcc_lo
	v_lshlrev_b64 v[0:1], 1, v[0:1]
	v_add_co_u32 v4, s1, s10, v0
	v_add_co_ci_u32_e64 v5, null, s11, v1, s1
	v_add_co_u32 v2, s1, s4, v0
	v_add_co_ci_u32_e64 v3, null, s5, v1, s1
	s_and_saveexec_b32 s1, s3
	s_cbranch_execz .LBB625_2
; %bb.1:
	global_load_ushort v7, v[4:5], off
	global_load_ushort v9, v[2:3], off
	s_waitcnt vmcnt(1)
	v_lshlrev_b32_e32 v8, 16, v7
	s_waitcnt vmcnt(0)
	v_lshlrev_b32_e32 v7, 16, v9
.LBB625_2:
	s_or_b32 exec_lo, exec_lo, s1
	v_cmp_gt_i32_e64 s1, 2, v6
	s_xor_b32 s3, s0, -1
	s_or_b32 s1, s3, s1
	s_and_saveexec_b32 s3, s1
	s_xor_b32 s1, exec_lo, s3
                                        ; implicit-def: $vgpr9
; %bb.3:
	v_mov_b32_e32 v9, 0
                                        ; implicit-def: $vgpr2
                                        ; implicit-def: $vgpr4
; %bb.4:
	s_or_saveexec_b32 s4, s1
	v_mov_b32_e32 v10, 0
	s_xor_b32 exec_lo, exec_lo, s4
	s_cbranch_execz .LBB625_6
; %bb.5:
	s_mov_b32 s3, 0
	s_lshl_b64 s[6:7], s[2:3], 1
	v_add_co_u32 v4, s1, v4, s6
	v_add_co_ci_u32_e64 v5, null, s7, v5, s1
	v_add_co_u32 v2, s1, v2, s6
	v_add_co_ci_u32_e64 v3, null, s7, v3, s1
	global_load_ushort v4, v[4:5], off
	global_load_ushort v2, v[2:3], off
	s_waitcnt vmcnt(1)
	v_lshlrev_b32_e32 v9, 16, v4
	s_waitcnt vmcnt(0)
	v_lshlrev_b32_e32 v10, 16, v2
.LBB625_6:
	s_or_b32 exec_lo, exec_lo, s4
	v_mbcnt_lo_u32_b32 v2, -1, 0
	v_add_f32_e32 v5, 0, v8
	v_add_f32_e32 v11, 0, v9
	v_and_b32_e32 v3, 24, v2
	v_xor_b32_e32 v4, 4, v2
	v_xor_b32_e32 v13, 2, v2
	v_add_nc_u32_e32 v3, 8, v3
	v_cmp_lt_i32_e64 s1, v4, v3
	v_cndmask_b32_e64 v4, v2, v4, s1
	v_cmp_lt_i32_e64 s1, v13, v3
	v_lshlrev_b32_e32 v4, 2, v4
	v_cndmask_b32_e64 v13, v2, v13, s1
	ds_bpermute_b32 v12, v4, v5
	ds_bpermute_b32 v4, v4, v11
	v_lshlrev_b32_e32 v13, 2, v13
	s_waitcnt lgkmcnt(1)
	v_add_f32_e32 v5, v5, v12
	s_waitcnt lgkmcnt(0)
	v_add_f32_e32 v11, v11, v4
	ds_bpermute_b32 v4, v13, v5
	ds_bpermute_b32 v12, v13, v11
	v_xor_b32_e32 v13, 1, v2
	v_cmp_lt_i32_e64 s1, v13, v3
	v_cndmask_b32_e64 v2, v2, v13, s1
	v_lshlrev_b32_e32 v3, 2, v2
	s_waitcnt lgkmcnt(1)
	v_add_f32_e32 v4, v5, v4
	s_waitcnt lgkmcnt(0)
	v_add_f32_e32 v2, v11, v12
	ds_bpermute_b32 v5, v3, v4
	ds_bpermute_b32 v3, v3, v2
	s_and_saveexec_b32 s1, vcc_lo
	s_cbranch_execz .LBB625_11
; %bb.7:
	v_add_co_u32 v0, vcc_lo, s8, v0
	v_add_co_ci_u32_e64 v1, null, s9, v1, vcc_lo
	s_and_saveexec_b32 s1, s0
	s_cbranch_execz .LBB625_9
; %bb.8:
	s_waitcnt lgkmcnt(1)
	v_add_f32_e32 v4, v4, v5
	v_fma_f32 v4, -v7, v4, v8
	v_bfe_u32 v5, v4, 16, 1
	v_cmp_o_f32_e32 vcc_lo, v4, v4
	v_add3_u32 v4, v4, v5, 0x7fff
	v_mov_b32_e32 v5, 0x7fc0
	v_cndmask_b32_sdwa v4, v5, v4, vcc_lo dst_sel:DWORD dst_unused:UNUSED_PAD src0_sel:DWORD src1_sel:WORD_1
	global_store_short v[0:1], v4, off
.LBB625_9:
	s_or_b32 exec_lo, exec_lo, s1
	v_cmp_ne_u32_e32 vcc_lo, 1, v6
	s_and_b32 s0, vcc_lo, s0
	s_and_b32 exec_lo, exec_lo, s0
	s_cbranch_execz .LBB625_11
; %bb.10:
	s_waitcnt lgkmcnt(0)
	v_add_f32_e32 v2, v2, v3
	s_mov_b32 s3, 0
	v_mov_b32_e32 v4, 0x7fc0
	s_lshl_b64 s[0:1], s[2:3], 1
	v_add_co_u32 v0, s0, v0, s0
	v_fma_f32 v2, -v10, v2, v9
	v_add_co_ci_u32_e64 v1, null, s1, v1, s0
	v_bfe_u32 v3, v2, 16, 1
	v_cmp_o_f32_e32 vcc_lo, v2, v2
	v_add3_u32 v2, v2, v3, 0x7fff
	v_cndmask_b32_sdwa v2, v4, v2, vcc_lo dst_sel:DWORD dst_unused:UNUSED_PAD src0_sel:DWORD src1_sel:WORD_1
	global_store_short v[0:1], v2, off
.LBB625_11:
	s_endpgm
	.section	.rodata,"a",@progbits
	.p2align	6, 0x0
	.amdhsa_kernel _ZN12_GLOBAL__N_121softmax_warp_backwardIN3c108BFloat16ES2_fLi3ELb0ELb0ELi32EEEvPT0_PKT_S7_iiiPKb
		.amdhsa_group_segment_fixed_size 0
		.amdhsa_private_segment_fixed_size 0
		.amdhsa_kernarg_size 304
		.amdhsa_user_sgpr_count 6
		.amdhsa_user_sgpr_private_segment_buffer 1
		.amdhsa_user_sgpr_dispatch_ptr 0
		.amdhsa_user_sgpr_queue_ptr 0
		.amdhsa_user_sgpr_kernarg_segment_ptr 1
		.amdhsa_user_sgpr_dispatch_id 0
		.amdhsa_user_sgpr_flat_scratch_init 0
		.amdhsa_user_sgpr_private_segment_size 0
		.amdhsa_wavefront_size32 1
		.amdhsa_uses_dynamic_stack 0
		.amdhsa_system_sgpr_private_segment_wavefront_offset 0
		.amdhsa_system_sgpr_workgroup_id_x 1
		.amdhsa_system_sgpr_workgroup_id_y 0
		.amdhsa_system_sgpr_workgroup_id_z 0
		.amdhsa_system_sgpr_workgroup_info 0
		.amdhsa_system_vgpr_workitem_id 1
		.amdhsa_next_free_vgpr 14
		.amdhsa_next_free_sgpr 12
		.amdhsa_reserve_vcc 1
		.amdhsa_reserve_flat_scratch 0
		.amdhsa_float_round_mode_32 0
		.amdhsa_float_round_mode_16_64 0
		.amdhsa_float_denorm_mode_32 3
		.amdhsa_float_denorm_mode_16_64 3
		.amdhsa_dx10_clamp 1
		.amdhsa_ieee_mode 1
		.amdhsa_fp16_overflow 0
		.amdhsa_workgroup_processor_mode 1
		.amdhsa_memory_ordered 1
		.amdhsa_forward_progress 1
		.amdhsa_shared_vgpr_count 0
		.amdhsa_exception_fp_ieee_invalid_op 0
		.amdhsa_exception_fp_denorm_src 0
		.amdhsa_exception_fp_ieee_div_zero 0
		.amdhsa_exception_fp_ieee_overflow 0
		.amdhsa_exception_fp_ieee_underflow 0
		.amdhsa_exception_fp_ieee_inexact 0
		.amdhsa_exception_int_div_zero 0
	.end_amdhsa_kernel
	.section	.text._ZN12_GLOBAL__N_121softmax_warp_backwardIN3c108BFloat16ES2_fLi3ELb0ELb0ELi32EEEvPT0_PKT_S7_iiiPKb,"axG",@progbits,_ZN12_GLOBAL__N_121softmax_warp_backwardIN3c108BFloat16ES2_fLi3ELb0ELb0ELi32EEEvPT0_PKT_S7_iiiPKb,comdat
.Lfunc_end625:
	.size	_ZN12_GLOBAL__N_121softmax_warp_backwardIN3c108BFloat16ES2_fLi3ELb0ELb0ELi32EEEvPT0_PKT_S7_iiiPKb, .Lfunc_end625-_ZN12_GLOBAL__N_121softmax_warp_backwardIN3c108BFloat16ES2_fLi3ELb0ELb0ELi32EEEvPT0_PKT_S7_iiiPKb
                                        ; -- End function
	.set _ZN12_GLOBAL__N_121softmax_warp_backwardIN3c108BFloat16ES2_fLi3ELb0ELb0ELi32EEEvPT0_PKT_S7_iiiPKb.num_vgpr, 14
	.set _ZN12_GLOBAL__N_121softmax_warp_backwardIN3c108BFloat16ES2_fLi3ELb0ELb0ELi32EEEvPT0_PKT_S7_iiiPKb.num_agpr, 0
	.set _ZN12_GLOBAL__N_121softmax_warp_backwardIN3c108BFloat16ES2_fLi3ELb0ELb0ELi32EEEvPT0_PKT_S7_iiiPKb.numbered_sgpr, 12
	.set _ZN12_GLOBAL__N_121softmax_warp_backwardIN3c108BFloat16ES2_fLi3ELb0ELb0ELi32EEEvPT0_PKT_S7_iiiPKb.num_named_barrier, 0
	.set _ZN12_GLOBAL__N_121softmax_warp_backwardIN3c108BFloat16ES2_fLi3ELb0ELb0ELi32EEEvPT0_PKT_S7_iiiPKb.private_seg_size, 0
	.set _ZN12_GLOBAL__N_121softmax_warp_backwardIN3c108BFloat16ES2_fLi3ELb0ELb0ELi32EEEvPT0_PKT_S7_iiiPKb.uses_vcc, 1
	.set _ZN12_GLOBAL__N_121softmax_warp_backwardIN3c108BFloat16ES2_fLi3ELb0ELb0ELi32EEEvPT0_PKT_S7_iiiPKb.uses_flat_scratch, 0
	.set _ZN12_GLOBAL__N_121softmax_warp_backwardIN3c108BFloat16ES2_fLi3ELb0ELb0ELi32EEEvPT0_PKT_S7_iiiPKb.has_dyn_sized_stack, 0
	.set _ZN12_GLOBAL__N_121softmax_warp_backwardIN3c108BFloat16ES2_fLi3ELb0ELb0ELi32EEEvPT0_PKT_S7_iiiPKb.has_recursion, 0
	.set _ZN12_GLOBAL__N_121softmax_warp_backwardIN3c108BFloat16ES2_fLi3ELb0ELb0ELi32EEEvPT0_PKT_S7_iiiPKb.has_indirect_call, 0
	.section	.AMDGPU.csdata,"",@progbits
; Kernel info:
; codeLenInByte = 700
; TotalNumSgprs: 14
; NumVgprs: 14
; ScratchSize: 0
; MemoryBound: 0
; FloatMode: 240
; IeeeMode: 1
; LDSByteSize: 0 bytes/workgroup (compile time only)
; SGPRBlocks: 0
; VGPRBlocks: 1
; NumSGPRsForWavesPerEU: 14
; NumVGPRsForWavesPerEU: 14
; Occupancy: 16
; WaveLimiterHint : 0
; COMPUTE_PGM_RSRC2:SCRATCH_EN: 0
; COMPUTE_PGM_RSRC2:USER_SGPR: 6
; COMPUTE_PGM_RSRC2:TRAP_HANDLER: 0
; COMPUTE_PGM_RSRC2:TGID_X_EN: 1
; COMPUTE_PGM_RSRC2:TGID_Y_EN: 0
; COMPUTE_PGM_RSRC2:TGID_Z_EN: 0
; COMPUTE_PGM_RSRC2:TIDIG_COMP_CNT: 1
	.section	.text._ZN12_GLOBAL__N_121softmax_warp_backwardIN3c108BFloat16ES2_fLi4ELb0ELb0ELi64EEEvPT0_PKT_S7_iiiPKb,"axG",@progbits,_ZN12_GLOBAL__N_121softmax_warp_backwardIN3c108BFloat16ES2_fLi4ELb0ELb0ELi64EEEvPT0_PKT_S7_iiiPKb,comdat
	.globl	_ZN12_GLOBAL__N_121softmax_warp_backwardIN3c108BFloat16ES2_fLi4ELb0ELb0ELi64EEEvPT0_PKT_S7_iiiPKb ; -- Begin function _ZN12_GLOBAL__N_121softmax_warp_backwardIN3c108BFloat16ES2_fLi4ELb0ELb0ELi64EEEvPT0_PKT_S7_iiiPKb
	.p2align	8
	.type	_ZN12_GLOBAL__N_121softmax_warp_backwardIN3c108BFloat16ES2_fLi4ELb0ELb0ELi64EEEvPT0_PKT_S7_iiiPKb,@function
_ZN12_GLOBAL__N_121softmax_warp_backwardIN3c108BFloat16ES2_fLi4ELb0ELb0ELi64EEEvPT0_PKT_S7_iiiPKb: ; @_ZN12_GLOBAL__N_121softmax_warp_backwardIN3c108BFloat16ES2_fLi4ELb0ELb0ELi64EEEvPT0_PKT_S7_iiiPKb
; %bb.0:
	s_clause 0x1
	s_load_dword s7, s[4:5], 0x3c
	s_load_dwordx4 s[0:3], s[4:5], 0x18
	v_and_b32_e32 v2, 15, v0
	s_clause 0x1
	s_load_dwordx4 s[8:11], s[4:5], 0x0
	s_load_dwordx2 s[4:5], s[4:5], 0x10
	v_mov_b32_e32 v7, 0
	v_mov_b32_e32 v8, 0
	s_waitcnt lgkmcnt(0)
	s_lshr_b32 s3, s7, 16
	s_and_b32 s3, s3, 0xffff
	s_mul_i32 s6, s6, s3
	v_add_lshl_u32 v3, s6, v1, 1
	v_mad_u64_u32 v[0:1], null, v3, s1, v[2:3]
	v_sub_nc_u32_e32 v6, s0, v3
	v_cmp_gt_i32_e64 s0, s2, v2
	v_cmp_lt_i32_e32 vcc_lo, 0, v6
	v_ashrrev_i32_e32 v1, 31, v0
	s_and_b32 s3, s0, vcc_lo
	v_lshlrev_b64 v[0:1], 1, v[0:1]
	v_add_co_u32 v4, s1, s10, v0
	v_add_co_ci_u32_e64 v5, null, s11, v1, s1
	v_add_co_u32 v2, s1, s4, v0
	v_add_co_ci_u32_e64 v3, null, s5, v1, s1
	s_and_saveexec_b32 s1, s3
	s_cbranch_execz .LBB626_2
; %bb.1:
	global_load_ushort v7, v[4:5], off
	global_load_ushort v9, v[2:3], off
	s_waitcnt vmcnt(1)
	v_lshlrev_b32_e32 v8, 16, v7
	s_waitcnt vmcnt(0)
	v_lshlrev_b32_e32 v7, 16, v9
.LBB626_2:
	s_or_b32 exec_lo, exec_lo, s1
	v_cmp_gt_i32_e64 s1, 2, v6
	s_xor_b32 s3, s0, -1
	s_or_b32 s1, s3, s1
	s_and_saveexec_b32 s3, s1
	s_xor_b32 s1, exec_lo, s3
                                        ; implicit-def: $vgpr9
; %bb.3:
	v_mov_b32_e32 v9, 0
                                        ; implicit-def: $vgpr2
                                        ; implicit-def: $vgpr4
; %bb.4:
	s_or_saveexec_b32 s4, s1
	v_mov_b32_e32 v10, 0
	s_xor_b32 exec_lo, exec_lo, s4
	s_cbranch_execz .LBB626_6
; %bb.5:
	s_mov_b32 s3, 0
	s_lshl_b64 s[6:7], s[2:3], 1
	v_add_co_u32 v4, s1, v4, s6
	v_add_co_ci_u32_e64 v5, null, s7, v5, s1
	v_add_co_u32 v2, s1, v2, s6
	v_add_co_ci_u32_e64 v3, null, s7, v3, s1
	global_load_ushort v4, v[4:5], off
	global_load_ushort v2, v[2:3], off
	s_waitcnt vmcnt(1)
	v_lshlrev_b32_e32 v9, 16, v4
	s_waitcnt vmcnt(0)
	v_lshlrev_b32_e32 v10, 16, v2
.LBB626_6:
	s_or_b32 exec_lo, exec_lo, s4
	v_mbcnt_lo_u32_b32 v2, -1, 0
	v_add_f32_e32 v5, 0, v8
	v_add_f32_e32 v11, 0, v9
	v_and_b32_e32 v3, 16, v2
	v_xor_b32_e32 v4, 8, v2
	v_xor_b32_e32 v13, 4, v2
	v_add_nc_u32_e32 v3, 16, v3
	v_cmp_lt_i32_e64 s1, v4, v3
	v_cndmask_b32_e64 v4, v2, v4, s1
	v_cmp_lt_i32_e64 s1, v13, v3
	v_lshlrev_b32_e32 v4, 2, v4
	v_cndmask_b32_e64 v13, v2, v13, s1
	ds_bpermute_b32 v12, v4, v5
	ds_bpermute_b32 v4, v4, v11
	v_lshlrev_b32_e32 v13, 2, v13
	s_waitcnt lgkmcnt(1)
	v_add_f32_e32 v5, v5, v12
	s_waitcnt lgkmcnt(0)
	v_add_f32_e32 v4, v11, v4
	ds_bpermute_b32 v11, v13, v5
	ds_bpermute_b32 v12, v13, v4
	v_xor_b32_e32 v13, 2, v2
	v_cmp_lt_i32_e64 s1, v13, v3
	v_cndmask_b32_e64 v13, v2, v13, s1
	v_lshlrev_b32_e32 v13, 2, v13
	s_waitcnt lgkmcnt(1)
	v_add_f32_e32 v5, v5, v11
	s_waitcnt lgkmcnt(0)
	v_add_f32_e32 v11, v4, v12
	ds_bpermute_b32 v4, v13, v5
	ds_bpermute_b32 v12, v13, v11
	v_xor_b32_e32 v13, 1, v2
	v_cmp_lt_i32_e64 s1, v13, v3
	v_cndmask_b32_e64 v2, v2, v13, s1
	v_lshlrev_b32_e32 v3, 2, v2
	s_waitcnt lgkmcnt(1)
	v_add_f32_e32 v4, v5, v4
	s_waitcnt lgkmcnt(0)
	v_add_f32_e32 v2, v11, v12
	ds_bpermute_b32 v5, v3, v4
	ds_bpermute_b32 v3, v3, v2
	s_and_saveexec_b32 s1, vcc_lo
	s_cbranch_execz .LBB626_11
; %bb.7:
	v_add_co_u32 v0, vcc_lo, s8, v0
	v_add_co_ci_u32_e64 v1, null, s9, v1, vcc_lo
	s_and_saveexec_b32 s1, s0
	s_cbranch_execz .LBB626_9
; %bb.8:
	s_waitcnt lgkmcnt(1)
	v_add_f32_e32 v4, v4, v5
	v_fma_f32 v4, -v7, v4, v8
	v_bfe_u32 v5, v4, 16, 1
	v_cmp_o_f32_e32 vcc_lo, v4, v4
	v_add3_u32 v4, v4, v5, 0x7fff
	v_mov_b32_e32 v5, 0x7fc0
	v_cndmask_b32_sdwa v4, v5, v4, vcc_lo dst_sel:DWORD dst_unused:UNUSED_PAD src0_sel:DWORD src1_sel:WORD_1
	global_store_short v[0:1], v4, off
.LBB626_9:
	s_or_b32 exec_lo, exec_lo, s1
	v_cmp_ne_u32_e32 vcc_lo, 1, v6
	s_and_b32 s0, vcc_lo, s0
	s_and_b32 exec_lo, exec_lo, s0
	s_cbranch_execz .LBB626_11
; %bb.10:
	s_waitcnt lgkmcnt(0)
	v_add_f32_e32 v2, v2, v3
	s_mov_b32 s3, 0
	v_mov_b32_e32 v4, 0x7fc0
	s_lshl_b64 s[0:1], s[2:3], 1
	v_add_co_u32 v0, s0, v0, s0
	v_fma_f32 v2, -v10, v2, v9
	v_add_co_ci_u32_e64 v1, null, s1, v1, s0
	v_bfe_u32 v3, v2, 16, 1
	v_cmp_o_f32_e32 vcc_lo, v2, v2
	v_add3_u32 v2, v2, v3, 0x7fff
	v_cndmask_b32_sdwa v2, v4, v2, vcc_lo dst_sel:DWORD dst_unused:UNUSED_PAD src0_sel:DWORD src1_sel:WORD_1
	global_store_short v[0:1], v2, off
.LBB626_11:
	s_endpgm
	.section	.rodata,"a",@progbits
	.p2align	6, 0x0
	.amdhsa_kernel _ZN12_GLOBAL__N_121softmax_warp_backwardIN3c108BFloat16ES2_fLi4ELb0ELb0ELi64EEEvPT0_PKT_S7_iiiPKb
		.amdhsa_group_segment_fixed_size 0
		.amdhsa_private_segment_fixed_size 0
		.amdhsa_kernarg_size 304
		.amdhsa_user_sgpr_count 6
		.amdhsa_user_sgpr_private_segment_buffer 1
		.amdhsa_user_sgpr_dispatch_ptr 0
		.amdhsa_user_sgpr_queue_ptr 0
		.amdhsa_user_sgpr_kernarg_segment_ptr 1
		.amdhsa_user_sgpr_dispatch_id 0
		.amdhsa_user_sgpr_flat_scratch_init 0
		.amdhsa_user_sgpr_private_segment_size 0
		.amdhsa_wavefront_size32 1
		.amdhsa_uses_dynamic_stack 0
		.amdhsa_system_sgpr_private_segment_wavefront_offset 0
		.amdhsa_system_sgpr_workgroup_id_x 1
		.amdhsa_system_sgpr_workgroup_id_y 0
		.amdhsa_system_sgpr_workgroup_id_z 0
		.amdhsa_system_sgpr_workgroup_info 0
		.amdhsa_system_vgpr_workitem_id 1
		.amdhsa_next_free_vgpr 14
		.amdhsa_next_free_sgpr 12
		.amdhsa_reserve_vcc 1
		.amdhsa_reserve_flat_scratch 0
		.amdhsa_float_round_mode_32 0
		.amdhsa_float_round_mode_16_64 0
		.amdhsa_float_denorm_mode_32 3
		.amdhsa_float_denorm_mode_16_64 3
		.amdhsa_dx10_clamp 1
		.amdhsa_ieee_mode 1
		.amdhsa_fp16_overflow 0
		.amdhsa_workgroup_processor_mode 1
		.amdhsa_memory_ordered 1
		.amdhsa_forward_progress 1
		.amdhsa_shared_vgpr_count 0
		.amdhsa_exception_fp_ieee_invalid_op 0
		.amdhsa_exception_fp_denorm_src 0
		.amdhsa_exception_fp_ieee_div_zero 0
		.amdhsa_exception_fp_ieee_overflow 0
		.amdhsa_exception_fp_ieee_underflow 0
		.amdhsa_exception_fp_ieee_inexact 0
		.amdhsa_exception_int_div_zero 0
	.end_amdhsa_kernel
	.section	.text._ZN12_GLOBAL__N_121softmax_warp_backwardIN3c108BFloat16ES2_fLi4ELb0ELb0ELi64EEEvPT0_PKT_S7_iiiPKb,"axG",@progbits,_ZN12_GLOBAL__N_121softmax_warp_backwardIN3c108BFloat16ES2_fLi4ELb0ELb0ELi64EEEvPT0_PKT_S7_iiiPKb,comdat
.Lfunc_end626:
	.size	_ZN12_GLOBAL__N_121softmax_warp_backwardIN3c108BFloat16ES2_fLi4ELb0ELb0ELi64EEEvPT0_PKT_S7_iiiPKb, .Lfunc_end626-_ZN12_GLOBAL__N_121softmax_warp_backwardIN3c108BFloat16ES2_fLi4ELb0ELb0ELi64EEEvPT0_PKT_S7_iiiPKb
                                        ; -- End function
	.set _ZN12_GLOBAL__N_121softmax_warp_backwardIN3c108BFloat16ES2_fLi4ELb0ELb0ELi64EEEvPT0_PKT_S7_iiiPKb.num_vgpr, 14
	.set _ZN12_GLOBAL__N_121softmax_warp_backwardIN3c108BFloat16ES2_fLi4ELb0ELb0ELi64EEEvPT0_PKT_S7_iiiPKb.num_agpr, 0
	.set _ZN12_GLOBAL__N_121softmax_warp_backwardIN3c108BFloat16ES2_fLi4ELb0ELb0ELi64EEEvPT0_PKT_S7_iiiPKb.numbered_sgpr, 12
	.set _ZN12_GLOBAL__N_121softmax_warp_backwardIN3c108BFloat16ES2_fLi4ELb0ELb0ELi64EEEvPT0_PKT_S7_iiiPKb.num_named_barrier, 0
	.set _ZN12_GLOBAL__N_121softmax_warp_backwardIN3c108BFloat16ES2_fLi4ELb0ELb0ELi64EEEvPT0_PKT_S7_iiiPKb.private_seg_size, 0
	.set _ZN12_GLOBAL__N_121softmax_warp_backwardIN3c108BFloat16ES2_fLi4ELb0ELb0ELi64EEEvPT0_PKT_S7_iiiPKb.uses_vcc, 1
	.set _ZN12_GLOBAL__N_121softmax_warp_backwardIN3c108BFloat16ES2_fLi4ELb0ELb0ELi64EEEvPT0_PKT_S7_iiiPKb.uses_flat_scratch, 0
	.set _ZN12_GLOBAL__N_121softmax_warp_backwardIN3c108BFloat16ES2_fLi4ELb0ELb0ELi64EEEvPT0_PKT_S7_iiiPKb.has_dyn_sized_stack, 0
	.set _ZN12_GLOBAL__N_121softmax_warp_backwardIN3c108BFloat16ES2_fLi4ELb0ELb0ELi64EEEvPT0_PKT_S7_iiiPKb.has_recursion, 0
	.set _ZN12_GLOBAL__N_121softmax_warp_backwardIN3c108BFloat16ES2_fLi4ELb0ELb0ELi64EEEvPT0_PKT_S7_iiiPKb.has_indirect_call, 0
	.section	.AMDGPU.csdata,"",@progbits
; Kernel info:
; codeLenInByte = 756
; TotalNumSgprs: 14
; NumVgprs: 14
; ScratchSize: 0
; MemoryBound: 0
; FloatMode: 240
; IeeeMode: 1
; LDSByteSize: 0 bytes/workgroup (compile time only)
; SGPRBlocks: 0
; VGPRBlocks: 1
; NumSGPRsForWavesPerEU: 14
; NumVGPRsForWavesPerEU: 14
; Occupancy: 16
; WaveLimiterHint : 0
; COMPUTE_PGM_RSRC2:SCRATCH_EN: 0
; COMPUTE_PGM_RSRC2:USER_SGPR: 6
; COMPUTE_PGM_RSRC2:TRAP_HANDLER: 0
; COMPUTE_PGM_RSRC2:TGID_X_EN: 1
; COMPUTE_PGM_RSRC2:TGID_Y_EN: 0
; COMPUTE_PGM_RSRC2:TGID_Z_EN: 0
; COMPUTE_PGM_RSRC2:TIDIG_COMP_CNT: 1
	.section	.text._ZN12_GLOBAL__N_121softmax_warp_backwardIN3c108BFloat16ES2_fLi4ELb0ELb0ELi32EEEvPT0_PKT_S7_iiiPKb,"axG",@progbits,_ZN12_GLOBAL__N_121softmax_warp_backwardIN3c108BFloat16ES2_fLi4ELb0ELb0ELi32EEEvPT0_PKT_S7_iiiPKb,comdat
	.globl	_ZN12_GLOBAL__N_121softmax_warp_backwardIN3c108BFloat16ES2_fLi4ELb0ELb0ELi32EEEvPT0_PKT_S7_iiiPKb ; -- Begin function _ZN12_GLOBAL__N_121softmax_warp_backwardIN3c108BFloat16ES2_fLi4ELb0ELb0ELi32EEEvPT0_PKT_S7_iiiPKb
	.p2align	8
	.type	_ZN12_GLOBAL__N_121softmax_warp_backwardIN3c108BFloat16ES2_fLi4ELb0ELb0ELi32EEEvPT0_PKT_S7_iiiPKb,@function
_ZN12_GLOBAL__N_121softmax_warp_backwardIN3c108BFloat16ES2_fLi4ELb0ELb0ELi32EEEvPT0_PKT_S7_iiiPKb: ; @_ZN12_GLOBAL__N_121softmax_warp_backwardIN3c108BFloat16ES2_fLi4ELb0ELb0ELi32EEEvPT0_PKT_S7_iiiPKb
; %bb.0:
	s_clause 0x1
	s_load_dword s7, s[4:5], 0x3c
	s_load_dwordx4 s[0:3], s[4:5], 0x18
	v_and_b32_e32 v2, 15, v0
	s_clause 0x1
	s_load_dwordx4 s[8:11], s[4:5], 0x0
	s_load_dwordx2 s[4:5], s[4:5], 0x10
	v_mov_b32_e32 v7, 0
	v_mov_b32_e32 v8, 0
	s_waitcnt lgkmcnt(0)
	s_lshr_b32 s3, s7, 16
	s_and_b32 s3, s3, 0xffff
	s_mul_i32 s6, s6, s3
	v_add_lshl_u32 v3, s6, v1, 1
	v_mad_u64_u32 v[0:1], null, v3, s1, v[2:3]
	v_sub_nc_u32_e32 v6, s0, v3
	v_cmp_gt_i32_e64 s0, s2, v2
	v_cmp_lt_i32_e32 vcc_lo, 0, v6
	v_ashrrev_i32_e32 v1, 31, v0
	s_and_b32 s3, s0, vcc_lo
	v_lshlrev_b64 v[0:1], 1, v[0:1]
	v_add_co_u32 v4, s1, s10, v0
	v_add_co_ci_u32_e64 v5, null, s11, v1, s1
	v_add_co_u32 v2, s1, s4, v0
	v_add_co_ci_u32_e64 v3, null, s5, v1, s1
	s_and_saveexec_b32 s1, s3
	s_cbranch_execz .LBB627_2
; %bb.1:
	global_load_ushort v7, v[4:5], off
	global_load_ushort v9, v[2:3], off
	s_waitcnt vmcnt(1)
	v_lshlrev_b32_e32 v8, 16, v7
	s_waitcnt vmcnt(0)
	v_lshlrev_b32_e32 v7, 16, v9
.LBB627_2:
	s_or_b32 exec_lo, exec_lo, s1
	v_cmp_gt_i32_e64 s1, 2, v6
	s_xor_b32 s3, s0, -1
	s_or_b32 s1, s3, s1
	s_and_saveexec_b32 s3, s1
	s_xor_b32 s1, exec_lo, s3
                                        ; implicit-def: $vgpr9
; %bb.3:
	v_mov_b32_e32 v9, 0
                                        ; implicit-def: $vgpr2
                                        ; implicit-def: $vgpr4
; %bb.4:
	s_or_saveexec_b32 s4, s1
	v_mov_b32_e32 v10, 0
	s_xor_b32 exec_lo, exec_lo, s4
	s_cbranch_execz .LBB627_6
; %bb.5:
	s_mov_b32 s3, 0
	s_lshl_b64 s[6:7], s[2:3], 1
	v_add_co_u32 v4, s1, v4, s6
	v_add_co_ci_u32_e64 v5, null, s7, v5, s1
	v_add_co_u32 v2, s1, v2, s6
	v_add_co_ci_u32_e64 v3, null, s7, v3, s1
	global_load_ushort v4, v[4:5], off
	global_load_ushort v2, v[2:3], off
	s_waitcnt vmcnt(1)
	v_lshlrev_b32_e32 v9, 16, v4
	s_waitcnt vmcnt(0)
	v_lshlrev_b32_e32 v10, 16, v2
.LBB627_6:
	s_or_b32 exec_lo, exec_lo, s4
	v_mbcnt_lo_u32_b32 v2, -1, 0
	v_add_f32_e32 v5, 0, v8
	v_add_f32_e32 v11, 0, v9
	v_and_b32_e32 v3, 16, v2
	v_xor_b32_e32 v4, 8, v2
	v_xor_b32_e32 v13, 4, v2
	v_add_nc_u32_e32 v3, 16, v3
	v_cmp_lt_i32_e64 s1, v4, v3
	v_cndmask_b32_e64 v4, v2, v4, s1
	v_cmp_lt_i32_e64 s1, v13, v3
	v_lshlrev_b32_e32 v4, 2, v4
	v_cndmask_b32_e64 v13, v2, v13, s1
	ds_bpermute_b32 v12, v4, v5
	ds_bpermute_b32 v4, v4, v11
	v_lshlrev_b32_e32 v13, 2, v13
	s_waitcnt lgkmcnt(1)
	v_add_f32_e32 v5, v5, v12
	s_waitcnt lgkmcnt(0)
	v_add_f32_e32 v4, v11, v4
	ds_bpermute_b32 v11, v13, v5
	ds_bpermute_b32 v12, v13, v4
	v_xor_b32_e32 v13, 2, v2
	v_cmp_lt_i32_e64 s1, v13, v3
	v_cndmask_b32_e64 v13, v2, v13, s1
	v_lshlrev_b32_e32 v13, 2, v13
	s_waitcnt lgkmcnt(1)
	v_add_f32_e32 v5, v5, v11
	s_waitcnt lgkmcnt(0)
	v_add_f32_e32 v11, v4, v12
	ds_bpermute_b32 v4, v13, v5
	ds_bpermute_b32 v12, v13, v11
	v_xor_b32_e32 v13, 1, v2
	v_cmp_lt_i32_e64 s1, v13, v3
	v_cndmask_b32_e64 v2, v2, v13, s1
	v_lshlrev_b32_e32 v3, 2, v2
	s_waitcnt lgkmcnt(1)
	v_add_f32_e32 v4, v5, v4
	s_waitcnt lgkmcnt(0)
	v_add_f32_e32 v2, v11, v12
	ds_bpermute_b32 v5, v3, v4
	ds_bpermute_b32 v3, v3, v2
	s_and_saveexec_b32 s1, vcc_lo
	s_cbranch_execz .LBB627_11
; %bb.7:
	v_add_co_u32 v0, vcc_lo, s8, v0
	v_add_co_ci_u32_e64 v1, null, s9, v1, vcc_lo
	s_and_saveexec_b32 s1, s0
	s_cbranch_execz .LBB627_9
; %bb.8:
	s_waitcnt lgkmcnt(1)
	v_add_f32_e32 v4, v4, v5
	v_fma_f32 v4, -v7, v4, v8
	v_bfe_u32 v5, v4, 16, 1
	v_cmp_o_f32_e32 vcc_lo, v4, v4
	v_add3_u32 v4, v4, v5, 0x7fff
	v_mov_b32_e32 v5, 0x7fc0
	v_cndmask_b32_sdwa v4, v5, v4, vcc_lo dst_sel:DWORD dst_unused:UNUSED_PAD src0_sel:DWORD src1_sel:WORD_1
	global_store_short v[0:1], v4, off
.LBB627_9:
	s_or_b32 exec_lo, exec_lo, s1
	v_cmp_ne_u32_e32 vcc_lo, 1, v6
	s_and_b32 s0, vcc_lo, s0
	s_and_b32 exec_lo, exec_lo, s0
	s_cbranch_execz .LBB627_11
; %bb.10:
	s_waitcnt lgkmcnt(0)
	v_add_f32_e32 v2, v2, v3
	s_mov_b32 s3, 0
	v_mov_b32_e32 v4, 0x7fc0
	s_lshl_b64 s[0:1], s[2:3], 1
	v_add_co_u32 v0, s0, v0, s0
	v_fma_f32 v2, -v10, v2, v9
	v_add_co_ci_u32_e64 v1, null, s1, v1, s0
	v_bfe_u32 v3, v2, 16, 1
	v_cmp_o_f32_e32 vcc_lo, v2, v2
	v_add3_u32 v2, v2, v3, 0x7fff
	v_cndmask_b32_sdwa v2, v4, v2, vcc_lo dst_sel:DWORD dst_unused:UNUSED_PAD src0_sel:DWORD src1_sel:WORD_1
	global_store_short v[0:1], v2, off
.LBB627_11:
	s_endpgm
	.section	.rodata,"a",@progbits
	.p2align	6, 0x0
	.amdhsa_kernel _ZN12_GLOBAL__N_121softmax_warp_backwardIN3c108BFloat16ES2_fLi4ELb0ELb0ELi32EEEvPT0_PKT_S7_iiiPKb
		.amdhsa_group_segment_fixed_size 0
		.amdhsa_private_segment_fixed_size 0
		.amdhsa_kernarg_size 304
		.amdhsa_user_sgpr_count 6
		.amdhsa_user_sgpr_private_segment_buffer 1
		.amdhsa_user_sgpr_dispatch_ptr 0
		.amdhsa_user_sgpr_queue_ptr 0
		.amdhsa_user_sgpr_kernarg_segment_ptr 1
		.amdhsa_user_sgpr_dispatch_id 0
		.amdhsa_user_sgpr_flat_scratch_init 0
		.amdhsa_user_sgpr_private_segment_size 0
		.amdhsa_wavefront_size32 1
		.amdhsa_uses_dynamic_stack 0
		.amdhsa_system_sgpr_private_segment_wavefront_offset 0
		.amdhsa_system_sgpr_workgroup_id_x 1
		.amdhsa_system_sgpr_workgroup_id_y 0
		.amdhsa_system_sgpr_workgroup_id_z 0
		.amdhsa_system_sgpr_workgroup_info 0
		.amdhsa_system_vgpr_workitem_id 1
		.amdhsa_next_free_vgpr 14
		.amdhsa_next_free_sgpr 12
		.amdhsa_reserve_vcc 1
		.amdhsa_reserve_flat_scratch 0
		.amdhsa_float_round_mode_32 0
		.amdhsa_float_round_mode_16_64 0
		.amdhsa_float_denorm_mode_32 3
		.amdhsa_float_denorm_mode_16_64 3
		.amdhsa_dx10_clamp 1
		.amdhsa_ieee_mode 1
		.amdhsa_fp16_overflow 0
		.amdhsa_workgroup_processor_mode 1
		.amdhsa_memory_ordered 1
		.amdhsa_forward_progress 1
		.amdhsa_shared_vgpr_count 0
		.amdhsa_exception_fp_ieee_invalid_op 0
		.amdhsa_exception_fp_denorm_src 0
		.amdhsa_exception_fp_ieee_div_zero 0
		.amdhsa_exception_fp_ieee_overflow 0
		.amdhsa_exception_fp_ieee_underflow 0
		.amdhsa_exception_fp_ieee_inexact 0
		.amdhsa_exception_int_div_zero 0
	.end_amdhsa_kernel
	.section	.text._ZN12_GLOBAL__N_121softmax_warp_backwardIN3c108BFloat16ES2_fLi4ELb0ELb0ELi32EEEvPT0_PKT_S7_iiiPKb,"axG",@progbits,_ZN12_GLOBAL__N_121softmax_warp_backwardIN3c108BFloat16ES2_fLi4ELb0ELb0ELi32EEEvPT0_PKT_S7_iiiPKb,comdat
.Lfunc_end627:
	.size	_ZN12_GLOBAL__N_121softmax_warp_backwardIN3c108BFloat16ES2_fLi4ELb0ELb0ELi32EEEvPT0_PKT_S7_iiiPKb, .Lfunc_end627-_ZN12_GLOBAL__N_121softmax_warp_backwardIN3c108BFloat16ES2_fLi4ELb0ELb0ELi32EEEvPT0_PKT_S7_iiiPKb
                                        ; -- End function
	.set _ZN12_GLOBAL__N_121softmax_warp_backwardIN3c108BFloat16ES2_fLi4ELb0ELb0ELi32EEEvPT0_PKT_S7_iiiPKb.num_vgpr, 14
	.set _ZN12_GLOBAL__N_121softmax_warp_backwardIN3c108BFloat16ES2_fLi4ELb0ELb0ELi32EEEvPT0_PKT_S7_iiiPKb.num_agpr, 0
	.set _ZN12_GLOBAL__N_121softmax_warp_backwardIN3c108BFloat16ES2_fLi4ELb0ELb0ELi32EEEvPT0_PKT_S7_iiiPKb.numbered_sgpr, 12
	.set _ZN12_GLOBAL__N_121softmax_warp_backwardIN3c108BFloat16ES2_fLi4ELb0ELb0ELi32EEEvPT0_PKT_S7_iiiPKb.num_named_barrier, 0
	.set _ZN12_GLOBAL__N_121softmax_warp_backwardIN3c108BFloat16ES2_fLi4ELb0ELb0ELi32EEEvPT0_PKT_S7_iiiPKb.private_seg_size, 0
	.set _ZN12_GLOBAL__N_121softmax_warp_backwardIN3c108BFloat16ES2_fLi4ELb0ELb0ELi32EEEvPT0_PKT_S7_iiiPKb.uses_vcc, 1
	.set _ZN12_GLOBAL__N_121softmax_warp_backwardIN3c108BFloat16ES2_fLi4ELb0ELb0ELi32EEEvPT0_PKT_S7_iiiPKb.uses_flat_scratch, 0
	.set _ZN12_GLOBAL__N_121softmax_warp_backwardIN3c108BFloat16ES2_fLi4ELb0ELb0ELi32EEEvPT0_PKT_S7_iiiPKb.has_dyn_sized_stack, 0
	.set _ZN12_GLOBAL__N_121softmax_warp_backwardIN3c108BFloat16ES2_fLi4ELb0ELb0ELi32EEEvPT0_PKT_S7_iiiPKb.has_recursion, 0
	.set _ZN12_GLOBAL__N_121softmax_warp_backwardIN3c108BFloat16ES2_fLi4ELb0ELb0ELi32EEEvPT0_PKT_S7_iiiPKb.has_indirect_call, 0
	.section	.AMDGPU.csdata,"",@progbits
; Kernel info:
; codeLenInByte = 756
; TotalNumSgprs: 14
; NumVgprs: 14
; ScratchSize: 0
; MemoryBound: 0
; FloatMode: 240
; IeeeMode: 1
; LDSByteSize: 0 bytes/workgroup (compile time only)
; SGPRBlocks: 0
; VGPRBlocks: 1
; NumSGPRsForWavesPerEU: 14
; NumVGPRsForWavesPerEU: 14
; Occupancy: 16
; WaveLimiterHint : 0
; COMPUTE_PGM_RSRC2:SCRATCH_EN: 0
; COMPUTE_PGM_RSRC2:USER_SGPR: 6
; COMPUTE_PGM_RSRC2:TRAP_HANDLER: 0
; COMPUTE_PGM_RSRC2:TGID_X_EN: 1
; COMPUTE_PGM_RSRC2:TGID_Y_EN: 0
; COMPUTE_PGM_RSRC2:TGID_Z_EN: 0
; COMPUTE_PGM_RSRC2:TIDIG_COMP_CNT: 1
	.section	.text._ZN12_GLOBAL__N_121softmax_warp_backwardIN3c108BFloat16ES2_fLi5ELb0ELb0ELi64EEEvPT0_PKT_S7_iiiPKb,"axG",@progbits,_ZN12_GLOBAL__N_121softmax_warp_backwardIN3c108BFloat16ES2_fLi5ELb0ELb0ELi64EEEvPT0_PKT_S7_iiiPKb,comdat
	.globl	_ZN12_GLOBAL__N_121softmax_warp_backwardIN3c108BFloat16ES2_fLi5ELb0ELb0ELi64EEEvPT0_PKT_S7_iiiPKb ; -- Begin function _ZN12_GLOBAL__N_121softmax_warp_backwardIN3c108BFloat16ES2_fLi5ELb0ELb0ELi64EEEvPT0_PKT_S7_iiiPKb
	.p2align	8
	.type	_ZN12_GLOBAL__N_121softmax_warp_backwardIN3c108BFloat16ES2_fLi5ELb0ELb0ELi64EEEvPT0_PKT_S7_iiiPKb,@function
_ZN12_GLOBAL__N_121softmax_warp_backwardIN3c108BFloat16ES2_fLi5ELb0ELb0ELi64EEEvPT0_PKT_S7_iiiPKb: ; @_ZN12_GLOBAL__N_121softmax_warp_backwardIN3c108BFloat16ES2_fLi5ELb0ELb0ELi64EEEvPT0_PKT_S7_iiiPKb
; %bb.0:
	s_clause 0x1
	s_load_dword s7, s[4:5], 0x3c
	s_load_dwordx4 s[0:3], s[4:5], 0x18
	v_and_b32_e32 v2, 31, v0
	s_clause 0x1
	s_load_dwordx4 s[8:11], s[4:5], 0x0
	s_load_dwordx2 s[4:5], s[4:5], 0x10
	v_mov_b32_e32 v7, 0
	v_mov_b32_e32 v8, 0
	s_waitcnt lgkmcnt(0)
	s_lshr_b32 s3, s7, 16
	s_and_b32 s3, s3, 0xffff
	s_mul_i32 s6, s6, s3
	v_add_lshl_u32 v3, s6, v1, 1
	v_mad_u64_u32 v[0:1], null, v3, s1, v[2:3]
	v_sub_nc_u32_e32 v6, s0, v3
	v_cmp_gt_i32_e64 s0, s2, v2
	v_cmp_lt_i32_e32 vcc_lo, 0, v6
	v_ashrrev_i32_e32 v1, 31, v0
	s_and_b32 s3, s0, vcc_lo
	v_lshlrev_b64 v[0:1], 1, v[0:1]
	v_add_co_u32 v4, s1, s10, v0
	v_add_co_ci_u32_e64 v5, null, s11, v1, s1
	v_add_co_u32 v2, s1, s4, v0
	v_add_co_ci_u32_e64 v3, null, s5, v1, s1
	s_and_saveexec_b32 s1, s3
	s_cbranch_execz .LBB628_2
; %bb.1:
	global_load_ushort v7, v[4:5], off
	global_load_ushort v9, v[2:3], off
	s_waitcnt vmcnt(1)
	v_lshlrev_b32_e32 v8, 16, v7
	s_waitcnt vmcnt(0)
	v_lshlrev_b32_e32 v7, 16, v9
.LBB628_2:
	s_or_b32 exec_lo, exec_lo, s1
	v_cmp_gt_i32_e64 s1, 2, v6
	s_xor_b32 s3, s0, -1
	s_or_b32 s1, s3, s1
	s_and_saveexec_b32 s3, s1
	s_xor_b32 s1, exec_lo, s3
                                        ; implicit-def: $vgpr9
; %bb.3:
	v_mov_b32_e32 v9, 0
                                        ; implicit-def: $vgpr2
                                        ; implicit-def: $vgpr4
; %bb.4:
	s_or_saveexec_b32 s4, s1
	v_mov_b32_e32 v10, 0
	s_xor_b32 exec_lo, exec_lo, s4
	s_cbranch_execz .LBB628_6
; %bb.5:
	s_mov_b32 s3, 0
	s_lshl_b64 s[6:7], s[2:3], 1
	v_add_co_u32 v4, s1, v4, s6
	v_add_co_ci_u32_e64 v5, null, s7, v5, s1
	v_add_co_u32 v2, s1, v2, s6
	v_add_co_ci_u32_e64 v3, null, s7, v3, s1
	global_load_ushort v4, v[4:5], off
	global_load_ushort v2, v[2:3], off
	s_waitcnt vmcnt(1)
	v_lshlrev_b32_e32 v9, 16, v4
	s_waitcnt vmcnt(0)
	v_lshlrev_b32_e32 v10, 16, v2
.LBB628_6:
	s_or_b32 exec_lo, exec_lo, s4
	v_mbcnt_lo_u32_b32 v2, -1, 0
	v_add_f32_e32 v4, 0, v8
	v_add_f32_e32 v5, 0, v9
	v_xor_b32_e32 v3, 16, v2
	v_xor_b32_e32 v12, 8, v2
	v_cmp_gt_i32_e64 s1, 32, v3
	v_cndmask_b32_e64 v3, v2, v3, s1
	v_cmp_gt_i32_e64 s1, 32, v12
	v_lshlrev_b32_e32 v3, 2, v3
	v_cndmask_b32_e64 v12, v2, v12, s1
	ds_bpermute_b32 v11, v3, v4
	ds_bpermute_b32 v3, v3, v5
	v_lshlrev_b32_e32 v12, 2, v12
	s_waitcnt lgkmcnt(1)
	v_add_f32_e32 v4, v4, v11
	s_waitcnt lgkmcnt(0)
	v_add_f32_e32 v3, v5, v3
	ds_bpermute_b32 v5, v12, v4
	ds_bpermute_b32 v11, v12, v3
	v_xor_b32_e32 v12, 4, v2
	v_cmp_gt_i32_e64 s1, 32, v12
	v_cndmask_b32_e64 v12, v2, v12, s1
	v_lshlrev_b32_e32 v12, 2, v12
	s_waitcnt lgkmcnt(1)
	v_add_f32_e32 v4, v4, v5
	s_waitcnt lgkmcnt(0)
	v_add_f32_e32 v3, v3, v11
	ds_bpermute_b32 v5, v12, v4
	ds_bpermute_b32 v11, v12, v3
	v_xor_b32_e32 v12, 2, v2
	v_cmp_gt_i32_e64 s1, 32, v12
	v_cndmask_b32_e64 v12, v2, v12, s1
	;; [unrolled: 10-line block ×3, first 2 shown]
	v_lshlrev_b32_e32 v12, 2, v2
	s_waitcnt lgkmcnt(1)
	v_add_f32_e32 v4, v4, v5
	s_waitcnt lgkmcnt(0)
	v_add_f32_e32 v2, v3, v11
	ds_bpermute_b32 v5, v12, v4
	ds_bpermute_b32 v3, v12, v2
	s_and_saveexec_b32 s1, vcc_lo
	s_cbranch_execz .LBB628_11
; %bb.7:
	v_add_co_u32 v0, vcc_lo, s8, v0
	v_add_co_ci_u32_e64 v1, null, s9, v1, vcc_lo
	s_and_saveexec_b32 s1, s0
	s_cbranch_execz .LBB628_9
; %bb.8:
	s_waitcnt lgkmcnt(1)
	v_add_f32_e32 v4, v4, v5
	v_fma_f32 v4, -v7, v4, v8
	v_bfe_u32 v5, v4, 16, 1
	v_cmp_o_f32_e32 vcc_lo, v4, v4
	v_add3_u32 v4, v4, v5, 0x7fff
	v_mov_b32_e32 v5, 0x7fc0
	v_cndmask_b32_sdwa v4, v5, v4, vcc_lo dst_sel:DWORD dst_unused:UNUSED_PAD src0_sel:DWORD src1_sel:WORD_1
	global_store_short v[0:1], v4, off
.LBB628_9:
	s_or_b32 exec_lo, exec_lo, s1
	v_cmp_ne_u32_e32 vcc_lo, 1, v6
	s_and_b32 s0, vcc_lo, s0
	s_and_b32 exec_lo, exec_lo, s0
	s_cbranch_execz .LBB628_11
; %bb.10:
	s_waitcnt lgkmcnt(0)
	v_add_f32_e32 v2, v2, v3
	s_mov_b32 s3, 0
	v_mov_b32_e32 v4, 0x7fc0
	s_lshl_b64 s[0:1], s[2:3], 1
	v_add_co_u32 v0, s0, v0, s0
	v_fma_f32 v2, -v10, v2, v9
	v_add_co_ci_u32_e64 v1, null, s1, v1, s0
	v_bfe_u32 v3, v2, 16, 1
	v_cmp_o_f32_e32 vcc_lo, v2, v2
	v_add3_u32 v2, v2, v3, 0x7fff
	v_cndmask_b32_sdwa v2, v4, v2, vcc_lo dst_sel:DWORD dst_unused:UNUSED_PAD src0_sel:DWORD src1_sel:WORD_1
	global_store_short v[0:1], v2, off
.LBB628_11:
	s_endpgm
	.section	.rodata,"a",@progbits
	.p2align	6, 0x0
	.amdhsa_kernel _ZN12_GLOBAL__N_121softmax_warp_backwardIN3c108BFloat16ES2_fLi5ELb0ELb0ELi64EEEvPT0_PKT_S7_iiiPKb
		.amdhsa_group_segment_fixed_size 0
		.amdhsa_private_segment_fixed_size 0
		.amdhsa_kernarg_size 304
		.amdhsa_user_sgpr_count 6
		.amdhsa_user_sgpr_private_segment_buffer 1
		.amdhsa_user_sgpr_dispatch_ptr 0
		.amdhsa_user_sgpr_queue_ptr 0
		.amdhsa_user_sgpr_kernarg_segment_ptr 1
		.amdhsa_user_sgpr_dispatch_id 0
		.amdhsa_user_sgpr_flat_scratch_init 0
		.amdhsa_user_sgpr_private_segment_size 0
		.amdhsa_wavefront_size32 1
		.amdhsa_uses_dynamic_stack 0
		.amdhsa_system_sgpr_private_segment_wavefront_offset 0
		.amdhsa_system_sgpr_workgroup_id_x 1
		.amdhsa_system_sgpr_workgroup_id_y 0
		.amdhsa_system_sgpr_workgroup_id_z 0
		.amdhsa_system_sgpr_workgroup_info 0
		.amdhsa_system_vgpr_workitem_id 1
		.amdhsa_next_free_vgpr 13
		.amdhsa_next_free_sgpr 12
		.amdhsa_reserve_vcc 1
		.amdhsa_reserve_flat_scratch 0
		.amdhsa_float_round_mode_32 0
		.amdhsa_float_round_mode_16_64 0
		.amdhsa_float_denorm_mode_32 3
		.amdhsa_float_denorm_mode_16_64 3
		.amdhsa_dx10_clamp 1
		.amdhsa_ieee_mode 1
		.amdhsa_fp16_overflow 0
		.amdhsa_workgroup_processor_mode 1
		.amdhsa_memory_ordered 1
		.amdhsa_forward_progress 1
		.amdhsa_shared_vgpr_count 0
		.amdhsa_exception_fp_ieee_invalid_op 0
		.amdhsa_exception_fp_denorm_src 0
		.amdhsa_exception_fp_ieee_div_zero 0
		.amdhsa_exception_fp_ieee_overflow 0
		.amdhsa_exception_fp_ieee_underflow 0
		.amdhsa_exception_fp_ieee_inexact 0
		.amdhsa_exception_int_div_zero 0
	.end_amdhsa_kernel
	.section	.text._ZN12_GLOBAL__N_121softmax_warp_backwardIN3c108BFloat16ES2_fLi5ELb0ELb0ELi64EEEvPT0_PKT_S7_iiiPKb,"axG",@progbits,_ZN12_GLOBAL__N_121softmax_warp_backwardIN3c108BFloat16ES2_fLi5ELb0ELb0ELi64EEEvPT0_PKT_S7_iiiPKb,comdat
.Lfunc_end628:
	.size	_ZN12_GLOBAL__N_121softmax_warp_backwardIN3c108BFloat16ES2_fLi5ELb0ELb0ELi64EEEvPT0_PKT_S7_iiiPKb, .Lfunc_end628-_ZN12_GLOBAL__N_121softmax_warp_backwardIN3c108BFloat16ES2_fLi5ELb0ELb0ELi64EEEvPT0_PKT_S7_iiiPKb
                                        ; -- End function
	.set _ZN12_GLOBAL__N_121softmax_warp_backwardIN3c108BFloat16ES2_fLi5ELb0ELb0ELi64EEEvPT0_PKT_S7_iiiPKb.num_vgpr, 13
	.set _ZN12_GLOBAL__N_121softmax_warp_backwardIN3c108BFloat16ES2_fLi5ELb0ELb0ELi64EEEvPT0_PKT_S7_iiiPKb.num_agpr, 0
	.set _ZN12_GLOBAL__N_121softmax_warp_backwardIN3c108BFloat16ES2_fLi5ELb0ELb0ELi64EEEvPT0_PKT_S7_iiiPKb.numbered_sgpr, 12
	.set _ZN12_GLOBAL__N_121softmax_warp_backwardIN3c108BFloat16ES2_fLi5ELb0ELb0ELi64EEEvPT0_PKT_S7_iiiPKb.num_named_barrier, 0
	.set _ZN12_GLOBAL__N_121softmax_warp_backwardIN3c108BFloat16ES2_fLi5ELb0ELb0ELi64EEEvPT0_PKT_S7_iiiPKb.private_seg_size, 0
	.set _ZN12_GLOBAL__N_121softmax_warp_backwardIN3c108BFloat16ES2_fLi5ELb0ELb0ELi64EEEvPT0_PKT_S7_iiiPKb.uses_vcc, 1
	.set _ZN12_GLOBAL__N_121softmax_warp_backwardIN3c108BFloat16ES2_fLi5ELb0ELb0ELi64EEEvPT0_PKT_S7_iiiPKb.uses_flat_scratch, 0
	.set _ZN12_GLOBAL__N_121softmax_warp_backwardIN3c108BFloat16ES2_fLi5ELb0ELb0ELi64EEEvPT0_PKT_S7_iiiPKb.has_dyn_sized_stack, 0
	.set _ZN12_GLOBAL__N_121softmax_warp_backwardIN3c108BFloat16ES2_fLi5ELb0ELb0ELi64EEEvPT0_PKT_S7_iiiPKb.has_recursion, 0
	.set _ZN12_GLOBAL__N_121softmax_warp_backwardIN3c108BFloat16ES2_fLi5ELb0ELb0ELi64EEEvPT0_PKT_S7_iiiPKb.has_indirect_call, 0
	.section	.AMDGPU.csdata,"",@progbits
; Kernel info:
; codeLenInByte = 804
; TotalNumSgprs: 14
; NumVgprs: 13
; ScratchSize: 0
; MemoryBound: 0
; FloatMode: 240
; IeeeMode: 1
; LDSByteSize: 0 bytes/workgroup (compile time only)
; SGPRBlocks: 0
; VGPRBlocks: 1
; NumSGPRsForWavesPerEU: 14
; NumVGPRsForWavesPerEU: 13
; Occupancy: 16
; WaveLimiterHint : 0
; COMPUTE_PGM_RSRC2:SCRATCH_EN: 0
; COMPUTE_PGM_RSRC2:USER_SGPR: 6
; COMPUTE_PGM_RSRC2:TRAP_HANDLER: 0
; COMPUTE_PGM_RSRC2:TGID_X_EN: 1
; COMPUTE_PGM_RSRC2:TGID_Y_EN: 0
; COMPUTE_PGM_RSRC2:TGID_Z_EN: 0
; COMPUTE_PGM_RSRC2:TIDIG_COMP_CNT: 1
	.section	.text._ZN12_GLOBAL__N_121softmax_warp_backwardIN3c108BFloat16ES2_fLi5ELb0ELb0ELi32EEEvPT0_PKT_S7_iiiPKb,"axG",@progbits,_ZN12_GLOBAL__N_121softmax_warp_backwardIN3c108BFloat16ES2_fLi5ELb0ELb0ELi32EEEvPT0_PKT_S7_iiiPKb,comdat
	.globl	_ZN12_GLOBAL__N_121softmax_warp_backwardIN3c108BFloat16ES2_fLi5ELb0ELb0ELi32EEEvPT0_PKT_S7_iiiPKb ; -- Begin function _ZN12_GLOBAL__N_121softmax_warp_backwardIN3c108BFloat16ES2_fLi5ELb0ELb0ELi32EEEvPT0_PKT_S7_iiiPKb
	.p2align	8
	.type	_ZN12_GLOBAL__N_121softmax_warp_backwardIN3c108BFloat16ES2_fLi5ELb0ELb0ELi32EEEvPT0_PKT_S7_iiiPKb,@function
_ZN12_GLOBAL__N_121softmax_warp_backwardIN3c108BFloat16ES2_fLi5ELb0ELb0ELi32EEEvPT0_PKT_S7_iiiPKb: ; @_ZN12_GLOBAL__N_121softmax_warp_backwardIN3c108BFloat16ES2_fLi5ELb0ELb0ELi32EEEvPT0_PKT_S7_iiiPKb
; %bb.0:
	s_clause 0x1
	s_load_dword s7, s[4:5], 0x3c
	s_load_dwordx4 s[0:3], s[4:5], 0x18
	v_and_b32_e32 v2, 31, v0
	s_clause 0x1
	s_load_dwordx4 s[8:11], s[4:5], 0x0
	s_load_dwordx2 s[4:5], s[4:5], 0x10
	v_mov_b32_e32 v7, 0
	v_mov_b32_e32 v8, 0
	s_waitcnt lgkmcnt(0)
	s_lshr_b32 s3, s7, 16
	s_and_b32 s3, s3, 0xffff
	s_mul_i32 s6, s6, s3
	v_add_lshl_u32 v3, s6, v1, 1
	v_mad_u64_u32 v[0:1], null, v3, s1, v[2:3]
	v_sub_nc_u32_e32 v6, s0, v3
	v_cmp_gt_i32_e64 s0, s2, v2
	v_cmp_lt_i32_e32 vcc_lo, 0, v6
	v_ashrrev_i32_e32 v1, 31, v0
	s_and_b32 s3, s0, vcc_lo
	v_lshlrev_b64 v[0:1], 1, v[0:1]
	v_add_co_u32 v4, s1, s10, v0
	v_add_co_ci_u32_e64 v5, null, s11, v1, s1
	v_add_co_u32 v2, s1, s4, v0
	v_add_co_ci_u32_e64 v3, null, s5, v1, s1
	s_and_saveexec_b32 s1, s3
	s_cbranch_execz .LBB629_2
; %bb.1:
	global_load_ushort v7, v[4:5], off
	global_load_ushort v9, v[2:3], off
	s_waitcnt vmcnt(1)
	v_lshlrev_b32_e32 v8, 16, v7
	s_waitcnt vmcnt(0)
	v_lshlrev_b32_e32 v7, 16, v9
.LBB629_2:
	s_or_b32 exec_lo, exec_lo, s1
	v_cmp_gt_i32_e64 s1, 2, v6
	s_xor_b32 s3, s0, -1
	s_or_b32 s1, s3, s1
	s_and_saveexec_b32 s3, s1
	s_xor_b32 s1, exec_lo, s3
                                        ; implicit-def: $vgpr9
; %bb.3:
	v_mov_b32_e32 v9, 0
                                        ; implicit-def: $vgpr2
                                        ; implicit-def: $vgpr4
; %bb.4:
	s_or_saveexec_b32 s4, s1
	v_mov_b32_e32 v10, 0
	s_xor_b32 exec_lo, exec_lo, s4
	s_cbranch_execz .LBB629_6
; %bb.5:
	s_mov_b32 s3, 0
	s_lshl_b64 s[6:7], s[2:3], 1
	v_add_co_u32 v4, s1, v4, s6
	v_add_co_ci_u32_e64 v5, null, s7, v5, s1
	v_add_co_u32 v2, s1, v2, s6
	v_add_co_ci_u32_e64 v3, null, s7, v3, s1
	global_load_ushort v4, v[4:5], off
	global_load_ushort v2, v[2:3], off
	s_waitcnt vmcnt(1)
	v_lshlrev_b32_e32 v9, 16, v4
	s_waitcnt vmcnt(0)
	v_lshlrev_b32_e32 v10, 16, v2
.LBB629_6:
	s_or_b32 exec_lo, exec_lo, s4
	v_mbcnt_lo_u32_b32 v2, -1, 0
	v_add_f32_e32 v4, 0, v8
	v_add_f32_e32 v5, 0, v9
	v_xor_b32_e32 v3, 16, v2
	v_xor_b32_e32 v12, 8, v2
	v_cmp_gt_i32_e64 s1, 32, v3
	v_cndmask_b32_e64 v3, v2, v3, s1
	v_cmp_gt_i32_e64 s1, 32, v12
	v_lshlrev_b32_e32 v3, 2, v3
	v_cndmask_b32_e64 v12, v2, v12, s1
	ds_bpermute_b32 v11, v3, v4
	ds_bpermute_b32 v3, v3, v5
	v_lshlrev_b32_e32 v12, 2, v12
	s_waitcnt lgkmcnt(1)
	v_add_f32_e32 v4, v4, v11
	s_waitcnt lgkmcnt(0)
	v_add_f32_e32 v3, v5, v3
	ds_bpermute_b32 v5, v12, v4
	ds_bpermute_b32 v11, v12, v3
	v_xor_b32_e32 v12, 4, v2
	v_cmp_gt_i32_e64 s1, 32, v12
	v_cndmask_b32_e64 v12, v2, v12, s1
	v_lshlrev_b32_e32 v12, 2, v12
	s_waitcnt lgkmcnt(1)
	v_add_f32_e32 v4, v4, v5
	s_waitcnt lgkmcnt(0)
	v_add_f32_e32 v3, v3, v11
	ds_bpermute_b32 v5, v12, v4
	ds_bpermute_b32 v11, v12, v3
	v_xor_b32_e32 v12, 2, v2
	v_cmp_gt_i32_e64 s1, 32, v12
	v_cndmask_b32_e64 v12, v2, v12, s1
	;; [unrolled: 10-line block ×3, first 2 shown]
	v_lshlrev_b32_e32 v12, 2, v2
	s_waitcnt lgkmcnt(1)
	v_add_f32_e32 v4, v4, v5
	s_waitcnt lgkmcnt(0)
	v_add_f32_e32 v2, v3, v11
	ds_bpermute_b32 v5, v12, v4
	ds_bpermute_b32 v3, v12, v2
	s_and_saveexec_b32 s1, vcc_lo
	s_cbranch_execz .LBB629_11
; %bb.7:
	v_add_co_u32 v0, vcc_lo, s8, v0
	v_add_co_ci_u32_e64 v1, null, s9, v1, vcc_lo
	s_and_saveexec_b32 s1, s0
	s_cbranch_execz .LBB629_9
; %bb.8:
	s_waitcnt lgkmcnt(1)
	v_add_f32_e32 v4, v4, v5
	v_fma_f32 v4, -v7, v4, v8
	v_bfe_u32 v5, v4, 16, 1
	v_cmp_o_f32_e32 vcc_lo, v4, v4
	v_add3_u32 v4, v4, v5, 0x7fff
	v_mov_b32_e32 v5, 0x7fc0
	v_cndmask_b32_sdwa v4, v5, v4, vcc_lo dst_sel:DWORD dst_unused:UNUSED_PAD src0_sel:DWORD src1_sel:WORD_1
	global_store_short v[0:1], v4, off
.LBB629_9:
	s_or_b32 exec_lo, exec_lo, s1
	v_cmp_ne_u32_e32 vcc_lo, 1, v6
	s_and_b32 s0, vcc_lo, s0
	s_and_b32 exec_lo, exec_lo, s0
	s_cbranch_execz .LBB629_11
; %bb.10:
	s_waitcnt lgkmcnt(0)
	v_add_f32_e32 v2, v2, v3
	s_mov_b32 s3, 0
	v_mov_b32_e32 v4, 0x7fc0
	s_lshl_b64 s[0:1], s[2:3], 1
	v_add_co_u32 v0, s0, v0, s0
	v_fma_f32 v2, -v10, v2, v9
	v_add_co_ci_u32_e64 v1, null, s1, v1, s0
	v_bfe_u32 v3, v2, 16, 1
	v_cmp_o_f32_e32 vcc_lo, v2, v2
	v_add3_u32 v2, v2, v3, 0x7fff
	v_cndmask_b32_sdwa v2, v4, v2, vcc_lo dst_sel:DWORD dst_unused:UNUSED_PAD src0_sel:DWORD src1_sel:WORD_1
	global_store_short v[0:1], v2, off
.LBB629_11:
	s_endpgm
	.section	.rodata,"a",@progbits
	.p2align	6, 0x0
	.amdhsa_kernel _ZN12_GLOBAL__N_121softmax_warp_backwardIN3c108BFloat16ES2_fLi5ELb0ELb0ELi32EEEvPT0_PKT_S7_iiiPKb
		.amdhsa_group_segment_fixed_size 0
		.amdhsa_private_segment_fixed_size 0
		.amdhsa_kernarg_size 304
		.amdhsa_user_sgpr_count 6
		.amdhsa_user_sgpr_private_segment_buffer 1
		.amdhsa_user_sgpr_dispatch_ptr 0
		.amdhsa_user_sgpr_queue_ptr 0
		.amdhsa_user_sgpr_kernarg_segment_ptr 1
		.amdhsa_user_sgpr_dispatch_id 0
		.amdhsa_user_sgpr_flat_scratch_init 0
		.amdhsa_user_sgpr_private_segment_size 0
		.amdhsa_wavefront_size32 1
		.amdhsa_uses_dynamic_stack 0
		.amdhsa_system_sgpr_private_segment_wavefront_offset 0
		.amdhsa_system_sgpr_workgroup_id_x 1
		.amdhsa_system_sgpr_workgroup_id_y 0
		.amdhsa_system_sgpr_workgroup_id_z 0
		.amdhsa_system_sgpr_workgroup_info 0
		.amdhsa_system_vgpr_workitem_id 1
		.amdhsa_next_free_vgpr 13
		.amdhsa_next_free_sgpr 12
		.amdhsa_reserve_vcc 1
		.amdhsa_reserve_flat_scratch 0
		.amdhsa_float_round_mode_32 0
		.amdhsa_float_round_mode_16_64 0
		.amdhsa_float_denorm_mode_32 3
		.amdhsa_float_denorm_mode_16_64 3
		.amdhsa_dx10_clamp 1
		.amdhsa_ieee_mode 1
		.amdhsa_fp16_overflow 0
		.amdhsa_workgroup_processor_mode 1
		.amdhsa_memory_ordered 1
		.amdhsa_forward_progress 1
		.amdhsa_shared_vgpr_count 0
		.amdhsa_exception_fp_ieee_invalid_op 0
		.amdhsa_exception_fp_denorm_src 0
		.amdhsa_exception_fp_ieee_div_zero 0
		.amdhsa_exception_fp_ieee_overflow 0
		.amdhsa_exception_fp_ieee_underflow 0
		.amdhsa_exception_fp_ieee_inexact 0
		.amdhsa_exception_int_div_zero 0
	.end_amdhsa_kernel
	.section	.text._ZN12_GLOBAL__N_121softmax_warp_backwardIN3c108BFloat16ES2_fLi5ELb0ELb0ELi32EEEvPT0_PKT_S7_iiiPKb,"axG",@progbits,_ZN12_GLOBAL__N_121softmax_warp_backwardIN3c108BFloat16ES2_fLi5ELb0ELb0ELi32EEEvPT0_PKT_S7_iiiPKb,comdat
.Lfunc_end629:
	.size	_ZN12_GLOBAL__N_121softmax_warp_backwardIN3c108BFloat16ES2_fLi5ELb0ELb0ELi32EEEvPT0_PKT_S7_iiiPKb, .Lfunc_end629-_ZN12_GLOBAL__N_121softmax_warp_backwardIN3c108BFloat16ES2_fLi5ELb0ELb0ELi32EEEvPT0_PKT_S7_iiiPKb
                                        ; -- End function
	.set _ZN12_GLOBAL__N_121softmax_warp_backwardIN3c108BFloat16ES2_fLi5ELb0ELb0ELi32EEEvPT0_PKT_S7_iiiPKb.num_vgpr, 13
	.set _ZN12_GLOBAL__N_121softmax_warp_backwardIN3c108BFloat16ES2_fLi5ELb0ELb0ELi32EEEvPT0_PKT_S7_iiiPKb.num_agpr, 0
	.set _ZN12_GLOBAL__N_121softmax_warp_backwardIN3c108BFloat16ES2_fLi5ELb0ELb0ELi32EEEvPT0_PKT_S7_iiiPKb.numbered_sgpr, 12
	.set _ZN12_GLOBAL__N_121softmax_warp_backwardIN3c108BFloat16ES2_fLi5ELb0ELb0ELi32EEEvPT0_PKT_S7_iiiPKb.num_named_barrier, 0
	.set _ZN12_GLOBAL__N_121softmax_warp_backwardIN3c108BFloat16ES2_fLi5ELb0ELb0ELi32EEEvPT0_PKT_S7_iiiPKb.private_seg_size, 0
	.set _ZN12_GLOBAL__N_121softmax_warp_backwardIN3c108BFloat16ES2_fLi5ELb0ELb0ELi32EEEvPT0_PKT_S7_iiiPKb.uses_vcc, 1
	.set _ZN12_GLOBAL__N_121softmax_warp_backwardIN3c108BFloat16ES2_fLi5ELb0ELb0ELi32EEEvPT0_PKT_S7_iiiPKb.uses_flat_scratch, 0
	.set _ZN12_GLOBAL__N_121softmax_warp_backwardIN3c108BFloat16ES2_fLi5ELb0ELb0ELi32EEEvPT0_PKT_S7_iiiPKb.has_dyn_sized_stack, 0
	.set _ZN12_GLOBAL__N_121softmax_warp_backwardIN3c108BFloat16ES2_fLi5ELb0ELb0ELi32EEEvPT0_PKT_S7_iiiPKb.has_recursion, 0
	.set _ZN12_GLOBAL__N_121softmax_warp_backwardIN3c108BFloat16ES2_fLi5ELb0ELb0ELi32EEEvPT0_PKT_S7_iiiPKb.has_indirect_call, 0
	.section	.AMDGPU.csdata,"",@progbits
; Kernel info:
; codeLenInByte = 804
; TotalNumSgprs: 14
; NumVgprs: 13
; ScratchSize: 0
; MemoryBound: 0
; FloatMode: 240
; IeeeMode: 1
; LDSByteSize: 0 bytes/workgroup (compile time only)
; SGPRBlocks: 0
; VGPRBlocks: 1
; NumSGPRsForWavesPerEU: 14
; NumVGPRsForWavesPerEU: 13
; Occupancy: 16
; WaveLimiterHint : 0
; COMPUTE_PGM_RSRC2:SCRATCH_EN: 0
; COMPUTE_PGM_RSRC2:USER_SGPR: 6
; COMPUTE_PGM_RSRC2:TRAP_HANDLER: 0
; COMPUTE_PGM_RSRC2:TGID_X_EN: 1
; COMPUTE_PGM_RSRC2:TGID_Y_EN: 0
; COMPUTE_PGM_RSRC2:TGID_Z_EN: 0
; COMPUTE_PGM_RSRC2:TIDIG_COMP_CNT: 1
	.section	.text._ZN12_GLOBAL__N_121softmax_warp_backwardIN3c108BFloat16ES2_fLi6ELb0ELb0ELi64EEEvPT0_PKT_S7_iiiPKb,"axG",@progbits,_ZN12_GLOBAL__N_121softmax_warp_backwardIN3c108BFloat16ES2_fLi6ELb0ELb0ELi64EEEvPT0_PKT_S7_iiiPKb,comdat
	.globl	_ZN12_GLOBAL__N_121softmax_warp_backwardIN3c108BFloat16ES2_fLi6ELb0ELb0ELi64EEEvPT0_PKT_S7_iiiPKb ; -- Begin function _ZN12_GLOBAL__N_121softmax_warp_backwardIN3c108BFloat16ES2_fLi6ELb0ELb0ELi64EEEvPT0_PKT_S7_iiiPKb
	.p2align	8
	.type	_ZN12_GLOBAL__N_121softmax_warp_backwardIN3c108BFloat16ES2_fLi6ELb0ELb0ELi64EEEvPT0_PKT_S7_iiiPKb,@function
_ZN12_GLOBAL__N_121softmax_warp_backwardIN3c108BFloat16ES2_fLi6ELb0ELb0ELi64EEEvPT0_PKT_S7_iiiPKb: ; @_ZN12_GLOBAL__N_121softmax_warp_backwardIN3c108BFloat16ES2_fLi6ELb0ELb0ELi64EEEvPT0_PKT_S7_iiiPKb
; %bb.0:
	s_clause 0x1
	s_load_dword s7, s[4:5], 0x3c
	s_load_dwordx4 s[0:3], s[4:5], 0x18
	v_and_b32_e32 v2, 63, v0
	s_clause 0x1
	s_load_dwordx4 s[8:11], s[4:5], 0x0
	s_load_dwordx2 s[4:5], s[4:5], 0x10
	v_mov_b32_e32 v7, 0
	v_mov_b32_e32 v8, 0
	s_waitcnt lgkmcnt(0)
	s_lshr_b32 s3, s7, 16
	s_and_b32 s3, s3, 0xffff
	s_mul_i32 s6, s6, s3
	v_add_lshl_u32 v3, s6, v1, 1
	v_mad_u64_u32 v[0:1], null, v3, s1, v[2:3]
	v_sub_nc_u32_e32 v6, s0, v3
	v_cmp_gt_i32_e64 s0, s2, v2
	v_cmp_lt_i32_e32 vcc_lo, 0, v6
	v_ashrrev_i32_e32 v1, 31, v0
	s_and_b32 s3, s0, vcc_lo
	v_lshlrev_b64 v[0:1], 1, v[0:1]
	v_add_co_u32 v4, s1, s10, v0
	v_add_co_ci_u32_e64 v5, null, s11, v1, s1
	v_add_co_u32 v2, s1, s4, v0
	v_add_co_ci_u32_e64 v3, null, s5, v1, s1
	s_and_saveexec_b32 s1, s3
	s_cbranch_execz .LBB630_2
; %bb.1:
	global_load_ushort v7, v[4:5], off
	global_load_ushort v9, v[2:3], off
	s_waitcnt vmcnt(1)
	v_lshlrev_b32_e32 v8, 16, v7
	s_waitcnt vmcnt(0)
	v_lshlrev_b32_e32 v7, 16, v9
.LBB630_2:
	s_or_b32 exec_lo, exec_lo, s1
	v_cmp_gt_i32_e64 s1, 2, v6
	s_xor_b32 s3, s0, -1
	s_or_b32 s1, s3, s1
	s_and_saveexec_b32 s3, s1
	s_xor_b32 s1, exec_lo, s3
                                        ; implicit-def: $vgpr9
; %bb.3:
	v_mov_b32_e32 v9, 0
                                        ; implicit-def: $vgpr2
                                        ; implicit-def: $vgpr4
; %bb.4:
	s_or_saveexec_b32 s4, s1
	v_mov_b32_e32 v10, 0
	s_xor_b32 exec_lo, exec_lo, s4
	s_cbranch_execz .LBB630_6
; %bb.5:
	s_mov_b32 s3, 0
	s_lshl_b64 s[6:7], s[2:3], 1
	v_add_co_u32 v4, s1, v4, s6
	v_add_co_ci_u32_e64 v5, null, s7, v5, s1
	v_add_co_u32 v2, s1, v2, s6
	v_add_co_ci_u32_e64 v3, null, s7, v3, s1
	global_load_ushort v4, v[4:5], off
	global_load_ushort v2, v[2:3], off
	s_waitcnt vmcnt(1)
	v_lshlrev_b32_e32 v9, 16, v4
	s_waitcnt vmcnt(0)
	v_lshlrev_b32_e32 v10, 16, v2
.LBB630_6:
	s_or_b32 exec_lo, exec_lo, s4
	v_mbcnt_lo_u32_b32 v2, -1, 0
	v_add_f32_e32 v4, 0, v8
	v_add_f32_e32 v5, 0, v9
	v_or_b32_e32 v3, 32, v2
	v_xor_b32_e32 v12, 16, v2
	v_cmp_gt_i32_e64 s1, 64, v3
	v_cndmask_b32_e64 v3, v2, v3, s1
	v_cmp_gt_i32_e64 s1, 64, v12
	v_lshlrev_b32_e32 v3, 2, v3
	v_cndmask_b32_e64 v12, v2, v12, s1
	ds_bpermute_b32 v11, v3, v4
	ds_bpermute_b32 v3, v3, v5
	v_lshlrev_b32_e32 v12, 2, v12
	s_waitcnt lgkmcnt(1)
	v_add_f32_e32 v4, v4, v11
	s_waitcnt lgkmcnt(0)
	v_add_f32_e32 v3, v5, v3
	ds_bpermute_b32 v5, v12, v4
	ds_bpermute_b32 v11, v12, v3
	v_xor_b32_e32 v12, 8, v2
	v_cmp_gt_i32_e64 s1, 64, v12
	v_cndmask_b32_e64 v12, v2, v12, s1
	v_lshlrev_b32_e32 v12, 2, v12
	s_waitcnt lgkmcnt(1)
	v_add_f32_e32 v4, v4, v5
	s_waitcnt lgkmcnt(0)
	v_add_f32_e32 v3, v3, v11
	ds_bpermute_b32 v5, v12, v4
	ds_bpermute_b32 v11, v12, v3
	v_xor_b32_e32 v12, 4, v2
	v_cmp_gt_i32_e64 s1, 64, v12
	v_cndmask_b32_e64 v12, v2, v12, s1
	;; [unrolled: 10-line block ×4, first 2 shown]
	v_lshlrev_b32_e32 v12, 2, v2
	s_waitcnt lgkmcnt(1)
	v_add_f32_e32 v4, v4, v5
	s_waitcnt lgkmcnt(0)
	v_add_f32_e32 v2, v3, v11
	ds_bpermute_b32 v5, v12, v4
	ds_bpermute_b32 v3, v12, v2
	s_and_saveexec_b32 s1, vcc_lo
	s_cbranch_execz .LBB630_11
; %bb.7:
	v_add_co_u32 v0, vcc_lo, s8, v0
	v_add_co_ci_u32_e64 v1, null, s9, v1, vcc_lo
	s_and_saveexec_b32 s1, s0
	s_cbranch_execz .LBB630_9
; %bb.8:
	s_waitcnt lgkmcnt(1)
	v_add_f32_e32 v4, v4, v5
	v_fma_f32 v4, -v7, v4, v8
	v_bfe_u32 v5, v4, 16, 1
	v_cmp_o_f32_e32 vcc_lo, v4, v4
	v_add3_u32 v4, v4, v5, 0x7fff
	v_mov_b32_e32 v5, 0x7fc0
	v_cndmask_b32_sdwa v4, v5, v4, vcc_lo dst_sel:DWORD dst_unused:UNUSED_PAD src0_sel:DWORD src1_sel:WORD_1
	global_store_short v[0:1], v4, off
.LBB630_9:
	s_or_b32 exec_lo, exec_lo, s1
	v_cmp_ne_u32_e32 vcc_lo, 1, v6
	s_and_b32 s0, vcc_lo, s0
	s_and_b32 exec_lo, exec_lo, s0
	s_cbranch_execz .LBB630_11
; %bb.10:
	s_waitcnt lgkmcnt(0)
	v_add_f32_e32 v2, v2, v3
	s_mov_b32 s3, 0
	v_mov_b32_e32 v4, 0x7fc0
	s_lshl_b64 s[0:1], s[2:3], 1
	v_add_co_u32 v0, s0, v0, s0
	v_fma_f32 v2, -v10, v2, v9
	v_add_co_ci_u32_e64 v1, null, s1, v1, s0
	v_bfe_u32 v3, v2, 16, 1
	v_cmp_o_f32_e32 vcc_lo, v2, v2
	v_add3_u32 v2, v2, v3, 0x7fff
	v_cndmask_b32_sdwa v2, v4, v2, vcc_lo dst_sel:DWORD dst_unused:UNUSED_PAD src0_sel:DWORD src1_sel:WORD_1
	global_store_short v[0:1], v2, off
.LBB630_11:
	s_endpgm
	.section	.rodata,"a",@progbits
	.p2align	6, 0x0
	.amdhsa_kernel _ZN12_GLOBAL__N_121softmax_warp_backwardIN3c108BFloat16ES2_fLi6ELb0ELb0ELi64EEEvPT0_PKT_S7_iiiPKb
		.amdhsa_group_segment_fixed_size 0
		.amdhsa_private_segment_fixed_size 0
		.amdhsa_kernarg_size 304
		.amdhsa_user_sgpr_count 6
		.amdhsa_user_sgpr_private_segment_buffer 1
		.amdhsa_user_sgpr_dispatch_ptr 0
		.amdhsa_user_sgpr_queue_ptr 0
		.amdhsa_user_sgpr_kernarg_segment_ptr 1
		.amdhsa_user_sgpr_dispatch_id 0
		.amdhsa_user_sgpr_flat_scratch_init 0
		.amdhsa_user_sgpr_private_segment_size 0
		.amdhsa_wavefront_size32 1
		.amdhsa_uses_dynamic_stack 0
		.amdhsa_system_sgpr_private_segment_wavefront_offset 0
		.amdhsa_system_sgpr_workgroup_id_x 1
		.amdhsa_system_sgpr_workgroup_id_y 0
		.amdhsa_system_sgpr_workgroup_id_z 0
		.amdhsa_system_sgpr_workgroup_info 0
		.amdhsa_system_vgpr_workitem_id 1
		.amdhsa_next_free_vgpr 13
		.amdhsa_next_free_sgpr 12
		.amdhsa_reserve_vcc 1
		.amdhsa_reserve_flat_scratch 0
		.amdhsa_float_round_mode_32 0
		.amdhsa_float_round_mode_16_64 0
		.amdhsa_float_denorm_mode_32 3
		.amdhsa_float_denorm_mode_16_64 3
		.amdhsa_dx10_clamp 1
		.amdhsa_ieee_mode 1
		.amdhsa_fp16_overflow 0
		.amdhsa_workgroup_processor_mode 1
		.amdhsa_memory_ordered 1
		.amdhsa_forward_progress 1
		.amdhsa_shared_vgpr_count 0
		.amdhsa_exception_fp_ieee_invalid_op 0
		.amdhsa_exception_fp_denorm_src 0
		.amdhsa_exception_fp_ieee_div_zero 0
		.amdhsa_exception_fp_ieee_overflow 0
		.amdhsa_exception_fp_ieee_underflow 0
		.amdhsa_exception_fp_ieee_inexact 0
		.amdhsa_exception_int_div_zero 0
	.end_amdhsa_kernel
	.section	.text._ZN12_GLOBAL__N_121softmax_warp_backwardIN3c108BFloat16ES2_fLi6ELb0ELb0ELi64EEEvPT0_PKT_S7_iiiPKb,"axG",@progbits,_ZN12_GLOBAL__N_121softmax_warp_backwardIN3c108BFloat16ES2_fLi6ELb0ELb0ELi64EEEvPT0_PKT_S7_iiiPKb,comdat
.Lfunc_end630:
	.size	_ZN12_GLOBAL__N_121softmax_warp_backwardIN3c108BFloat16ES2_fLi6ELb0ELb0ELi64EEEvPT0_PKT_S7_iiiPKb, .Lfunc_end630-_ZN12_GLOBAL__N_121softmax_warp_backwardIN3c108BFloat16ES2_fLi6ELb0ELb0ELi64EEEvPT0_PKT_S7_iiiPKb
                                        ; -- End function
	.set _ZN12_GLOBAL__N_121softmax_warp_backwardIN3c108BFloat16ES2_fLi6ELb0ELb0ELi64EEEvPT0_PKT_S7_iiiPKb.num_vgpr, 13
	.set _ZN12_GLOBAL__N_121softmax_warp_backwardIN3c108BFloat16ES2_fLi6ELb0ELb0ELi64EEEvPT0_PKT_S7_iiiPKb.num_agpr, 0
	.set _ZN12_GLOBAL__N_121softmax_warp_backwardIN3c108BFloat16ES2_fLi6ELb0ELb0ELi64EEEvPT0_PKT_S7_iiiPKb.numbered_sgpr, 12
	.set _ZN12_GLOBAL__N_121softmax_warp_backwardIN3c108BFloat16ES2_fLi6ELb0ELb0ELi64EEEvPT0_PKT_S7_iiiPKb.num_named_barrier, 0
	.set _ZN12_GLOBAL__N_121softmax_warp_backwardIN3c108BFloat16ES2_fLi6ELb0ELb0ELi64EEEvPT0_PKT_S7_iiiPKb.private_seg_size, 0
	.set _ZN12_GLOBAL__N_121softmax_warp_backwardIN3c108BFloat16ES2_fLi6ELb0ELb0ELi64EEEvPT0_PKT_S7_iiiPKb.uses_vcc, 1
	.set _ZN12_GLOBAL__N_121softmax_warp_backwardIN3c108BFloat16ES2_fLi6ELb0ELb0ELi64EEEvPT0_PKT_S7_iiiPKb.uses_flat_scratch, 0
	.set _ZN12_GLOBAL__N_121softmax_warp_backwardIN3c108BFloat16ES2_fLi6ELb0ELb0ELi64EEEvPT0_PKT_S7_iiiPKb.has_dyn_sized_stack, 0
	.set _ZN12_GLOBAL__N_121softmax_warp_backwardIN3c108BFloat16ES2_fLi6ELb0ELb0ELi64EEEvPT0_PKT_S7_iiiPKb.has_recursion, 0
	.set _ZN12_GLOBAL__N_121softmax_warp_backwardIN3c108BFloat16ES2_fLi6ELb0ELb0ELi64EEEvPT0_PKT_S7_iiiPKb.has_indirect_call, 0
	.section	.AMDGPU.csdata,"",@progbits
; Kernel info:
; codeLenInByte = 860
; TotalNumSgprs: 14
; NumVgprs: 13
; ScratchSize: 0
; MemoryBound: 0
; FloatMode: 240
; IeeeMode: 1
; LDSByteSize: 0 bytes/workgroup (compile time only)
; SGPRBlocks: 0
; VGPRBlocks: 1
; NumSGPRsForWavesPerEU: 14
; NumVGPRsForWavesPerEU: 13
; Occupancy: 16
; WaveLimiterHint : 0
; COMPUTE_PGM_RSRC2:SCRATCH_EN: 0
; COMPUTE_PGM_RSRC2:USER_SGPR: 6
; COMPUTE_PGM_RSRC2:TRAP_HANDLER: 0
; COMPUTE_PGM_RSRC2:TGID_X_EN: 1
; COMPUTE_PGM_RSRC2:TGID_Y_EN: 0
; COMPUTE_PGM_RSRC2:TGID_Z_EN: 0
; COMPUTE_PGM_RSRC2:TIDIG_COMP_CNT: 1
	.section	.text._ZN12_GLOBAL__N_121softmax_warp_backwardIN3c108BFloat16ES2_fLi6ELb0ELb0ELi32EEEvPT0_PKT_S7_iiiPKb,"axG",@progbits,_ZN12_GLOBAL__N_121softmax_warp_backwardIN3c108BFloat16ES2_fLi6ELb0ELb0ELi32EEEvPT0_PKT_S7_iiiPKb,comdat
	.globl	_ZN12_GLOBAL__N_121softmax_warp_backwardIN3c108BFloat16ES2_fLi6ELb0ELb0ELi32EEEvPT0_PKT_S7_iiiPKb ; -- Begin function _ZN12_GLOBAL__N_121softmax_warp_backwardIN3c108BFloat16ES2_fLi6ELb0ELb0ELi32EEEvPT0_PKT_S7_iiiPKb
	.p2align	8
	.type	_ZN12_GLOBAL__N_121softmax_warp_backwardIN3c108BFloat16ES2_fLi6ELb0ELb0ELi32EEEvPT0_PKT_S7_iiiPKb,@function
_ZN12_GLOBAL__N_121softmax_warp_backwardIN3c108BFloat16ES2_fLi6ELb0ELb0ELi32EEEvPT0_PKT_S7_iiiPKb: ; @_ZN12_GLOBAL__N_121softmax_warp_backwardIN3c108BFloat16ES2_fLi6ELb0ELb0ELi32EEEvPT0_PKT_S7_iiiPKb
; %bb.0:
	s_clause 0x1
	s_load_dword s0, s[4:5], 0x3c
	s_load_dwordx4 s[8:11], s[4:5], 0x18
	v_and_b32_e32 v6, 31, v0
	s_clause 0x1
	s_load_dwordx4 s[12:15], s[4:5], 0x0
	s_load_dwordx2 s[2:3], s[4:5], 0x10
	v_mov_b32_e32 v8, 0
	v_mov_b32_e32 v9, 0
	;; [unrolled: 1-line block ×3, first 2 shown]
	s_waitcnt lgkmcnt(0)
	s_lshr_b32 s0, s0, 16
	v_cmp_gt_i32_e64 s1, s10, v6
	s_and_b32 s0, s0, 0xffff
	s_mul_i32 s6, s6, s0
	v_add_lshl_u32 v2, s6, v1, 1
	v_mad_u64_u32 v[0:1], null, v2, s9, v[6:7]
	v_sub_nc_u32_e32 v7, s8, v2
	v_cmp_lt_i32_e32 vcc_lo, 0, v7
	v_ashrrev_i32_e32 v1, 31, v0
	v_lshlrev_b64 v[0:1], 1, v[0:1]
	v_add_co_u32 v4, s0, s14, v0
	v_add_co_ci_u32_e64 v5, null, s15, v1, s0
	v_add_co_u32 v2, s0, s2, v0
	v_add_co_ci_u32_e64 v3, null, s3, v1, s0
	s_and_b32 s2, vcc_lo, s1
	s_and_saveexec_b32 s0, s2
	s_cbranch_execz .LBB631_2
; %bb.1:
	global_load_ushort v9, v[4:5], off
	global_load_ushort v10, v[2:3], off
	s_waitcnt vmcnt(1)
	v_lshlrev_b32_e32 v9, 16, v9
	s_waitcnt vmcnt(0)
	v_lshlrev_b32_e32 v10, 16, v10
.LBB631_2:
	s_or_b32 exec_lo, exec_lo, s0
	v_or_b32_e32 v6, 32, v6
	v_mov_b32_e32 v11, 0
	v_cmp_gt_i32_e64 s0, s10, v6
	s_and_b32 s3, vcc_lo, s0
	s_and_saveexec_b32 s2, s3
	s_cbranch_execz .LBB631_4
; %bb.3:
	global_load_ushort v6, v[4:5], off offset:64
	global_load_ushort v11, v[2:3], off offset:64
	s_waitcnt vmcnt(1)
	v_lshlrev_b32_e32 v8, 16, v6
	s_waitcnt vmcnt(0)
	v_lshlrev_b32_e32 v11, 16, v11
.LBB631_4:
	s_or_b32 exec_lo, exec_lo, s2
	v_cmp_lt_i32_e64 s2, 1, v7
	v_mov_b32_e32 v6, 0
	v_mov_b32_e32 v12, 0
	;; [unrolled: 1-line block ×3, first 2 shown]
	s_and_b32 s3, s2, s1
	s_and_saveexec_b32 s4, s3
	s_cbranch_execz .LBB631_6
; %bb.5:
	s_mov_b32 s11, 0
	s_lshl_b64 s[6:7], s[10:11], 1
	v_add_co_u32 v12, s3, v4, s6
	v_add_co_ci_u32_e64 v13, null, s7, v5, s3
	v_add_co_u32 v14, s3, v2, s6
	v_add_co_ci_u32_e64 v15, null, s7, v3, s3
	global_load_ushort v12, v[12:13], off
	global_load_ushort v13, v[14:15], off
	s_waitcnt vmcnt(1)
	v_lshlrev_b32_e32 v12, 16, v12
	s_waitcnt vmcnt(0)
	v_lshlrev_b32_e32 v13, 16, v13
.LBB631_6:
	s_or_b32 exec_lo, exec_lo, s4
	v_mov_b32_e32 v14, 0
	s_and_b32 s2, s2, s0
	s_and_saveexec_b32 s3, s2
	s_cbranch_execz .LBB631_8
; %bb.7:
	s_mov_b32 s11, 0
	s_lshl_b64 s[4:5], s[10:11], 1
	v_add_co_u32 v4, s2, v4, s4
	v_add_co_ci_u32_e64 v5, null, s5, v5, s2
	v_add_co_u32 v2, s2, v2, s4
	v_add_co_ci_u32_e64 v3, null, s5, v3, s2
	global_load_ushort v4, v[4:5], off offset:64
	global_load_ushort v2, v[2:3], off offset:64
	s_waitcnt vmcnt(1)
	v_lshlrev_b32_e32 v6, 16, v4
	s_waitcnt vmcnt(0)
	v_lshlrev_b32_e32 v14, 16, v2
.LBB631_8:
	s_or_b32 exec_lo, exec_lo, s3
	v_mbcnt_lo_u32_b32 v2, -1, 0
	v_add_f32_e32 v4, 0, v9
	v_add_f32_e32 v5, 0, v12
	v_xor_b32_e32 v3, 16, v2
	v_add_f32_e32 v4, v4, v8
	v_add_f32_e32 v5, v5, v6
	v_xor_b32_e32 v16, 8, v2
	v_cmp_gt_i32_e64 s2, 32, v3
	v_cndmask_b32_e64 v3, v2, v3, s2
	v_cmp_gt_i32_e64 s2, 32, v16
	v_lshlrev_b32_e32 v3, 2, v3
	v_cndmask_b32_e64 v16, v2, v16, s2
	ds_bpermute_b32 v15, v3, v4
	ds_bpermute_b32 v3, v3, v5
	v_lshlrev_b32_e32 v16, 2, v16
	s_waitcnt lgkmcnt(1)
	v_add_f32_e32 v4, v4, v15
	s_waitcnt lgkmcnt(0)
	v_add_f32_e32 v3, v5, v3
	ds_bpermute_b32 v5, v16, v4
	ds_bpermute_b32 v15, v16, v3
	v_xor_b32_e32 v16, 4, v2
	v_cmp_gt_i32_e64 s2, 32, v16
	v_cndmask_b32_e64 v16, v2, v16, s2
	v_lshlrev_b32_e32 v16, 2, v16
	s_waitcnt lgkmcnt(1)
	v_add_f32_e32 v4, v4, v5
	s_waitcnt lgkmcnt(0)
	v_add_f32_e32 v3, v3, v15
	ds_bpermute_b32 v5, v16, v4
	ds_bpermute_b32 v15, v16, v3
	v_xor_b32_e32 v16, 2, v2
	v_cmp_gt_i32_e64 s2, 32, v16
	v_cndmask_b32_e64 v16, v2, v16, s2
	v_lshlrev_b32_e32 v16, 2, v16
	s_waitcnt lgkmcnt(1)
	v_add_f32_e32 v4, v4, v5
	s_waitcnt lgkmcnt(0)
	v_add_f32_e32 v3, v3, v15
	ds_bpermute_b32 v5, v16, v4
	ds_bpermute_b32 v15, v16, v3
	v_xor_b32_e32 v16, 1, v2
	v_cmp_gt_i32_e64 s2, 32, v16
	v_cndmask_b32_e64 v2, v2, v16, s2
	v_lshlrev_b32_e32 v16, 2, v2
	s_waitcnt lgkmcnt(1)
	v_add_f32_e32 v4, v4, v5
	s_waitcnt lgkmcnt(0)
	v_add_f32_e32 v2, v3, v15
	ds_bpermute_b32 v5, v16, v4
	ds_bpermute_b32 v3, v16, v2
	s_and_saveexec_b32 s2, vcc_lo
	s_cbranch_execz .LBB631_12
; %bb.9:
	v_add_co_u32 v0, vcc_lo, s12, v0
	v_add_co_ci_u32_e64 v1, null, s13, v1, vcc_lo
	s_waitcnt lgkmcnt(1)
	v_add_f32_e32 v4, v4, v5
	s_and_saveexec_b32 s2, s1
	s_cbranch_execnz .LBB631_13
; %bb.10:
	s_or_b32 exec_lo, exec_lo, s2
	s_and_saveexec_b32 s2, s0
	s_cbranch_execnz .LBB631_14
.LBB631_11:
	s_or_b32 exec_lo, exec_lo, s2
	v_cmp_ne_u32_e32 vcc_lo, 1, v7
	s_and_b32 exec_lo, exec_lo, vcc_lo
	s_cbranch_execnz .LBB631_15
.LBB631_12:
	s_endpgm
.LBB631_13:
	v_fma_f32 v5, -v4, v10, v9
	v_bfe_u32 v9, v5, 16, 1
	v_cmp_o_f32_e32 vcc_lo, v5, v5
	v_add3_u32 v5, v5, v9, 0x7fff
	v_mov_b32_e32 v9, 0x7fc0
	v_cndmask_b32_sdwa v5, v9, v5, vcc_lo dst_sel:DWORD dst_unused:UNUSED_PAD src0_sel:DWORD src1_sel:WORD_1
	global_store_short v[0:1], v5, off
	s_or_b32 exec_lo, exec_lo, s2
	s_and_saveexec_b32 s2, s0
	s_cbranch_execz .LBB631_11
.LBB631_14:
	v_fma_f32 v4, -v4, v11, v8
	v_bfe_u32 v5, v4, 16, 1
	v_cmp_o_f32_e32 vcc_lo, v4, v4
	v_add3_u32 v4, v4, v5, 0x7fff
	v_mov_b32_e32 v5, 0x7fc0
	v_cndmask_b32_sdwa v4, v5, v4, vcc_lo dst_sel:DWORD dst_unused:UNUSED_PAD src0_sel:DWORD src1_sel:WORD_1
	global_store_short v[0:1], v4, off offset:64
	s_or_b32 exec_lo, exec_lo, s2
	v_cmp_ne_u32_e32 vcc_lo, 1, v7
	s_and_b32 exec_lo, exec_lo, vcc_lo
	s_cbranch_execz .LBB631_12
.LBB631_15:
	s_waitcnt lgkmcnt(0)
	v_add_f32_e32 v2, v2, v3
	s_and_saveexec_b32 s2, s1
	s_cbranch_execz .LBB631_17
; %bb.16:
	v_fma_f32 v3, -v2, v13, v12
	v_mov_b32_e32 v5, 0x7fc0
	s_mov_b32 s11, 0
	s_lshl_b64 s[4:5], s[10:11], 1
	v_bfe_u32 v4, v3, 16, 1
	v_cmp_o_f32_e32 vcc_lo, v3, v3
	v_add3_u32 v3, v3, v4, 0x7fff
	v_cndmask_b32_sdwa v5, v5, v3, vcc_lo dst_sel:DWORD dst_unused:UNUSED_PAD src0_sel:DWORD src1_sel:WORD_1
	v_add_co_u32 v3, vcc_lo, v0, s4
	v_add_co_ci_u32_e64 v4, null, s5, v1, vcc_lo
	global_store_short v[3:4], v5, off
.LBB631_17:
	s_or_b32 exec_lo, exec_lo, s2
	s_and_b32 exec_lo, exec_lo, s0
	s_cbranch_execz .LBB631_12
; %bb.18:
	v_fma_f32 v2, -v2, v14, v6
	v_mov_b32_e32 v4, 0x7fc0
	s_mov_b32 s11, 0
	s_lshl_b64 s[0:1], s[10:11], 1
	v_bfe_u32 v3, v2, 16, 1
	v_cmp_o_f32_e32 vcc_lo, v2, v2
	v_add3_u32 v2, v2, v3, 0x7fff
	v_cndmask_b32_sdwa v2, v4, v2, vcc_lo dst_sel:DWORD dst_unused:UNUSED_PAD src0_sel:DWORD src1_sel:WORD_1
	v_add_co_u32 v0, vcc_lo, v0, s0
	v_add_co_ci_u32_e64 v1, null, s1, v1, vcc_lo
	global_store_short v[0:1], v2, off offset:64
	s_endpgm
	.section	.rodata,"a",@progbits
	.p2align	6, 0x0
	.amdhsa_kernel _ZN12_GLOBAL__N_121softmax_warp_backwardIN3c108BFloat16ES2_fLi6ELb0ELb0ELi32EEEvPT0_PKT_S7_iiiPKb
		.amdhsa_group_segment_fixed_size 0
		.amdhsa_private_segment_fixed_size 0
		.amdhsa_kernarg_size 304
		.amdhsa_user_sgpr_count 6
		.amdhsa_user_sgpr_private_segment_buffer 1
		.amdhsa_user_sgpr_dispatch_ptr 0
		.amdhsa_user_sgpr_queue_ptr 0
		.amdhsa_user_sgpr_kernarg_segment_ptr 1
		.amdhsa_user_sgpr_dispatch_id 0
		.amdhsa_user_sgpr_flat_scratch_init 0
		.amdhsa_user_sgpr_private_segment_size 0
		.amdhsa_wavefront_size32 1
		.amdhsa_uses_dynamic_stack 0
		.amdhsa_system_sgpr_private_segment_wavefront_offset 0
		.amdhsa_system_sgpr_workgroup_id_x 1
		.amdhsa_system_sgpr_workgroup_id_y 0
		.amdhsa_system_sgpr_workgroup_id_z 0
		.amdhsa_system_sgpr_workgroup_info 0
		.amdhsa_system_vgpr_workitem_id 1
		.amdhsa_next_free_vgpr 17
		.amdhsa_next_free_sgpr 16
		.amdhsa_reserve_vcc 1
		.amdhsa_reserve_flat_scratch 0
		.amdhsa_float_round_mode_32 0
		.amdhsa_float_round_mode_16_64 0
		.amdhsa_float_denorm_mode_32 3
		.amdhsa_float_denorm_mode_16_64 3
		.amdhsa_dx10_clamp 1
		.amdhsa_ieee_mode 1
		.amdhsa_fp16_overflow 0
		.amdhsa_workgroup_processor_mode 1
		.amdhsa_memory_ordered 1
		.amdhsa_forward_progress 1
		.amdhsa_shared_vgpr_count 0
		.amdhsa_exception_fp_ieee_invalid_op 0
		.amdhsa_exception_fp_denorm_src 0
		.amdhsa_exception_fp_ieee_div_zero 0
		.amdhsa_exception_fp_ieee_overflow 0
		.amdhsa_exception_fp_ieee_underflow 0
		.amdhsa_exception_fp_ieee_inexact 0
		.amdhsa_exception_int_div_zero 0
	.end_amdhsa_kernel
	.section	.text._ZN12_GLOBAL__N_121softmax_warp_backwardIN3c108BFloat16ES2_fLi6ELb0ELb0ELi32EEEvPT0_PKT_S7_iiiPKb,"axG",@progbits,_ZN12_GLOBAL__N_121softmax_warp_backwardIN3c108BFloat16ES2_fLi6ELb0ELb0ELi32EEEvPT0_PKT_S7_iiiPKb,comdat
.Lfunc_end631:
	.size	_ZN12_GLOBAL__N_121softmax_warp_backwardIN3c108BFloat16ES2_fLi6ELb0ELb0ELi32EEEvPT0_PKT_S7_iiiPKb, .Lfunc_end631-_ZN12_GLOBAL__N_121softmax_warp_backwardIN3c108BFloat16ES2_fLi6ELb0ELb0ELi32EEEvPT0_PKT_S7_iiiPKb
                                        ; -- End function
	.set _ZN12_GLOBAL__N_121softmax_warp_backwardIN3c108BFloat16ES2_fLi6ELb0ELb0ELi32EEEvPT0_PKT_S7_iiiPKb.num_vgpr, 17
	.set _ZN12_GLOBAL__N_121softmax_warp_backwardIN3c108BFloat16ES2_fLi6ELb0ELb0ELi32EEEvPT0_PKT_S7_iiiPKb.num_agpr, 0
	.set _ZN12_GLOBAL__N_121softmax_warp_backwardIN3c108BFloat16ES2_fLi6ELb0ELb0ELi32EEEvPT0_PKT_S7_iiiPKb.numbered_sgpr, 16
	.set _ZN12_GLOBAL__N_121softmax_warp_backwardIN3c108BFloat16ES2_fLi6ELb0ELb0ELi32EEEvPT0_PKT_S7_iiiPKb.num_named_barrier, 0
	.set _ZN12_GLOBAL__N_121softmax_warp_backwardIN3c108BFloat16ES2_fLi6ELb0ELb0ELi32EEEvPT0_PKT_S7_iiiPKb.private_seg_size, 0
	.set _ZN12_GLOBAL__N_121softmax_warp_backwardIN3c108BFloat16ES2_fLi6ELb0ELb0ELi32EEEvPT0_PKT_S7_iiiPKb.uses_vcc, 1
	.set _ZN12_GLOBAL__N_121softmax_warp_backwardIN3c108BFloat16ES2_fLi6ELb0ELb0ELi32EEEvPT0_PKT_S7_iiiPKb.uses_flat_scratch, 0
	.set _ZN12_GLOBAL__N_121softmax_warp_backwardIN3c108BFloat16ES2_fLi6ELb0ELb0ELi32EEEvPT0_PKT_S7_iiiPKb.has_dyn_sized_stack, 0
	.set _ZN12_GLOBAL__N_121softmax_warp_backwardIN3c108BFloat16ES2_fLi6ELb0ELb0ELi32EEEvPT0_PKT_S7_iiiPKb.has_recursion, 0
	.set _ZN12_GLOBAL__N_121softmax_warp_backwardIN3c108BFloat16ES2_fLi6ELb0ELb0ELi32EEEvPT0_PKT_S7_iiiPKb.has_indirect_call, 0
	.section	.AMDGPU.csdata,"",@progbits
; Kernel info:
; codeLenInByte = 1156
; TotalNumSgprs: 18
; NumVgprs: 17
; ScratchSize: 0
; MemoryBound: 0
; FloatMode: 240
; IeeeMode: 1
; LDSByteSize: 0 bytes/workgroup (compile time only)
; SGPRBlocks: 0
; VGPRBlocks: 2
; NumSGPRsForWavesPerEU: 18
; NumVGPRsForWavesPerEU: 17
; Occupancy: 16
; WaveLimiterHint : 0
; COMPUTE_PGM_RSRC2:SCRATCH_EN: 0
; COMPUTE_PGM_RSRC2:USER_SGPR: 6
; COMPUTE_PGM_RSRC2:TRAP_HANDLER: 0
; COMPUTE_PGM_RSRC2:TGID_X_EN: 1
; COMPUTE_PGM_RSRC2:TGID_Y_EN: 0
; COMPUTE_PGM_RSRC2:TGID_Z_EN: 0
; COMPUTE_PGM_RSRC2:TIDIG_COMP_CNT: 1
	.section	.text._ZN12_GLOBAL__N_121softmax_warp_backwardIN3c108BFloat16ES2_fLi7ELb0ELb0ELi64EEEvPT0_PKT_S7_iiiPKb,"axG",@progbits,_ZN12_GLOBAL__N_121softmax_warp_backwardIN3c108BFloat16ES2_fLi7ELb0ELb0ELi64EEEvPT0_PKT_S7_iiiPKb,comdat
	.globl	_ZN12_GLOBAL__N_121softmax_warp_backwardIN3c108BFloat16ES2_fLi7ELb0ELb0ELi64EEEvPT0_PKT_S7_iiiPKb ; -- Begin function _ZN12_GLOBAL__N_121softmax_warp_backwardIN3c108BFloat16ES2_fLi7ELb0ELb0ELi64EEEvPT0_PKT_S7_iiiPKb
	.p2align	8
	.type	_ZN12_GLOBAL__N_121softmax_warp_backwardIN3c108BFloat16ES2_fLi7ELb0ELb0ELi64EEEvPT0_PKT_S7_iiiPKb,@function
_ZN12_GLOBAL__N_121softmax_warp_backwardIN3c108BFloat16ES2_fLi7ELb0ELb0ELi64EEEvPT0_PKT_S7_iiiPKb: ; @_ZN12_GLOBAL__N_121softmax_warp_backwardIN3c108BFloat16ES2_fLi7ELb0ELb0ELi64EEEvPT0_PKT_S7_iiiPKb
; %bb.0:
	s_clause 0x1
	s_load_dword s0, s[4:5], 0x3c
	s_load_dwordx4 s[8:11], s[4:5], 0x18
	v_and_b32_e32 v6, 63, v0
	s_clause 0x1
	s_load_dwordx4 s[12:15], s[4:5], 0x0
	s_load_dwordx2 s[2:3], s[4:5], 0x10
	v_mov_b32_e32 v8, 0
	v_mov_b32_e32 v9, 0
	;; [unrolled: 1-line block ×3, first 2 shown]
	s_waitcnt lgkmcnt(0)
	s_lshr_b32 s0, s0, 16
	v_cmp_gt_i32_e64 s1, s10, v6
	s_and_b32 s0, s0, 0xffff
	s_mul_i32 s6, s6, s0
	v_add_lshl_u32 v2, s6, v1, 1
	v_mad_u64_u32 v[0:1], null, v2, s9, v[6:7]
	v_sub_nc_u32_e32 v7, s8, v2
	v_cmp_lt_i32_e32 vcc_lo, 0, v7
	v_ashrrev_i32_e32 v1, 31, v0
	v_lshlrev_b64 v[0:1], 1, v[0:1]
	v_add_co_u32 v4, s0, s14, v0
	v_add_co_ci_u32_e64 v5, null, s15, v1, s0
	v_add_co_u32 v2, s0, s2, v0
	v_add_co_ci_u32_e64 v3, null, s3, v1, s0
	s_and_b32 s2, vcc_lo, s1
	s_and_saveexec_b32 s0, s2
	s_cbranch_execz .LBB632_2
; %bb.1:
	global_load_ushort v9, v[4:5], off
	global_load_ushort v10, v[2:3], off
	s_waitcnt vmcnt(1)
	v_lshlrev_b32_e32 v9, 16, v9
	s_waitcnt vmcnt(0)
	v_lshlrev_b32_e32 v10, 16, v10
.LBB632_2:
	s_or_b32 exec_lo, exec_lo, s0
	v_or_b32_e32 v6, 64, v6
	v_mov_b32_e32 v11, 0
	v_cmp_gt_i32_e64 s0, s10, v6
	s_and_b32 s3, vcc_lo, s0
	s_and_saveexec_b32 s2, s3
	s_cbranch_execz .LBB632_4
; %bb.3:
	global_load_ushort v6, v[4:5], off offset:128
	global_load_ushort v11, v[2:3], off offset:128
	s_waitcnt vmcnt(1)
	v_lshlrev_b32_e32 v8, 16, v6
	s_waitcnt vmcnt(0)
	v_lshlrev_b32_e32 v11, 16, v11
.LBB632_4:
	s_or_b32 exec_lo, exec_lo, s2
	v_cmp_lt_i32_e64 s2, 1, v7
	v_mov_b32_e32 v6, 0
	v_mov_b32_e32 v12, 0
	;; [unrolled: 1-line block ×3, first 2 shown]
	s_and_b32 s3, s2, s1
	s_and_saveexec_b32 s4, s3
	s_cbranch_execz .LBB632_6
; %bb.5:
	s_mov_b32 s11, 0
	s_lshl_b64 s[6:7], s[10:11], 1
	v_add_co_u32 v12, s3, v4, s6
	v_add_co_ci_u32_e64 v13, null, s7, v5, s3
	v_add_co_u32 v14, s3, v2, s6
	v_add_co_ci_u32_e64 v15, null, s7, v3, s3
	global_load_ushort v12, v[12:13], off
	global_load_ushort v13, v[14:15], off
	s_waitcnt vmcnt(1)
	v_lshlrev_b32_e32 v12, 16, v12
	s_waitcnt vmcnt(0)
	v_lshlrev_b32_e32 v13, 16, v13
.LBB632_6:
	s_or_b32 exec_lo, exec_lo, s4
	v_mov_b32_e32 v14, 0
	s_and_b32 s2, s2, s0
	s_and_saveexec_b32 s3, s2
	s_cbranch_execz .LBB632_8
; %bb.7:
	s_mov_b32 s11, 0
	s_lshl_b64 s[4:5], s[10:11], 1
	v_add_co_u32 v4, s2, v4, s4
	v_add_co_ci_u32_e64 v5, null, s5, v5, s2
	v_add_co_u32 v2, s2, v2, s4
	v_add_co_ci_u32_e64 v3, null, s5, v3, s2
	global_load_ushort v4, v[4:5], off offset:128
	global_load_ushort v2, v[2:3], off offset:128
	s_waitcnt vmcnt(1)
	v_lshlrev_b32_e32 v6, 16, v4
	s_waitcnt vmcnt(0)
	v_lshlrev_b32_e32 v14, 16, v2
.LBB632_8:
	s_or_b32 exec_lo, exec_lo, s3
	v_mbcnt_lo_u32_b32 v2, -1, 0
	v_add_f32_e32 v4, 0, v9
	v_add_f32_e32 v5, 0, v12
	v_or_b32_e32 v3, 32, v2
	v_add_f32_e32 v4, v4, v8
	v_add_f32_e32 v5, v5, v6
	v_xor_b32_e32 v16, 16, v2
	v_cmp_gt_i32_e64 s2, 64, v3
	v_cndmask_b32_e64 v3, v2, v3, s2
	v_cmp_gt_i32_e64 s2, 64, v16
	v_lshlrev_b32_e32 v3, 2, v3
	v_cndmask_b32_e64 v16, v2, v16, s2
	ds_bpermute_b32 v15, v3, v4
	ds_bpermute_b32 v3, v3, v5
	v_lshlrev_b32_e32 v16, 2, v16
	s_waitcnt lgkmcnt(1)
	v_add_f32_e32 v4, v4, v15
	s_waitcnt lgkmcnt(0)
	v_add_f32_e32 v3, v5, v3
	ds_bpermute_b32 v5, v16, v4
	ds_bpermute_b32 v15, v16, v3
	v_xor_b32_e32 v16, 8, v2
	v_cmp_gt_i32_e64 s2, 64, v16
	v_cndmask_b32_e64 v16, v2, v16, s2
	v_lshlrev_b32_e32 v16, 2, v16
	s_waitcnt lgkmcnt(1)
	v_add_f32_e32 v4, v4, v5
	s_waitcnt lgkmcnt(0)
	v_add_f32_e32 v3, v3, v15
	ds_bpermute_b32 v5, v16, v4
	ds_bpermute_b32 v15, v16, v3
	v_xor_b32_e32 v16, 4, v2
	v_cmp_gt_i32_e64 s2, 64, v16
	v_cndmask_b32_e64 v16, v2, v16, s2
	;; [unrolled: 10-line block ×4, first 2 shown]
	v_lshlrev_b32_e32 v16, 2, v2
	s_waitcnt lgkmcnt(1)
	v_add_f32_e32 v4, v4, v5
	s_waitcnt lgkmcnt(0)
	v_add_f32_e32 v2, v3, v15
	ds_bpermute_b32 v5, v16, v4
	ds_bpermute_b32 v3, v16, v2
	s_and_saveexec_b32 s2, vcc_lo
	s_cbranch_execz .LBB632_12
; %bb.9:
	v_add_co_u32 v0, vcc_lo, s12, v0
	v_add_co_ci_u32_e64 v1, null, s13, v1, vcc_lo
	s_waitcnt lgkmcnt(1)
	v_add_f32_e32 v4, v4, v5
	s_and_saveexec_b32 s2, s1
	s_cbranch_execnz .LBB632_13
; %bb.10:
	s_or_b32 exec_lo, exec_lo, s2
	s_and_saveexec_b32 s2, s0
	s_cbranch_execnz .LBB632_14
.LBB632_11:
	s_or_b32 exec_lo, exec_lo, s2
	v_cmp_ne_u32_e32 vcc_lo, 1, v7
	s_and_b32 exec_lo, exec_lo, vcc_lo
	s_cbranch_execnz .LBB632_15
.LBB632_12:
	s_endpgm
.LBB632_13:
	v_fma_f32 v5, -v4, v10, v9
	v_bfe_u32 v9, v5, 16, 1
	v_cmp_o_f32_e32 vcc_lo, v5, v5
	v_add3_u32 v5, v5, v9, 0x7fff
	v_mov_b32_e32 v9, 0x7fc0
	v_cndmask_b32_sdwa v5, v9, v5, vcc_lo dst_sel:DWORD dst_unused:UNUSED_PAD src0_sel:DWORD src1_sel:WORD_1
	global_store_short v[0:1], v5, off
	s_or_b32 exec_lo, exec_lo, s2
	s_and_saveexec_b32 s2, s0
	s_cbranch_execz .LBB632_11
.LBB632_14:
	v_fma_f32 v4, -v4, v11, v8
	v_bfe_u32 v5, v4, 16, 1
	v_cmp_o_f32_e32 vcc_lo, v4, v4
	v_add3_u32 v4, v4, v5, 0x7fff
	v_mov_b32_e32 v5, 0x7fc0
	v_cndmask_b32_sdwa v4, v5, v4, vcc_lo dst_sel:DWORD dst_unused:UNUSED_PAD src0_sel:DWORD src1_sel:WORD_1
	global_store_short v[0:1], v4, off offset:128
	s_or_b32 exec_lo, exec_lo, s2
	v_cmp_ne_u32_e32 vcc_lo, 1, v7
	s_and_b32 exec_lo, exec_lo, vcc_lo
	s_cbranch_execz .LBB632_12
.LBB632_15:
	s_waitcnt lgkmcnt(0)
	v_add_f32_e32 v2, v2, v3
	s_and_saveexec_b32 s2, s1
	s_cbranch_execz .LBB632_17
; %bb.16:
	v_fma_f32 v3, -v2, v13, v12
	v_mov_b32_e32 v5, 0x7fc0
	s_mov_b32 s11, 0
	s_lshl_b64 s[4:5], s[10:11], 1
	v_bfe_u32 v4, v3, 16, 1
	v_cmp_o_f32_e32 vcc_lo, v3, v3
	v_add3_u32 v3, v3, v4, 0x7fff
	v_cndmask_b32_sdwa v5, v5, v3, vcc_lo dst_sel:DWORD dst_unused:UNUSED_PAD src0_sel:DWORD src1_sel:WORD_1
	v_add_co_u32 v3, vcc_lo, v0, s4
	v_add_co_ci_u32_e64 v4, null, s5, v1, vcc_lo
	global_store_short v[3:4], v5, off
.LBB632_17:
	s_or_b32 exec_lo, exec_lo, s2
	s_and_b32 exec_lo, exec_lo, s0
	s_cbranch_execz .LBB632_12
; %bb.18:
	v_fma_f32 v2, -v2, v14, v6
	v_mov_b32_e32 v4, 0x7fc0
	s_mov_b32 s11, 0
	s_lshl_b64 s[0:1], s[10:11], 1
	v_bfe_u32 v3, v2, 16, 1
	v_cmp_o_f32_e32 vcc_lo, v2, v2
	v_add3_u32 v2, v2, v3, 0x7fff
	v_cndmask_b32_sdwa v2, v4, v2, vcc_lo dst_sel:DWORD dst_unused:UNUSED_PAD src0_sel:DWORD src1_sel:WORD_1
	v_add_co_u32 v0, vcc_lo, v0, s0
	v_add_co_ci_u32_e64 v1, null, s1, v1, vcc_lo
	global_store_short v[0:1], v2, off offset:128
	s_endpgm
	.section	.rodata,"a",@progbits
	.p2align	6, 0x0
	.amdhsa_kernel _ZN12_GLOBAL__N_121softmax_warp_backwardIN3c108BFloat16ES2_fLi7ELb0ELb0ELi64EEEvPT0_PKT_S7_iiiPKb
		.amdhsa_group_segment_fixed_size 0
		.amdhsa_private_segment_fixed_size 0
		.amdhsa_kernarg_size 304
		.amdhsa_user_sgpr_count 6
		.amdhsa_user_sgpr_private_segment_buffer 1
		.amdhsa_user_sgpr_dispatch_ptr 0
		.amdhsa_user_sgpr_queue_ptr 0
		.amdhsa_user_sgpr_kernarg_segment_ptr 1
		.amdhsa_user_sgpr_dispatch_id 0
		.amdhsa_user_sgpr_flat_scratch_init 0
		.amdhsa_user_sgpr_private_segment_size 0
		.amdhsa_wavefront_size32 1
		.amdhsa_uses_dynamic_stack 0
		.amdhsa_system_sgpr_private_segment_wavefront_offset 0
		.amdhsa_system_sgpr_workgroup_id_x 1
		.amdhsa_system_sgpr_workgroup_id_y 0
		.amdhsa_system_sgpr_workgroup_id_z 0
		.amdhsa_system_sgpr_workgroup_info 0
		.amdhsa_system_vgpr_workitem_id 1
		.amdhsa_next_free_vgpr 17
		.amdhsa_next_free_sgpr 16
		.amdhsa_reserve_vcc 1
		.amdhsa_reserve_flat_scratch 0
		.amdhsa_float_round_mode_32 0
		.amdhsa_float_round_mode_16_64 0
		.amdhsa_float_denorm_mode_32 3
		.amdhsa_float_denorm_mode_16_64 3
		.amdhsa_dx10_clamp 1
		.amdhsa_ieee_mode 1
		.amdhsa_fp16_overflow 0
		.amdhsa_workgroup_processor_mode 1
		.amdhsa_memory_ordered 1
		.amdhsa_forward_progress 1
		.amdhsa_shared_vgpr_count 0
		.amdhsa_exception_fp_ieee_invalid_op 0
		.amdhsa_exception_fp_denorm_src 0
		.amdhsa_exception_fp_ieee_div_zero 0
		.amdhsa_exception_fp_ieee_overflow 0
		.amdhsa_exception_fp_ieee_underflow 0
		.amdhsa_exception_fp_ieee_inexact 0
		.amdhsa_exception_int_div_zero 0
	.end_amdhsa_kernel
	.section	.text._ZN12_GLOBAL__N_121softmax_warp_backwardIN3c108BFloat16ES2_fLi7ELb0ELb0ELi64EEEvPT0_PKT_S7_iiiPKb,"axG",@progbits,_ZN12_GLOBAL__N_121softmax_warp_backwardIN3c108BFloat16ES2_fLi7ELb0ELb0ELi64EEEvPT0_PKT_S7_iiiPKb,comdat
.Lfunc_end632:
	.size	_ZN12_GLOBAL__N_121softmax_warp_backwardIN3c108BFloat16ES2_fLi7ELb0ELb0ELi64EEEvPT0_PKT_S7_iiiPKb, .Lfunc_end632-_ZN12_GLOBAL__N_121softmax_warp_backwardIN3c108BFloat16ES2_fLi7ELb0ELb0ELi64EEEvPT0_PKT_S7_iiiPKb
                                        ; -- End function
	.set _ZN12_GLOBAL__N_121softmax_warp_backwardIN3c108BFloat16ES2_fLi7ELb0ELb0ELi64EEEvPT0_PKT_S7_iiiPKb.num_vgpr, 17
	.set _ZN12_GLOBAL__N_121softmax_warp_backwardIN3c108BFloat16ES2_fLi7ELb0ELb0ELi64EEEvPT0_PKT_S7_iiiPKb.num_agpr, 0
	.set _ZN12_GLOBAL__N_121softmax_warp_backwardIN3c108BFloat16ES2_fLi7ELb0ELb0ELi64EEEvPT0_PKT_S7_iiiPKb.numbered_sgpr, 16
	.set _ZN12_GLOBAL__N_121softmax_warp_backwardIN3c108BFloat16ES2_fLi7ELb0ELb0ELi64EEEvPT0_PKT_S7_iiiPKb.num_named_barrier, 0
	.set _ZN12_GLOBAL__N_121softmax_warp_backwardIN3c108BFloat16ES2_fLi7ELb0ELb0ELi64EEEvPT0_PKT_S7_iiiPKb.private_seg_size, 0
	.set _ZN12_GLOBAL__N_121softmax_warp_backwardIN3c108BFloat16ES2_fLi7ELb0ELb0ELi64EEEvPT0_PKT_S7_iiiPKb.uses_vcc, 1
	.set _ZN12_GLOBAL__N_121softmax_warp_backwardIN3c108BFloat16ES2_fLi7ELb0ELb0ELi64EEEvPT0_PKT_S7_iiiPKb.uses_flat_scratch, 0
	.set _ZN12_GLOBAL__N_121softmax_warp_backwardIN3c108BFloat16ES2_fLi7ELb0ELb0ELi64EEEvPT0_PKT_S7_iiiPKb.has_dyn_sized_stack, 0
	.set _ZN12_GLOBAL__N_121softmax_warp_backwardIN3c108BFloat16ES2_fLi7ELb0ELb0ELi64EEEvPT0_PKT_S7_iiiPKb.has_recursion, 0
	.set _ZN12_GLOBAL__N_121softmax_warp_backwardIN3c108BFloat16ES2_fLi7ELb0ELb0ELi64EEEvPT0_PKT_S7_iiiPKb.has_indirect_call, 0
	.section	.AMDGPU.csdata,"",@progbits
; Kernel info:
; codeLenInByte = 1212
; TotalNumSgprs: 18
; NumVgprs: 17
; ScratchSize: 0
; MemoryBound: 0
; FloatMode: 240
; IeeeMode: 1
; LDSByteSize: 0 bytes/workgroup (compile time only)
; SGPRBlocks: 0
; VGPRBlocks: 2
; NumSGPRsForWavesPerEU: 18
; NumVGPRsForWavesPerEU: 17
; Occupancy: 16
; WaveLimiterHint : 0
; COMPUTE_PGM_RSRC2:SCRATCH_EN: 0
; COMPUTE_PGM_RSRC2:USER_SGPR: 6
; COMPUTE_PGM_RSRC2:TRAP_HANDLER: 0
; COMPUTE_PGM_RSRC2:TGID_X_EN: 1
; COMPUTE_PGM_RSRC2:TGID_Y_EN: 0
; COMPUTE_PGM_RSRC2:TGID_Z_EN: 0
; COMPUTE_PGM_RSRC2:TIDIG_COMP_CNT: 1
	.section	.text._ZN12_GLOBAL__N_121softmax_warp_backwardIN3c108BFloat16ES2_fLi7ELb0ELb0ELi32EEEvPT0_PKT_S7_iiiPKb,"axG",@progbits,_ZN12_GLOBAL__N_121softmax_warp_backwardIN3c108BFloat16ES2_fLi7ELb0ELb0ELi32EEEvPT0_PKT_S7_iiiPKb,comdat
	.globl	_ZN12_GLOBAL__N_121softmax_warp_backwardIN3c108BFloat16ES2_fLi7ELb0ELb0ELi32EEEvPT0_PKT_S7_iiiPKb ; -- Begin function _ZN12_GLOBAL__N_121softmax_warp_backwardIN3c108BFloat16ES2_fLi7ELb0ELb0ELi32EEEvPT0_PKT_S7_iiiPKb
	.p2align	8
	.type	_ZN12_GLOBAL__N_121softmax_warp_backwardIN3c108BFloat16ES2_fLi7ELb0ELb0ELi32EEEvPT0_PKT_S7_iiiPKb,@function
_ZN12_GLOBAL__N_121softmax_warp_backwardIN3c108BFloat16ES2_fLi7ELb0ELb0ELi32EEEvPT0_PKT_S7_iiiPKb: ; @_ZN12_GLOBAL__N_121softmax_warp_backwardIN3c108BFloat16ES2_fLi7ELb0ELb0ELi32EEEvPT0_PKT_S7_iiiPKb
; %bb.0:
	s_clause 0x1
	s_load_dword s0, s[4:5], 0x3c
	s_load_dwordx4 s[8:11], s[4:5], 0x18
	v_and_b32_e32 v6, 31, v0
	s_clause 0x1
	s_load_dwordx4 s[12:15], s[4:5], 0x0
	s_load_dwordx2 s[4:5], s[4:5], 0x10
	v_mov_b32_e32 v8, 0
	v_mov_b32_e32 v10, 0
	;; [unrolled: 1-line block ×3, first 2 shown]
	s_waitcnt lgkmcnt(0)
	s_lshr_b32 s0, s0, 16
	v_cmp_gt_i32_e64 s3, s10, v6
	s_and_b32 s0, s0, 0xffff
	s_mul_i32 s6, s6, s0
	v_add_lshl_u32 v2, s6, v1, 1
	v_mad_u64_u32 v[0:1], null, v2, s9, v[6:7]
	v_sub_nc_u32_e32 v7, s8, v2
	v_cmp_lt_i32_e32 vcc_lo, 0, v7
	v_ashrrev_i32_e32 v1, 31, v0
	s_and_b32 s1, vcc_lo, s3
	v_lshlrev_b64 v[0:1], 1, v[0:1]
	v_add_co_u32 v4, s0, s14, v0
	v_add_co_ci_u32_e64 v5, null, s15, v1, s0
	v_add_co_u32 v2, s0, s4, v0
	v_add_co_ci_u32_e64 v3, null, s5, v1, s0
	s_and_saveexec_b32 s0, s1
	s_cbranch_execz .LBB633_2
; %bb.1:
	global_load_ushort v9, v[4:5], off
	global_load_ushort v11, v[2:3], off
	s_waitcnt vmcnt(1)
	v_lshlrev_b32_e32 v10, 16, v9
	s_waitcnt vmcnt(0)
	v_lshlrev_b32_e32 v11, 16, v11
.LBB633_2:
	s_or_b32 exec_lo, exec_lo, s0
	v_or_b32_e32 v9, 32, v6
	v_mov_b32_e32 v12, 0
	v_cmp_gt_i32_e64 s2, s10, v9
	s_and_b32 s1, vcc_lo, s2
	s_and_saveexec_b32 s0, s1
	s_cbranch_execz .LBB633_4
; %bb.3:
	global_load_ushort v8, v[4:5], off offset:64
	global_load_ushort v9, v[2:3], off offset:64
	s_waitcnt vmcnt(1)
	v_lshlrev_b32_e32 v8, 16, v8
	s_waitcnt vmcnt(0)
	v_lshlrev_b32_e32 v12, 16, v9
.LBB633_4:
	s_or_b32 exec_lo, exec_lo, s0
	v_or_b32_e32 v9, 64, v6
	v_mov_b32_e32 v14, 0
	v_mov_b32_e32 v15, 0
	v_cmp_gt_i32_e64 s1, s10, v9
	v_mov_b32_e32 v9, 0
	s_and_b32 s4, vcc_lo, s1
	s_and_saveexec_b32 s0, s4
	s_cbranch_execz .LBB633_6
; %bb.5:
	global_load_ushort v13, v[4:5], off offset:128
	global_load_ushort v15, v[2:3], off offset:128
	s_waitcnt vmcnt(1)
	v_lshlrev_b32_e32 v14, 16, v13
	s_waitcnt vmcnt(0)
	v_lshlrev_b32_e32 v15, 16, v15
.LBB633_6:
	s_or_b32 exec_lo, exec_lo, s0
	v_or_b32_e32 v6, 0x60, v6
	v_mov_b32_e32 v16, 0
	v_cmp_gt_i32_e64 s0, s10, v6
	s_and_b32 s5, vcc_lo, s0
	s_and_saveexec_b32 s4, s5
	s_cbranch_execz .LBB633_8
; %bb.7:
	global_load_ushort v6, v[4:5], off offset:192
	global_load_ushort v13, v[2:3], off offset:192
	s_waitcnt vmcnt(1)
	v_lshlrev_b32_e32 v9, 16, v6
	s_waitcnt vmcnt(0)
	v_lshlrev_b32_e32 v16, 16, v13
.LBB633_8:
	s_or_b32 exec_lo, exec_lo, s4
	v_cmp_lt_i32_e64 s4, 1, v7
	v_mov_b32_e32 v6, 0
	v_mov_b32_e32 v17, 0
	;; [unrolled: 1-line block ×3, first 2 shown]
	s_and_b32 s5, s4, s3
	s_and_saveexec_b32 s6, s5
	s_cbranch_execz .LBB633_10
; %bb.9:
	s_mov_b32 s11, 0
	s_lshl_b64 s[8:9], s[10:11], 1
	v_add_co_u32 v17, s5, v4, s8
	v_add_co_ci_u32_e64 v18, null, s9, v5, s5
	v_add_co_u32 v19, s5, v2, s8
	v_add_co_ci_u32_e64 v20, null, s9, v3, s5
	global_load_ushort v13, v[17:18], off
	global_load_ushort v18, v[19:20], off
	s_waitcnt vmcnt(1)
	v_lshlrev_b32_e32 v17, 16, v13
	s_waitcnt vmcnt(0)
	v_lshlrev_b32_e32 v18, 16, v18
.LBB633_10:
	s_or_b32 exec_lo, exec_lo, s6
	v_mov_b32_e32 v19, 0
	s_and_b32 s5, s4, s2
	s_and_saveexec_b32 s6, s5
	s_cbranch_execz .LBB633_12
; %bb.11:
	s_mov_b32 s11, 0
	s_lshl_b64 s[8:9], s[10:11], 1
	v_add_co_u32 v19, s5, v4, s8
	v_add_co_ci_u32_e64 v20, null, s9, v5, s5
	v_add_co_u32 v21, s5, v2, s8
	v_add_co_ci_u32_e64 v22, null, s9, v3, s5
	global_load_ushort v6, v[19:20], off offset:64
	global_load_ushort v13, v[21:22], off offset:64
	s_waitcnt vmcnt(1)
	v_lshlrev_b32_e32 v6, 16, v6
	s_waitcnt vmcnt(0)
	v_lshlrev_b32_e32 v19, 16, v13
.LBB633_12:
	s_or_b32 exec_lo, exec_lo, s6
	v_mov_b32_e32 v13, 0
	v_mov_b32_e32 v20, 0
	;; [unrolled: 1-line block ×3, first 2 shown]
	s_and_b32 s5, s4, s1
	s_and_saveexec_b32 s6, s5
	s_cbranch_execz .LBB633_14
; %bb.13:
	s_mov_b32 s11, 0
	s_lshl_b64 s[8:9], s[10:11], 1
	v_add_co_u32 v20, s5, v4, s8
	v_add_co_ci_u32_e64 v21, null, s9, v5, s5
	v_add_co_u32 v22, s5, v2, s8
	v_add_co_ci_u32_e64 v23, null, s9, v3, s5
	global_load_ushort v20, v[20:21], off offset:128
	global_load_ushort v21, v[22:23], off offset:128
	s_waitcnt vmcnt(1)
	v_lshlrev_b32_e32 v20, 16, v20
	s_waitcnt vmcnt(0)
	v_lshlrev_b32_e32 v21, 16, v21
.LBB633_14:
	s_or_b32 exec_lo, exec_lo, s6
	v_mov_b32_e32 v22, 0
	s_and_b32 s4, s4, s0
	s_and_saveexec_b32 s5, s4
	s_cbranch_execz .LBB633_16
; %bb.15:
	s_mov_b32 s11, 0
	s_lshl_b64 s[6:7], s[10:11], 1
	v_add_co_u32 v4, s4, v4, s6
	v_add_co_ci_u32_e64 v5, null, s7, v5, s4
	v_add_co_u32 v2, s4, v2, s6
	v_add_co_ci_u32_e64 v3, null, s7, v3, s4
	global_load_ushort v4, v[4:5], off offset:192
	global_load_ushort v2, v[2:3], off offset:192
	s_waitcnt vmcnt(1)
	v_lshlrev_b32_e32 v13, 16, v4
	s_waitcnt vmcnt(0)
	v_lshlrev_b32_e32 v22, 16, v2
.LBB633_16:
	s_or_b32 exec_lo, exec_lo, s5
	v_mbcnt_lo_u32_b32 v3, -1, 0
	v_add_f32_e32 v2, 0, v10
	v_add_f32_e32 v4, 0, v17
	v_xor_b32_e32 v5, 16, v3
	v_add_f32_e32 v2, v2, v8
	v_add_f32_e32 v4, v4, v6
	v_xor_b32_e32 v24, 8, v3
	v_cmp_gt_i32_e64 s4, 32, v5
	v_add_f32_e32 v2, v2, v14
	v_add_f32_e32 v4, v4, v20
	v_cndmask_b32_e64 v5, v3, v5, s4
	v_add_f32_e32 v2, v2, v9
	v_add_f32_e32 v4, v4, v13
	v_cmp_gt_i32_e64 s4, 32, v24
	v_lshlrev_b32_e32 v5, 2, v5
	v_cndmask_b32_e64 v24, v3, v24, s4
	ds_bpermute_b32 v23, v5, v2
	ds_bpermute_b32 v5, v5, v4
	v_lshlrev_b32_e32 v24, 2, v24
	s_waitcnt lgkmcnt(1)
	v_add_f32_e32 v2, v2, v23
	s_waitcnt lgkmcnt(0)
	v_add_f32_e32 v4, v4, v5
	ds_bpermute_b32 v5, v24, v2
	ds_bpermute_b32 v23, v24, v4
	v_xor_b32_e32 v24, 4, v3
	v_cmp_gt_i32_e64 s4, 32, v24
	v_cndmask_b32_e64 v24, v3, v24, s4
	v_lshlrev_b32_e32 v24, 2, v24
	s_waitcnt lgkmcnt(1)
	v_add_f32_e32 v2, v2, v5
	s_waitcnt lgkmcnt(0)
	v_add_f32_e32 v4, v4, v23
	ds_bpermute_b32 v5, v24, v2
	ds_bpermute_b32 v23, v24, v4
	v_xor_b32_e32 v24, 2, v3
	v_cmp_gt_i32_e64 s4, 32, v24
	v_cndmask_b32_e64 v24, v3, v24, s4
	;; [unrolled: 10-line block ×3, first 2 shown]
	v_lshlrev_b32_e32 v3, 2, v3
	s_waitcnt lgkmcnt(1)
	v_add_f32_e32 v4, v2, v4
	s_waitcnt lgkmcnt(0)
	v_add_f32_e32 v2, v5, v23
	ds_bpermute_b32 v5, v3, v4
	ds_bpermute_b32 v3, v3, v2
	s_and_saveexec_b32 s4, vcc_lo
	s_cbranch_execz .LBB633_22
; %bb.17:
	v_add_co_u32 v0, vcc_lo, s12, v0
	v_add_co_ci_u32_e64 v1, null, s13, v1, vcc_lo
	s_waitcnt lgkmcnt(1)
	v_add_f32_e32 v4, v4, v5
	s_and_saveexec_b32 s4, s3
	s_cbranch_execnz .LBB633_23
; %bb.18:
	s_or_b32 exec_lo, exec_lo, s4
	s_and_saveexec_b32 s4, s2
	s_cbranch_execnz .LBB633_24
.LBB633_19:
	s_or_b32 exec_lo, exec_lo, s4
	s_and_saveexec_b32 s4, s1
	s_cbranch_execnz .LBB633_25
.LBB633_20:
	s_or_b32 exec_lo, exec_lo, s4
	s_and_saveexec_b32 s4, s0
	s_cbranch_execnz .LBB633_26
.LBB633_21:
	s_or_b32 exec_lo, exec_lo, s4
	v_cmp_ne_u32_e32 vcc_lo, 1, v7
	s_and_b32 exec_lo, exec_lo, vcc_lo
	s_cbranch_execnz .LBB633_27
.LBB633_22:
	s_endpgm
.LBB633_23:
	v_fma_f32 v5, -v4, v11, v10
	v_bfe_u32 v10, v5, 16, 1
	v_cmp_o_f32_e32 vcc_lo, v5, v5
	v_add3_u32 v5, v5, v10, 0x7fff
	v_mov_b32_e32 v10, 0x7fc0
	v_cndmask_b32_sdwa v5, v10, v5, vcc_lo dst_sel:DWORD dst_unused:UNUSED_PAD src0_sel:DWORD src1_sel:WORD_1
	global_store_short v[0:1], v5, off
	s_or_b32 exec_lo, exec_lo, s4
	s_and_saveexec_b32 s4, s2
	s_cbranch_execz .LBB633_19
.LBB633_24:
	v_fma_f32 v5, -v4, v12, v8
	v_bfe_u32 v8, v5, 16, 1
	v_cmp_o_f32_e32 vcc_lo, v5, v5
	v_add3_u32 v5, v5, v8, 0x7fff
	v_mov_b32_e32 v8, 0x7fc0
	v_cndmask_b32_sdwa v5, v8, v5, vcc_lo dst_sel:DWORD dst_unused:UNUSED_PAD src0_sel:DWORD src1_sel:WORD_1
	global_store_short v[0:1], v5, off offset:64
	s_or_b32 exec_lo, exec_lo, s4
	s_and_saveexec_b32 s4, s1
	s_cbranch_execz .LBB633_20
.LBB633_25:
	v_fma_f32 v5, -v4, v15, v14
	v_bfe_u32 v8, v5, 16, 1
	v_cmp_o_f32_e32 vcc_lo, v5, v5
	v_add3_u32 v5, v5, v8, 0x7fff
	v_mov_b32_e32 v8, 0x7fc0
	v_cndmask_b32_sdwa v5, v8, v5, vcc_lo dst_sel:DWORD dst_unused:UNUSED_PAD src0_sel:DWORD src1_sel:WORD_1
	global_store_short v[0:1], v5, off offset:128
	s_or_b32 exec_lo, exec_lo, s4
	s_and_saveexec_b32 s4, s0
	s_cbranch_execz .LBB633_21
.LBB633_26:
	v_fma_f32 v4, -v4, v16, v9
	v_bfe_u32 v5, v4, 16, 1
	v_cmp_o_f32_e32 vcc_lo, v4, v4
	v_add3_u32 v4, v4, v5, 0x7fff
	v_mov_b32_e32 v5, 0x7fc0
	v_cndmask_b32_sdwa v4, v5, v4, vcc_lo dst_sel:DWORD dst_unused:UNUSED_PAD src0_sel:DWORD src1_sel:WORD_1
	global_store_short v[0:1], v4, off offset:192
	s_or_b32 exec_lo, exec_lo, s4
	v_cmp_ne_u32_e32 vcc_lo, 1, v7
	s_and_b32 exec_lo, exec_lo, vcc_lo
	s_cbranch_execz .LBB633_22
.LBB633_27:
	s_waitcnt lgkmcnt(0)
	v_add_f32_e32 v2, v2, v3
	s_and_saveexec_b32 s4, s3
	s_cbranch_execnz .LBB633_31
; %bb.28:
	s_or_b32 exec_lo, exec_lo, s4
	s_and_saveexec_b32 s3, s2
	s_cbranch_execnz .LBB633_32
.LBB633_29:
	s_or_b32 exec_lo, exec_lo, s3
	s_and_saveexec_b32 s2, s1
	s_cbranch_execnz .LBB633_33
.LBB633_30:
	s_or_b32 exec_lo, exec_lo, s2
	s_and_b32 exec_lo, exec_lo, s0
	s_cbranch_execz .LBB633_22
	s_branch .LBB633_34
.LBB633_31:
	v_fma_f32 v3, -v2, v18, v17
	v_mov_b32_e32 v5, 0x7fc0
	s_mov_b32 s11, 0
	s_lshl_b64 s[6:7], s[10:11], 1
	v_bfe_u32 v4, v3, 16, 1
	v_cmp_o_f32_e32 vcc_lo, v3, v3
	v_add3_u32 v3, v3, v4, 0x7fff
	v_cndmask_b32_sdwa v5, v5, v3, vcc_lo dst_sel:DWORD dst_unused:UNUSED_PAD src0_sel:DWORD src1_sel:WORD_1
	v_add_co_u32 v3, vcc_lo, v0, s6
	v_add_co_ci_u32_e64 v4, null, s7, v1, vcc_lo
	global_store_short v[3:4], v5, off
	s_or_b32 exec_lo, exec_lo, s4
	s_and_saveexec_b32 s3, s2
	s_cbranch_execz .LBB633_29
.LBB633_32:
	v_fma_f32 v3, -v2, v19, v6
	v_mov_b32_e32 v5, 0x7fc0
	s_mov_b32 s11, 0
	s_lshl_b64 s[4:5], s[10:11], 1
	v_bfe_u32 v4, v3, 16, 1
	v_cmp_o_f32_e32 vcc_lo, v3, v3
	v_add3_u32 v3, v3, v4, 0x7fff
	v_cndmask_b32_sdwa v5, v5, v3, vcc_lo dst_sel:DWORD dst_unused:UNUSED_PAD src0_sel:DWORD src1_sel:WORD_1
	v_add_co_u32 v3, vcc_lo, v0, s4
	v_add_co_ci_u32_e64 v4, null, s5, v1, vcc_lo
	global_store_short v[3:4], v5, off offset:64
	s_or_b32 exec_lo, exec_lo, s3
	s_and_saveexec_b32 s2, s1
	s_cbranch_execz .LBB633_30
.LBB633_33:
	v_fma_f32 v3, -v2, v21, v20
	v_mov_b32_e32 v5, 0x7fc0
	s_mov_b32 s11, 0
	s_lshl_b64 s[4:5], s[10:11], 1
	v_bfe_u32 v4, v3, 16, 1
	v_cmp_o_f32_e32 vcc_lo, v3, v3
	v_add3_u32 v3, v3, v4, 0x7fff
	v_cndmask_b32_sdwa v5, v5, v3, vcc_lo dst_sel:DWORD dst_unused:UNUSED_PAD src0_sel:DWORD src1_sel:WORD_1
	v_add_co_u32 v3, vcc_lo, v0, s4
	v_add_co_ci_u32_e64 v4, null, s5, v1, vcc_lo
	global_store_short v[3:4], v5, off offset:128
	s_or_b32 exec_lo, exec_lo, s2
	s_and_b32 exec_lo, exec_lo, s0
	s_cbranch_execz .LBB633_22
.LBB633_34:
	v_fma_f32 v2, -v2, v22, v13
	v_mov_b32_e32 v4, 0x7fc0
	s_mov_b32 s11, 0
	s_lshl_b64 s[0:1], s[10:11], 1
	v_bfe_u32 v3, v2, 16, 1
	v_cmp_o_f32_e32 vcc_lo, v2, v2
	v_add3_u32 v2, v2, v3, 0x7fff
	v_cndmask_b32_sdwa v2, v4, v2, vcc_lo dst_sel:DWORD dst_unused:UNUSED_PAD src0_sel:DWORD src1_sel:WORD_1
	v_add_co_u32 v0, vcc_lo, v0, s0
	v_add_co_ci_u32_e64 v1, null, s1, v1, vcc_lo
	global_store_short v[0:1], v2, off offset:192
	s_endpgm
	.section	.rodata,"a",@progbits
	.p2align	6, 0x0
	.amdhsa_kernel _ZN12_GLOBAL__N_121softmax_warp_backwardIN3c108BFloat16ES2_fLi7ELb0ELb0ELi32EEEvPT0_PKT_S7_iiiPKb
		.amdhsa_group_segment_fixed_size 0
		.amdhsa_private_segment_fixed_size 0
		.amdhsa_kernarg_size 304
		.amdhsa_user_sgpr_count 6
		.amdhsa_user_sgpr_private_segment_buffer 1
		.amdhsa_user_sgpr_dispatch_ptr 0
		.amdhsa_user_sgpr_queue_ptr 0
		.amdhsa_user_sgpr_kernarg_segment_ptr 1
		.amdhsa_user_sgpr_dispatch_id 0
		.amdhsa_user_sgpr_flat_scratch_init 0
		.amdhsa_user_sgpr_private_segment_size 0
		.amdhsa_wavefront_size32 1
		.amdhsa_uses_dynamic_stack 0
		.amdhsa_system_sgpr_private_segment_wavefront_offset 0
		.amdhsa_system_sgpr_workgroup_id_x 1
		.amdhsa_system_sgpr_workgroup_id_y 0
		.amdhsa_system_sgpr_workgroup_id_z 0
		.amdhsa_system_sgpr_workgroup_info 0
		.amdhsa_system_vgpr_workitem_id 1
		.amdhsa_next_free_vgpr 25
		.amdhsa_next_free_sgpr 16
		.amdhsa_reserve_vcc 1
		.amdhsa_reserve_flat_scratch 0
		.amdhsa_float_round_mode_32 0
		.amdhsa_float_round_mode_16_64 0
		.amdhsa_float_denorm_mode_32 3
		.amdhsa_float_denorm_mode_16_64 3
		.amdhsa_dx10_clamp 1
		.amdhsa_ieee_mode 1
		.amdhsa_fp16_overflow 0
		.amdhsa_workgroup_processor_mode 1
		.amdhsa_memory_ordered 1
		.amdhsa_forward_progress 1
		.amdhsa_shared_vgpr_count 0
		.amdhsa_exception_fp_ieee_invalid_op 0
		.amdhsa_exception_fp_denorm_src 0
		.amdhsa_exception_fp_ieee_div_zero 0
		.amdhsa_exception_fp_ieee_overflow 0
		.amdhsa_exception_fp_ieee_underflow 0
		.amdhsa_exception_fp_ieee_inexact 0
		.amdhsa_exception_int_div_zero 0
	.end_amdhsa_kernel
	.section	.text._ZN12_GLOBAL__N_121softmax_warp_backwardIN3c108BFloat16ES2_fLi7ELb0ELb0ELi32EEEvPT0_PKT_S7_iiiPKb,"axG",@progbits,_ZN12_GLOBAL__N_121softmax_warp_backwardIN3c108BFloat16ES2_fLi7ELb0ELb0ELi32EEEvPT0_PKT_S7_iiiPKb,comdat
.Lfunc_end633:
	.size	_ZN12_GLOBAL__N_121softmax_warp_backwardIN3c108BFloat16ES2_fLi7ELb0ELb0ELi32EEEvPT0_PKT_S7_iiiPKb, .Lfunc_end633-_ZN12_GLOBAL__N_121softmax_warp_backwardIN3c108BFloat16ES2_fLi7ELb0ELb0ELi32EEEvPT0_PKT_S7_iiiPKb
                                        ; -- End function
	.set _ZN12_GLOBAL__N_121softmax_warp_backwardIN3c108BFloat16ES2_fLi7ELb0ELb0ELi32EEEvPT0_PKT_S7_iiiPKb.num_vgpr, 25
	.set _ZN12_GLOBAL__N_121softmax_warp_backwardIN3c108BFloat16ES2_fLi7ELb0ELb0ELi32EEEvPT0_PKT_S7_iiiPKb.num_agpr, 0
	.set _ZN12_GLOBAL__N_121softmax_warp_backwardIN3c108BFloat16ES2_fLi7ELb0ELb0ELi32EEEvPT0_PKT_S7_iiiPKb.numbered_sgpr, 16
	.set _ZN12_GLOBAL__N_121softmax_warp_backwardIN3c108BFloat16ES2_fLi7ELb0ELb0ELi32EEEvPT0_PKT_S7_iiiPKb.num_named_barrier, 0
	.set _ZN12_GLOBAL__N_121softmax_warp_backwardIN3c108BFloat16ES2_fLi7ELb0ELb0ELi32EEEvPT0_PKT_S7_iiiPKb.private_seg_size, 0
	.set _ZN12_GLOBAL__N_121softmax_warp_backwardIN3c108BFloat16ES2_fLi7ELb0ELb0ELi32EEEvPT0_PKT_S7_iiiPKb.uses_vcc, 1
	.set _ZN12_GLOBAL__N_121softmax_warp_backwardIN3c108BFloat16ES2_fLi7ELb0ELb0ELi32EEEvPT0_PKT_S7_iiiPKb.uses_flat_scratch, 0
	.set _ZN12_GLOBAL__N_121softmax_warp_backwardIN3c108BFloat16ES2_fLi7ELb0ELb0ELi32EEEvPT0_PKT_S7_iiiPKb.has_dyn_sized_stack, 0
	.set _ZN12_GLOBAL__N_121softmax_warp_backwardIN3c108BFloat16ES2_fLi7ELb0ELb0ELi32EEEvPT0_PKT_S7_iiiPKb.has_recursion, 0
	.set _ZN12_GLOBAL__N_121softmax_warp_backwardIN3c108BFloat16ES2_fLi7ELb0ELb0ELi32EEEvPT0_PKT_S7_iiiPKb.has_indirect_call, 0
	.section	.AMDGPU.csdata,"",@progbits
; Kernel info:
; codeLenInByte = 1888
; TotalNumSgprs: 18
; NumVgprs: 25
; ScratchSize: 0
; MemoryBound: 0
; FloatMode: 240
; IeeeMode: 1
; LDSByteSize: 0 bytes/workgroup (compile time only)
; SGPRBlocks: 0
; VGPRBlocks: 3
; NumSGPRsForWavesPerEU: 18
; NumVGPRsForWavesPerEU: 25
; Occupancy: 16
; WaveLimiterHint : 0
; COMPUTE_PGM_RSRC2:SCRATCH_EN: 0
; COMPUTE_PGM_RSRC2:USER_SGPR: 6
; COMPUTE_PGM_RSRC2:TRAP_HANDLER: 0
; COMPUTE_PGM_RSRC2:TGID_X_EN: 1
; COMPUTE_PGM_RSRC2:TGID_Y_EN: 0
; COMPUTE_PGM_RSRC2:TGID_Z_EN: 0
; COMPUTE_PGM_RSRC2:TIDIG_COMP_CNT: 1
	.section	.text._ZN12_GLOBAL__N_121softmax_warp_backwardIN3c108BFloat16ES2_fLi8ELb0ELb0ELi64EEEvPT0_PKT_S7_iiiPKb,"axG",@progbits,_ZN12_GLOBAL__N_121softmax_warp_backwardIN3c108BFloat16ES2_fLi8ELb0ELb0ELi64EEEvPT0_PKT_S7_iiiPKb,comdat
	.globl	_ZN12_GLOBAL__N_121softmax_warp_backwardIN3c108BFloat16ES2_fLi8ELb0ELb0ELi64EEEvPT0_PKT_S7_iiiPKb ; -- Begin function _ZN12_GLOBAL__N_121softmax_warp_backwardIN3c108BFloat16ES2_fLi8ELb0ELb0ELi64EEEvPT0_PKT_S7_iiiPKb
	.p2align	8
	.type	_ZN12_GLOBAL__N_121softmax_warp_backwardIN3c108BFloat16ES2_fLi8ELb0ELb0ELi64EEEvPT0_PKT_S7_iiiPKb,@function
_ZN12_GLOBAL__N_121softmax_warp_backwardIN3c108BFloat16ES2_fLi8ELb0ELb0ELi64EEEvPT0_PKT_S7_iiiPKb: ; @_ZN12_GLOBAL__N_121softmax_warp_backwardIN3c108BFloat16ES2_fLi8ELb0ELb0ELi64EEEvPT0_PKT_S7_iiiPKb
; %bb.0:
	s_clause 0x1
	s_load_dword s7, s[4:5], 0x3c
	s_load_dwordx4 s[0:3], s[4:5], 0x18
	v_and_b32_e32 v6, 63, v0
	s_clause 0x1
	s_load_dwordx4 s[8:11], s[4:5], 0x0
	s_load_dwordx2 s[4:5], s[4:5], 0x10
	v_mov_b32_e32 v9, 0
	v_mov_b32_e32 v10, 0
	s_waitcnt lgkmcnt(0)
	s_lshr_b32 s3, s7, 16
	v_cmp_gt_i32_e32 vcc_lo, s2, v6
	v_mad_u64_u32 v[1:2], null, s6, s3, v[1:2]
	v_mad_u64_u32 v[2:3], null, v1, s1, v[6:7]
	v_sub_nc_u32_e32 v8, s0, v1
	v_cmp_lt_i32_e64 s3, 0, v8
	v_ashrrev_i32_e32 v3, 31, v2
	s_and_b32 s1, s3, vcc_lo
	v_lshlrev_b64 v[0:1], 1, v[2:3]
	v_add_co_u32 v2, s0, s10, v0
	v_add_co_ci_u32_e64 v3, null, s11, v1, s0
	v_add_co_u32 v4, s0, s4, v0
	v_add_co_ci_u32_e64 v5, null, s5, v1, s0
	s_and_saveexec_b32 s0, s1
	s_cbranch_execz .LBB634_2
; %bb.1:
	global_load_ushort v7, v[2:3], off
	global_load_ushort v9, v[4:5], off
	s_waitcnt vmcnt(1)
	v_lshlrev_b32_e32 v10, 16, v7
	s_waitcnt vmcnt(0)
	v_lshlrev_b32_e32 v9, 16, v9
.LBB634_2:
	s_or_b32 exec_lo, exec_lo, s0
	v_or_b32_e32 v7, 64, v6
	v_cmp_gt_i32_e64 s0, s2, v7
	s_and_b32 s1, s3, s0
	s_xor_b32 s1, s1, -1
	s_and_saveexec_b32 s4, s1
	s_xor_b32 s1, exec_lo, s4
                                        ; implicit-def: $vgpr11
                                        ; implicit-def: $vgpr12
                                        ; implicit-def: $vgpr7
; %bb.3:
	s_mov_b32 s4, 0
                                        ; implicit-def: $vgpr11
                                        ; implicit-def: $vgpr7
	v_mov_b32_e32 v12, s4
; %bb.4:
	s_or_saveexec_b32 s1, s1
	v_mov_b32_e32 v13, 0
	s_xor_b32 exec_lo, exec_lo, s1
	s_cbranch_execz .LBB634_6
; %bb.5:
	global_load_ushort v12, v[2:3], off offset:128
	global_load_ushort v13, v[4:5], off offset:128
	s_waitcnt vmcnt(1)
	v_lshlrev_b32_e32 v12, 16, v12
	s_waitcnt vmcnt(0)
	v_lshlrev_b32_e32 v13, 16, v13
.LBB634_6:
	s_or_b32 exec_lo, exec_lo, s1
	v_or_b32_e32 v14, 0x80, v6
	v_cmp_gt_i32_e64 s1, s2, v14
	s_and_b32 s4, s3, s1
	s_xor_b32 s4, s4, -1
	s_and_saveexec_b32 s5, s4
	s_xor_b32 s4, exec_lo, s5
; %bb.7:
	s_mov_b32 s5, 0
	v_mov_b32_e32 v11, s5
; %bb.8:
	s_or_saveexec_b32 s4, s4
	v_mov_b32_e32 v14, 0
	s_xor_b32 exec_lo, exec_lo, s4
	s_cbranch_execz .LBB634_10
; %bb.9:
	global_load_ushort v11, v[2:3], off offset:256
	global_load_ushort v14, v[4:5], off offset:256
	s_waitcnt vmcnt(1)
	v_lshlrev_b32_e32 v11, 16, v11
	s_waitcnt vmcnt(0)
	v_lshlrev_b32_e32 v14, 16, v14
.LBB634_10:
	s_or_b32 exec_lo, exec_lo, s4
	v_or_b32_e32 v6, 0xc0, v6
	v_cmp_gt_i32_e64 s2, s2, v6
	s_and_b32 s3, s3, s2
	s_xor_b32 s3, s3, -1
	s_and_saveexec_b32 s4, s3
	s_xor_b32 s3, exec_lo, s4
; %bb.11:
	s_mov_b32 s4, 0
                                        ; implicit-def: $vgpr2_vgpr3
                                        ; implicit-def: $vgpr4_vgpr5
	v_mov_b32_e32 v7, s4
; %bb.12:
	s_or_saveexec_b32 s3, s3
	v_mov_b32_e32 v6, 0
	s_xor_b32 exec_lo, exec_lo, s3
	s_cbranch_execz .LBB634_14
; %bb.13:
	global_load_ushort v2, v[2:3], off offset:384
	global_load_ushort v3, v[4:5], off offset:384
	s_waitcnt vmcnt(1)
	v_lshlrev_b32_e32 v7, 16, v2
	s_waitcnt vmcnt(0)
	v_lshlrev_b32_e32 v6, 16, v3
.LBB634_14:
	s_or_b32 exec_lo, exec_lo, s3
	v_mbcnt_lo_u32_b32 v3, -1, 0
	v_add_f32_e32 v2, 0, v10
	s_mov_b32 s4, exec_lo
	v_or_b32_e32 v4, 32, v3
	v_add_f32_e32 v2, v2, v12
	v_xor_b32_e32 v5, 16, v3
	v_cmp_gt_i32_e64 s3, 64, v4
	v_add_f32_e32 v2, v2, v11
	v_cndmask_b32_e64 v4, v3, v4, s3
	v_add_f32_e32 v2, v2, v7
	v_cmp_gt_i32_e64 s3, 64, v5
	v_lshlrev_b32_e32 v4, 2, v4
	v_cndmask_b32_e64 v5, v3, v5, s3
	ds_bpermute_b32 v4, v4, v2
	v_lshlrev_b32_e32 v5, 2, v5
	s_waitcnt lgkmcnt(0)
	v_add_f32_e32 v2, v2, v4
	ds_bpermute_b32 v4, v5, v2
	v_xor_b32_e32 v5, 8, v3
	v_cmp_gt_i32_e64 s3, 64, v5
	v_cndmask_b32_e64 v5, v3, v5, s3
	v_lshlrev_b32_e32 v5, 2, v5
	s_waitcnt lgkmcnt(0)
	v_add_f32_e32 v2, v2, v4
	ds_bpermute_b32 v4, v5, v2
	v_xor_b32_e32 v5, 4, v3
	v_cmp_gt_i32_e64 s3, 64, v5
	v_cndmask_b32_e64 v5, v3, v5, s3
	;; [unrolled: 7-line block ×4, first 2 shown]
	v_lshlrev_b32_e32 v3, 2, v3
	s_waitcnt lgkmcnt(0)
	v_add_f32_e32 v2, v2, v4
	ds_bpermute_b32 v3, v3, v2
	v_cmpx_lt_i32_e32 0, v8
	s_cbranch_execz .LBB634_20
; %bb.15:
	v_add_co_u32 v0, s3, s8, v0
	v_add_co_ci_u32_e64 v1, null, s9, v1, s3
	s_waitcnt lgkmcnt(0)
	v_add_f32_e32 v2, v2, v3
	s_and_saveexec_b32 s3, vcc_lo
	s_cbranch_execnz .LBB634_21
; %bb.16:
	s_or_b32 exec_lo, exec_lo, s3
	s_and_saveexec_b32 s3, s0
	s_cbranch_execnz .LBB634_22
.LBB634_17:
	s_or_b32 exec_lo, exec_lo, s3
	s_and_saveexec_b32 s0, s1
	s_cbranch_execnz .LBB634_23
.LBB634_18:
	s_or_b32 exec_lo, exec_lo, s0
	s_and_b32 exec_lo, exec_lo, s2
	s_cbranch_execz .LBB634_20
.LBB634_19:
	v_fma_f32 v2, -v2, v6, v7
	v_bfe_u32 v3, v2, 16, 1
	v_cmp_o_f32_e32 vcc_lo, v2, v2
	v_add3_u32 v2, v2, v3, 0x7fff
	v_mov_b32_e32 v3, 0x7fc0
	v_cndmask_b32_sdwa v2, v3, v2, vcc_lo dst_sel:DWORD dst_unused:UNUSED_PAD src0_sel:DWORD src1_sel:WORD_1
	global_store_short v[0:1], v2, off offset:384
.LBB634_20:
	s_endpgm
.LBB634_21:
	v_fma_f32 v3, -v2, v9, v10
	v_bfe_u32 v4, v3, 16, 1
	v_cmp_o_f32_e32 vcc_lo, v3, v3
	v_add3_u32 v3, v3, v4, 0x7fff
	v_mov_b32_e32 v4, 0x7fc0
	v_cndmask_b32_sdwa v3, v4, v3, vcc_lo dst_sel:DWORD dst_unused:UNUSED_PAD src0_sel:DWORD src1_sel:WORD_1
	global_store_short v[0:1], v3, off
	s_or_b32 exec_lo, exec_lo, s3
	s_and_saveexec_b32 s3, s0
	s_cbranch_execz .LBB634_17
.LBB634_22:
	v_fma_f32 v3, -v2, v13, v12
	v_bfe_u32 v4, v3, 16, 1
	v_cmp_o_f32_e32 vcc_lo, v3, v3
	v_add3_u32 v3, v3, v4, 0x7fff
	v_mov_b32_e32 v4, 0x7fc0
	v_cndmask_b32_sdwa v3, v4, v3, vcc_lo dst_sel:DWORD dst_unused:UNUSED_PAD src0_sel:DWORD src1_sel:WORD_1
	global_store_short v[0:1], v3, off offset:128
	s_or_b32 exec_lo, exec_lo, s3
	s_and_saveexec_b32 s0, s1
	s_cbranch_execz .LBB634_18
.LBB634_23:
	v_fma_f32 v3, -v2, v14, v11
	v_bfe_u32 v4, v3, 16, 1
	v_cmp_o_f32_e32 vcc_lo, v3, v3
	v_add3_u32 v3, v3, v4, 0x7fff
	v_mov_b32_e32 v4, 0x7fc0
	v_cndmask_b32_sdwa v3, v4, v3, vcc_lo dst_sel:DWORD dst_unused:UNUSED_PAD src0_sel:DWORD src1_sel:WORD_1
	global_store_short v[0:1], v3, off offset:256
	s_or_b32 exec_lo, exec_lo, s0
	s_and_b32 exec_lo, exec_lo, s2
	s_cbranch_execnz .LBB634_19
	s_branch .LBB634_20
	.section	.rodata,"a",@progbits
	.p2align	6, 0x0
	.amdhsa_kernel _ZN12_GLOBAL__N_121softmax_warp_backwardIN3c108BFloat16ES2_fLi8ELb0ELb0ELi64EEEvPT0_PKT_S7_iiiPKb
		.amdhsa_group_segment_fixed_size 0
		.amdhsa_private_segment_fixed_size 0
		.amdhsa_kernarg_size 304
		.amdhsa_user_sgpr_count 6
		.amdhsa_user_sgpr_private_segment_buffer 1
		.amdhsa_user_sgpr_dispatch_ptr 0
		.amdhsa_user_sgpr_queue_ptr 0
		.amdhsa_user_sgpr_kernarg_segment_ptr 1
		.amdhsa_user_sgpr_dispatch_id 0
		.amdhsa_user_sgpr_flat_scratch_init 0
		.amdhsa_user_sgpr_private_segment_size 0
		.amdhsa_wavefront_size32 1
		.amdhsa_uses_dynamic_stack 0
		.amdhsa_system_sgpr_private_segment_wavefront_offset 0
		.amdhsa_system_sgpr_workgroup_id_x 1
		.amdhsa_system_sgpr_workgroup_id_y 0
		.amdhsa_system_sgpr_workgroup_id_z 0
		.amdhsa_system_sgpr_workgroup_info 0
		.amdhsa_system_vgpr_workitem_id 1
		.amdhsa_next_free_vgpr 15
		.amdhsa_next_free_sgpr 12
		.amdhsa_reserve_vcc 1
		.amdhsa_reserve_flat_scratch 0
		.amdhsa_float_round_mode_32 0
		.amdhsa_float_round_mode_16_64 0
		.amdhsa_float_denorm_mode_32 3
		.amdhsa_float_denorm_mode_16_64 3
		.amdhsa_dx10_clamp 1
		.amdhsa_ieee_mode 1
		.amdhsa_fp16_overflow 0
		.amdhsa_workgroup_processor_mode 1
		.amdhsa_memory_ordered 1
		.amdhsa_forward_progress 1
		.amdhsa_shared_vgpr_count 0
		.amdhsa_exception_fp_ieee_invalid_op 0
		.amdhsa_exception_fp_denorm_src 0
		.amdhsa_exception_fp_ieee_div_zero 0
		.amdhsa_exception_fp_ieee_overflow 0
		.amdhsa_exception_fp_ieee_underflow 0
		.amdhsa_exception_fp_ieee_inexact 0
		.amdhsa_exception_int_div_zero 0
	.end_amdhsa_kernel
	.section	.text._ZN12_GLOBAL__N_121softmax_warp_backwardIN3c108BFloat16ES2_fLi8ELb0ELb0ELi64EEEvPT0_PKT_S7_iiiPKb,"axG",@progbits,_ZN12_GLOBAL__N_121softmax_warp_backwardIN3c108BFloat16ES2_fLi8ELb0ELb0ELi64EEEvPT0_PKT_S7_iiiPKb,comdat
.Lfunc_end634:
	.size	_ZN12_GLOBAL__N_121softmax_warp_backwardIN3c108BFloat16ES2_fLi8ELb0ELb0ELi64EEEvPT0_PKT_S7_iiiPKb, .Lfunc_end634-_ZN12_GLOBAL__N_121softmax_warp_backwardIN3c108BFloat16ES2_fLi8ELb0ELb0ELi64EEEvPT0_PKT_S7_iiiPKb
                                        ; -- End function
	.set _ZN12_GLOBAL__N_121softmax_warp_backwardIN3c108BFloat16ES2_fLi8ELb0ELb0ELi64EEEvPT0_PKT_S7_iiiPKb.num_vgpr, 15
	.set _ZN12_GLOBAL__N_121softmax_warp_backwardIN3c108BFloat16ES2_fLi8ELb0ELb0ELi64EEEvPT0_PKT_S7_iiiPKb.num_agpr, 0
	.set _ZN12_GLOBAL__N_121softmax_warp_backwardIN3c108BFloat16ES2_fLi8ELb0ELb0ELi64EEEvPT0_PKT_S7_iiiPKb.numbered_sgpr, 12
	.set _ZN12_GLOBAL__N_121softmax_warp_backwardIN3c108BFloat16ES2_fLi8ELb0ELb0ELi64EEEvPT0_PKT_S7_iiiPKb.num_named_barrier, 0
	.set _ZN12_GLOBAL__N_121softmax_warp_backwardIN3c108BFloat16ES2_fLi8ELb0ELb0ELi64EEEvPT0_PKT_S7_iiiPKb.private_seg_size, 0
	.set _ZN12_GLOBAL__N_121softmax_warp_backwardIN3c108BFloat16ES2_fLi8ELb0ELb0ELi64EEEvPT0_PKT_S7_iiiPKb.uses_vcc, 1
	.set _ZN12_GLOBAL__N_121softmax_warp_backwardIN3c108BFloat16ES2_fLi8ELb0ELb0ELi64EEEvPT0_PKT_S7_iiiPKb.uses_flat_scratch, 0
	.set _ZN12_GLOBAL__N_121softmax_warp_backwardIN3c108BFloat16ES2_fLi8ELb0ELb0ELi64EEEvPT0_PKT_S7_iiiPKb.has_dyn_sized_stack, 0
	.set _ZN12_GLOBAL__N_121softmax_warp_backwardIN3c108BFloat16ES2_fLi8ELb0ELb0ELi64EEEvPT0_PKT_S7_iiiPKb.has_recursion, 0
	.set _ZN12_GLOBAL__N_121softmax_warp_backwardIN3c108BFloat16ES2_fLi8ELb0ELb0ELi64EEEvPT0_PKT_S7_iiiPKb.has_indirect_call, 0
	.section	.AMDGPU.csdata,"",@progbits
; Kernel info:
; codeLenInByte = 1060
; TotalNumSgprs: 14
; NumVgprs: 15
; ScratchSize: 0
; MemoryBound: 0
; FloatMode: 240
; IeeeMode: 1
; LDSByteSize: 0 bytes/workgroup (compile time only)
; SGPRBlocks: 0
; VGPRBlocks: 1
; NumSGPRsForWavesPerEU: 14
; NumVGPRsForWavesPerEU: 15
; Occupancy: 16
; WaveLimiterHint : 0
; COMPUTE_PGM_RSRC2:SCRATCH_EN: 0
; COMPUTE_PGM_RSRC2:USER_SGPR: 6
; COMPUTE_PGM_RSRC2:TRAP_HANDLER: 0
; COMPUTE_PGM_RSRC2:TGID_X_EN: 1
; COMPUTE_PGM_RSRC2:TGID_Y_EN: 0
; COMPUTE_PGM_RSRC2:TGID_Z_EN: 0
; COMPUTE_PGM_RSRC2:TIDIG_COMP_CNT: 1
	.section	.text._ZN12_GLOBAL__N_121softmax_warp_backwardIN3c108BFloat16ES2_fLi8ELb0ELb0ELi32EEEvPT0_PKT_S7_iiiPKb,"axG",@progbits,_ZN12_GLOBAL__N_121softmax_warp_backwardIN3c108BFloat16ES2_fLi8ELb0ELb0ELi32EEEvPT0_PKT_S7_iiiPKb,comdat
	.globl	_ZN12_GLOBAL__N_121softmax_warp_backwardIN3c108BFloat16ES2_fLi8ELb0ELb0ELi32EEEvPT0_PKT_S7_iiiPKb ; -- Begin function _ZN12_GLOBAL__N_121softmax_warp_backwardIN3c108BFloat16ES2_fLi8ELb0ELb0ELi32EEEvPT0_PKT_S7_iiiPKb
	.p2align	8
	.type	_ZN12_GLOBAL__N_121softmax_warp_backwardIN3c108BFloat16ES2_fLi8ELb0ELb0ELi32EEEvPT0_PKT_S7_iiiPKb,@function
_ZN12_GLOBAL__N_121softmax_warp_backwardIN3c108BFloat16ES2_fLi8ELb0ELb0ELi32EEEvPT0_PKT_S7_iiiPKb: ; @_ZN12_GLOBAL__N_121softmax_warp_backwardIN3c108BFloat16ES2_fLi8ELb0ELb0ELi32EEEvPT0_PKT_S7_iiiPKb
; %bb.0:
	s_clause 0x1
	s_load_dword s0, s[4:5], 0x3c
	s_load_dwordx4 s[12:15], s[4:5], 0x18
	v_and_b32_e32 v6, 31, v0
	s_clause 0x1
	s_load_dwordx4 s[8:11], s[4:5], 0x0
	s_load_dwordx2 s[2:3], s[4:5], 0x10
	v_mov_b32_e32 v13, 0
	v_mov_b32_e32 v14, 0
	s_waitcnt lgkmcnt(0)
	s_lshr_b32 s0, s0, 16
	v_cmp_gt_i32_e32 vcc_lo, s14, v6
	v_mad_u64_u32 v[1:2], null, s6, s0, v[1:2]
	v_mad_u64_u32 v[2:3], null, v1, s13, v[6:7]
	v_sub_nc_u32_e32 v12, s12, v1
	v_cmp_lt_i32_e64 s4, 0, v12
	v_ashrrev_i32_e32 v3, 31, v2
	s_and_b32 s1, s4, vcc_lo
	v_lshlrev_b64 v[0:1], 1, v[2:3]
	v_add_co_u32 v2, s0, s10, v0
	v_add_co_ci_u32_e64 v3, null, s11, v1, s0
	v_add_co_u32 v4, s0, s2, v0
	v_add_co_ci_u32_e64 v5, null, s3, v1, s0
	s_and_saveexec_b32 s0, s1
	s_cbranch_execz .LBB635_2
; %bb.1:
	global_load_ushort v7, v[2:3], off
	global_load_ushort v8, v[4:5], off
	s_waitcnt vmcnt(1)
	v_lshlrev_b32_e32 v14, 16, v7
	s_waitcnt vmcnt(0)
	v_lshlrev_b32_e32 v13, 16, v8
.LBB635_2:
	s_or_b32 exec_lo, exec_lo, s0
	v_or_b32_e32 v7, 32, v6
	v_cmp_gt_i32_e64 s0, s14, v7
	s_and_b32 s1, s4, s0
	s_xor_b32 s1, s1, -1
	s_and_saveexec_b32 s2, s1
	s_xor_b32 s1, exec_lo, s2
                                        ; implicit-def: $vgpr8
                                        ; implicit-def: $vgpr9
                                        ; implicit-def: $vgpr10
                                        ; implicit-def: $vgpr11
                                        ; implicit-def: $vgpr15
                                        ; implicit-def: $vgpr16
                                        ; implicit-def: $vgpr7
; %bb.3:
	s_mov_b32 s2, 0
                                        ; implicit-def: $vgpr8
                                        ; implicit-def: $vgpr9
                                        ; implicit-def: $vgpr10
                                        ; implicit-def: $vgpr11
                                        ; implicit-def: $vgpr15
                                        ; implicit-def: $vgpr7
	v_mov_b32_e32 v16, s2
; %bb.4:
	s_or_saveexec_b32 s1, s1
	v_mov_b32_e32 v17, 0
	s_xor_b32 exec_lo, exec_lo, s1
	s_cbranch_execz .LBB635_6
; %bb.5:
	global_load_ushort v16, v[2:3], off offset:64
	global_load_ushort v17, v[4:5], off offset:64
	s_waitcnt vmcnt(1)
	v_lshlrev_b32_e32 v16, 16, v16
	s_waitcnt vmcnt(0)
	v_lshlrev_b32_e32 v17, 16, v17
.LBB635_6:
	s_or_b32 exec_lo, exec_lo, s1
	v_or_b32_e32 v18, 64, v6
	v_cmp_gt_i32_e64 s1, s14, v18
	s_and_b32 s2, s4, s1
	s_xor_b32 s2, s2, -1
	s_and_saveexec_b32 s3, s2
	s_xor_b32 s2, exec_lo, s3
; %bb.7:
	s_mov_b32 s3, 0
	v_mov_b32_e32 v15, s3
; %bb.8:
	s_or_saveexec_b32 s2, s2
	v_mov_b32_e32 v18, 0
	s_xor_b32 exec_lo, exec_lo, s2
	s_cbranch_execz .LBB635_10
; %bb.9:
	global_load_ushort v15, v[2:3], off offset:128
	global_load_ushort v18, v[4:5], off offset:128
	s_waitcnt vmcnt(1)
	v_lshlrev_b32_e32 v15, 16, v15
	s_waitcnt vmcnt(0)
	v_lshlrev_b32_e32 v18, 16, v18
.LBB635_10:
	s_or_b32 exec_lo, exec_lo, s2
	v_or_b32_e32 v19, 0x60, v6
	v_cmp_gt_i32_e64 s2, s14, v19
	s_and_b32 s3, s4, s2
	s_xor_b32 s3, s3, -1
	s_and_saveexec_b32 s5, s3
	s_xor_b32 s3, exec_lo, s5
; %bb.11:
	s_mov_b32 s5, 0
	;; [unrolled: 23-line block ×6, first 2 shown]
                                        ; implicit-def: $vgpr2_vgpr3
                                        ; implicit-def: $vgpr4_vgpr5
	v_mov_b32_e32 v7, s10
; %bb.28:
	s_or_saveexec_b32 s4, s4
	v_mov_b32_e32 v6, 0
	s_xor_b32 exec_lo, exec_lo, s4
	s_cbranch_execz .LBB635_30
; %bb.29:
	global_load_ushort v2, v[2:3], off offset:448
	global_load_ushort v3, v[4:5], off offset:448
	s_waitcnt vmcnt(1)
	v_lshlrev_b32_e32 v7, 16, v2
	s_waitcnt vmcnt(0)
	v_lshlrev_b32_e32 v6, 16, v3
.LBB635_30:
	s_or_b32 exec_lo, exec_lo, s4
	v_add_f32_e32 v2, 0, v14
	v_mbcnt_lo_u32_b32 v3, -1, 0
	s_mov_b32 s10, exec_lo
	v_add_f32_e32 v2, v2, v16
	v_xor_b32_e32 v4, 16, v3
	v_xor_b32_e32 v5, 8, v3
	v_add_f32_e32 v2, v2, v15
	v_cmp_gt_i32_e64 s4, 32, v4
	v_add_f32_e32 v2, v2, v11
	v_cndmask_b32_e64 v4, v3, v4, s4
	v_cmp_gt_i32_e64 s4, 32, v5
	v_add_f32_e32 v2, v2, v10
	v_lshlrev_b32_e32 v4, 2, v4
	v_cndmask_b32_e64 v5, v3, v5, s4
	v_add_f32_e32 v2, v2, v9
	v_lshlrev_b32_e32 v5, 2, v5
	v_add_f32_e32 v2, v2, v8
	v_add_f32_e32 v2, v2, v7
	ds_bpermute_b32 v4, v4, v2
	s_waitcnt lgkmcnt(0)
	v_add_f32_e32 v2, v2, v4
	ds_bpermute_b32 v4, v5, v2
	v_xor_b32_e32 v5, 4, v3
	v_cmp_gt_i32_e64 s4, 32, v5
	v_cndmask_b32_e64 v5, v3, v5, s4
	v_lshlrev_b32_e32 v5, 2, v5
	s_waitcnt lgkmcnt(0)
	v_add_f32_e32 v2, v2, v4
	ds_bpermute_b32 v4, v5, v2
	v_xor_b32_e32 v5, 2, v3
	v_cmp_gt_i32_e64 s4, 32, v5
	v_cndmask_b32_e64 v5, v3, v5, s4
	v_lshlrev_b32_e32 v5, 2, v5
	;; [unrolled: 7-line block ×3, first 2 shown]
	s_waitcnt lgkmcnt(0)
	v_add_f32_e32 v2, v2, v4
	ds_bpermute_b32 v3, v3, v2
	v_cmpx_lt_i32_e32 0, v12
	s_cbranch_execz .LBB635_40
; %bb.31:
	v_add_co_u32 v0, s4, s8, v0
	v_add_co_ci_u32_e64 v1, null, s9, v1, s4
	s_waitcnt lgkmcnt(0)
	v_add_f32_e32 v2, v2, v3
	s_and_saveexec_b32 s4, vcc_lo
	s_cbranch_execnz .LBB635_41
; %bb.32:
	s_or_b32 exec_lo, exec_lo, s4
	s_and_saveexec_b32 s4, s0
	s_cbranch_execnz .LBB635_42
.LBB635_33:
	s_or_b32 exec_lo, exec_lo, s4
	s_and_saveexec_b32 s0, s1
	s_cbranch_execnz .LBB635_43
.LBB635_34:
	s_or_b32 exec_lo, exec_lo, s0
	s_and_saveexec_b32 s0, s2
	s_cbranch_execnz .LBB635_44
.LBB635_35:
	s_or_b32 exec_lo, exec_lo, s0
	s_and_saveexec_b32 s0, s3
	s_cbranch_execnz .LBB635_45
.LBB635_36:
	s_or_b32 exec_lo, exec_lo, s0
	s_and_saveexec_b32 s0, s5
	s_cbranch_execnz .LBB635_46
.LBB635_37:
	s_or_b32 exec_lo, exec_lo, s0
	s_and_saveexec_b32 s0, s6
	s_cbranch_execnz .LBB635_47
.LBB635_38:
	s_or_b32 exec_lo, exec_lo, s0
	s_and_b32 exec_lo, exec_lo, s7
	s_cbranch_execz .LBB635_40
.LBB635_39:
	v_fma_f32 v2, -v2, v6, v7
	v_bfe_u32 v3, v2, 16, 1
	v_cmp_o_f32_e32 vcc_lo, v2, v2
	v_add3_u32 v2, v2, v3, 0x7fff
	v_mov_b32_e32 v3, 0x7fc0
	v_cndmask_b32_sdwa v2, v3, v2, vcc_lo dst_sel:DWORD dst_unused:UNUSED_PAD src0_sel:DWORD src1_sel:WORD_1
	global_store_short v[0:1], v2, off offset:448
.LBB635_40:
	s_endpgm
.LBB635_41:
	v_fma_f32 v3, -v2, v13, v14
	v_bfe_u32 v4, v3, 16, 1
	v_cmp_o_f32_e32 vcc_lo, v3, v3
	v_add3_u32 v3, v3, v4, 0x7fff
	v_mov_b32_e32 v4, 0x7fc0
	v_cndmask_b32_sdwa v3, v4, v3, vcc_lo dst_sel:DWORD dst_unused:UNUSED_PAD src0_sel:DWORD src1_sel:WORD_1
	global_store_short v[0:1], v3, off
	s_or_b32 exec_lo, exec_lo, s4
	s_and_saveexec_b32 s4, s0
	s_cbranch_execz .LBB635_33
.LBB635_42:
	v_fma_f32 v3, -v2, v17, v16
	v_bfe_u32 v4, v3, 16, 1
	v_cmp_o_f32_e32 vcc_lo, v3, v3
	v_add3_u32 v3, v3, v4, 0x7fff
	v_mov_b32_e32 v4, 0x7fc0
	v_cndmask_b32_sdwa v3, v4, v3, vcc_lo dst_sel:DWORD dst_unused:UNUSED_PAD src0_sel:DWORD src1_sel:WORD_1
	global_store_short v[0:1], v3, off offset:64
	s_or_b32 exec_lo, exec_lo, s4
	s_and_saveexec_b32 s0, s1
	s_cbranch_execz .LBB635_34
.LBB635_43:
	v_fma_f32 v3, -v2, v18, v15
	v_bfe_u32 v4, v3, 16, 1
	v_cmp_o_f32_e32 vcc_lo, v3, v3
	v_add3_u32 v3, v3, v4, 0x7fff
	v_mov_b32_e32 v4, 0x7fc0
	v_cndmask_b32_sdwa v3, v4, v3, vcc_lo dst_sel:DWORD dst_unused:UNUSED_PAD src0_sel:DWORD src1_sel:WORD_1
	global_store_short v[0:1], v3, off offset:128
	s_or_b32 exec_lo, exec_lo, s0
	s_and_saveexec_b32 s0, s2
	s_cbranch_execz .LBB635_35
.LBB635_44:
	v_fma_f32 v3, -v2, v19, v11
	v_bfe_u32 v4, v3, 16, 1
	v_cmp_o_f32_e32 vcc_lo, v3, v3
	v_add3_u32 v3, v3, v4, 0x7fff
	v_mov_b32_e32 v4, 0x7fc0
	v_cndmask_b32_sdwa v3, v4, v3, vcc_lo dst_sel:DWORD dst_unused:UNUSED_PAD src0_sel:DWORD src1_sel:WORD_1
	global_store_short v[0:1], v3, off offset:192
	s_or_b32 exec_lo, exec_lo, s0
	s_and_saveexec_b32 s0, s3
	s_cbranch_execz .LBB635_36
.LBB635_45:
	v_fma_f32 v3, -v2, v20, v10
	v_bfe_u32 v4, v3, 16, 1
	v_cmp_o_f32_e32 vcc_lo, v3, v3
	v_add3_u32 v3, v3, v4, 0x7fff
	v_mov_b32_e32 v4, 0x7fc0
	v_cndmask_b32_sdwa v3, v4, v3, vcc_lo dst_sel:DWORD dst_unused:UNUSED_PAD src0_sel:DWORD src1_sel:WORD_1
	global_store_short v[0:1], v3, off offset:256
	s_or_b32 exec_lo, exec_lo, s0
	s_and_saveexec_b32 s0, s5
	s_cbranch_execz .LBB635_37
.LBB635_46:
	v_fma_f32 v3, -v2, v21, v9
	v_bfe_u32 v4, v3, 16, 1
	v_cmp_o_f32_e32 vcc_lo, v3, v3
	v_add3_u32 v3, v3, v4, 0x7fff
	v_mov_b32_e32 v4, 0x7fc0
	v_cndmask_b32_sdwa v3, v4, v3, vcc_lo dst_sel:DWORD dst_unused:UNUSED_PAD src0_sel:DWORD src1_sel:WORD_1
	global_store_short v[0:1], v3, off offset:320
	s_or_b32 exec_lo, exec_lo, s0
	s_and_saveexec_b32 s0, s6
	s_cbranch_execz .LBB635_38
.LBB635_47:
	v_fma_f32 v3, -v2, v22, v8
	v_bfe_u32 v4, v3, 16, 1
	v_cmp_o_f32_e32 vcc_lo, v3, v3
	v_add3_u32 v3, v3, v4, 0x7fff
	v_mov_b32_e32 v4, 0x7fc0
	v_cndmask_b32_sdwa v3, v4, v3, vcc_lo dst_sel:DWORD dst_unused:UNUSED_PAD src0_sel:DWORD src1_sel:WORD_1
	global_store_short v[0:1], v3, off offset:384
	s_or_b32 exec_lo, exec_lo, s0
	s_and_b32 exec_lo, exec_lo, s7
	s_cbranch_execnz .LBB635_39
	s_branch .LBB635_40
	.section	.rodata,"a",@progbits
	.p2align	6, 0x0
	.amdhsa_kernel _ZN12_GLOBAL__N_121softmax_warp_backwardIN3c108BFloat16ES2_fLi8ELb0ELb0ELi32EEEvPT0_PKT_S7_iiiPKb
		.amdhsa_group_segment_fixed_size 0
		.amdhsa_private_segment_fixed_size 0
		.amdhsa_kernarg_size 304
		.amdhsa_user_sgpr_count 6
		.amdhsa_user_sgpr_private_segment_buffer 1
		.amdhsa_user_sgpr_dispatch_ptr 0
		.amdhsa_user_sgpr_queue_ptr 0
		.amdhsa_user_sgpr_kernarg_segment_ptr 1
		.amdhsa_user_sgpr_dispatch_id 0
		.amdhsa_user_sgpr_flat_scratch_init 0
		.amdhsa_user_sgpr_private_segment_size 0
		.amdhsa_wavefront_size32 1
		.amdhsa_uses_dynamic_stack 0
		.amdhsa_system_sgpr_private_segment_wavefront_offset 0
		.amdhsa_system_sgpr_workgroup_id_x 1
		.amdhsa_system_sgpr_workgroup_id_y 0
		.amdhsa_system_sgpr_workgroup_id_z 0
		.amdhsa_system_sgpr_workgroup_info 0
		.amdhsa_system_vgpr_workitem_id 1
		.amdhsa_next_free_vgpr 23
		.amdhsa_next_free_sgpr 16
		.amdhsa_reserve_vcc 1
		.amdhsa_reserve_flat_scratch 0
		.amdhsa_float_round_mode_32 0
		.amdhsa_float_round_mode_16_64 0
		.amdhsa_float_denorm_mode_32 3
		.amdhsa_float_denorm_mode_16_64 3
		.amdhsa_dx10_clamp 1
		.amdhsa_ieee_mode 1
		.amdhsa_fp16_overflow 0
		.amdhsa_workgroup_processor_mode 1
		.amdhsa_memory_ordered 1
		.amdhsa_forward_progress 1
		.amdhsa_shared_vgpr_count 0
		.amdhsa_exception_fp_ieee_invalid_op 0
		.amdhsa_exception_fp_denorm_src 0
		.amdhsa_exception_fp_ieee_div_zero 0
		.amdhsa_exception_fp_ieee_overflow 0
		.amdhsa_exception_fp_ieee_underflow 0
		.amdhsa_exception_fp_ieee_inexact 0
		.amdhsa_exception_int_div_zero 0
	.end_amdhsa_kernel
	.section	.text._ZN12_GLOBAL__N_121softmax_warp_backwardIN3c108BFloat16ES2_fLi8ELb0ELb0ELi32EEEvPT0_PKT_S7_iiiPKb,"axG",@progbits,_ZN12_GLOBAL__N_121softmax_warp_backwardIN3c108BFloat16ES2_fLi8ELb0ELb0ELi32EEEvPT0_PKT_S7_iiiPKb,comdat
.Lfunc_end635:
	.size	_ZN12_GLOBAL__N_121softmax_warp_backwardIN3c108BFloat16ES2_fLi8ELb0ELb0ELi32EEEvPT0_PKT_S7_iiiPKb, .Lfunc_end635-_ZN12_GLOBAL__N_121softmax_warp_backwardIN3c108BFloat16ES2_fLi8ELb0ELb0ELi32EEEvPT0_PKT_S7_iiiPKb
                                        ; -- End function
	.set _ZN12_GLOBAL__N_121softmax_warp_backwardIN3c108BFloat16ES2_fLi8ELb0ELb0ELi32EEEvPT0_PKT_S7_iiiPKb.num_vgpr, 23
	.set _ZN12_GLOBAL__N_121softmax_warp_backwardIN3c108BFloat16ES2_fLi8ELb0ELb0ELi32EEEvPT0_PKT_S7_iiiPKb.num_agpr, 0
	.set _ZN12_GLOBAL__N_121softmax_warp_backwardIN3c108BFloat16ES2_fLi8ELb0ELb0ELi32EEEvPT0_PKT_S7_iiiPKb.numbered_sgpr, 16
	.set _ZN12_GLOBAL__N_121softmax_warp_backwardIN3c108BFloat16ES2_fLi8ELb0ELb0ELi32EEEvPT0_PKT_S7_iiiPKb.num_named_barrier, 0
	.set _ZN12_GLOBAL__N_121softmax_warp_backwardIN3c108BFloat16ES2_fLi8ELb0ELb0ELi32EEEvPT0_PKT_S7_iiiPKb.private_seg_size, 0
	.set _ZN12_GLOBAL__N_121softmax_warp_backwardIN3c108BFloat16ES2_fLi8ELb0ELb0ELi32EEEvPT0_PKT_S7_iiiPKb.uses_vcc, 1
	.set _ZN12_GLOBAL__N_121softmax_warp_backwardIN3c108BFloat16ES2_fLi8ELb0ELb0ELi32EEEvPT0_PKT_S7_iiiPKb.uses_flat_scratch, 0
	.set _ZN12_GLOBAL__N_121softmax_warp_backwardIN3c108BFloat16ES2_fLi8ELb0ELb0ELi32EEEvPT0_PKT_S7_iiiPKb.has_dyn_sized_stack, 0
	.set _ZN12_GLOBAL__N_121softmax_warp_backwardIN3c108BFloat16ES2_fLi8ELb0ELb0ELi32EEEvPT0_PKT_S7_iiiPKb.has_recursion, 0
	.set _ZN12_GLOBAL__N_121softmax_warp_backwardIN3c108BFloat16ES2_fLi8ELb0ELb0ELi32EEEvPT0_PKT_S7_iiiPKb.has_indirect_call, 0
	.section	.AMDGPU.csdata,"",@progbits
; Kernel info:
; codeLenInByte = 1720
; TotalNumSgprs: 18
; NumVgprs: 23
; ScratchSize: 0
; MemoryBound: 0
; FloatMode: 240
; IeeeMode: 1
; LDSByteSize: 0 bytes/workgroup (compile time only)
; SGPRBlocks: 0
; VGPRBlocks: 2
; NumSGPRsForWavesPerEU: 18
; NumVGPRsForWavesPerEU: 23
; Occupancy: 16
; WaveLimiterHint : 0
; COMPUTE_PGM_RSRC2:SCRATCH_EN: 0
; COMPUTE_PGM_RSRC2:USER_SGPR: 6
; COMPUTE_PGM_RSRC2:TRAP_HANDLER: 0
; COMPUTE_PGM_RSRC2:TGID_X_EN: 1
; COMPUTE_PGM_RSRC2:TGID_Y_EN: 0
; COMPUTE_PGM_RSRC2:TGID_Z_EN: 0
; COMPUTE_PGM_RSRC2:TIDIG_COMP_CNT: 1
	.section	.text._ZN12_GLOBAL__N_121softmax_warp_backwardIN3c108BFloat16ES2_fLi9ELb0ELb0ELi64EEEvPT0_PKT_S7_iiiPKb,"axG",@progbits,_ZN12_GLOBAL__N_121softmax_warp_backwardIN3c108BFloat16ES2_fLi9ELb0ELb0ELi64EEEvPT0_PKT_S7_iiiPKb,comdat
	.globl	_ZN12_GLOBAL__N_121softmax_warp_backwardIN3c108BFloat16ES2_fLi9ELb0ELb0ELi64EEEvPT0_PKT_S7_iiiPKb ; -- Begin function _ZN12_GLOBAL__N_121softmax_warp_backwardIN3c108BFloat16ES2_fLi9ELb0ELb0ELi64EEEvPT0_PKT_S7_iiiPKb
	.p2align	8
	.type	_ZN12_GLOBAL__N_121softmax_warp_backwardIN3c108BFloat16ES2_fLi9ELb0ELb0ELi64EEEvPT0_PKT_S7_iiiPKb,@function
_ZN12_GLOBAL__N_121softmax_warp_backwardIN3c108BFloat16ES2_fLi9ELb0ELb0ELi64EEEvPT0_PKT_S7_iiiPKb: ; @_ZN12_GLOBAL__N_121softmax_warp_backwardIN3c108BFloat16ES2_fLi9ELb0ELb0ELi64EEEvPT0_PKT_S7_iiiPKb
; %bb.0:
	s_clause 0x1
	s_load_dword s0, s[4:5], 0x3c
	s_load_dwordx4 s[12:15], s[4:5], 0x18
	v_and_b32_e32 v6, 63, v0
	s_clause 0x1
	s_load_dwordx4 s[8:11], s[4:5], 0x0
	s_load_dwordx2 s[2:3], s[4:5], 0x10
	v_mov_b32_e32 v13, 0
	v_mov_b32_e32 v14, 0
	s_waitcnt lgkmcnt(0)
	s_lshr_b32 s0, s0, 16
	v_cmp_gt_i32_e32 vcc_lo, s14, v6
	v_mad_u64_u32 v[1:2], null, s6, s0, v[1:2]
	v_mad_u64_u32 v[2:3], null, v1, s13, v[6:7]
	v_sub_nc_u32_e32 v12, s12, v1
	v_cmp_lt_i32_e64 s4, 0, v12
	v_ashrrev_i32_e32 v3, 31, v2
	s_and_b32 s1, s4, vcc_lo
	v_lshlrev_b64 v[0:1], 1, v[2:3]
	v_add_co_u32 v2, s0, s10, v0
	v_add_co_ci_u32_e64 v3, null, s11, v1, s0
	v_add_co_u32 v4, s0, s2, v0
	v_add_co_ci_u32_e64 v5, null, s3, v1, s0
	s_and_saveexec_b32 s0, s1
	s_cbranch_execz .LBB636_2
; %bb.1:
	global_load_ushort v7, v[2:3], off
	global_load_ushort v8, v[4:5], off
	s_waitcnt vmcnt(1)
	v_lshlrev_b32_e32 v14, 16, v7
	s_waitcnt vmcnt(0)
	v_lshlrev_b32_e32 v13, 16, v8
.LBB636_2:
	s_or_b32 exec_lo, exec_lo, s0
	v_or_b32_e32 v7, 64, v6
	v_cmp_gt_i32_e64 s0, s14, v7
	s_and_b32 s1, s4, s0
	s_xor_b32 s1, s1, -1
	s_and_saveexec_b32 s2, s1
	s_xor_b32 s1, exec_lo, s2
                                        ; implicit-def: $vgpr8
                                        ; implicit-def: $vgpr9
                                        ; implicit-def: $vgpr10
                                        ; implicit-def: $vgpr11
                                        ; implicit-def: $vgpr15
                                        ; implicit-def: $vgpr16
                                        ; implicit-def: $vgpr7
; %bb.3:
	s_mov_b32 s2, 0
                                        ; implicit-def: $vgpr8
                                        ; implicit-def: $vgpr9
                                        ; implicit-def: $vgpr10
                                        ; implicit-def: $vgpr11
                                        ; implicit-def: $vgpr15
                                        ; implicit-def: $vgpr7
	v_mov_b32_e32 v16, s2
; %bb.4:
	s_or_saveexec_b32 s1, s1
	v_mov_b32_e32 v17, 0
	s_xor_b32 exec_lo, exec_lo, s1
	s_cbranch_execz .LBB636_6
; %bb.5:
	global_load_ushort v16, v[2:3], off offset:128
	global_load_ushort v17, v[4:5], off offset:128
	s_waitcnt vmcnt(1)
	v_lshlrev_b32_e32 v16, 16, v16
	s_waitcnt vmcnt(0)
	v_lshlrev_b32_e32 v17, 16, v17
.LBB636_6:
	s_or_b32 exec_lo, exec_lo, s1
	v_or_b32_e32 v18, 0x80, v6
	v_cmp_gt_i32_e64 s1, s14, v18
	s_and_b32 s2, s4, s1
	s_xor_b32 s2, s2, -1
	s_and_saveexec_b32 s3, s2
	s_xor_b32 s2, exec_lo, s3
; %bb.7:
	s_mov_b32 s3, 0
	v_mov_b32_e32 v15, s3
; %bb.8:
	s_or_saveexec_b32 s2, s2
	v_mov_b32_e32 v18, 0
	s_xor_b32 exec_lo, exec_lo, s2
	s_cbranch_execz .LBB636_10
; %bb.9:
	global_load_ushort v15, v[2:3], off offset:256
	global_load_ushort v18, v[4:5], off offset:256
	s_waitcnt vmcnt(1)
	v_lshlrev_b32_e32 v15, 16, v15
	s_waitcnt vmcnt(0)
	v_lshlrev_b32_e32 v18, 16, v18
.LBB636_10:
	s_or_b32 exec_lo, exec_lo, s2
	v_or_b32_e32 v19, 0xc0, v6
	v_cmp_gt_i32_e64 s2, s14, v19
	s_and_b32 s3, s4, s2
	s_xor_b32 s3, s3, -1
	s_and_saveexec_b32 s5, s3
	s_xor_b32 s3, exec_lo, s5
; %bb.11:
	s_mov_b32 s5, 0
	;; [unrolled: 23-line block ×6, first 2 shown]
                                        ; implicit-def: $vgpr2_vgpr3
                                        ; implicit-def: $vgpr4_vgpr5
	v_mov_b32_e32 v7, s10
; %bb.28:
	s_or_saveexec_b32 s4, s4
	v_mov_b32_e32 v6, 0
	s_xor_b32 exec_lo, exec_lo, s4
	s_cbranch_execz .LBB636_30
; %bb.29:
	global_load_ushort v2, v[2:3], off offset:896
	global_load_ushort v3, v[4:5], off offset:896
	s_waitcnt vmcnt(1)
	v_lshlrev_b32_e32 v7, 16, v2
	s_waitcnt vmcnt(0)
	v_lshlrev_b32_e32 v6, 16, v3
.LBB636_30:
	s_or_b32 exec_lo, exec_lo, s4
	v_add_f32_e32 v2, 0, v14
	v_mbcnt_lo_u32_b32 v3, -1, 0
	s_mov_b32 s10, exec_lo
	v_add_f32_e32 v2, v2, v16
	v_or_b32_e32 v4, 32, v3
	v_xor_b32_e32 v5, 16, v3
	v_add_f32_e32 v2, v2, v15
	v_cmp_gt_i32_e64 s4, 64, v4
	v_add_f32_e32 v2, v2, v11
	v_cndmask_b32_e64 v4, v3, v4, s4
	v_cmp_gt_i32_e64 s4, 64, v5
	v_add_f32_e32 v2, v2, v10
	v_lshlrev_b32_e32 v4, 2, v4
	v_cndmask_b32_e64 v5, v3, v5, s4
	v_add_f32_e32 v2, v2, v9
	v_lshlrev_b32_e32 v5, 2, v5
	v_add_f32_e32 v2, v2, v8
	v_add_f32_e32 v2, v2, v7
	ds_bpermute_b32 v4, v4, v2
	s_waitcnt lgkmcnt(0)
	v_add_f32_e32 v2, v2, v4
	ds_bpermute_b32 v4, v5, v2
	v_xor_b32_e32 v5, 8, v3
	v_cmp_gt_i32_e64 s4, 64, v5
	v_cndmask_b32_e64 v5, v3, v5, s4
	v_lshlrev_b32_e32 v5, 2, v5
	s_waitcnt lgkmcnt(0)
	v_add_f32_e32 v2, v2, v4
	ds_bpermute_b32 v4, v5, v2
	v_xor_b32_e32 v5, 4, v3
	v_cmp_gt_i32_e64 s4, 64, v5
	v_cndmask_b32_e64 v5, v3, v5, s4
	v_lshlrev_b32_e32 v5, 2, v5
	;; [unrolled: 7-line block ×4, first 2 shown]
	s_waitcnt lgkmcnt(0)
	v_add_f32_e32 v2, v2, v4
	ds_bpermute_b32 v3, v3, v2
	v_cmpx_lt_i32_e32 0, v12
	s_cbranch_execz .LBB636_40
; %bb.31:
	v_add_co_u32 v0, s4, s8, v0
	v_add_co_ci_u32_e64 v1, null, s9, v1, s4
	s_waitcnt lgkmcnt(0)
	v_add_f32_e32 v2, v2, v3
	s_and_saveexec_b32 s4, vcc_lo
	s_cbranch_execnz .LBB636_41
; %bb.32:
	s_or_b32 exec_lo, exec_lo, s4
	s_and_saveexec_b32 s4, s0
	s_cbranch_execnz .LBB636_42
.LBB636_33:
	s_or_b32 exec_lo, exec_lo, s4
	s_and_saveexec_b32 s0, s1
	s_cbranch_execnz .LBB636_43
.LBB636_34:
	s_or_b32 exec_lo, exec_lo, s0
	s_and_saveexec_b32 s0, s2
	s_cbranch_execnz .LBB636_44
.LBB636_35:
	s_or_b32 exec_lo, exec_lo, s0
	s_and_saveexec_b32 s0, s3
	s_cbranch_execnz .LBB636_45
.LBB636_36:
	s_or_b32 exec_lo, exec_lo, s0
	s_and_saveexec_b32 s0, s5
	s_cbranch_execnz .LBB636_46
.LBB636_37:
	s_or_b32 exec_lo, exec_lo, s0
	s_and_saveexec_b32 s0, s6
	s_cbranch_execnz .LBB636_47
.LBB636_38:
	s_or_b32 exec_lo, exec_lo, s0
	s_and_b32 exec_lo, exec_lo, s7
	s_cbranch_execz .LBB636_40
.LBB636_39:
	v_fma_f32 v2, -v2, v6, v7
	v_bfe_u32 v3, v2, 16, 1
	v_cmp_o_f32_e32 vcc_lo, v2, v2
	v_add3_u32 v2, v2, v3, 0x7fff
	v_mov_b32_e32 v3, 0x7fc0
	v_cndmask_b32_sdwa v2, v3, v2, vcc_lo dst_sel:DWORD dst_unused:UNUSED_PAD src0_sel:DWORD src1_sel:WORD_1
	global_store_short v[0:1], v2, off offset:896
.LBB636_40:
	s_endpgm
.LBB636_41:
	v_fma_f32 v3, -v2, v13, v14
	v_bfe_u32 v4, v3, 16, 1
	v_cmp_o_f32_e32 vcc_lo, v3, v3
	v_add3_u32 v3, v3, v4, 0x7fff
	v_mov_b32_e32 v4, 0x7fc0
	v_cndmask_b32_sdwa v3, v4, v3, vcc_lo dst_sel:DWORD dst_unused:UNUSED_PAD src0_sel:DWORD src1_sel:WORD_1
	global_store_short v[0:1], v3, off
	s_or_b32 exec_lo, exec_lo, s4
	s_and_saveexec_b32 s4, s0
	s_cbranch_execz .LBB636_33
.LBB636_42:
	v_fma_f32 v3, -v2, v17, v16
	v_bfe_u32 v4, v3, 16, 1
	v_cmp_o_f32_e32 vcc_lo, v3, v3
	v_add3_u32 v3, v3, v4, 0x7fff
	v_mov_b32_e32 v4, 0x7fc0
	v_cndmask_b32_sdwa v3, v4, v3, vcc_lo dst_sel:DWORD dst_unused:UNUSED_PAD src0_sel:DWORD src1_sel:WORD_1
	global_store_short v[0:1], v3, off offset:128
	s_or_b32 exec_lo, exec_lo, s4
	s_and_saveexec_b32 s0, s1
	s_cbranch_execz .LBB636_34
.LBB636_43:
	v_fma_f32 v3, -v2, v18, v15
	v_bfe_u32 v4, v3, 16, 1
	v_cmp_o_f32_e32 vcc_lo, v3, v3
	v_add3_u32 v3, v3, v4, 0x7fff
	v_mov_b32_e32 v4, 0x7fc0
	v_cndmask_b32_sdwa v3, v4, v3, vcc_lo dst_sel:DWORD dst_unused:UNUSED_PAD src0_sel:DWORD src1_sel:WORD_1
	global_store_short v[0:1], v3, off offset:256
	s_or_b32 exec_lo, exec_lo, s0
	s_and_saveexec_b32 s0, s2
	s_cbranch_execz .LBB636_35
.LBB636_44:
	v_fma_f32 v3, -v2, v19, v11
	v_bfe_u32 v4, v3, 16, 1
	v_cmp_o_f32_e32 vcc_lo, v3, v3
	v_add3_u32 v3, v3, v4, 0x7fff
	v_mov_b32_e32 v4, 0x7fc0
	v_cndmask_b32_sdwa v3, v4, v3, vcc_lo dst_sel:DWORD dst_unused:UNUSED_PAD src0_sel:DWORD src1_sel:WORD_1
	global_store_short v[0:1], v3, off offset:384
	s_or_b32 exec_lo, exec_lo, s0
	s_and_saveexec_b32 s0, s3
	s_cbranch_execz .LBB636_36
.LBB636_45:
	v_fma_f32 v3, -v2, v20, v10
	v_bfe_u32 v4, v3, 16, 1
	v_cmp_o_f32_e32 vcc_lo, v3, v3
	v_add3_u32 v3, v3, v4, 0x7fff
	v_mov_b32_e32 v4, 0x7fc0
	v_cndmask_b32_sdwa v3, v4, v3, vcc_lo dst_sel:DWORD dst_unused:UNUSED_PAD src0_sel:DWORD src1_sel:WORD_1
	global_store_short v[0:1], v3, off offset:512
	s_or_b32 exec_lo, exec_lo, s0
	s_and_saveexec_b32 s0, s5
	s_cbranch_execz .LBB636_37
.LBB636_46:
	v_fma_f32 v3, -v2, v21, v9
	v_bfe_u32 v4, v3, 16, 1
	v_cmp_o_f32_e32 vcc_lo, v3, v3
	v_add3_u32 v3, v3, v4, 0x7fff
	v_mov_b32_e32 v4, 0x7fc0
	v_cndmask_b32_sdwa v3, v4, v3, vcc_lo dst_sel:DWORD dst_unused:UNUSED_PAD src0_sel:DWORD src1_sel:WORD_1
	global_store_short v[0:1], v3, off offset:640
	s_or_b32 exec_lo, exec_lo, s0
	s_and_saveexec_b32 s0, s6
	s_cbranch_execz .LBB636_38
.LBB636_47:
	v_fma_f32 v3, -v2, v22, v8
	v_bfe_u32 v4, v3, 16, 1
	v_cmp_o_f32_e32 vcc_lo, v3, v3
	v_add3_u32 v3, v3, v4, 0x7fff
	v_mov_b32_e32 v4, 0x7fc0
	v_cndmask_b32_sdwa v3, v4, v3, vcc_lo dst_sel:DWORD dst_unused:UNUSED_PAD src0_sel:DWORD src1_sel:WORD_1
	global_store_short v[0:1], v3, off offset:768
	s_or_b32 exec_lo, exec_lo, s0
	s_and_b32 exec_lo, exec_lo, s7
	s_cbranch_execnz .LBB636_39
	s_branch .LBB636_40
	.section	.rodata,"a",@progbits
	.p2align	6, 0x0
	.amdhsa_kernel _ZN12_GLOBAL__N_121softmax_warp_backwardIN3c108BFloat16ES2_fLi9ELb0ELb0ELi64EEEvPT0_PKT_S7_iiiPKb
		.amdhsa_group_segment_fixed_size 0
		.amdhsa_private_segment_fixed_size 0
		.amdhsa_kernarg_size 304
		.amdhsa_user_sgpr_count 6
		.amdhsa_user_sgpr_private_segment_buffer 1
		.amdhsa_user_sgpr_dispatch_ptr 0
		.amdhsa_user_sgpr_queue_ptr 0
		.amdhsa_user_sgpr_kernarg_segment_ptr 1
		.amdhsa_user_sgpr_dispatch_id 0
		.amdhsa_user_sgpr_flat_scratch_init 0
		.amdhsa_user_sgpr_private_segment_size 0
		.amdhsa_wavefront_size32 1
		.amdhsa_uses_dynamic_stack 0
		.amdhsa_system_sgpr_private_segment_wavefront_offset 0
		.amdhsa_system_sgpr_workgroup_id_x 1
		.amdhsa_system_sgpr_workgroup_id_y 0
		.amdhsa_system_sgpr_workgroup_id_z 0
		.amdhsa_system_sgpr_workgroup_info 0
		.amdhsa_system_vgpr_workitem_id 1
		.amdhsa_next_free_vgpr 23
		.amdhsa_next_free_sgpr 16
		.amdhsa_reserve_vcc 1
		.amdhsa_reserve_flat_scratch 0
		.amdhsa_float_round_mode_32 0
		.amdhsa_float_round_mode_16_64 0
		.amdhsa_float_denorm_mode_32 3
		.amdhsa_float_denorm_mode_16_64 3
		.amdhsa_dx10_clamp 1
		.amdhsa_ieee_mode 1
		.amdhsa_fp16_overflow 0
		.amdhsa_workgroup_processor_mode 1
		.amdhsa_memory_ordered 1
		.amdhsa_forward_progress 1
		.amdhsa_shared_vgpr_count 0
		.amdhsa_exception_fp_ieee_invalid_op 0
		.amdhsa_exception_fp_denorm_src 0
		.amdhsa_exception_fp_ieee_div_zero 0
		.amdhsa_exception_fp_ieee_overflow 0
		.amdhsa_exception_fp_ieee_underflow 0
		.amdhsa_exception_fp_ieee_inexact 0
		.amdhsa_exception_int_div_zero 0
	.end_amdhsa_kernel
	.section	.text._ZN12_GLOBAL__N_121softmax_warp_backwardIN3c108BFloat16ES2_fLi9ELb0ELb0ELi64EEEvPT0_PKT_S7_iiiPKb,"axG",@progbits,_ZN12_GLOBAL__N_121softmax_warp_backwardIN3c108BFloat16ES2_fLi9ELb0ELb0ELi64EEEvPT0_PKT_S7_iiiPKb,comdat
.Lfunc_end636:
	.size	_ZN12_GLOBAL__N_121softmax_warp_backwardIN3c108BFloat16ES2_fLi9ELb0ELb0ELi64EEEvPT0_PKT_S7_iiiPKb, .Lfunc_end636-_ZN12_GLOBAL__N_121softmax_warp_backwardIN3c108BFloat16ES2_fLi9ELb0ELb0ELi64EEEvPT0_PKT_S7_iiiPKb
                                        ; -- End function
	.set _ZN12_GLOBAL__N_121softmax_warp_backwardIN3c108BFloat16ES2_fLi9ELb0ELb0ELi64EEEvPT0_PKT_S7_iiiPKb.num_vgpr, 23
	.set _ZN12_GLOBAL__N_121softmax_warp_backwardIN3c108BFloat16ES2_fLi9ELb0ELb0ELi64EEEvPT0_PKT_S7_iiiPKb.num_agpr, 0
	.set _ZN12_GLOBAL__N_121softmax_warp_backwardIN3c108BFloat16ES2_fLi9ELb0ELb0ELi64EEEvPT0_PKT_S7_iiiPKb.numbered_sgpr, 16
	.set _ZN12_GLOBAL__N_121softmax_warp_backwardIN3c108BFloat16ES2_fLi9ELb0ELb0ELi64EEEvPT0_PKT_S7_iiiPKb.num_named_barrier, 0
	.set _ZN12_GLOBAL__N_121softmax_warp_backwardIN3c108BFloat16ES2_fLi9ELb0ELb0ELi64EEEvPT0_PKT_S7_iiiPKb.private_seg_size, 0
	.set _ZN12_GLOBAL__N_121softmax_warp_backwardIN3c108BFloat16ES2_fLi9ELb0ELb0ELi64EEEvPT0_PKT_S7_iiiPKb.uses_vcc, 1
	.set _ZN12_GLOBAL__N_121softmax_warp_backwardIN3c108BFloat16ES2_fLi9ELb0ELb0ELi64EEEvPT0_PKT_S7_iiiPKb.uses_flat_scratch, 0
	.set _ZN12_GLOBAL__N_121softmax_warp_backwardIN3c108BFloat16ES2_fLi9ELb0ELb0ELi64EEEvPT0_PKT_S7_iiiPKb.has_dyn_sized_stack, 0
	.set _ZN12_GLOBAL__N_121softmax_warp_backwardIN3c108BFloat16ES2_fLi9ELb0ELb0ELi64EEEvPT0_PKT_S7_iiiPKb.has_recursion, 0
	.set _ZN12_GLOBAL__N_121softmax_warp_backwardIN3c108BFloat16ES2_fLi9ELb0ELb0ELi64EEEvPT0_PKT_S7_iiiPKb.has_indirect_call, 0
	.section	.AMDGPU.csdata,"",@progbits
; Kernel info:
; codeLenInByte = 1764
; TotalNumSgprs: 18
; NumVgprs: 23
; ScratchSize: 0
; MemoryBound: 0
; FloatMode: 240
; IeeeMode: 1
; LDSByteSize: 0 bytes/workgroup (compile time only)
; SGPRBlocks: 0
; VGPRBlocks: 2
; NumSGPRsForWavesPerEU: 18
; NumVGPRsForWavesPerEU: 23
; Occupancy: 16
; WaveLimiterHint : 0
; COMPUTE_PGM_RSRC2:SCRATCH_EN: 0
; COMPUTE_PGM_RSRC2:USER_SGPR: 6
; COMPUTE_PGM_RSRC2:TRAP_HANDLER: 0
; COMPUTE_PGM_RSRC2:TGID_X_EN: 1
; COMPUTE_PGM_RSRC2:TGID_Y_EN: 0
; COMPUTE_PGM_RSRC2:TGID_Z_EN: 0
; COMPUTE_PGM_RSRC2:TIDIG_COMP_CNT: 1
	.section	.text._ZN12_GLOBAL__N_121softmax_warp_backwardIN3c108BFloat16ES2_fLi9ELb0ELb0ELi32EEEvPT0_PKT_S7_iiiPKb,"axG",@progbits,_ZN12_GLOBAL__N_121softmax_warp_backwardIN3c108BFloat16ES2_fLi9ELb0ELb0ELi32EEEvPT0_PKT_S7_iiiPKb,comdat
	.globl	_ZN12_GLOBAL__N_121softmax_warp_backwardIN3c108BFloat16ES2_fLi9ELb0ELb0ELi32EEEvPT0_PKT_S7_iiiPKb ; -- Begin function _ZN12_GLOBAL__N_121softmax_warp_backwardIN3c108BFloat16ES2_fLi9ELb0ELb0ELi32EEEvPT0_PKT_S7_iiiPKb
	.p2align	8
	.type	_ZN12_GLOBAL__N_121softmax_warp_backwardIN3c108BFloat16ES2_fLi9ELb0ELb0ELi32EEEvPT0_PKT_S7_iiiPKb,@function
_ZN12_GLOBAL__N_121softmax_warp_backwardIN3c108BFloat16ES2_fLi9ELb0ELb0ELi32EEEvPT0_PKT_S7_iiiPKb: ; @_ZN12_GLOBAL__N_121softmax_warp_backwardIN3c108BFloat16ES2_fLi9ELb0ELb0ELi32EEEvPT0_PKT_S7_iiiPKb
; %bb.0:
	s_clause 0x1
	s_load_dword s0, s[4:5], 0x3c
	s_load_dwordx4 s[20:23], s[4:5], 0x18
	v_and_b32_e32 v6, 31, v0
	s_clause 0x1
	s_load_dwordx4 s[16:19], s[4:5], 0x0
	s_load_dwordx2 s[2:3], s[4:5], 0x10
	v_mov_b32_e32 v20, 0
	v_mov_b32_e32 v21, 0
	s_waitcnt lgkmcnt(0)
	s_lshr_b32 s0, s0, 16
	v_cmp_gt_i32_e32 vcc_lo, s22, v6
	v_mad_u64_u32 v[1:2], null, s6, s0, v[1:2]
	v_mad_u64_u32 v[2:3], null, v1, s21, v[6:7]
	v_sub_nc_u32_e32 v19, s20, v1
	v_cmp_lt_i32_e64 s4, 0, v19
	v_ashrrev_i32_e32 v3, 31, v2
	s_and_b32 s1, s4, vcc_lo
	v_lshlrev_b64 v[0:1], 1, v[2:3]
	v_add_co_u32 v2, s0, s18, v0
	v_add_co_ci_u32_e64 v3, null, s19, v1, s0
	v_add_co_u32 v4, s0, s2, v0
	v_add_co_ci_u32_e64 v5, null, s3, v1, s0
	s_and_saveexec_b32 s0, s1
	s_cbranch_execz .LBB637_2
; %bb.1:
	global_load_ushort v7, v[2:3], off
	global_load_ushort v8, v[4:5], off
	s_waitcnt vmcnt(1)
	v_lshlrev_b32_e32 v21, 16, v7
	s_waitcnt vmcnt(0)
	v_lshlrev_b32_e32 v20, 16, v8
.LBB637_2:
	s_or_b32 exec_lo, exec_lo, s0
	v_or_b32_e32 v7, 32, v6
	v_cmp_gt_i32_e64 s0, s22, v7
	s_and_b32 s1, s4, s0
	s_xor_b32 s1, s1, -1
	s_and_saveexec_b32 s2, s1
	s_xor_b32 s1, exec_lo, s2
                                        ; implicit-def: $vgpr7
                                        ; implicit-def: $vgpr9
                                        ; implicit-def: $vgpr10
                                        ; implicit-def: $vgpr11
                                        ; implicit-def: $vgpr12
                                        ; implicit-def: $vgpr13
                                        ; implicit-def: $vgpr14
                                        ; implicit-def: $vgpr15
                                        ; implicit-def: $vgpr16
                                        ; implicit-def: $vgpr17
                                        ; implicit-def: $vgpr18
                                        ; implicit-def: $vgpr22
                                        ; implicit-def: $vgpr23
                                        ; implicit-def: $vgpr24
                                        ; implicit-def: $vgpr8
; %bb.3:
	s_mov_b32 s2, 0
                                        ; implicit-def: $vgpr7
                                        ; implicit-def: $vgpr9
                                        ; implicit-def: $vgpr10
                                        ; implicit-def: $vgpr11
                                        ; implicit-def: $vgpr12
                                        ; implicit-def: $vgpr13
                                        ; implicit-def: $vgpr14
                                        ; implicit-def: $vgpr15
                                        ; implicit-def: $vgpr16
                                        ; implicit-def: $vgpr17
                                        ; implicit-def: $vgpr18
                                        ; implicit-def: $vgpr22
                                        ; implicit-def: $vgpr23
                                        ; implicit-def: $vgpr8
	v_mov_b32_e32 v24, s2
; %bb.4:
	s_or_saveexec_b32 s1, s1
	v_mov_b32_e32 v25, 0
	s_xor_b32 exec_lo, exec_lo, s1
	s_cbranch_execz .LBB637_6
; %bb.5:
	global_load_ushort v24, v[2:3], off offset:64
	global_load_ushort v25, v[4:5], off offset:64
	s_waitcnt vmcnt(1)
	v_lshlrev_b32_e32 v24, 16, v24
	s_waitcnt vmcnt(0)
	v_lshlrev_b32_e32 v25, 16, v25
.LBB637_6:
	s_or_b32 exec_lo, exec_lo, s1
	v_or_b32_e32 v26, 64, v6
	v_cmp_gt_i32_e64 s1, s22, v26
	s_and_b32 s2, s4, s1
	s_xor_b32 s2, s2, -1
	s_and_saveexec_b32 s3, s2
	s_xor_b32 s2, exec_lo, s3
; %bb.7:
	s_mov_b32 s3, 0
	v_mov_b32_e32 v23, s3
; %bb.8:
	s_or_saveexec_b32 s2, s2
	v_mov_b32_e32 v26, 0
	s_xor_b32 exec_lo, exec_lo, s2
	s_cbranch_execz .LBB637_10
; %bb.9:
	global_load_ushort v23, v[2:3], off offset:128
	global_load_ushort v26, v[4:5], off offset:128
	s_waitcnt vmcnt(1)
	v_lshlrev_b32_e32 v23, 16, v23
	s_waitcnt vmcnt(0)
	v_lshlrev_b32_e32 v26, 16, v26
.LBB637_10:
	s_or_b32 exec_lo, exec_lo, s2
	v_or_b32_e32 v27, 0x60, v6
	v_cmp_gt_i32_e64 s2, s22, v27
	s_and_b32 s3, s4, s2
	s_xor_b32 s3, s3, -1
	s_and_saveexec_b32 s5, s3
	s_xor_b32 s3, exec_lo, s5
; %bb.11:
	s_mov_b32 s5, 0
	;; [unrolled: 23-line block ×14, first 2 shown]
                                        ; implicit-def: $vgpr2_vgpr3
                                        ; implicit-def: $vgpr4_vgpr5
	v_mov_b32_e32 v8, s18
; %bb.60:
	s_or_saveexec_b32 s4, s4
	v_mov_b32_e32 v6, 0
	s_xor_b32 exec_lo, exec_lo, s4
	s_cbranch_execz .LBB637_62
; %bb.61:
	global_load_ushort v2, v[2:3], off offset:960
	global_load_ushort v3, v[4:5], off offset:960
	s_waitcnt vmcnt(1)
	v_lshlrev_b32_e32 v8, 16, v2
	s_waitcnt vmcnt(0)
	v_lshlrev_b32_e32 v6, 16, v3
.LBB637_62:
	s_or_b32 exec_lo, exec_lo, s4
	v_add_f32_e32 v2, 0, v21
	v_mbcnt_lo_u32_b32 v3, -1, 0
	s_mov_b32 s18, exec_lo
	v_add_f32_e32 v2, v2, v24
	v_xor_b32_e32 v4, 16, v3
	v_xor_b32_e32 v5, 8, v3
	v_add_f32_e32 v2, v2, v23
	v_cmp_gt_i32_e64 s4, 32, v4
	v_add_f32_e32 v2, v2, v22
	v_cndmask_b32_e64 v4, v3, v4, s4
	v_cmp_gt_i32_e64 s4, 32, v5
	v_add_f32_e32 v2, v2, v18
	v_lshlrev_b32_e32 v4, 2, v4
	v_cndmask_b32_e64 v5, v3, v5, s4
	v_add_f32_e32 v2, v2, v17
	v_lshlrev_b32_e32 v5, 2, v5
	v_add_f32_e32 v2, v2, v16
	v_add_f32_e32 v2, v2, v15
	;; [unrolled: 1-line block ×10, first 2 shown]
	ds_bpermute_b32 v4, v4, v2
	s_waitcnt lgkmcnt(0)
	v_add_f32_e32 v2, v2, v4
	ds_bpermute_b32 v4, v5, v2
	v_xor_b32_e32 v5, 4, v3
	v_cmp_gt_i32_e64 s4, 32, v5
	v_cndmask_b32_e64 v5, v3, v5, s4
	v_lshlrev_b32_e32 v5, 2, v5
	s_waitcnt lgkmcnt(0)
	v_add_f32_e32 v2, v2, v4
	ds_bpermute_b32 v4, v5, v2
	v_xor_b32_e32 v5, 2, v3
	v_cmp_gt_i32_e64 s4, 32, v5
	v_cndmask_b32_e64 v5, v3, v5, s4
	v_lshlrev_b32_e32 v5, 2, v5
	;; [unrolled: 7-line block ×3, first 2 shown]
	s_waitcnt lgkmcnt(0)
	v_add_f32_e32 v2, v2, v4
	ds_bpermute_b32 v3, v3, v2
	v_cmpx_lt_i32_e32 0, v19
	s_cbranch_execz .LBB637_80
; %bb.63:
	v_add_co_u32 v0, s4, s16, v0
	v_add_co_ci_u32_e64 v1, null, s17, v1, s4
	s_waitcnt lgkmcnt(0)
	v_add_f32_e32 v2, v2, v3
	s_and_saveexec_b32 s4, vcc_lo
	s_cbranch_execnz .LBB637_81
; %bb.64:
	s_or_b32 exec_lo, exec_lo, s4
	s_and_saveexec_b32 s4, s0
	s_cbranch_execnz .LBB637_82
.LBB637_65:
	s_or_b32 exec_lo, exec_lo, s4
	s_and_saveexec_b32 s0, s1
	s_cbranch_execnz .LBB637_83
.LBB637_66:
	s_or_b32 exec_lo, exec_lo, s0
	s_and_saveexec_b32 s0, s2
	s_cbranch_execnz .LBB637_84
.LBB637_67:
	s_or_b32 exec_lo, exec_lo, s0
	s_and_saveexec_b32 s0, s3
	s_cbranch_execnz .LBB637_85
.LBB637_68:
	s_or_b32 exec_lo, exec_lo, s0
	s_and_saveexec_b32 s0, s5
	s_cbranch_execnz .LBB637_86
.LBB637_69:
	s_or_b32 exec_lo, exec_lo, s0
	s_and_saveexec_b32 s0, s6
	s_cbranch_execnz .LBB637_87
.LBB637_70:
	s_or_b32 exec_lo, exec_lo, s0
	s_and_saveexec_b32 s0, s7
	s_cbranch_execnz .LBB637_88
.LBB637_71:
	s_or_b32 exec_lo, exec_lo, s0
	s_and_saveexec_b32 s0, s8
	s_cbranch_execnz .LBB637_89
.LBB637_72:
	s_or_b32 exec_lo, exec_lo, s0
	s_and_saveexec_b32 s0, s9
	s_cbranch_execnz .LBB637_90
.LBB637_73:
	s_or_b32 exec_lo, exec_lo, s0
	s_and_saveexec_b32 s0, s10
	s_cbranch_execnz .LBB637_91
.LBB637_74:
	s_or_b32 exec_lo, exec_lo, s0
	s_and_saveexec_b32 s0, s11
	s_cbranch_execnz .LBB637_92
.LBB637_75:
	s_or_b32 exec_lo, exec_lo, s0
	s_and_saveexec_b32 s0, s12
	s_cbranch_execnz .LBB637_93
.LBB637_76:
	s_or_b32 exec_lo, exec_lo, s0
	s_and_saveexec_b32 s0, s13
	s_cbranch_execnz .LBB637_94
.LBB637_77:
	s_or_b32 exec_lo, exec_lo, s0
	s_and_saveexec_b32 s0, s14
	s_cbranch_execnz .LBB637_95
.LBB637_78:
	s_or_b32 exec_lo, exec_lo, s0
	s_and_b32 exec_lo, exec_lo, s15
	s_cbranch_execz .LBB637_80
.LBB637_79:
	v_fma_f32 v2, -v2, v6, v8
	v_bfe_u32 v3, v2, 16, 1
	v_cmp_o_f32_e32 vcc_lo, v2, v2
	v_add3_u32 v2, v2, v3, 0x7fff
	v_mov_b32_e32 v3, 0x7fc0
	v_cndmask_b32_sdwa v2, v3, v2, vcc_lo dst_sel:DWORD dst_unused:UNUSED_PAD src0_sel:DWORD src1_sel:WORD_1
	global_store_short v[0:1], v2, off offset:960
.LBB637_80:
	s_endpgm
.LBB637_81:
	v_fma_f32 v3, -v2, v20, v21
	v_bfe_u32 v4, v3, 16, 1
	v_cmp_o_f32_e32 vcc_lo, v3, v3
	v_add3_u32 v3, v3, v4, 0x7fff
	v_mov_b32_e32 v4, 0x7fc0
	v_cndmask_b32_sdwa v3, v4, v3, vcc_lo dst_sel:DWORD dst_unused:UNUSED_PAD src0_sel:DWORD src1_sel:WORD_1
	global_store_short v[0:1], v3, off
	s_or_b32 exec_lo, exec_lo, s4
	s_and_saveexec_b32 s4, s0
	s_cbranch_execz .LBB637_65
.LBB637_82:
	v_fma_f32 v3, -v2, v25, v24
	v_bfe_u32 v4, v3, 16, 1
	v_cmp_o_f32_e32 vcc_lo, v3, v3
	v_add3_u32 v3, v3, v4, 0x7fff
	v_mov_b32_e32 v4, 0x7fc0
	v_cndmask_b32_sdwa v3, v4, v3, vcc_lo dst_sel:DWORD dst_unused:UNUSED_PAD src0_sel:DWORD src1_sel:WORD_1
	global_store_short v[0:1], v3, off offset:64
	s_or_b32 exec_lo, exec_lo, s4
	s_and_saveexec_b32 s0, s1
	s_cbranch_execz .LBB637_66
.LBB637_83:
	v_fma_f32 v3, -v2, v26, v23
	v_bfe_u32 v4, v3, 16, 1
	v_cmp_o_f32_e32 vcc_lo, v3, v3
	v_add3_u32 v3, v3, v4, 0x7fff
	v_mov_b32_e32 v4, 0x7fc0
	v_cndmask_b32_sdwa v3, v4, v3, vcc_lo dst_sel:DWORD dst_unused:UNUSED_PAD src0_sel:DWORD src1_sel:WORD_1
	global_store_short v[0:1], v3, off offset:128
	s_or_b32 exec_lo, exec_lo, s0
	s_and_saveexec_b32 s0, s2
	s_cbranch_execz .LBB637_67
.LBB637_84:
	v_fma_f32 v3, -v2, v27, v22
	v_bfe_u32 v4, v3, 16, 1
	v_cmp_o_f32_e32 vcc_lo, v3, v3
	v_add3_u32 v3, v3, v4, 0x7fff
	v_mov_b32_e32 v4, 0x7fc0
	v_cndmask_b32_sdwa v3, v4, v3, vcc_lo dst_sel:DWORD dst_unused:UNUSED_PAD src0_sel:DWORD src1_sel:WORD_1
	global_store_short v[0:1], v3, off offset:192
	s_or_b32 exec_lo, exec_lo, s0
	s_and_saveexec_b32 s0, s3
	s_cbranch_execz .LBB637_68
.LBB637_85:
	v_fma_f32 v3, -v2, v28, v18
	v_bfe_u32 v4, v3, 16, 1
	v_cmp_o_f32_e32 vcc_lo, v3, v3
	v_add3_u32 v3, v3, v4, 0x7fff
	v_mov_b32_e32 v4, 0x7fc0
	v_cndmask_b32_sdwa v3, v4, v3, vcc_lo dst_sel:DWORD dst_unused:UNUSED_PAD src0_sel:DWORD src1_sel:WORD_1
	global_store_short v[0:1], v3, off offset:256
	s_or_b32 exec_lo, exec_lo, s0
	s_and_saveexec_b32 s0, s5
	s_cbranch_execz .LBB637_69
.LBB637_86:
	v_fma_f32 v3, -v2, v29, v17
	v_bfe_u32 v4, v3, 16, 1
	v_cmp_o_f32_e32 vcc_lo, v3, v3
	v_add3_u32 v3, v3, v4, 0x7fff
	v_mov_b32_e32 v4, 0x7fc0
	v_cndmask_b32_sdwa v3, v4, v3, vcc_lo dst_sel:DWORD dst_unused:UNUSED_PAD src0_sel:DWORD src1_sel:WORD_1
	global_store_short v[0:1], v3, off offset:320
	s_or_b32 exec_lo, exec_lo, s0
	s_and_saveexec_b32 s0, s6
	s_cbranch_execz .LBB637_70
.LBB637_87:
	v_fma_f32 v3, -v2, v30, v16
	v_bfe_u32 v4, v3, 16, 1
	v_cmp_o_f32_e32 vcc_lo, v3, v3
	v_add3_u32 v3, v3, v4, 0x7fff
	v_mov_b32_e32 v4, 0x7fc0
	v_cndmask_b32_sdwa v3, v4, v3, vcc_lo dst_sel:DWORD dst_unused:UNUSED_PAD src0_sel:DWORD src1_sel:WORD_1
	global_store_short v[0:1], v3, off offset:384
	s_or_b32 exec_lo, exec_lo, s0
	s_and_saveexec_b32 s0, s7
	s_cbranch_execz .LBB637_71
.LBB637_88:
	v_fma_f32 v3, -v2, v31, v15
	v_bfe_u32 v4, v3, 16, 1
	v_cmp_o_f32_e32 vcc_lo, v3, v3
	v_add3_u32 v3, v3, v4, 0x7fff
	v_mov_b32_e32 v4, 0x7fc0
	v_cndmask_b32_sdwa v3, v4, v3, vcc_lo dst_sel:DWORD dst_unused:UNUSED_PAD src0_sel:DWORD src1_sel:WORD_1
	global_store_short v[0:1], v3, off offset:448
	s_or_b32 exec_lo, exec_lo, s0
	s_and_saveexec_b32 s0, s8
	s_cbranch_execz .LBB637_72
.LBB637_89:
	v_fma_f32 v3, -v2, v32, v14
	v_bfe_u32 v4, v3, 16, 1
	v_cmp_o_f32_e32 vcc_lo, v3, v3
	v_add3_u32 v3, v3, v4, 0x7fff
	v_mov_b32_e32 v4, 0x7fc0
	v_cndmask_b32_sdwa v3, v4, v3, vcc_lo dst_sel:DWORD dst_unused:UNUSED_PAD src0_sel:DWORD src1_sel:WORD_1
	global_store_short v[0:1], v3, off offset:512
	s_or_b32 exec_lo, exec_lo, s0
	s_and_saveexec_b32 s0, s9
	s_cbranch_execz .LBB637_73
.LBB637_90:
	v_fma_f32 v3, -v2, v33, v13
	v_bfe_u32 v4, v3, 16, 1
	v_cmp_o_f32_e32 vcc_lo, v3, v3
	v_add3_u32 v3, v3, v4, 0x7fff
	v_mov_b32_e32 v4, 0x7fc0
	v_cndmask_b32_sdwa v3, v4, v3, vcc_lo dst_sel:DWORD dst_unused:UNUSED_PAD src0_sel:DWORD src1_sel:WORD_1
	global_store_short v[0:1], v3, off offset:576
	s_or_b32 exec_lo, exec_lo, s0
	s_and_saveexec_b32 s0, s10
	s_cbranch_execz .LBB637_74
.LBB637_91:
	v_fma_f32 v3, -v2, v34, v12
	v_bfe_u32 v4, v3, 16, 1
	v_cmp_o_f32_e32 vcc_lo, v3, v3
	v_add3_u32 v3, v3, v4, 0x7fff
	v_mov_b32_e32 v4, 0x7fc0
	v_cndmask_b32_sdwa v3, v4, v3, vcc_lo dst_sel:DWORD dst_unused:UNUSED_PAD src0_sel:DWORD src1_sel:WORD_1
	global_store_short v[0:1], v3, off offset:640
	s_or_b32 exec_lo, exec_lo, s0
	s_and_saveexec_b32 s0, s11
	s_cbranch_execz .LBB637_75
.LBB637_92:
	v_fma_f32 v3, -v2, v35, v11
	v_bfe_u32 v4, v3, 16, 1
	v_cmp_o_f32_e32 vcc_lo, v3, v3
	v_add3_u32 v3, v3, v4, 0x7fff
	v_mov_b32_e32 v4, 0x7fc0
	v_cndmask_b32_sdwa v3, v4, v3, vcc_lo dst_sel:DWORD dst_unused:UNUSED_PAD src0_sel:DWORD src1_sel:WORD_1
	global_store_short v[0:1], v3, off offset:704
	s_or_b32 exec_lo, exec_lo, s0
	s_and_saveexec_b32 s0, s12
	s_cbranch_execz .LBB637_76
.LBB637_93:
	v_fma_f32 v3, -v2, v36, v10
	v_bfe_u32 v4, v3, 16, 1
	v_cmp_o_f32_e32 vcc_lo, v3, v3
	v_add3_u32 v3, v3, v4, 0x7fff
	v_mov_b32_e32 v4, 0x7fc0
	v_cndmask_b32_sdwa v3, v4, v3, vcc_lo dst_sel:DWORD dst_unused:UNUSED_PAD src0_sel:DWORD src1_sel:WORD_1
	global_store_short v[0:1], v3, off offset:768
	s_or_b32 exec_lo, exec_lo, s0
	s_and_saveexec_b32 s0, s13
	s_cbranch_execz .LBB637_77
.LBB637_94:
	v_fma_f32 v3, -v2, v37, v9
	v_bfe_u32 v4, v3, 16, 1
	v_cmp_o_f32_e32 vcc_lo, v3, v3
	v_add3_u32 v3, v3, v4, 0x7fff
	v_mov_b32_e32 v4, 0x7fc0
	v_cndmask_b32_sdwa v3, v4, v3, vcc_lo dst_sel:DWORD dst_unused:UNUSED_PAD src0_sel:DWORD src1_sel:WORD_1
	global_store_short v[0:1], v3, off offset:832
	s_or_b32 exec_lo, exec_lo, s0
	s_and_saveexec_b32 s0, s14
	s_cbranch_execz .LBB637_78
.LBB637_95:
	v_fma_f32 v3, -v2, v38, v7
	v_bfe_u32 v4, v3, 16, 1
	v_cmp_o_f32_e32 vcc_lo, v3, v3
	v_add3_u32 v3, v3, v4, 0x7fff
	v_mov_b32_e32 v4, 0x7fc0
	v_cndmask_b32_sdwa v3, v4, v3, vcc_lo dst_sel:DWORD dst_unused:UNUSED_PAD src0_sel:DWORD src1_sel:WORD_1
	global_store_short v[0:1], v3, off offset:896
	s_or_b32 exec_lo, exec_lo, s0
	s_and_b32 exec_lo, exec_lo, s15
	s_cbranch_execnz .LBB637_79
	s_branch .LBB637_80
	.section	.rodata,"a",@progbits
	.p2align	6, 0x0
	.amdhsa_kernel _ZN12_GLOBAL__N_121softmax_warp_backwardIN3c108BFloat16ES2_fLi9ELb0ELb0ELi32EEEvPT0_PKT_S7_iiiPKb
		.amdhsa_group_segment_fixed_size 0
		.amdhsa_private_segment_fixed_size 0
		.amdhsa_kernarg_size 304
		.amdhsa_user_sgpr_count 6
		.amdhsa_user_sgpr_private_segment_buffer 1
		.amdhsa_user_sgpr_dispatch_ptr 0
		.amdhsa_user_sgpr_queue_ptr 0
		.amdhsa_user_sgpr_kernarg_segment_ptr 1
		.amdhsa_user_sgpr_dispatch_id 0
		.amdhsa_user_sgpr_flat_scratch_init 0
		.amdhsa_user_sgpr_private_segment_size 0
		.amdhsa_wavefront_size32 1
		.amdhsa_uses_dynamic_stack 0
		.amdhsa_system_sgpr_private_segment_wavefront_offset 0
		.amdhsa_system_sgpr_workgroup_id_x 1
		.amdhsa_system_sgpr_workgroup_id_y 0
		.amdhsa_system_sgpr_workgroup_id_z 0
		.amdhsa_system_sgpr_workgroup_info 0
		.amdhsa_system_vgpr_workitem_id 1
		.amdhsa_next_free_vgpr 39
		.amdhsa_next_free_sgpr 24
		.amdhsa_reserve_vcc 1
		.amdhsa_reserve_flat_scratch 0
		.amdhsa_float_round_mode_32 0
		.amdhsa_float_round_mode_16_64 0
		.amdhsa_float_denorm_mode_32 3
		.amdhsa_float_denorm_mode_16_64 3
		.amdhsa_dx10_clamp 1
		.amdhsa_ieee_mode 1
		.amdhsa_fp16_overflow 0
		.amdhsa_workgroup_processor_mode 1
		.amdhsa_memory_ordered 1
		.amdhsa_forward_progress 1
		.amdhsa_shared_vgpr_count 0
		.amdhsa_exception_fp_ieee_invalid_op 0
		.amdhsa_exception_fp_denorm_src 0
		.amdhsa_exception_fp_ieee_div_zero 0
		.amdhsa_exception_fp_ieee_overflow 0
		.amdhsa_exception_fp_ieee_underflow 0
		.amdhsa_exception_fp_ieee_inexact 0
		.amdhsa_exception_int_div_zero 0
	.end_amdhsa_kernel
	.section	.text._ZN12_GLOBAL__N_121softmax_warp_backwardIN3c108BFloat16ES2_fLi9ELb0ELb0ELi32EEEvPT0_PKT_S7_iiiPKb,"axG",@progbits,_ZN12_GLOBAL__N_121softmax_warp_backwardIN3c108BFloat16ES2_fLi9ELb0ELb0ELi32EEEvPT0_PKT_S7_iiiPKb,comdat
.Lfunc_end637:
	.size	_ZN12_GLOBAL__N_121softmax_warp_backwardIN3c108BFloat16ES2_fLi9ELb0ELb0ELi32EEEvPT0_PKT_S7_iiiPKb, .Lfunc_end637-_ZN12_GLOBAL__N_121softmax_warp_backwardIN3c108BFloat16ES2_fLi9ELb0ELb0ELi32EEEvPT0_PKT_S7_iiiPKb
                                        ; -- End function
	.set _ZN12_GLOBAL__N_121softmax_warp_backwardIN3c108BFloat16ES2_fLi9ELb0ELb0ELi32EEEvPT0_PKT_S7_iiiPKb.num_vgpr, 39
	.set _ZN12_GLOBAL__N_121softmax_warp_backwardIN3c108BFloat16ES2_fLi9ELb0ELb0ELi32EEEvPT0_PKT_S7_iiiPKb.num_agpr, 0
	.set _ZN12_GLOBAL__N_121softmax_warp_backwardIN3c108BFloat16ES2_fLi9ELb0ELb0ELi32EEEvPT0_PKT_S7_iiiPKb.numbered_sgpr, 24
	.set _ZN12_GLOBAL__N_121softmax_warp_backwardIN3c108BFloat16ES2_fLi9ELb0ELb0ELi32EEEvPT0_PKT_S7_iiiPKb.num_named_barrier, 0
	.set _ZN12_GLOBAL__N_121softmax_warp_backwardIN3c108BFloat16ES2_fLi9ELb0ELb0ELi32EEEvPT0_PKT_S7_iiiPKb.private_seg_size, 0
	.set _ZN12_GLOBAL__N_121softmax_warp_backwardIN3c108BFloat16ES2_fLi9ELb0ELb0ELi32EEEvPT0_PKT_S7_iiiPKb.uses_vcc, 1
	.set _ZN12_GLOBAL__N_121softmax_warp_backwardIN3c108BFloat16ES2_fLi9ELb0ELb0ELi32EEEvPT0_PKT_S7_iiiPKb.uses_flat_scratch, 0
	.set _ZN12_GLOBAL__N_121softmax_warp_backwardIN3c108BFloat16ES2_fLi9ELb0ELb0ELi32EEEvPT0_PKT_S7_iiiPKb.has_dyn_sized_stack, 0
	.set _ZN12_GLOBAL__N_121softmax_warp_backwardIN3c108BFloat16ES2_fLi9ELb0ELb0ELi32EEEvPT0_PKT_S7_iiiPKb.has_recursion, 0
	.set _ZN12_GLOBAL__N_121softmax_warp_backwardIN3c108BFloat16ES2_fLi9ELb0ELb0ELi32EEEvPT0_PKT_S7_iiiPKb.has_indirect_call, 0
	.section	.AMDGPU.csdata,"",@progbits
; Kernel info:
; codeLenInByte = 3128
; TotalNumSgprs: 26
; NumVgprs: 39
; ScratchSize: 0
; MemoryBound: 0
; FloatMode: 240
; IeeeMode: 1
; LDSByteSize: 0 bytes/workgroup (compile time only)
; SGPRBlocks: 0
; VGPRBlocks: 4
; NumSGPRsForWavesPerEU: 26
; NumVGPRsForWavesPerEU: 39
; Occupancy: 16
; WaveLimiterHint : 0
; COMPUTE_PGM_RSRC2:SCRATCH_EN: 0
; COMPUTE_PGM_RSRC2:USER_SGPR: 6
; COMPUTE_PGM_RSRC2:TRAP_HANDLER: 0
; COMPUTE_PGM_RSRC2:TGID_X_EN: 1
; COMPUTE_PGM_RSRC2:TGID_Y_EN: 0
; COMPUTE_PGM_RSRC2:TGID_Z_EN: 0
; COMPUTE_PGM_RSRC2:TIDIG_COMP_CNT: 1
	.section	.text._ZN12_GLOBAL__N_121softmax_warp_backwardIN3c108BFloat16ES2_fLi10ELb0ELb0ELi64EEEvPT0_PKT_S7_iiiPKb,"axG",@progbits,_ZN12_GLOBAL__N_121softmax_warp_backwardIN3c108BFloat16ES2_fLi10ELb0ELb0ELi64EEEvPT0_PKT_S7_iiiPKb,comdat
	.globl	_ZN12_GLOBAL__N_121softmax_warp_backwardIN3c108BFloat16ES2_fLi10ELb0ELb0ELi64EEEvPT0_PKT_S7_iiiPKb ; -- Begin function _ZN12_GLOBAL__N_121softmax_warp_backwardIN3c108BFloat16ES2_fLi10ELb0ELb0ELi64EEEvPT0_PKT_S7_iiiPKb
	.p2align	8
	.type	_ZN12_GLOBAL__N_121softmax_warp_backwardIN3c108BFloat16ES2_fLi10ELb0ELb0ELi64EEEvPT0_PKT_S7_iiiPKb,@function
_ZN12_GLOBAL__N_121softmax_warp_backwardIN3c108BFloat16ES2_fLi10ELb0ELb0ELi64EEEvPT0_PKT_S7_iiiPKb: ; @_ZN12_GLOBAL__N_121softmax_warp_backwardIN3c108BFloat16ES2_fLi10ELb0ELb0ELi64EEEvPT0_PKT_S7_iiiPKb
; %bb.0:
	s_clause 0x1
	s_load_dword s0, s[4:5], 0x3c
	s_load_dwordx4 s[20:23], s[4:5], 0x18
	v_and_b32_e32 v7, 63, v0
	s_clause 0x1
	s_load_dwordx4 s[16:19], s[4:5], 0x0
	s_load_dwordx2 s[2:3], s[4:5], 0x10
	v_mov_b32_e32 v21, 0
	v_mov_b32_e32 v22, 0
	s_waitcnt lgkmcnt(0)
	s_lshr_b32 s0, s0, 16
	v_cmp_gt_i32_e32 vcc_lo, s22, v7
	v_mad_u64_u32 v[1:2], null, s6, s0, v[1:2]
	v_mad_u64_u32 v[2:3], null, v1, s21, v[7:8]
	v_sub_nc_u32_e32 v20, s20, v1
	v_cmp_lt_i32_e64 s4, 0, v20
	v_ashrrev_i32_e32 v3, 31, v2
	s_and_b32 s1, s4, vcc_lo
	v_lshlrev_b64 v[1:2], 1, v[2:3]
	v_add_co_u32 v3, s0, s18, v1
	v_add_co_ci_u32_e64 v4, null, s19, v2, s0
	v_add_co_u32 v5, s0, s2, v1
	v_add_co_ci_u32_e64 v6, null, s3, v2, s0
	s_and_saveexec_b32 s0, s1
	s_cbranch_execz .LBB638_2
; %bb.1:
	global_load_ushort v8, v[3:4], off
	global_load_ushort v9, v[5:6], off
	s_waitcnt vmcnt(1)
	v_lshlrev_b32_e32 v22, 16, v8
	s_waitcnt vmcnt(0)
	v_lshlrev_b32_e32 v21, 16, v9
.LBB638_2:
	s_or_b32 exec_lo, exec_lo, s0
	v_or_b32_e32 v8, 64, v7
	v_cmp_gt_i32_e64 s0, s22, v8
	s_and_b32 s1, s4, s0
	s_xor_b32 s1, s1, -1
	s_and_saveexec_b32 s2, s1
	s_xor_b32 s1, exec_lo, s2
                                        ; implicit-def: $vgpr8
                                        ; implicit-def: $vgpr10
                                        ; implicit-def: $vgpr11
                                        ; implicit-def: $vgpr12
                                        ; implicit-def: $vgpr13
                                        ; implicit-def: $vgpr14
                                        ; implicit-def: $vgpr15
                                        ; implicit-def: $vgpr16
                                        ; implicit-def: $vgpr17
                                        ; implicit-def: $vgpr18
                                        ; implicit-def: $vgpr19
                                        ; implicit-def: $vgpr23
                                        ; implicit-def: $vgpr24
                                        ; implicit-def: $vgpr25
                                        ; implicit-def: $vgpr9
; %bb.3:
	s_mov_b32 s2, 0
                                        ; implicit-def: $vgpr8
                                        ; implicit-def: $vgpr10
                                        ; implicit-def: $vgpr11
                                        ; implicit-def: $vgpr12
                                        ; implicit-def: $vgpr13
                                        ; implicit-def: $vgpr14
                                        ; implicit-def: $vgpr15
                                        ; implicit-def: $vgpr16
                                        ; implicit-def: $vgpr17
                                        ; implicit-def: $vgpr18
                                        ; implicit-def: $vgpr19
                                        ; implicit-def: $vgpr23
                                        ; implicit-def: $vgpr24
                                        ; implicit-def: $vgpr9
	v_mov_b32_e32 v25, s2
; %bb.4:
	s_or_saveexec_b32 s1, s1
	v_mov_b32_e32 v26, 0
	s_xor_b32 exec_lo, exec_lo, s1
	s_cbranch_execz .LBB638_6
; %bb.5:
	global_load_ushort v25, v[3:4], off offset:128
	global_load_ushort v26, v[5:6], off offset:128
	s_waitcnt vmcnt(1)
	v_lshlrev_b32_e32 v25, 16, v25
	s_waitcnt vmcnt(0)
	v_lshlrev_b32_e32 v26, 16, v26
.LBB638_6:
	s_or_b32 exec_lo, exec_lo, s1
	v_or_b32_e32 v27, 0x80, v7
	v_cmp_gt_i32_e64 s1, s22, v27
	s_and_b32 s2, s4, s1
	s_xor_b32 s2, s2, -1
	s_and_saveexec_b32 s3, s2
	s_xor_b32 s2, exec_lo, s3
; %bb.7:
	s_mov_b32 s3, 0
	v_mov_b32_e32 v24, s3
; %bb.8:
	s_or_saveexec_b32 s2, s2
	v_mov_b32_e32 v27, 0
	s_xor_b32 exec_lo, exec_lo, s2
	s_cbranch_execz .LBB638_10
; %bb.9:
	global_load_ushort v24, v[3:4], off offset:256
	global_load_ushort v27, v[5:6], off offset:256
	s_waitcnt vmcnt(1)
	v_lshlrev_b32_e32 v24, 16, v24
	s_waitcnt vmcnt(0)
	v_lshlrev_b32_e32 v27, 16, v27
.LBB638_10:
	s_or_b32 exec_lo, exec_lo, s2
	v_or_b32_e32 v28, 0xc0, v7
	v_cmp_gt_i32_e64 s2, s22, v28
	s_and_b32 s3, s4, s2
	s_xor_b32 s3, s3, -1
	s_and_saveexec_b32 s5, s3
	s_xor_b32 s3, exec_lo, s5
; %bb.11:
	s_mov_b32 s5, 0
	;; [unrolled: 23-line block ×14, first 2 shown]
                                        ; implicit-def: $vgpr3_vgpr4
                                        ; implicit-def: $vgpr5_vgpr6
	v_mov_b32_e32 v9, s18
; %bb.60:
	s_or_saveexec_b32 s4, s4
	v_mov_b32_e32 v39, 0
	s_xor_b32 exec_lo, exec_lo, s4
	s_cbranch_execz .LBB638_62
; %bb.61:
	global_load_ushort v0, v[3:4], off offset:1920
	global_load_ushort v3, v[5:6], off offset:1920
	s_waitcnt vmcnt(1)
	v_lshlrev_b32_e32 v9, 16, v0
	s_waitcnt vmcnt(0)
	v_lshlrev_b32_e32 v39, 16, v3
.LBB638_62:
	s_or_b32 exec_lo, exec_lo, s4
	v_add_f32_e32 v0, 0, v22
	v_mbcnt_lo_u32_b32 v3, -1, 0
	s_mov_b32 s18, exec_lo
	v_add_f32_e32 v0, v0, v25
	v_or_b32_e32 v4, 32, v3
	v_xor_b32_e32 v5, 16, v3
	v_add_f32_e32 v0, v0, v24
	v_cmp_gt_i32_e64 s4, 64, v4
	v_add_f32_e32 v0, v0, v23
	v_cndmask_b32_e64 v4, v3, v4, s4
	v_cmp_gt_i32_e64 s4, 64, v5
	v_add_f32_e32 v0, v0, v19
	v_lshlrev_b32_e32 v4, 2, v4
	v_cndmask_b32_e64 v5, v3, v5, s4
	v_add_f32_e32 v0, v0, v18
	v_lshlrev_b32_e32 v5, 2, v5
	v_add_f32_e32 v0, v0, v17
	v_add_f32_e32 v0, v0, v16
	v_add_f32_e32 v0, v0, v15
	v_add_f32_e32 v0, v0, v14
	v_add_f32_e32 v0, v0, v13
	v_add_f32_e32 v0, v0, v12
	v_add_f32_e32 v0, v0, v11
	v_add_f32_e32 v0, v0, v10
	v_add_f32_e32 v0, v0, v8
	v_add_f32_e32 v0, v0, v9
	ds_bpermute_b32 v4, v4, v0
	s_waitcnt lgkmcnt(0)
	v_add_f32_e32 v0, v0, v4
	ds_bpermute_b32 v4, v5, v0
	v_xor_b32_e32 v5, 8, v3
	v_cmp_gt_i32_e64 s4, 64, v5
	v_cndmask_b32_e64 v5, v3, v5, s4
	v_lshlrev_b32_e32 v5, 2, v5
	s_waitcnt lgkmcnt(0)
	v_add_f32_e32 v0, v0, v4
	ds_bpermute_b32 v4, v5, v0
	v_xor_b32_e32 v5, 4, v3
	v_cmp_gt_i32_e64 s4, 64, v5
	v_cndmask_b32_e64 v5, v3, v5, s4
	v_lshlrev_b32_e32 v5, 2, v5
	;; [unrolled: 7-line block ×3, first 2 shown]
	s_waitcnt lgkmcnt(0)
	v_add_f32_e32 v0, v0, v4
	ds_bpermute_b32 v4, v5, v0
	v_xor_b32_e32 v5, 1, v3
	v_cmp_gt_i32_e64 s4, 64, v5
	v_cndmask_b32_e64 v5, v3, v5, s4
	s_waitcnt lgkmcnt(0)
	v_add_f32_e32 v3, v0, v4
	v_lshlrev_b32_e32 v0, 2, v5
	ds_bpermute_b32 v4, v0, v3
	v_cmpx_lt_i32_e32 0, v20
	s_cbranch_execz .LBB638_80
; %bb.63:
	v_add_co_u32 v0, s4, s16, v1
	v_add_co_ci_u32_e64 v1, null, s17, v2, s4
	s_waitcnt lgkmcnt(0)
	v_add_f32_e32 v2, v3, v4
	s_and_saveexec_b32 s4, vcc_lo
	s_cbranch_execnz .LBB638_81
; %bb.64:
	s_or_b32 exec_lo, exec_lo, s4
	s_and_saveexec_b32 s4, s0
	s_cbranch_execnz .LBB638_82
.LBB638_65:
	s_or_b32 exec_lo, exec_lo, s4
	s_and_saveexec_b32 s0, s1
	s_cbranch_execnz .LBB638_83
.LBB638_66:
	s_or_b32 exec_lo, exec_lo, s0
	s_and_saveexec_b32 s0, s2
	s_cbranch_execnz .LBB638_84
.LBB638_67:
	s_or_b32 exec_lo, exec_lo, s0
	s_and_saveexec_b32 s0, s3
	s_cbranch_execnz .LBB638_85
.LBB638_68:
	s_or_b32 exec_lo, exec_lo, s0
	s_and_saveexec_b32 s0, s5
	s_cbranch_execnz .LBB638_86
.LBB638_69:
	s_or_b32 exec_lo, exec_lo, s0
	s_and_saveexec_b32 s0, s6
	s_cbranch_execnz .LBB638_87
.LBB638_70:
	s_or_b32 exec_lo, exec_lo, s0
	s_and_saveexec_b32 s0, s7
	s_cbranch_execnz .LBB638_88
.LBB638_71:
	s_or_b32 exec_lo, exec_lo, s0
	s_and_saveexec_b32 s0, s8
	s_cbranch_execnz .LBB638_89
.LBB638_72:
	s_or_b32 exec_lo, exec_lo, s0
	s_and_saveexec_b32 s0, s9
	s_cbranch_execnz .LBB638_90
.LBB638_73:
	s_or_b32 exec_lo, exec_lo, s0
	s_and_saveexec_b32 s0, s10
	s_cbranch_execnz .LBB638_91
.LBB638_74:
	s_or_b32 exec_lo, exec_lo, s0
	s_and_saveexec_b32 s0, s11
	s_cbranch_execnz .LBB638_92
.LBB638_75:
	s_or_b32 exec_lo, exec_lo, s0
	s_and_saveexec_b32 s0, s12
	s_cbranch_execnz .LBB638_93
.LBB638_76:
	s_or_b32 exec_lo, exec_lo, s0
	s_and_saveexec_b32 s0, s13
	s_cbranch_execnz .LBB638_94
.LBB638_77:
	s_or_b32 exec_lo, exec_lo, s0
	s_and_saveexec_b32 s0, s14
	s_cbranch_execnz .LBB638_95
.LBB638_78:
	s_or_b32 exec_lo, exec_lo, s0
	s_and_b32 exec_lo, exec_lo, s15
	s_cbranch_execz .LBB638_80
.LBB638_79:
	v_fma_f32 v2, -v2, v39, v9
	v_bfe_u32 v3, v2, 16, 1
	v_cmp_o_f32_e32 vcc_lo, v2, v2
	v_add3_u32 v2, v2, v3, 0x7fff
	v_mov_b32_e32 v3, 0x7fc0
	v_cndmask_b32_sdwa v2, v3, v2, vcc_lo dst_sel:DWORD dst_unused:UNUSED_PAD src0_sel:DWORD src1_sel:WORD_1
	global_store_short v[0:1], v2, off offset:1920
.LBB638_80:
	s_endpgm
.LBB638_81:
	v_fma_f32 v3, -v2, v21, v22
	v_bfe_u32 v4, v3, 16, 1
	v_cmp_o_f32_e32 vcc_lo, v3, v3
	v_add3_u32 v3, v3, v4, 0x7fff
	v_mov_b32_e32 v4, 0x7fc0
	v_cndmask_b32_sdwa v3, v4, v3, vcc_lo dst_sel:DWORD dst_unused:UNUSED_PAD src0_sel:DWORD src1_sel:WORD_1
	global_store_short v[0:1], v3, off
	s_or_b32 exec_lo, exec_lo, s4
	s_and_saveexec_b32 s4, s0
	s_cbranch_execz .LBB638_65
.LBB638_82:
	v_fma_f32 v3, -v2, v26, v25
	v_bfe_u32 v4, v3, 16, 1
	v_cmp_o_f32_e32 vcc_lo, v3, v3
	v_add3_u32 v3, v3, v4, 0x7fff
	v_mov_b32_e32 v4, 0x7fc0
	v_cndmask_b32_sdwa v3, v4, v3, vcc_lo dst_sel:DWORD dst_unused:UNUSED_PAD src0_sel:DWORD src1_sel:WORD_1
	global_store_short v[0:1], v3, off offset:128
	s_or_b32 exec_lo, exec_lo, s4
	s_and_saveexec_b32 s0, s1
	s_cbranch_execz .LBB638_66
.LBB638_83:
	v_fma_f32 v3, -v2, v27, v24
	v_bfe_u32 v4, v3, 16, 1
	v_cmp_o_f32_e32 vcc_lo, v3, v3
	v_add3_u32 v3, v3, v4, 0x7fff
	v_mov_b32_e32 v4, 0x7fc0
	v_cndmask_b32_sdwa v3, v4, v3, vcc_lo dst_sel:DWORD dst_unused:UNUSED_PAD src0_sel:DWORD src1_sel:WORD_1
	global_store_short v[0:1], v3, off offset:256
	s_or_b32 exec_lo, exec_lo, s0
	s_and_saveexec_b32 s0, s2
	s_cbranch_execz .LBB638_67
.LBB638_84:
	v_fma_f32 v3, -v2, v28, v23
	v_bfe_u32 v4, v3, 16, 1
	v_cmp_o_f32_e32 vcc_lo, v3, v3
	v_add3_u32 v3, v3, v4, 0x7fff
	v_mov_b32_e32 v4, 0x7fc0
	v_cndmask_b32_sdwa v3, v4, v3, vcc_lo dst_sel:DWORD dst_unused:UNUSED_PAD src0_sel:DWORD src1_sel:WORD_1
	global_store_short v[0:1], v3, off offset:384
	s_or_b32 exec_lo, exec_lo, s0
	s_and_saveexec_b32 s0, s3
	s_cbranch_execz .LBB638_68
.LBB638_85:
	v_fma_f32 v3, -v2, v29, v19
	v_bfe_u32 v4, v3, 16, 1
	v_cmp_o_f32_e32 vcc_lo, v3, v3
	v_add3_u32 v3, v3, v4, 0x7fff
	v_mov_b32_e32 v4, 0x7fc0
	v_cndmask_b32_sdwa v3, v4, v3, vcc_lo dst_sel:DWORD dst_unused:UNUSED_PAD src0_sel:DWORD src1_sel:WORD_1
	global_store_short v[0:1], v3, off offset:512
	s_or_b32 exec_lo, exec_lo, s0
	s_and_saveexec_b32 s0, s5
	s_cbranch_execz .LBB638_69
.LBB638_86:
	v_fma_f32 v3, -v2, v30, v18
	v_bfe_u32 v4, v3, 16, 1
	v_cmp_o_f32_e32 vcc_lo, v3, v3
	v_add3_u32 v3, v3, v4, 0x7fff
	v_mov_b32_e32 v4, 0x7fc0
	v_cndmask_b32_sdwa v3, v4, v3, vcc_lo dst_sel:DWORD dst_unused:UNUSED_PAD src0_sel:DWORD src1_sel:WORD_1
	global_store_short v[0:1], v3, off offset:640
	s_or_b32 exec_lo, exec_lo, s0
	s_and_saveexec_b32 s0, s6
	s_cbranch_execz .LBB638_70
.LBB638_87:
	v_fma_f32 v3, -v2, v31, v17
	v_bfe_u32 v4, v3, 16, 1
	v_cmp_o_f32_e32 vcc_lo, v3, v3
	v_add3_u32 v3, v3, v4, 0x7fff
	v_mov_b32_e32 v4, 0x7fc0
	v_cndmask_b32_sdwa v3, v4, v3, vcc_lo dst_sel:DWORD dst_unused:UNUSED_PAD src0_sel:DWORD src1_sel:WORD_1
	global_store_short v[0:1], v3, off offset:768
	s_or_b32 exec_lo, exec_lo, s0
	s_and_saveexec_b32 s0, s7
	s_cbranch_execz .LBB638_71
.LBB638_88:
	v_fma_f32 v3, -v2, v32, v16
	v_bfe_u32 v4, v3, 16, 1
	v_cmp_o_f32_e32 vcc_lo, v3, v3
	v_add3_u32 v3, v3, v4, 0x7fff
	v_mov_b32_e32 v4, 0x7fc0
	v_cndmask_b32_sdwa v3, v4, v3, vcc_lo dst_sel:DWORD dst_unused:UNUSED_PAD src0_sel:DWORD src1_sel:WORD_1
	global_store_short v[0:1], v3, off offset:896
	s_or_b32 exec_lo, exec_lo, s0
	s_and_saveexec_b32 s0, s8
	s_cbranch_execz .LBB638_72
.LBB638_89:
	v_fma_f32 v3, -v2, v33, v15
	v_bfe_u32 v4, v3, 16, 1
	v_cmp_o_f32_e32 vcc_lo, v3, v3
	v_add3_u32 v3, v3, v4, 0x7fff
	v_mov_b32_e32 v4, 0x7fc0
	v_cndmask_b32_sdwa v3, v4, v3, vcc_lo dst_sel:DWORD dst_unused:UNUSED_PAD src0_sel:DWORD src1_sel:WORD_1
	global_store_short v[0:1], v3, off offset:1024
	s_or_b32 exec_lo, exec_lo, s0
	s_and_saveexec_b32 s0, s9
	s_cbranch_execz .LBB638_73
.LBB638_90:
	v_fma_f32 v3, -v2, v34, v14
	v_bfe_u32 v4, v3, 16, 1
	v_cmp_o_f32_e32 vcc_lo, v3, v3
	v_add3_u32 v3, v3, v4, 0x7fff
	v_mov_b32_e32 v4, 0x7fc0
	v_cndmask_b32_sdwa v3, v4, v3, vcc_lo dst_sel:DWORD dst_unused:UNUSED_PAD src0_sel:DWORD src1_sel:WORD_1
	global_store_short v[0:1], v3, off offset:1152
	s_or_b32 exec_lo, exec_lo, s0
	s_and_saveexec_b32 s0, s10
	s_cbranch_execz .LBB638_74
.LBB638_91:
	v_fma_f32 v3, -v2, v35, v13
	v_bfe_u32 v4, v3, 16, 1
	v_cmp_o_f32_e32 vcc_lo, v3, v3
	v_add3_u32 v3, v3, v4, 0x7fff
	v_mov_b32_e32 v4, 0x7fc0
	v_cndmask_b32_sdwa v3, v4, v3, vcc_lo dst_sel:DWORD dst_unused:UNUSED_PAD src0_sel:DWORD src1_sel:WORD_1
	global_store_short v[0:1], v3, off offset:1280
	s_or_b32 exec_lo, exec_lo, s0
	s_and_saveexec_b32 s0, s11
	s_cbranch_execz .LBB638_75
.LBB638_92:
	v_fma_f32 v3, -v2, v36, v12
	v_bfe_u32 v4, v3, 16, 1
	v_cmp_o_f32_e32 vcc_lo, v3, v3
	v_add3_u32 v3, v3, v4, 0x7fff
	v_mov_b32_e32 v4, 0x7fc0
	v_cndmask_b32_sdwa v3, v4, v3, vcc_lo dst_sel:DWORD dst_unused:UNUSED_PAD src0_sel:DWORD src1_sel:WORD_1
	global_store_short v[0:1], v3, off offset:1408
	s_or_b32 exec_lo, exec_lo, s0
	s_and_saveexec_b32 s0, s12
	s_cbranch_execz .LBB638_76
.LBB638_93:
	v_fma_f32 v3, -v2, v37, v11
	v_bfe_u32 v4, v3, 16, 1
	v_cmp_o_f32_e32 vcc_lo, v3, v3
	v_add3_u32 v3, v3, v4, 0x7fff
	v_mov_b32_e32 v4, 0x7fc0
	v_cndmask_b32_sdwa v3, v4, v3, vcc_lo dst_sel:DWORD dst_unused:UNUSED_PAD src0_sel:DWORD src1_sel:WORD_1
	global_store_short v[0:1], v3, off offset:1536
	s_or_b32 exec_lo, exec_lo, s0
	s_and_saveexec_b32 s0, s13
	s_cbranch_execz .LBB638_77
.LBB638_94:
	v_fma_f32 v3, -v2, v38, v10
	v_bfe_u32 v4, v3, 16, 1
	v_cmp_o_f32_e32 vcc_lo, v3, v3
	v_add3_u32 v3, v3, v4, 0x7fff
	v_mov_b32_e32 v4, 0x7fc0
	v_cndmask_b32_sdwa v3, v4, v3, vcc_lo dst_sel:DWORD dst_unused:UNUSED_PAD src0_sel:DWORD src1_sel:WORD_1
	global_store_short v[0:1], v3, off offset:1664
	s_or_b32 exec_lo, exec_lo, s0
	s_and_saveexec_b32 s0, s14
	s_cbranch_execz .LBB638_78
.LBB638_95:
	v_fma_f32 v3, -v2, v7, v8
	v_bfe_u32 v4, v3, 16, 1
	v_cmp_o_f32_e32 vcc_lo, v3, v3
	v_add3_u32 v3, v3, v4, 0x7fff
	v_mov_b32_e32 v4, 0x7fc0
	v_cndmask_b32_sdwa v3, v4, v3, vcc_lo dst_sel:DWORD dst_unused:UNUSED_PAD src0_sel:DWORD src1_sel:WORD_1
	global_store_short v[0:1], v3, off offset:1792
	s_or_b32 exec_lo, exec_lo, s0
	s_and_b32 exec_lo, exec_lo, s15
	s_cbranch_execnz .LBB638_79
	s_branch .LBB638_80
	.section	.rodata,"a",@progbits
	.p2align	6, 0x0
	.amdhsa_kernel _ZN12_GLOBAL__N_121softmax_warp_backwardIN3c108BFloat16ES2_fLi10ELb0ELb0ELi64EEEvPT0_PKT_S7_iiiPKb
		.amdhsa_group_segment_fixed_size 0
		.amdhsa_private_segment_fixed_size 0
		.amdhsa_kernarg_size 304
		.amdhsa_user_sgpr_count 6
		.amdhsa_user_sgpr_private_segment_buffer 1
		.amdhsa_user_sgpr_dispatch_ptr 0
		.amdhsa_user_sgpr_queue_ptr 0
		.amdhsa_user_sgpr_kernarg_segment_ptr 1
		.amdhsa_user_sgpr_dispatch_id 0
		.amdhsa_user_sgpr_flat_scratch_init 0
		.amdhsa_user_sgpr_private_segment_size 0
		.amdhsa_wavefront_size32 1
		.amdhsa_uses_dynamic_stack 0
		.amdhsa_system_sgpr_private_segment_wavefront_offset 0
		.amdhsa_system_sgpr_workgroup_id_x 1
		.amdhsa_system_sgpr_workgroup_id_y 0
		.amdhsa_system_sgpr_workgroup_id_z 0
		.amdhsa_system_sgpr_workgroup_info 0
		.amdhsa_system_vgpr_workitem_id 1
		.amdhsa_next_free_vgpr 40
		.amdhsa_next_free_sgpr 24
		.amdhsa_reserve_vcc 1
		.amdhsa_reserve_flat_scratch 0
		.amdhsa_float_round_mode_32 0
		.amdhsa_float_round_mode_16_64 0
		.amdhsa_float_denorm_mode_32 3
		.amdhsa_float_denorm_mode_16_64 3
		.amdhsa_dx10_clamp 1
		.amdhsa_ieee_mode 1
		.amdhsa_fp16_overflow 0
		.amdhsa_workgroup_processor_mode 1
		.amdhsa_memory_ordered 1
		.amdhsa_forward_progress 1
		.amdhsa_shared_vgpr_count 0
		.amdhsa_exception_fp_ieee_invalid_op 0
		.amdhsa_exception_fp_denorm_src 0
		.amdhsa_exception_fp_ieee_div_zero 0
		.amdhsa_exception_fp_ieee_overflow 0
		.amdhsa_exception_fp_ieee_underflow 0
		.amdhsa_exception_fp_ieee_inexact 0
		.amdhsa_exception_int_div_zero 0
	.end_amdhsa_kernel
	.section	.text._ZN12_GLOBAL__N_121softmax_warp_backwardIN3c108BFloat16ES2_fLi10ELb0ELb0ELi64EEEvPT0_PKT_S7_iiiPKb,"axG",@progbits,_ZN12_GLOBAL__N_121softmax_warp_backwardIN3c108BFloat16ES2_fLi10ELb0ELb0ELi64EEEvPT0_PKT_S7_iiiPKb,comdat
.Lfunc_end638:
	.size	_ZN12_GLOBAL__N_121softmax_warp_backwardIN3c108BFloat16ES2_fLi10ELb0ELb0ELi64EEEvPT0_PKT_S7_iiiPKb, .Lfunc_end638-_ZN12_GLOBAL__N_121softmax_warp_backwardIN3c108BFloat16ES2_fLi10ELb0ELb0ELi64EEEvPT0_PKT_S7_iiiPKb
                                        ; -- End function
	.set _ZN12_GLOBAL__N_121softmax_warp_backwardIN3c108BFloat16ES2_fLi10ELb0ELb0ELi64EEEvPT0_PKT_S7_iiiPKb.num_vgpr, 40
	.set _ZN12_GLOBAL__N_121softmax_warp_backwardIN3c108BFloat16ES2_fLi10ELb0ELb0ELi64EEEvPT0_PKT_S7_iiiPKb.num_agpr, 0
	.set _ZN12_GLOBAL__N_121softmax_warp_backwardIN3c108BFloat16ES2_fLi10ELb0ELb0ELi64EEEvPT0_PKT_S7_iiiPKb.numbered_sgpr, 24
	.set _ZN12_GLOBAL__N_121softmax_warp_backwardIN3c108BFloat16ES2_fLi10ELb0ELb0ELi64EEEvPT0_PKT_S7_iiiPKb.num_named_barrier, 0
	.set _ZN12_GLOBAL__N_121softmax_warp_backwardIN3c108BFloat16ES2_fLi10ELb0ELb0ELi64EEEvPT0_PKT_S7_iiiPKb.private_seg_size, 0
	.set _ZN12_GLOBAL__N_121softmax_warp_backwardIN3c108BFloat16ES2_fLi10ELb0ELb0ELi64EEEvPT0_PKT_S7_iiiPKb.uses_vcc, 1
	.set _ZN12_GLOBAL__N_121softmax_warp_backwardIN3c108BFloat16ES2_fLi10ELb0ELb0ELi64EEEvPT0_PKT_S7_iiiPKb.uses_flat_scratch, 0
	.set _ZN12_GLOBAL__N_121softmax_warp_backwardIN3c108BFloat16ES2_fLi10ELb0ELb0ELi64EEEvPT0_PKT_S7_iiiPKb.has_dyn_sized_stack, 0
	.set _ZN12_GLOBAL__N_121softmax_warp_backwardIN3c108BFloat16ES2_fLi10ELb0ELb0ELi64EEEvPT0_PKT_S7_iiiPKb.has_recursion, 0
	.set _ZN12_GLOBAL__N_121softmax_warp_backwardIN3c108BFloat16ES2_fLi10ELb0ELb0ELi64EEEvPT0_PKT_S7_iiiPKb.has_indirect_call, 0
	.section	.AMDGPU.csdata,"",@progbits
; Kernel info:
; codeLenInByte = 3172
; TotalNumSgprs: 26
; NumVgprs: 40
; ScratchSize: 0
; MemoryBound: 0
; FloatMode: 240
; IeeeMode: 1
; LDSByteSize: 0 bytes/workgroup (compile time only)
; SGPRBlocks: 0
; VGPRBlocks: 4
; NumSGPRsForWavesPerEU: 26
; NumVGPRsForWavesPerEU: 40
; Occupancy: 16
; WaveLimiterHint : 0
; COMPUTE_PGM_RSRC2:SCRATCH_EN: 0
; COMPUTE_PGM_RSRC2:USER_SGPR: 6
; COMPUTE_PGM_RSRC2:TRAP_HANDLER: 0
; COMPUTE_PGM_RSRC2:TGID_X_EN: 1
; COMPUTE_PGM_RSRC2:TGID_Y_EN: 0
; COMPUTE_PGM_RSRC2:TGID_Z_EN: 0
; COMPUTE_PGM_RSRC2:TIDIG_COMP_CNT: 1
	.section	.text._ZN12_GLOBAL__N_121softmax_warp_backwardIN3c108BFloat16ES2_fLi10ELb0ELb0ELi32EEEvPT0_PKT_S7_iiiPKb,"axG",@progbits,_ZN12_GLOBAL__N_121softmax_warp_backwardIN3c108BFloat16ES2_fLi10ELb0ELb0ELi32EEEvPT0_PKT_S7_iiiPKb,comdat
	.globl	_ZN12_GLOBAL__N_121softmax_warp_backwardIN3c108BFloat16ES2_fLi10ELb0ELb0ELi32EEEvPT0_PKT_S7_iiiPKb ; -- Begin function _ZN12_GLOBAL__N_121softmax_warp_backwardIN3c108BFloat16ES2_fLi10ELb0ELb0ELi32EEEvPT0_PKT_S7_iiiPKb
	.p2align	8
	.type	_ZN12_GLOBAL__N_121softmax_warp_backwardIN3c108BFloat16ES2_fLi10ELb0ELb0ELi32EEEvPT0_PKT_S7_iiiPKb,@function
_ZN12_GLOBAL__N_121softmax_warp_backwardIN3c108BFloat16ES2_fLi10ELb0ELb0ELi32EEEvPT0_PKT_S7_iiiPKb: ; @_ZN12_GLOBAL__N_121softmax_warp_backwardIN3c108BFloat16ES2_fLi10ELb0ELb0ELi32EEEvPT0_PKT_S7_iiiPKb
; %bb.0:
	s_clause 0x1
	s_load_dword s0, s[4:5], 0x3c
	s_load_dwordx4 s[40:43], s[4:5], 0x18
	v_and_b32_e32 v7, 31, v0
	s_clause 0x1
	s_load_dwordx4 s[36:39], s[4:5], 0x0
	s_load_dwordx2 s[4:5], s[4:5], 0x10
	v_mov_b32_e32 v35, 0
	v_mov_b32_e32 v37, 0
	s_waitcnt lgkmcnt(0)
	s_lshr_b32 s0, s0, 16
	v_cmp_gt_i32_e32 vcc_lo, s42, v7
	v_mad_u64_u32 v[1:2], null, s6, s0, v[1:2]
	v_mad_u64_u32 v[2:3], null, v1, s41, v[7:8]
	v_sub_nc_u32_e32 v34, s40, v1
	v_cmp_lt_i32_e64 s3, 0, v34
	v_ashrrev_i32_e32 v3, 31, v2
	s_and_b32 s1, s3, vcc_lo
	v_lshlrev_b64 v[1:2], 1, v[2:3]
	v_add_co_u32 v3, s0, s38, v1
	v_add_co_ci_u32_e64 v4, null, s39, v2, s0
	v_add_co_u32 v5, s0, s4, v1
	v_add_co_ci_u32_e64 v6, null, s5, v2, s0
	s_and_saveexec_b32 s0, s1
	s_cbranch_execz .LBB639_2
; %bb.1:
	global_load_ushort v8, v[3:4], off
	global_load_ushort v9, v[5:6], off
	s_waitcnt vmcnt(1)
	v_lshlrev_b32_e32 v37, 16, v8
	s_waitcnt vmcnt(0)
	v_lshlrev_b32_e32 v35, 16, v9
.LBB639_2:
	s_or_b32 exec_lo, exec_lo, s0
	v_or_b32_e32 v8, 32, v7
	v_cmp_gt_i32_e64 s0, s42, v8
	s_and_b32 s1, s3, s0
	s_xor_b32 s1, s1, -1
	s_mov_b32 s2, exec_lo
	s_and_b32 s4, s2, s1
                                        ; implicit-def: $vgpr8
                                        ; implicit-def: $vgpr9
                                        ; implicit-def: $vgpr10
                                        ; implicit-def: $vgpr12
                                        ; implicit-def: $vgpr13
                                        ; implicit-def: $vgpr14
                                        ; implicit-def: $vgpr15
                                        ; implicit-def: $vgpr16
                                        ; implicit-def: $vgpr17
                                        ; implicit-def: $vgpr18
                                        ; implicit-def: $vgpr19
                                        ; implicit-def: $vgpr20
                                        ; implicit-def: $vgpr21
                                        ; implicit-def: $vgpr22
                                        ; implicit-def: $vgpr23
                                        ; implicit-def: $vgpr24
                                        ; implicit-def: $vgpr25
                                        ; implicit-def: $vgpr26
                                        ; implicit-def: $vgpr27
                                        ; implicit-def: $vgpr28
                                        ; implicit-def: $vgpr29
                                        ; implicit-def: $vgpr30
                                        ; implicit-def: $vgpr31
                                        ; implicit-def: $vgpr32
                                        ; implicit-def: $vgpr33
                                        ; implicit-def: $vgpr36
                                        ; implicit-def: $vgpr38
                                        ; implicit-def: $vgpr39
                                        ; implicit-def: $vgpr41
                                        ; implicit-def: $vgpr40
                                        ; implicit-def: $vgpr11
	s_xor_b32 s1, s4, s2
	s_mov_b32 exec_lo, s4
; %bb.3:
	s_mov_b32 s2, 0
                                        ; implicit-def: $vgpr8
                                        ; implicit-def: $vgpr9
                                        ; implicit-def: $vgpr10
                                        ; implicit-def: $vgpr12
                                        ; implicit-def: $vgpr13
                                        ; implicit-def: $vgpr14
                                        ; implicit-def: $vgpr15
                                        ; implicit-def: $vgpr16
                                        ; implicit-def: $vgpr17
                                        ; implicit-def: $vgpr18
                                        ; implicit-def: $vgpr19
                                        ; implicit-def: $vgpr20
                                        ; implicit-def: $vgpr21
                                        ; implicit-def: $vgpr22
                                        ; implicit-def: $vgpr23
                                        ; implicit-def: $vgpr24
                                        ; implicit-def: $vgpr25
                                        ; implicit-def: $vgpr26
                                        ; implicit-def: $vgpr27
                                        ; implicit-def: $vgpr28
                                        ; implicit-def: $vgpr29
                                        ; implicit-def: $vgpr30
                                        ; implicit-def: $vgpr31
                                        ; implicit-def: $vgpr32
                                        ; implicit-def: $vgpr33
                                        ; implicit-def: $vgpr36
                                        ; implicit-def: $vgpr38
                                        ; implicit-def: $vgpr39
                                        ; implicit-def: $vgpr41
                                        ; implicit-def: $vgpr11
	v_mov_b32_e32 v40, s2
; %bb.4:
	s_or_saveexec_b32 s1, s1
	v_mov_b32_e32 v42, 0
	s_xor_b32 exec_lo, exec_lo, s1
	s_cbranch_execz .LBB639_6
; %bb.5:
	global_load_ushort v40, v[3:4], off offset:64
	global_load_ushort v42, v[5:6], off offset:64
	s_waitcnt vmcnt(1)
	v_lshlrev_b32_e32 v40, 16, v40
	s_waitcnt vmcnt(0)
	v_lshlrev_b32_e32 v42, 16, v42
.LBB639_6:
	s_or_b32 exec_lo, exec_lo, s1
	v_or_b32_e32 v43, 64, v7
	v_cmp_gt_i32_e64 s1, s42, v43
	s_and_b32 s2, s3, s1
	s_xor_b32 s2, s2, -1
	s_and_saveexec_b32 s4, s2
	s_xor_b32 s2, exec_lo, s4
; %bb.7:
	s_mov_b32 s4, 0
	v_mov_b32_e32 v41, s4
; %bb.8:
	s_or_saveexec_b32 s2, s2
	v_mov_b32_e32 v43, 0
	s_xor_b32 exec_lo, exec_lo, s2
	s_cbranch_execz .LBB639_10
; %bb.9:
	global_load_ushort v41, v[3:4], off offset:128
	global_load_ushort v43, v[5:6], off offset:128
	s_waitcnt vmcnt(1)
	v_lshlrev_b32_e32 v41, 16, v41
	s_waitcnt vmcnt(0)
	v_lshlrev_b32_e32 v43, 16, v43
.LBB639_10:
	s_or_b32 exec_lo, exec_lo, s2
	v_or_b32_e32 v44, 0x60, v7
	v_cmp_gt_i32_e64 s2, s42, v44
	s_and_b32 s4, s3, s2
	s_xor_b32 s4, s4, -1
	s_and_saveexec_b32 s5, s4
	s_xor_b32 s4, exec_lo, s5
; %bb.11:
	s_mov_b32 s5, 0
	;; [unrolled: 23-line block ×30, first 2 shown]
                                        ; implicit-def: $vgpr3_vgpr4
                                        ; implicit-def: $vgpr5_vgpr6
	v_mov_b32_e32 v11, s33
; %bb.124:
	s_or_saveexec_b32 s3, s3
	v_mov_b32_e32 v71, 0
	s_xor_b32 exec_lo, exec_lo, s3
	s_cbranch_execz .LBB639_126
; %bb.125:
	global_load_ushort v0, v[3:4], off offset:1984
	global_load_ushort v3, v[5:6], off offset:1984
	s_waitcnt vmcnt(1)
	v_lshlrev_b32_e32 v11, 16, v0
	s_waitcnt vmcnt(0)
	v_lshlrev_b32_e32 v71, 16, v3
.LBB639_126:
	s_or_b32 exec_lo, exec_lo, s3
	v_add_f32_e32 v0, 0, v37
	v_mbcnt_lo_u32_b32 v3, -1, 0
	s_mov_b32 s33, exec_lo
	v_add_f32_e32 v0, v0, v40
	v_xor_b32_e32 v4, 16, v3
	v_xor_b32_e32 v5, 8, v3
	v_add_f32_e32 v0, v0, v41
	v_cmp_gt_i32_e64 s3, 32, v4
	v_add_f32_e32 v0, v0, v39
	v_cndmask_b32_e64 v4, v3, v4, s3
	v_cmp_gt_i32_e64 s3, 32, v5
	v_add_f32_e32 v0, v0, v38
	v_lshlrev_b32_e32 v4, 2, v4
	v_cndmask_b32_e64 v5, v3, v5, s3
	v_add_f32_e32 v0, v0, v36
	v_lshlrev_b32_e32 v5, 2, v5
	v_add_f32_e32 v0, v0, v33
	v_add_f32_e32 v0, v0, v32
	;; [unrolled: 1-line block ×26, first 2 shown]
	ds_bpermute_b32 v4, v4, v0
	s_waitcnt lgkmcnt(0)
	v_add_f32_e32 v0, v0, v4
	ds_bpermute_b32 v4, v5, v0
	v_xor_b32_e32 v5, 4, v3
	v_cmp_gt_i32_e64 s3, 32, v5
	v_cndmask_b32_e64 v5, v3, v5, s3
	v_lshlrev_b32_e32 v5, 2, v5
	s_waitcnt lgkmcnt(0)
	v_add_f32_e32 v0, v0, v4
	ds_bpermute_b32 v4, v5, v0
	v_xor_b32_e32 v5, 2, v3
	v_cmp_gt_i32_e64 s3, 32, v5
	v_cndmask_b32_e64 v5, v3, v5, s3
	v_lshlrev_b32_e32 v5, 2, v5
	s_waitcnt lgkmcnt(0)
	v_add_f32_e32 v0, v0, v4
	ds_bpermute_b32 v4, v5, v0
	v_xor_b32_e32 v5, 1, v3
	v_cmp_gt_i32_e64 s3, 32, v5
	v_cndmask_b32_e64 v5, v3, v5, s3
	s_waitcnt lgkmcnt(0)
	v_add_f32_e32 v3, v0, v4
	v_lshlrev_b32_e32 v0, 2, v5
	ds_bpermute_b32 v4, v0, v3
	v_cmpx_lt_i32_e32 0, v34
	s_cbranch_execz .LBB639_160
; %bb.127:
	v_add_co_u32 v0, s3, s36, v1
	v_add_co_ci_u32_e64 v1, null, s37, v2, s3
	s_waitcnt lgkmcnt(0)
	v_add_f32_e32 v2, v3, v4
	s_and_saveexec_b32 s3, vcc_lo
	s_cbranch_execnz .LBB639_161
; %bb.128:
	s_or_b32 exec_lo, exec_lo, s3
	s_and_saveexec_b32 s3, s0
	s_cbranch_execnz .LBB639_162
.LBB639_129:
	s_or_b32 exec_lo, exec_lo, s3
	s_and_saveexec_b32 s0, s1
	s_cbranch_execnz .LBB639_163
.LBB639_130:
	s_or_b32 exec_lo, exec_lo, s0
	s_and_saveexec_b32 s0, s2
	s_cbranch_execnz .LBB639_164
.LBB639_131:
	s_or_b32 exec_lo, exec_lo, s0
	s_and_saveexec_b32 s0, s4
	s_cbranch_execnz .LBB639_165
.LBB639_132:
	s_or_b32 exec_lo, exec_lo, s0
	s_and_saveexec_b32 s0, s5
	s_cbranch_execnz .LBB639_166
.LBB639_133:
	s_or_b32 exec_lo, exec_lo, s0
	s_and_saveexec_b32 s0, s6
	s_cbranch_execnz .LBB639_167
.LBB639_134:
	s_or_b32 exec_lo, exec_lo, s0
	s_and_saveexec_b32 s0, s7
	s_cbranch_execnz .LBB639_168
.LBB639_135:
	s_or_b32 exec_lo, exec_lo, s0
	s_and_saveexec_b32 s0, s8
	s_cbranch_execnz .LBB639_169
.LBB639_136:
	s_or_b32 exec_lo, exec_lo, s0
	s_and_saveexec_b32 s0, s9
	s_cbranch_execnz .LBB639_170
.LBB639_137:
	s_or_b32 exec_lo, exec_lo, s0
	s_and_saveexec_b32 s0, s10
	s_cbranch_execnz .LBB639_171
.LBB639_138:
	s_or_b32 exec_lo, exec_lo, s0
	s_and_saveexec_b32 s0, s11
	s_cbranch_execnz .LBB639_172
.LBB639_139:
	s_or_b32 exec_lo, exec_lo, s0
	s_and_saveexec_b32 s0, s12
	s_cbranch_execnz .LBB639_173
.LBB639_140:
	s_or_b32 exec_lo, exec_lo, s0
	s_and_saveexec_b32 s0, s13
	s_cbranch_execnz .LBB639_174
.LBB639_141:
	s_or_b32 exec_lo, exec_lo, s0
	s_and_saveexec_b32 s0, s14
	s_cbranch_execnz .LBB639_175
.LBB639_142:
	s_or_b32 exec_lo, exec_lo, s0
	s_and_saveexec_b32 s0, s15
	s_cbranch_execnz .LBB639_176
.LBB639_143:
	s_or_b32 exec_lo, exec_lo, s0
	s_and_saveexec_b32 s0, s16
	s_cbranch_execnz .LBB639_177
.LBB639_144:
	s_or_b32 exec_lo, exec_lo, s0
	s_and_saveexec_b32 s0, s17
	s_cbranch_execnz .LBB639_178
.LBB639_145:
	s_or_b32 exec_lo, exec_lo, s0
	s_and_saveexec_b32 s0, s18
	s_cbranch_execnz .LBB639_179
.LBB639_146:
	s_or_b32 exec_lo, exec_lo, s0
	s_and_saveexec_b32 s0, s19
	s_cbranch_execnz .LBB639_180
.LBB639_147:
	s_or_b32 exec_lo, exec_lo, s0
	s_and_saveexec_b32 s0, s20
	s_cbranch_execnz .LBB639_181
.LBB639_148:
	s_or_b32 exec_lo, exec_lo, s0
	s_and_saveexec_b32 s0, s21
	s_cbranch_execnz .LBB639_182
.LBB639_149:
	s_or_b32 exec_lo, exec_lo, s0
	s_and_saveexec_b32 s0, s22
	s_cbranch_execnz .LBB639_183
.LBB639_150:
	s_or_b32 exec_lo, exec_lo, s0
	s_and_saveexec_b32 s0, s23
	s_cbranch_execnz .LBB639_184
.LBB639_151:
	s_or_b32 exec_lo, exec_lo, s0
	s_and_saveexec_b32 s0, s24
	s_cbranch_execnz .LBB639_185
.LBB639_152:
	s_or_b32 exec_lo, exec_lo, s0
	s_and_saveexec_b32 s0, s25
	s_cbranch_execnz .LBB639_186
.LBB639_153:
	s_or_b32 exec_lo, exec_lo, s0
	s_and_saveexec_b32 s0, s26
	s_cbranch_execnz .LBB639_187
.LBB639_154:
	s_or_b32 exec_lo, exec_lo, s0
	s_and_saveexec_b32 s0, s27
	s_cbranch_execnz .LBB639_188
.LBB639_155:
	s_or_b32 exec_lo, exec_lo, s0
	s_and_saveexec_b32 s0, s28
	s_cbranch_execnz .LBB639_189
.LBB639_156:
	s_or_b32 exec_lo, exec_lo, s0
	s_and_saveexec_b32 s0, s29
	s_cbranch_execnz .LBB639_190
.LBB639_157:
	s_or_b32 exec_lo, exec_lo, s0
	s_and_saveexec_b32 s0, s30
	s_cbranch_execnz .LBB639_191
.LBB639_158:
	s_or_b32 exec_lo, exec_lo, s0
	s_and_b32 exec_lo, exec_lo, s31
	s_cbranch_execz .LBB639_160
.LBB639_159:
	v_fma_f32 v2, -v2, v71, v11
	v_bfe_u32 v3, v2, 16, 1
	v_cmp_o_f32_e32 vcc_lo, v2, v2
	v_add3_u32 v2, v2, v3, 0x7fff
	v_mov_b32_e32 v3, 0x7fc0
	v_cndmask_b32_sdwa v2, v3, v2, vcc_lo dst_sel:DWORD dst_unused:UNUSED_PAD src0_sel:DWORD src1_sel:WORD_1
	global_store_short v[0:1], v2, off offset:1984
.LBB639_160:
	s_endpgm
.LBB639_161:
	v_fma_f32 v3, -v2, v35, v37
	v_bfe_u32 v4, v3, 16, 1
	v_cmp_o_f32_e32 vcc_lo, v3, v3
	v_add3_u32 v3, v3, v4, 0x7fff
	v_mov_b32_e32 v4, 0x7fc0
	v_cndmask_b32_sdwa v3, v4, v3, vcc_lo dst_sel:DWORD dst_unused:UNUSED_PAD src0_sel:DWORD src1_sel:WORD_1
	global_store_short v[0:1], v3, off
	s_or_b32 exec_lo, exec_lo, s3
	s_and_saveexec_b32 s3, s0
	s_cbranch_execz .LBB639_129
.LBB639_162:
	v_fma_f32 v3, -v2, v42, v40
	v_bfe_u32 v4, v3, 16, 1
	v_cmp_o_f32_e32 vcc_lo, v3, v3
	v_add3_u32 v3, v3, v4, 0x7fff
	v_mov_b32_e32 v4, 0x7fc0
	v_cndmask_b32_sdwa v3, v4, v3, vcc_lo dst_sel:DWORD dst_unused:UNUSED_PAD src0_sel:DWORD src1_sel:WORD_1
	global_store_short v[0:1], v3, off offset:64
	s_or_b32 exec_lo, exec_lo, s3
	s_and_saveexec_b32 s0, s1
	s_cbranch_execz .LBB639_130
.LBB639_163:
	v_fma_f32 v3, -v2, v43, v41
	v_bfe_u32 v4, v3, 16, 1
	v_cmp_o_f32_e32 vcc_lo, v3, v3
	v_add3_u32 v3, v3, v4, 0x7fff
	v_mov_b32_e32 v4, 0x7fc0
	v_cndmask_b32_sdwa v3, v4, v3, vcc_lo dst_sel:DWORD dst_unused:UNUSED_PAD src0_sel:DWORD src1_sel:WORD_1
	global_store_short v[0:1], v3, off offset:128
	s_or_b32 exec_lo, exec_lo, s0
	s_and_saveexec_b32 s0, s2
	s_cbranch_execz .LBB639_131
.LBB639_164:
	v_fma_f32 v3, -v2, v44, v39
	v_bfe_u32 v4, v3, 16, 1
	v_cmp_o_f32_e32 vcc_lo, v3, v3
	v_add3_u32 v3, v3, v4, 0x7fff
	v_mov_b32_e32 v4, 0x7fc0
	v_cndmask_b32_sdwa v3, v4, v3, vcc_lo dst_sel:DWORD dst_unused:UNUSED_PAD src0_sel:DWORD src1_sel:WORD_1
	global_store_short v[0:1], v3, off offset:192
	s_or_b32 exec_lo, exec_lo, s0
	s_and_saveexec_b32 s0, s4
	s_cbranch_execz .LBB639_132
.LBB639_165:
	v_fma_f32 v3, -v2, v45, v38
	v_bfe_u32 v4, v3, 16, 1
	v_cmp_o_f32_e32 vcc_lo, v3, v3
	v_add3_u32 v3, v3, v4, 0x7fff
	v_mov_b32_e32 v4, 0x7fc0
	v_cndmask_b32_sdwa v3, v4, v3, vcc_lo dst_sel:DWORD dst_unused:UNUSED_PAD src0_sel:DWORD src1_sel:WORD_1
	global_store_short v[0:1], v3, off offset:256
	s_or_b32 exec_lo, exec_lo, s0
	s_and_saveexec_b32 s0, s5
	s_cbranch_execz .LBB639_133
.LBB639_166:
	v_fma_f32 v3, -v2, v46, v36
	v_bfe_u32 v4, v3, 16, 1
	v_cmp_o_f32_e32 vcc_lo, v3, v3
	v_add3_u32 v3, v3, v4, 0x7fff
	v_mov_b32_e32 v4, 0x7fc0
	v_cndmask_b32_sdwa v3, v4, v3, vcc_lo dst_sel:DWORD dst_unused:UNUSED_PAD src0_sel:DWORD src1_sel:WORD_1
	global_store_short v[0:1], v3, off offset:320
	s_or_b32 exec_lo, exec_lo, s0
	s_and_saveexec_b32 s0, s6
	s_cbranch_execz .LBB639_134
.LBB639_167:
	v_fma_f32 v3, -v2, v47, v33
	v_bfe_u32 v4, v3, 16, 1
	v_cmp_o_f32_e32 vcc_lo, v3, v3
	v_add3_u32 v3, v3, v4, 0x7fff
	v_mov_b32_e32 v4, 0x7fc0
	v_cndmask_b32_sdwa v3, v4, v3, vcc_lo dst_sel:DWORD dst_unused:UNUSED_PAD src0_sel:DWORD src1_sel:WORD_1
	global_store_short v[0:1], v3, off offset:384
	s_or_b32 exec_lo, exec_lo, s0
	s_and_saveexec_b32 s0, s7
	s_cbranch_execz .LBB639_135
.LBB639_168:
	v_fma_f32 v3, -v2, v48, v32
	v_bfe_u32 v4, v3, 16, 1
	v_cmp_o_f32_e32 vcc_lo, v3, v3
	v_add3_u32 v3, v3, v4, 0x7fff
	v_mov_b32_e32 v4, 0x7fc0
	v_cndmask_b32_sdwa v3, v4, v3, vcc_lo dst_sel:DWORD dst_unused:UNUSED_PAD src0_sel:DWORD src1_sel:WORD_1
	global_store_short v[0:1], v3, off offset:448
	s_or_b32 exec_lo, exec_lo, s0
	s_and_saveexec_b32 s0, s8
	s_cbranch_execz .LBB639_136
.LBB639_169:
	v_fma_f32 v3, -v2, v49, v31
	v_bfe_u32 v4, v3, 16, 1
	v_cmp_o_f32_e32 vcc_lo, v3, v3
	v_add3_u32 v3, v3, v4, 0x7fff
	v_mov_b32_e32 v4, 0x7fc0
	v_cndmask_b32_sdwa v3, v4, v3, vcc_lo dst_sel:DWORD dst_unused:UNUSED_PAD src0_sel:DWORD src1_sel:WORD_1
	global_store_short v[0:1], v3, off offset:512
	s_or_b32 exec_lo, exec_lo, s0
	s_and_saveexec_b32 s0, s9
	s_cbranch_execz .LBB639_137
.LBB639_170:
	v_fma_f32 v3, -v2, v50, v30
	v_bfe_u32 v4, v3, 16, 1
	v_cmp_o_f32_e32 vcc_lo, v3, v3
	v_add3_u32 v3, v3, v4, 0x7fff
	v_mov_b32_e32 v4, 0x7fc0
	v_cndmask_b32_sdwa v3, v4, v3, vcc_lo dst_sel:DWORD dst_unused:UNUSED_PAD src0_sel:DWORD src1_sel:WORD_1
	global_store_short v[0:1], v3, off offset:576
	s_or_b32 exec_lo, exec_lo, s0
	s_and_saveexec_b32 s0, s10
	s_cbranch_execz .LBB639_138
.LBB639_171:
	v_fma_f32 v3, -v2, v51, v29
	v_bfe_u32 v4, v3, 16, 1
	v_cmp_o_f32_e32 vcc_lo, v3, v3
	v_add3_u32 v3, v3, v4, 0x7fff
	v_mov_b32_e32 v4, 0x7fc0
	v_cndmask_b32_sdwa v3, v4, v3, vcc_lo dst_sel:DWORD dst_unused:UNUSED_PAD src0_sel:DWORD src1_sel:WORD_1
	global_store_short v[0:1], v3, off offset:640
	s_or_b32 exec_lo, exec_lo, s0
	s_and_saveexec_b32 s0, s11
	s_cbranch_execz .LBB639_139
.LBB639_172:
	v_fma_f32 v3, -v2, v52, v28
	v_bfe_u32 v4, v3, 16, 1
	v_cmp_o_f32_e32 vcc_lo, v3, v3
	v_add3_u32 v3, v3, v4, 0x7fff
	v_mov_b32_e32 v4, 0x7fc0
	v_cndmask_b32_sdwa v3, v4, v3, vcc_lo dst_sel:DWORD dst_unused:UNUSED_PAD src0_sel:DWORD src1_sel:WORD_1
	global_store_short v[0:1], v3, off offset:704
	s_or_b32 exec_lo, exec_lo, s0
	s_and_saveexec_b32 s0, s12
	s_cbranch_execz .LBB639_140
.LBB639_173:
	v_fma_f32 v3, -v2, v53, v27
	v_bfe_u32 v4, v3, 16, 1
	v_cmp_o_f32_e32 vcc_lo, v3, v3
	v_add3_u32 v3, v3, v4, 0x7fff
	v_mov_b32_e32 v4, 0x7fc0
	v_cndmask_b32_sdwa v3, v4, v3, vcc_lo dst_sel:DWORD dst_unused:UNUSED_PAD src0_sel:DWORD src1_sel:WORD_1
	global_store_short v[0:1], v3, off offset:768
	s_or_b32 exec_lo, exec_lo, s0
	s_and_saveexec_b32 s0, s13
	s_cbranch_execz .LBB639_141
.LBB639_174:
	v_fma_f32 v3, -v2, v54, v26
	v_bfe_u32 v4, v3, 16, 1
	v_cmp_o_f32_e32 vcc_lo, v3, v3
	v_add3_u32 v3, v3, v4, 0x7fff
	v_mov_b32_e32 v4, 0x7fc0
	v_cndmask_b32_sdwa v3, v4, v3, vcc_lo dst_sel:DWORD dst_unused:UNUSED_PAD src0_sel:DWORD src1_sel:WORD_1
	global_store_short v[0:1], v3, off offset:832
	s_or_b32 exec_lo, exec_lo, s0
	s_and_saveexec_b32 s0, s14
	s_cbranch_execz .LBB639_142
.LBB639_175:
	v_fma_f32 v3, -v2, v55, v25
	v_bfe_u32 v4, v3, 16, 1
	v_cmp_o_f32_e32 vcc_lo, v3, v3
	v_add3_u32 v3, v3, v4, 0x7fff
	v_mov_b32_e32 v4, 0x7fc0
	v_cndmask_b32_sdwa v3, v4, v3, vcc_lo dst_sel:DWORD dst_unused:UNUSED_PAD src0_sel:DWORD src1_sel:WORD_1
	global_store_short v[0:1], v3, off offset:896
	s_or_b32 exec_lo, exec_lo, s0
	s_and_saveexec_b32 s0, s15
	s_cbranch_execz .LBB639_143
.LBB639_176:
	v_fma_f32 v3, -v2, v56, v24
	v_bfe_u32 v4, v3, 16, 1
	v_cmp_o_f32_e32 vcc_lo, v3, v3
	v_add3_u32 v3, v3, v4, 0x7fff
	v_mov_b32_e32 v4, 0x7fc0
	v_cndmask_b32_sdwa v3, v4, v3, vcc_lo dst_sel:DWORD dst_unused:UNUSED_PAD src0_sel:DWORD src1_sel:WORD_1
	global_store_short v[0:1], v3, off offset:960
	s_or_b32 exec_lo, exec_lo, s0
	s_and_saveexec_b32 s0, s16
	s_cbranch_execz .LBB639_144
.LBB639_177:
	v_fma_f32 v3, -v2, v57, v23
	v_bfe_u32 v4, v3, 16, 1
	v_cmp_o_f32_e32 vcc_lo, v3, v3
	v_add3_u32 v3, v3, v4, 0x7fff
	v_mov_b32_e32 v4, 0x7fc0
	v_cndmask_b32_sdwa v3, v4, v3, vcc_lo dst_sel:DWORD dst_unused:UNUSED_PAD src0_sel:DWORD src1_sel:WORD_1
	global_store_short v[0:1], v3, off offset:1024
	s_or_b32 exec_lo, exec_lo, s0
	s_and_saveexec_b32 s0, s17
	s_cbranch_execz .LBB639_145
.LBB639_178:
	v_fma_f32 v3, -v2, v58, v22
	v_bfe_u32 v4, v3, 16, 1
	v_cmp_o_f32_e32 vcc_lo, v3, v3
	v_add3_u32 v3, v3, v4, 0x7fff
	v_mov_b32_e32 v4, 0x7fc0
	v_cndmask_b32_sdwa v3, v4, v3, vcc_lo dst_sel:DWORD dst_unused:UNUSED_PAD src0_sel:DWORD src1_sel:WORD_1
	global_store_short v[0:1], v3, off offset:1088
	s_or_b32 exec_lo, exec_lo, s0
	s_and_saveexec_b32 s0, s18
	s_cbranch_execz .LBB639_146
.LBB639_179:
	v_fma_f32 v3, -v2, v59, v21
	v_bfe_u32 v4, v3, 16, 1
	v_cmp_o_f32_e32 vcc_lo, v3, v3
	v_add3_u32 v3, v3, v4, 0x7fff
	v_mov_b32_e32 v4, 0x7fc0
	v_cndmask_b32_sdwa v3, v4, v3, vcc_lo dst_sel:DWORD dst_unused:UNUSED_PAD src0_sel:DWORD src1_sel:WORD_1
	global_store_short v[0:1], v3, off offset:1152
	s_or_b32 exec_lo, exec_lo, s0
	s_and_saveexec_b32 s0, s19
	s_cbranch_execz .LBB639_147
.LBB639_180:
	v_fma_f32 v3, -v2, v60, v20
	v_bfe_u32 v4, v3, 16, 1
	v_cmp_o_f32_e32 vcc_lo, v3, v3
	v_add3_u32 v3, v3, v4, 0x7fff
	v_mov_b32_e32 v4, 0x7fc0
	v_cndmask_b32_sdwa v3, v4, v3, vcc_lo dst_sel:DWORD dst_unused:UNUSED_PAD src0_sel:DWORD src1_sel:WORD_1
	global_store_short v[0:1], v3, off offset:1216
	s_or_b32 exec_lo, exec_lo, s0
	s_and_saveexec_b32 s0, s20
	s_cbranch_execz .LBB639_148
.LBB639_181:
	v_fma_f32 v3, -v2, v61, v19
	v_bfe_u32 v4, v3, 16, 1
	v_cmp_o_f32_e32 vcc_lo, v3, v3
	v_add3_u32 v3, v3, v4, 0x7fff
	v_mov_b32_e32 v4, 0x7fc0
	v_cndmask_b32_sdwa v3, v4, v3, vcc_lo dst_sel:DWORD dst_unused:UNUSED_PAD src0_sel:DWORD src1_sel:WORD_1
	global_store_short v[0:1], v3, off offset:1280
	s_or_b32 exec_lo, exec_lo, s0
	s_and_saveexec_b32 s0, s21
	s_cbranch_execz .LBB639_149
.LBB639_182:
	v_fma_f32 v3, -v2, v62, v18
	v_bfe_u32 v4, v3, 16, 1
	v_cmp_o_f32_e32 vcc_lo, v3, v3
	v_add3_u32 v3, v3, v4, 0x7fff
	v_mov_b32_e32 v4, 0x7fc0
	v_cndmask_b32_sdwa v3, v4, v3, vcc_lo dst_sel:DWORD dst_unused:UNUSED_PAD src0_sel:DWORD src1_sel:WORD_1
	global_store_short v[0:1], v3, off offset:1344
	s_or_b32 exec_lo, exec_lo, s0
	s_and_saveexec_b32 s0, s22
	s_cbranch_execz .LBB639_150
.LBB639_183:
	v_fma_f32 v3, -v2, v63, v17
	v_bfe_u32 v4, v3, 16, 1
	v_cmp_o_f32_e32 vcc_lo, v3, v3
	v_add3_u32 v3, v3, v4, 0x7fff
	v_mov_b32_e32 v4, 0x7fc0
	v_cndmask_b32_sdwa v3, v4, v3, vcc_lo dst_sel:DWORD dst_unused:UNUSED_PAD src0_sel:DWORD src1_sel:WORD_1
	global_store_short v[0:1], v3, off offset:1408
	s_or_b32 exec_lo, exec_lo, s0
	s_and_saveexec_b32 s0, s23
	s_cbranch_execz .LBB639_151
.LBB639_184:
	v_fma_f32 v3, -v2, v64, v16
	v_bfe_u32 v4, v3, 16, 1
	v_cmp_o_f32_e32 vcc_lo, v3, v3
	v_add3_u32 v3, v3, v4, 0x7fff
	v_mov_b32_e32 v4, 0x7fc0
	v_cndmask_b32_sdwa v3, v4, v3, vcc_lo dst_sel:DWORD dst_unused:UNUSED_PAD src0_sel:DWORD src1_sel:WORD_1
	global_store_short v[0:1], v3, off offset:1472
	s_or_b32 exec_lo, exec_lo, s0
	s_and_saveexec_b32 s0, s24
	s_cbranch_execz .LBB639_152
.LBB639_185:
	v_fma_f32 v3, -v2, v65, v15
	v_bfe_u32 v4, v3, 16, 1
	v_cmp_o_f32_e32 vcc_lo, v3, v3
	v_add3_u32 v3, v3, v4, 0x7fff
	v_mov_b32_e32 v4, 0x7fc0
	v_cndmask_b32_sdwa v3, v4, v3, vcc_lo dst_sel:DWORD dst_unused:UNUSED_PAD src0_sel:DWORD src1_sel:WORD_1
	global_store_short v[0:1], v3, off offset:1536
	s_or_b32 exec_lo, exec_lo, s0
	s_and_saveexec_b32 s0, s25
	s_cbranch_execz .LBB639_153
.LBB639_186:
	v_fma_f32 v3, -v2, v66, v14
	v_bfe_u32 v4, v3, 16, 1
	v_cmp_o_f32_e32 vcc_lo, v3, v3
	v_add3_u32 v3, v3, v4, 0x7fff
	v_mov_b32_e32 v4, 0x7fc0
	v_cndmask_b32_sdwa v3, v4, v3, vcc_lo dst_sel:DWORD dst_unused:UNUSED_PAD src0_sel:DWORD src1_sel:WORD_1
	global_store_short v[0:1], v3, off offset:1600
	s_or_b32 exec_lo, exec_lo, s0
	s_and_saveexec_b32 s0, s26
	s_cbranch_execz .LBB639_154
.LBB639_187:
	v_fma_f32 v3, -v2, v67, v13
	v_bfe_u32 v4, v3, 16, 1
	v_cmp_o_f32_e32 vcc_lo, v3, v3
	v_add3_u32 v3, v3, v4, 0x7fff
	v_mov_b32_e32 v4, 0x7fc0
	v_cndmask_b32_sdwa v3, v4, v3, vcc_lo dst_sel:DWORD dst_unused:UNUSED_PAD src0_sel:DWORD src1_sel:WORD_1
	global_store_short v[0:1], v3, off offset:1664
	s_or_b32 exec_lo, exec_lo, s0
	s_and_saveexec_b32 s0, s27
	s_cbranch_execz .LBB639_155
.LBB639_188:
	v_fma_f32 v3, -v2, v68, v12
	v_bfe_u32 v4, v3, 16, 1
	v_cmp_o_f32_e32 vcc_lo, v3, v3
	v_add3_u32 v3, v3, v4, 0x7fff
	v_mov_b32_e32 v4, 0x7fc0
	v_cndmask_b32_sdwa v3, v4, v3, vcc_lo dst_sel:DWORD dst_unused:UNUSED_PAD src0_sel:DWORD src1_sel:WORD_1
	global_store_short v[0:1], v3, off offset:1728
	s_or_b32 exec_lo, exec_lo, s0
	s_and_saveexec_b32 s0, s28
	s_cbranch_execz .LBB639_156
.LBB639_189:
	v_fma_f32 v3, -v2, v69, v10
	v_bfe_u32 v4, v3, 16, 1
	v_cmp_o_f32_e32 vcc_lo, v3, v3
	v_add3_u32 v3, v3, v4, 0x7fff
	v_mov_b32_e32 v4, 0x7fc0
	v_cndmask_b32_sdwa v3, v4, v3, vcc_lo dst_sel:DWORD dst_unused:UNUSED_PAD src0_sel:DWORD src1_sel:WORD_1
	global_store_short v[0:1], v3, off offset:1792
	s_or_b32 exec_lo, exec_lo, s0
	s_and_saveexec_b32 s0, s29
	s_cbranch_execz .LBB639_157
.LBB639_190:
	v_fma_f32 v3, -v2, v70, v9
	v_bfe_u32 v4, v3, 16, 1
	v_cmp_o_f32_e32 vcc_lo, v3, v3
	v_add3_u32 v3, v3, v4, 0x7fff
	v_mov_b32_e32 v4, 0x7fc0
	v_cndmask_b32_sdwa v3, v4, v3, vcc_lo dst_sel:DWORD dst_unused:UNUSED_PAD src0_sel:DWORD src1_sel:WORD_1
	global_store_short v[0:1], v3, off offset:1856
	s_or_b32 exec_lo, exec_lo, s0
	s_and_saveexec_b32 s0, s30
	s_cbranch_execz .LBB639_158
.LBB639_191:
	v_fma_f32 v3, -v2, v7, v8
	v_bfe_u32 v4, v3, 16, 1
	v_cmp_o_f32_e32 vcc_lo, v3, v3
	v_add3_u32 v3, v3, v4, 0x7fff
	v_mov_b32_e32 v4, 0x7fc0
	v_cndmask_b32_sdwa v3, v4, v3, vcc_lo dst_sel:DWORD dst_unused:UNUSED_PAD src0_sel:DWORD src1_sel:WORD_1
	global_store_short v[0:1], v3, off offset:1920
	s_or_b32 exec_lo, exec_lo, s0
	s_and_b32 exec_lo, exec_lo, s31
	s_cbranch_execnz .LBB639_159
	s_branch .LBB639_160
	.section	.rodata,"a",@progbits
	.p2align	6, 0x0
	.amdhsa_kernel _ZN12_GLOBAL__N_121softmax_warp_backwardIN3c108BFloat16ES2_fLi10ELb0ELb0ELi32EEEvPT0_PKT_S7_iiiPKb
		.amdhsa_group_segment_fixed_size 0
		.amdhsa_private_segment_fixed_size 0
		.amdhsa_kernarg_size 304
		.amdhsa_user_sgpr_count 6
		.amdhsa_user_sgpr_private_segment_buffer 1
		.amdhsa_user_sgpr_dispatch_ptr 0
		.amdhsa_user_sgpr_queue_ptr 0
		.amdhsa_user_sgpr_kernarg_segment_ptr 1
		.amdhsa_user_sgpr_dispatch_id 0
		.amdhsa_user_sgpr_flat_scratch_init 0
		.amdhsa_user_sgpr_private_segment_size 0
		.amdhsa_wavefront_size32 1
		.amdhsa_uses_dynamic_stack 0
		.amdhsa_system_sgpr_private_segment_wavefront_offset 0
		.amdhsa_system_sgpr_workgroup_id_x 1
		.amdhsa_system_sgpr_workgroup_id_y 0
		.amdhsa_system_sgpr_workgroup_id_z 0
		.amdhsa_system_sgpr_workgroup_info 0
		.amdhsa_system_vgpr_workitem_id 1
		.amdhsa_next_free_vgpr 72
		.amdhsa_next_free_sgpr 44
		.amdhsa_reserve_vcc 1
		.amdhsa_reserve_flat_scratch 0
		.amdhsa_float_round_mode_32 0
		.amdhsa_float_round_mode_16_64 0
		.amdhsa_float_denorm_mode_32 3
		.amdhsa_float_denorm_mode_16_64 3
		.amdhsa_dx10_clamp 1
		.amdhsa_ieee_mode 1
		.amdhsa_fp16_overflow 0
		.amdhsa_workgroup_processor_mode 1
		.amdhsa_memory_ordered 1
		.amdhsa_forward_progress 1
		.amdhsa_shared_vgpr_count 0
		.amdhsa_exception_fp_ieee_invalid_op 0
		.amdhsa_exception_fp_denorm_src 0
		.amdhsa_exception_fp_ieee_div_zero 0
		.amdhsa_exception_fp_ieee_overflow 0
		.amdhsa_exception_fp_ieee_underflow 0
		.amdhsa_exception_fp_ieee_inexact 0
		.amdhsa_exception_int_div_zero 0
	.end_amdhsa_kernel
	.section	.text._ZN12_GLOBAL__N_121softmax_warp_backwardIN3c108BFloat16ES2_fLi10ELb0ELb0ELi32EEEvPT0_PKT_S7_iiiPKb,"axG",@progbits,_ZN12_GLOBAL__N_121softmax_warp_backwardIN3c108BFloat16ES2_fLi10ELb0ELb0ELi32EEEvPT0_PKT_S7_iiiPKb,comdat
.Lfunc_end639:
	.size	_ZN12_GLOBAL__N_121softmax_warp_backwardIN3c108BFloat16ES2_fLi10ELb0ELb0ELi32EEEvPT0_PKT_S7_iiiPKb, .Lfunc_end639-_ZN12_GLOBAL__N_121softmax_warp_backwardIN3c108BFloat16ES2_fLi10ELb0ELb0ELi32EEEvPT0_PKT_S7_iiiPKb
                                        ; -- End function
	.set _ZN12_GLOBAL__N_121softmax_warp_backwardIN3c108BFloat16ES2_fLi10ELb0ELb0ELi32EEEvPT0_PKT_S7_iiiPKb.num_vgpr, 72
	.set _ZN12_GLOBAL__N_121softmax_warp_backwardIN3c108BFloat16ES2_fLi10ELb0ELb0ELi32EEEvPT0_PKT_S7_iiiPKb.num_agpr, 0
	.set _ZN12_GLOBAL__N_121softmax_warp_backwardIN3c108BFloat16ES2_fLi10ELb0ELb0ELi32EEEvPT0_PKT_S7_iiiPKb.numbered_sgpr, 44
	.set _ZN12_GLOBAL__N_121softmax_warp_backwardIN3c108BFloat16ES2_fLi10ELb0ELb0ELi32EEEvPT0_PKT_S7_iiiPKb.num_named_barrier, 0
	.set _ZN12_GLOBAL__N_121softmax_warp_backwardIN3c108BFloat16ES2_fLi10ELb0ELb0ELi32EEEvPT0_PKT_S7_iiiPKb.private_seg_size, 0
	.set _ZN12_GLOBAL__N_121softmax_warp_backwardIN3c108BFloat16ES2_fLi10ELb0ELb0ELi32EEEvPT0_PKT_S7_iiiPKb.uses_vcc, 1
	.set _ZN12_GLOBAL__N_121softmax_warp_backwardIN3c108BFloat16ES2_fLi10ELb0ELb0ELi32EEEvPT0_PKT_S7_iiiPKb.uses_flat_scratch, 0
	.set _ZN12_GLOBAL__N_121softmax_warp_backwardIN3c108BFloat16ES2_fLi10ELb0ELb0ELi32EEEvPT0_PKT_S7_iiiPKb.has_dyn_sized_stack, 0
	.set _ZN12_GLOBAL__N_121softmax_warp_backwardIN3c108BFloat16ES2_fLi10ELb0ELb0ELi32EEEvPT0_PKT_S7_iiiPKb.has_recursion, 0
	.set _ZN12_GLOBAL__N_121softmax_warp_backwardIN3c108BFloat16ES2_fLi10ELb0ELb0ELi32EEEvPT0_PKT_S7_iiiPKb.has_indirect_call, 0
	.section	.AMDGPU.csdata,"",@progbits
; Kernel info:
; codeLenInByte = 5952
; TotalNumSgprs: 46
; NumVgprs: 72
; ScratchSize: 0
; MemoryBound: 0
; FloatMode: 240
; IeeeMode: 1
; LDSByteSize: 0 bytes/workgroup (compile time only)
; SGPRBlocks: 0
; VGPRBlocks: 8
; NumSGPRsForWavesPerEU: 46
; NumVGPRsForWavesPerEU: 72
; Occupancy: 12
; WaveLimiterHint : 0
; COMPUTE_PGM_RSRC2:SCRATCH_EN: 0
; COMPUTE_PGM_RSRC2:USER_SGPR: 6
; COMPUTE_PGM_RSRC2:TRAP_HANDLER: 0
; COMPUTE_PGM_RSRC2:TGID_X_EN: 1
; COMPUTE_PGM_RSRC2:TGID_Y_EN: 0
; COMPUTE_PGM_RSRC2:TGID_Z_EN: 0
; COMPUTE_PGM_RSRC2:TIDIG_COMP_CNT: 1
	.section	.text._ZN2at6native12_GLOBAL__N_124cunn_SoftMaxBackwardSmemILi8EN3c108BFloat16EfS4_NS1_23SoftMaxBackwardEpilogueEEEvPT0_PKT2_SA_l,"axG",@progbits,_ZN2at6native12_GLOBAL__N_124cunn_SoftMaxBackwardSmemILi8EN3c108BFloat16EfS4_NS1_23SoftMaxBackwardEpilogueEEEvPT0_PKT2_SA_l,comdat
	.globl	_ZN2at6native12_GLOBAL__N_124cunn_SoftMaxBackwardSmemILi8EN3c108BFloat16EfS4_NS1_23SoftMaxBackwardEpilogueEEEvPT0_PKT2_SA_l ; -- Begin function _ZN2at6native12_GLOBAL__N_124cunn_SoftMaxBackwardSmemILi8EN3c108BFloat16EfS4_NS1_23SoftMaxBackwardEpilogueEEEvPT0_PKT2_SA_l
	.p2align	8
	.type	_ZN2at6native12_GLOBAL__N_124cunn_SoftMaxBackwardSmemILi8EN3c108BFloat16EfS4_NS1_23SoftMaxBackwardEpilogueEEEvPT0_PKT2_SA_l,@function
_ZN2at6native12_GLOBAL__N_124cunn_SoftMaxBackwardSmemILi8EN3c108BFloat16EfS4_NS1_23SoftMaxBackwardEpilogueEEEvPT0_PKT2_SA_l: ; @_ZN2at6native12_GLOBAL__N_124cunn_SoftMaxBackwardSmemILi8EN3c108BFloat16EfS4_NS1_23SoftMaxBackwardEpilogueEEEvPT0_PKT2_SA_l
; %bb.0:
	s_load_dwordx8 s[8:15], s[4:5], 0x0
	v_mov_b32_e32 v2, 0
	v_lshlrev_b32_e32 v1, 3, v0
	v_lshl_add_u32 v5, v0, 4, 0
	s_waitcnt lgkmcnt(0)
	v_cmp_gt_i64_e32 vcc_lo, s[14:15], v[1:2]
	s_mul_i32 s0, s15, s6
	s_mul_hi_u32 s1, s14, s6
	s_mul_i32 s2, s14, s6
	s_add_i32 s3, s1, s0
	s_and_saveexec_b32 s1, vcc_lo
	s_cbranch_execz .LBB640_4
; %bb.1:
	s_load_dword s0, s[4:5], 0x2c
	s_lshl_b64 s[6:7], s[2:3], 1
	v_lshl_add_u32 v6, v0, 4, 0
	s_add_u32 s6, s12, s6
	s_addc_u32 s7, s13, s7
	v_mov_b32_e32 v2, 0
	v_mov_b32_e32 v3, v0
	s_mov_b32 s13, 0
	s_waitcnt lgkmcnt(0)
	s_and_b32 s12, s0, 0xffff
	v_add_lshl_u32 v1, v0, s12, 3
	s_lshl_b32 s16, s12, 3
	s_lshl_b32 s17, s12, 4
	s_inst_prefetch 0x1
	.p2align	6
.LBB640_2:                              ; =>This Inner Loop Header: Depth=1
	v_ashrrev_i32_e32 v4, 31, v3
	v_lshlrev_b64 v[7:8], 4, v[3:4]
	v_add_nc_u32_e32 v3, s12, v3
	v_add_co_u32 v7, s0, s6, v7
	v_add_co_ci_u32_e64 v8, null, s7, v8, s0
	global_load_dwordx4 v[7:10], v[7:8], off
	s_waitcnt vmcnt(0)
	v_lshlrev_b32_e32 v4, 16, v7
	v_and_b32_e32 v11, 0xffff0000, v7
	v_and_b32_e32 v12, 0xffff0000, v10
	ds_write_b128 v6, v[7:10]
	v_add_nc_u32_e32 v6, s17, v6
	v_add_f32_e32 v2, v2, v4
	v_lshlrev_b32_e32 v4, 16, v8
	v_add_f32_e32 v2, v2, v11
	v_and_b32_e32 v11, 0xffff0000, v8
	v_add_f32_e32 v2, v2, v4
	v_lshlrev_b32_e32 v4, 16, v9
	v_add_f32_e32 v2, v2, v11
	v_and_b32_e32 v11, 0xffff0000, v9
	v_add_f32_e32 v2, v2, v4
	v_lshlrev_b32_e32 v4, 16, v10
	v_add_f32_e32 v11, v2, v11
	v_ashrrev_i32_e32 v2, 31, v1
	v_add_f32_e32 v4, v11, v4
	v_cmp_le_i64_e64 s0, s[14:15], v[1:2]
	v_add_nc_u32_e32 v1, s16, v1
	v_add_f32_e32 v2, v4, v12
	s_or_b32 s13, s0, s13
	s_andn2_b32 exec_lo, exec_lo, s13
	s_cbranch_execnz .LBB640_2
; %bb.3:
	s_inst_prefetch 0x2
	s_or_b32 exec_lo, exec_lo, s13
.LBB640_4:
	s_or_b32 exec_lo, exec_lo, s1
	v_mbcnt_lo_u32_b32 v6, -1, 0
	s_lshl_b32 s1, s14, 1
	s_mov_b32 s6, exec_lo
	s_add_i32 s1, s1, 0
	s_waitcnt lgkmcnt(0)
	v_lshl_or_b32 v1, v6, 2, 64
	v_cmp_gt_u32_e64 s0, 24, v6
	s_barrier
	buffer_gl0_inv
	ds_bpermute_b32 v4, v1, v2
	v_cndmask_b32_e64 v3, 0, 8, s0
	v_cmp_gt_u32_e64 s0, 28, v6
	v_add_lshl_u32 v3, v3, v6, 2
	s_waitcnt lgkmcnt(0)
	v_add_f32_e32 v4, v2, v4
	v_cndmask_b32_e64 v2, 0, 4, s0
	v_cmp_gt_u32_e64 s0, 30, v6
	ds_bpermute_b32 v7, v3, v4
	v_add_lshl_u32 v2, v2, v6, 2
	s_waitcnt lgkmcnt(0)
	v_add_f32_e32 v7, v4, v7
	v_cndmask_b32_e64 v4, 0, 2, s0
	v_cmp_ne_u32_e64 s0, 31, v6
	ds_bpermute_b32 v8, v2, v7
	v_add_lshl_u32 v4, v4, v6, 2
	v_add_co_ci_u32_e64 v6, null, 0, v6, s0
	v_lshlrev_b32_e32 v6, 2, v6
	s_waitcnt lgkmcnt(0)
	v_add_f32_e32 v7, v7, v8
	ds_bpermute_b32 v8, v4, v7
	s_waitcnt lgkmcnt(0)
	v_add_f32_e32 v8, v7, v8
	v_and_b32_e32 v7, 31, v0
	ds_bpermute_b32 v9, v6, v8
	v_cmpx_eq_u32_e32 0, v7
	s_cbranch_execz .LBB640_6
; %bb.5:
	v_lshrrev_b32_e32 v10, 3, v0
	s_waitcnt lgkmcnt(0)
	v_add_f32_e32 v8, v8, v9
	v_add_nc_u32_e32 v10, s1, v10
	ds_write_b32 v10, v8
.LBB640_6:
	s_or_b32 exec_lo, exec_lo, s6
	s_waitcnt lgkmcnt(0)
	s_barrier
	buffer_gl0_inv
	s_load_dword s4, s[4:5], 0x2c
	v_mov_b32_e32 v8, 0
	s_mov_b32 s5, exec_lo
	s_waitcnt lgkmcnt(0)
	s_bfe_u32 s0, s4, 0xb0005
	v_cmpx_gt_u32_e64 s0, v0
; %bb.7:
	v_lshl_add_u32 v7, v7, 2, s1
	ds_read_b32 v8, v7
; %bb.8:
	s_or_b32 exec_lo, exec_lo, s5
	s_mov_b32 s5, exec_lo
	v_cmpx_gt_u32_e32 32, v0
	s_cbranch_execz .LBB640_10
; %bb.9:
	s_waitcnt lgkmcnt(0)
	ds_bpermute_b32 v1, v1, v8
	s_waitcnt lgkmcnt(0)
	v_add_f32_e32 v1, v8, v1
	ds_bpermute_b32 v3, v3, v1
	s_waitcnt lgkmcnt(0)
	v_add_f32_e32 v1, v1, v3
	;; [unrolled: 3-line block ×5, first 2 shown]
.LBB640_10:
	s_or_b32 exec_lo, exec_lo, s5
	s_mov_b32 s5, exec_lo
	v_cmpx_eq_u32_e32 0, v0
	s_cbranch_execz .LBB640_12
; %bb.11:
	v_mov_b32_e32 v1, s1
	s_waitcnt lgkmcnt(0)
	ds_write_b32 v1, v8
.LBB640_12:
	s_or_b32 exec_lo, exec_lo, s5
	s_waitcnt lgkmcnt(0)
	s_barrier
	buffer_gl0_inv
	s_and_saveexec_b32 s0, vcc_lo
	s_cbranch_execz .LBB640_15
; %bb.13:
	v_mov_b32_e32 v1, s1
	s_lshl_b64 s[0:1], s[2:3], 1
	s_and_b32 s12, 0xffff, s4
	s_add_u32 s13, s8, s0
	v_add_lshl_u32 v2, v0, s12, 3
	ds_read_b32 v4, v1
	v_mov_b32_e32 v6, 1
	s_addc_u32 s9, s9, s1
	s_add_u32 s10, s10, s0
	s_addc_u32 s11, s11, s1
	s_lshl_b32 s16, s12, 3
	s_mov_b32 s17, 0
	s_lshl_b32 s18, s12, 4
.LBB640_14:                             ; =>This Inner Loop Header: Depth=1
	v_ashrrev_i32_e32 v1, 31, v0
	ds_read_b128 v[11:14], v5
	v_ashrrev_i32_e32 v3, 31, v2
	v_add_nc_u32_e32 v5, s18, v5
	v_lshlrev_b64 v[15:16], 4, v[0:1]
	v_add_nc_u32_e32 v0, s12, v0
	v_add_co_u32 v7, vcc_lo, s10, v15
	v_add_co_ci_u32_e64 v8, null, s11, v16, vcc_lo
	v_cmp_le_i64_e32 vcc_lo, s[14:15], v[2:3]
	v_add_co_u32 v15, s0, s13, v15
	global_load_dwordx4 v[7:10], v[7:8], off
	v_add_co_ci_u32_e64 v16, null, s9, v16, s0
	s_waitcnt lgkmcnt(0)
	v_and_b32_e32 v1, 0xffff0000, v11
	v_lshlrev_b32_e32 v3, 16, v11
	v_and_b32_e32 v11, 0xffff0000, v12
	v_lshlrev_b32_e32 v12, 16, v12
	;; [unrolled: 2-line block ×4, first 2 shown]
	v_add_nc_u32_e32 v2, s16, v2
	s_or_b32 s17, vcc_lo, s17
	s_waitcnt vmcnt(0)
	v_lshlrev_b32_e32 v19, 16, v7
	v_and_b32_e32 v7, 0xffff0000, v7
	v_lshlrev_b32_e32 v20, 16, v8
	v_and_b32_e32 v8, 0xffff0000, v8
	;; [unrolled: 2-line block ×4, first 2 shown]
	v_fma_f32 v1, -v4, v7, v1
	v_fma_f32 v3, -v4, v19, v3
	;; [unrolled: 1-line block ×8, first 2 shown]
	v_and_b32_sdwa v13, v1, v6 dst_sel:DWORD dst_unused:UNUSED_PAD src0_sel:WORD_1 src1_sel:DWORD
	v_and_b32_sdwa v14, v3, v6 dst_sel:DWORD dst_unused:UNUSED_PAD src0_sel:WORD_1 src1_sel:DWORD
	v_and_b32_sdwa v17, v7, v6 dst_sel:DWORD dst_unused:UNUSED_PAD src0_sel:WORD_1 src1_sel:DWORD
	v_and_b32_sdwa v18, v8, v6 dst_sel:DWORD dst_unused:UNUSED_PAD src0_sel:WORD_1 src1_sel:DWORD
	v_and_b32_sdwa v19, v9, v6 dst_sel:DWORD dst_unused:UNUSED_PAD src0_sel:WORD_1 src1_sel:DWORD
	v_and_b32_sdwa v20, v11, v6 dst_sel:DWORD dst_unused:UNUSED_PAD src0_sel:WORD_1 src1_sel:DWORD
	v_and_b32_sdwa v21, v10, v6 dst_sel:DWORD dst_unused:UNUSED_PAD src0_sel:WORD_1 src1_sel:DWORD
	v_and_b32_sdwa v22, v12, v6 dst_sel:DWORD dst_unused:UNUSED_PAD src0_sel:WORD_1 src1_sel:DWORD
	v_add3_u32 v13, v1, v13, 0x7fff
	v_add3_u32 v14, v3, v14, 0x7fff
	;; [unrolled: 1-line block ×8, first 2 shown]
	v_lshrrev_b32_e32 v14, 16, v14
	v_lshrrev_b32_e32 v13, 16, v13
	v_cmp_o_f32_e64 s1, v1, v1
	v_lshrrev_b32_e32 v1, 16, v18
	v_lshrrev_b32_e32 v17, 16, v17
	v_cmp_o_f32_e64 s2, v8, v8
	v_cmp_o_f32_e64 s3, v7, v7
	v_lshrrev_b32_e32 v7, 16, v20
	v_lshrrev_b32_e32 v8, 16, v19
	v_cmp_o_f32_e64 s4, v11, v11
	;; [unrolled: 4-line block ×3, first 2 shown]
	v_cmp_o_f32_e64 s7, v10, v10
	v_cmp_o_f32_e64 s8, v3, v3
	v_cndmask_b32_e64 v12, 0x7fc0, v13, s1
	v_cndmask_b32_e64 v1, 0x7fc0, v1, s2
	;; [unrolled: 1-line block ×8, first 2 shown]
	v_perm_b32 v10, v10, v9, 0x5040100
	v_perm_b32 v9, v8, v7, 0x5040100
	;; [unrolled: 1-line block ×4, first 2 shown]
	global_store_dwordx4 v[15:16], v[7:10], off
	s_andn2_b32 exec_lo, exec_lo, s17
	s_cbranch_execnz .LBB640_14
.LBB640_15:
	s_endpgm
	.section	.rodata,"a",@progbits
	.p2align	6, 0x0
	.amdhsa_kernel _ZN2at6native12_GLOBAL__N_124cunn_SoftMaxBackwardSmemILi8EN3c108BFloat16EfS4_NS1_23SoftMaxBackwardEpilogueEEEvPT0_PKT2_SA_l
		.amdhsa_group_segment_fixed_size 0
		.amdhsa_private_segment_fixed_size 0
		.amdhsa_kernarg_size 288
		.amdhsa_user_sgpr_count 6
		.amdhsa_user_sgpr_private_segment_buffer 1
		.amdhsa_user_sgpr_dispatch_ptr 0
		.amdhsa_user_sgpr_queue_ptr 0
		.amdhsa_user_sgpr_kernarg_segment_ptr 1
		.amdhsa_user_sgpr_dispatch_id 0
		.amdhsa_user_sgpr_flat_scratch_init 0
		.amdhsa_user_sgpr_private_segment_size 0
		.amdhsa_wavefront_size32 1
		.amdhsa_uses_dynamic_stack 0
		.amdhsa_system_sgpr_private_segment_wavefront_offset 0
		.amdhsa_system_sgpr_workgroup_id_x 1
		.amdhsa_system_sgpr_workgroup_id_y 0
		.amdhsa_system_sgpr_workgroup_id_z 0
		.amdhsa_system_sgpr_workgroup_info 0
		.amdhsa_system_vgpr_workitem_id 0
		.amdhsa_next_free_vgpr 23
		.amdhsa_next_free_sgpr 19
		.amdhsa_reserve_vcc 1
		.amdhsa_reserve_flat_scratch 0
		.amdhsa_float_round_mode_32 0
		.amdhsa_float_round_mode_16_64 0
		.amdhsa_float_denorm_mode_32 3
		.amdhsa_float_denorm_mode_16_64 3
		.amdhsa_dx10_clamp 1
		.amdhsa_ieee_mode 1
		.amdhsa_fp16_overflow 0
		.amdhsa_workgroup_processor_mode 1
		.amdhsa_memory_ordered 1
		.amdhsa_forward_progress 1
		.amdhsa_shared_vgpr_count 0
		.amdhsa_exception_fp_ieee_invalid_op 0
		.amdhsa_exception_fp_denorm_src 0
		.amdhsa_exception_fp_ieee_div_zero 0
		.amdhsa_exception_fp_ieee_overflow 0
		.amdhsa_exception_fp_ieee_underflow 0
		.amdhsa_exception_fp_ieee_inexact 0
		.amdhsa_exception_int_div_zero 0
	.end_amdhsa_kernel
	.section	.text._ZN2at6native12_GLOBAL__N_124cunn_SoftMaxBackwardSmemILi8EN3c108BFloat16EfS4_NS1_23SoftMaxBackwardEpilogueEEEvPT0_PKT2_SA_l,"axG",@progbits,_ZN2at6native12_GLOBAL__N_124cunn_SoftMaxBackwardSmemILi8EN3c108BFloat16EfS4_NS1_23SoftMaxBackwardEpilogueEEEvPT0_PKT2_SA_l,comdat
.Lfunc_end640:
	.size	_ZN2at6native12_GLOBAL__N_124cunn_SoftMaxBackwardSmemILi8EN3c108BFloat16EfS4_NS1_23SoftMaxBackwardEpilogueEEEvPT0_PKT2_SA_l, .Lfunc_end640-_ZN2at6native12_GLOBAL__N_124cunn_SoftMaxBackwardSmemILi8EN3c108BFloat16EfS4_NS1_23SoftMaxBackwardEpilogueEEEvPT0_PKT2_SA_l
                                        ; -- End function
	.set _ZN2at6native12_GLOBAL__N_124cunn_SoftMaxBackwardSmemILi8EN3c108BFloat16EfS4_NS1_23SoftMaxBackwardEpilogueEEEvPT0_PKT2_SA_l.num_vgpr, 23
	.set _ZN2at6native12_GLOBAL__N_124cunn_SoftMaxBackwardSmemILi8EN3c108BFloat16EfS4_NS1_23SoftMaxBackwardEpilogueEEEvPT0_PKT2_SA_l.num_agpr, 0
	.set _ZN2at6native12_GLOBAL__N_124cunn_SoftMaxBackwardSmemILi8EN3c108BFloat16EfS4_NS1_23SoftMaxBackwardEpilogueEEEvPT0_PKT2_SA_l.numbered_sgpr, 19
	.set _ZN2at6native12_GLOBAL__N_124cunn_SoftMaxBackwardSmemILi8EN3c108BFloat16EfS4_NS1_23SoftMaxBackwardEpilogueEEEvPT0_PKT2_SA_l.num_named_barrier, 0
	.set _ZN2at6native12_GLOBAL__N_124cunn_SoftMaxBackwardSmemILi8EN3c108BFloat16EfS4_NS1_23SoftMaxBackwardEpilogueEEEvPT0_PKT2_SA_l.private_seg_size, 0
	.set _ZN2at6native12_GLOBAL__N_124cunn_SoftMaxBackwardSmemILi8EN3c108BFloat16EfS4_NS1_23SoftMaxBackwardEpilogueEEEvPT0_PKT2_SA_l.uses_vcc, 1
	.set _ZN2at6native12_GLOBAL__N_124cunn_SoftMaxBackwardSmemILi8EN3c108BFloat16EfS4_NS1_23SoftMaxBackwardEpilogueEEEvPT0_PKT2_SA_l.uses_flat_scratch, 0
	.set _ZN2at6native12_GLOBAL__N_124cunn_SoftMaxBackwardSmemILi8EN3c108BFloat16EfS4_NS1_23SoftMaxBackwardEpilogueEEEvPT0_PKT2_SA_l.has_dyn_sized_stack, 0
	.set _ZN2at6native12_GLOBAL__N_124cunn_SoftMaxBackwardSmemILi8EN3c108BFloat16EfS4_NS1_23SoftMaxBackwardEpilogueEEEvPT0_PKT2_SA_l.has_recursion, 0
	.set _ZN2at6native12_GLOBAL__N_124cunn_SoftMaxBackwardSmemILi8EN3c108BFloat16EfS4_NS1_23SoftMaxBackwardEpilogueEEEvPT0_PKT2_SA_l.has_indirect_call, 0
	.section	.AMDGPU.csdata,"",@progbits
; Kernel info:
; codeLenInByte = 1516
; TotalNumSgprs: 21
; NumVgprs: 23
; ScratchSize: 0
; MemoryBound: 0
; FloatMode: 240
; IeeeMode: 1
; LDSByteSize: 0 bytes/workgroup (compile time only)
; SGPRBlocks: 0
; VGPRBlocks: 2
; NumSGPRsForWavesPerEU: 21
; NumVGPRsForWavesPerEU: 23
; Occupancy: 16
; WaveLimiterHint : 0
; COMPUTE_PGM_RSRC2:SCRATCH_EN: 0
; COMPUTE_PGM_RSRC2:USER_SGPR: 6
; COMPUTE_PGM_RSRC2:TRAP_HANDLER: 0
; COMPUTE_PGM_RSRC2:TGID_X_EN: 1
; COMPUTE_PGM_RSRC2:TGID_Y_EN: 0
; COMPUTE_PGM_RSRC2:TGID_Z_EN: 0
; COMPUTE_PGM_RSRC2:TIDIG_COMP_CNT: 0
	.section	.text._ZN2at6native12_GLOBAL__N_120cunn_SoftMaxBackwardILi8EN3c108BFloat16EfS4_NS1_23SoftMaxBackwardEpilogueEEEvPT0_PKT2_SA_l,"axG",@progbits,_ZN2at6native12_GLOBAL__N_120cunn_SoftMaxBackwardILi8EN3c108BFloat16EfS4_NS1_23SoftMaxBackwardEpilogueEEEvPT0_PKT2_SA_l,comdat
	.globl	_ZN2at6native12_GLOBAL__N_120cunn_SoftMaxBackwardILi8EN3c108BFloat16EfS4_NS1_23SoftMaxBackwardEpilogueEEEvPT0_PKT2_SA_l ; -- Begin function _ZN2at6native12_GLOBAL__N_120cunn_SoftMaxBackwardILi8EN3c108BFloat16EfS4_NS1_23SoftMaxBackwardEpilogueEEEvPT0_PKT2_SA_l
	.p2align	8
	.type	_ZN2at6native12_GLOBAL__N_120cunn_SoftMaxBackwardILi8EN3c108BFloat16EfS4_NS1_23SoftMaxBackwardEpilogueEEEvPT0_PKT2_SA_l,@function
_ZN2at6native12_GLOBAL__N_120cunn_SoftMaxBackwardILi8EN3c108BFloat16EfS4_NS1_23SoftMaxBackwardEpilogueEEEvPT0_PKT2_SA_l: ; @_ZN2at6native12_GLOBAL__N_120cunn_SoftMaxBackwardILi8EN3c108BFloat16EfS4_NS1_23SoftMaxBackwardEpilogueEEEvPT0_PKT2_SA_l
; %bb.0:
	s_load_dwordx8 s[8:15], s[4:5], 0x0
	s_mov_b32 s29, 0
	s_waitcnt lgkmcnt(0)
	s_mul_i32 s1, s15, s6
	s_mul_hi_u32 s2, s14, s6
	s_mul_i32 s0, s14, s6
	s_add_i32 s1, s2, s1
	v_cmp_lt_i64_e64 s7, 0x7ffffffe, s[14:15]
	s_lshl_b64 s[2:3], s[0:1], 1
	s_mov_b64 s[18:19], s[14:15]
	s_add_u32 s16, s12, s2
	s_addc_u32 s17, s13, s3
	s_bfe_u32 s28, s16, 0x30001
	s_cmp_lg_u32 s28, 0
	s_cselect_b32 s26, -1, 0
	s_and_b32 vcc_lo, exec_lo, s7
	s_cbranch_vccz .LBB641_16
; %bb.1:
	v_mov_b32_e32 v1, 0
	s_add_u32 s0, s4, 32
	s_addc_u32 s1, s5, 0
	s_and_b32 vcc_lo, exec_lo, s26
	s_cbranch_vccz .LBB641_39
; %bb.2:
	s_lshl_b32 s0, s28, 1
	v_mov_b32_e32 v6, v1
	s_sub_u32 s22, s16, s0
	s_mov_b32 s24, 0
	s_subb_u32 s23, s17, 0
	s_mov_b32 s0, exec_lo
	v_cmpx_le_u64_e64 s[28:29], v[0:1]
	s_cbranch_execz .LBB641_4
; %bb.3:
	v_lshlrev_b32_e32 v2, 1, v0
	global_load_ushort v2, v2, s[22:23]
	s_waitcnt vmcnt(0)
	v_lshlrev_b32_e32 v2, 16, v2
	v_add_f32_e32 v6, 0, v2
.LBB641_4:
	s_or_b32 exec_lo, exec_lo, s0
	s_load_dword s20, s[4:5], 0x2c
	s_add_u32 s21, s28, s14
	s_addc_u32 s25, 0, s15
	s_add_u32 s0, s4, 32
	s_addc_u32 s1, s5, 0
	s_waitcnt lgkmcnt(0)
	s_and_b32 s27, s20, 0xffff
	s_sub_u32 s20, s21, s27
	s_subb_u32 s21, s25, 0
	s_lshl_b32 s25, s27, 1
	s_add_u32 s22, s22, s25
	s_addc_u32 s23, s23, 0
	s_and_b32 vcc_lo, exec_lo, s24
	s_cbranch_vccz .LBB641_6
.LBB641_5:
	v_mov_b32_e32 v6, 0
	s_mov_b64 s[20:21], s[18:19]
	s_mov_b64 s[22:23], s[16:17]
.LBB641_6:
	s_load_dword s24, s[0:1], 0x0
	v_mov_b32_e32 v2, 0
	s_waitcnt lgkmcnt(0)
	s_cmp_lt_u32 s6, s24
	s_cselect_b32 s24, 12, 18
	s_add_u32 s0, s0, s24
	s_addc_u32 s1, s1, 0
	global_load_ushort v2, v2, s[0:1]
	s_mov_b32 s0, 0
	s_waitcnt vmcnt(0)
	v_readfirstlane_b32 s1, v2
	v_and_b32_e32 v7, 0xffff, v2
	s_and_b32 s24, 0xffff, s1
	s_mov_b32 s1, s21
	s_lshl_b32 s27, s24, 3
	s_cmp_lg_u64 s[0:1], 0
	s_cbranch_scc0 .LBB641_40
; %bb.7:
	v_cvt_f32_u32_e32 v2, s27
	s_sub_u32 s25, 0, s27
	s_subb_u32 s30, 0, 0
	v_fmamk_f32 v2, 0, 0x4f800000, v2
	v_rcp_f32_e32 v2, v2
	v_mul_f32_e32 v2, 0x5f7ffffc, v2
	v_mul_f32_e32 v3, 0x2f800000, v2
	v_trunc_f32_e32 v3, v3
	v_fmamk_f32 v2, v3, 0xcf800000, v2
	v_cvt_u32_f32_e32 v3, v3
	v_cvt_u32_f32_e32 v2, v2
	v_readfirstlane_b32 s1, v3
	v_readfirstlane_b32 s24, v2
	s_mul_i32 s31, s25, s1
	s_mul_hi_u32 s34, s25, s24
	s_mul_i32 s33, s30, s24
	s_add_i32 s31, s34, s31
	s_mul_i32 s35, s25, s24
	s_add_i32 s31, s31, s33
	s_mul_hi_u32 s34, s24, s35
	s_mul_i32 s37, s24, s31
	s_mul_hi_u32 s36, s1, s35
	s_mul_i32 s33, s1, s35
	s_mul_hi_u32 s35, s24, s31
	s_add_u32 s34, s34, s37
	s_addc_u32 s35, 0, s35
	s_mul_hi_u32 s38, s1, s31
	s_add_u32 s33, s34, s33
	s_mul_i32 s31, s1, s31
	s_addc_u32 s33, s35, s36
	s_addc_u32 s34, s38, 0
	s_add_u32 s31, s33, s31
	s_addc_u32 s33, 0, s34
	s_add_u32 s24, s24, s31
	s_cselect_b32 s31, -1, 0
	s_mul_hi_u32 s34, s25, s24
	s_cmp_lg_u32 s31, 0
	s_mul_i32 s31, s25, s24
	s_addc_u32 s1, s1, s33
	s_mul_i32 s30, s30, s24
	s_mul_i32 s25, s25, s1
	s_mul_hi_u32 s33, s24, s31
	s_add_i32 s25, s34, s25
	s_mul_hi_u32 s34, s1, s31
	s_add_i32 s25, s25, s30
	s_mul_i32 s30, s1, s31
	s_mul_i32 s36, s24, s25
	s_mul_hi_u32 s35, s24, s25
	s_add_u32 s33, s33, s36
	s_addc_u32 s35, 0, s35
	s_mul_hi_u32 s31, s1, s25
	s_add_u32 s30, s33, s30
	s_mul_i32 s25, s1, s25
	s_addc_u32 s30, s35, s34
	s_addc_u32 s31, s31, 0
	s_add_u32 s25, s30, s25
	s_addc_u32 s30, 0, s31
	s_add_u32 s24, s24, s25
	s_cselect_b32 s25, -1, 0
	s_mul_hi_u32 s31, s20, s24
	s_cmp_lg_u32 s25, 0
	s_mul_hi_u32 s25, s21, s24
	s_addc_u32 s1, s1, s30
	s_mul_i32 s24, s21, s24
	s_mul_i32 s33, s20, s1
	s_mul_hi_u32 s30, s20, s1
	s_add_u32 s31, s31, s33
	s_addc_u32 s30, 0, s30
	s_mul_hi_u32 s34, s21, s1
	s_add_u32 s24, s31, s24
	s_mul_i32 s1, s21, s1
	s_addc_u32 s24, s30, s25
	s_addc_u32 s25, s34, 0
	s_add_u32 s1, s24, s1
	s_addc_u32 s24, 0, s25
	s_mul_hi_u32 s25, s27, s1
	s_mul_i32 s24, s27, s24
	s_mul_i32 s1, s27, s1
	s_add_i32 s25, s25, s24
	s_sub_u32 s1, s20, s1
	s_cselect_b32 s24, -1, 0
	s_cmp_lg_u32 s24, 0
	s_subb_u32 s24, s21, s25
	s_sub_u32 s25, s1, s27
	s_cselect_b32 s30, -1, 0
	s_cmp_lg_u32 s30, 0
	s_subb_u32 s30, s24, 0
	;; [unrolled: 4-line block ×3, first 2 shown]
	s_cmp_ge_u32 s25, s27
	s_cselect_b32 s34, -1, 0
	s_cmp_eq_u32 s30, 0
	s_cselect_b32 s34, s34, -1
	s_cmp_lg_u32 s34, 0
	s_cselect_b32 s30, s33, s30
	s_cselect_b32 s31, s31, s25
	s_cmp_ge_u32 s1, s27
	s_cselect_b32 s25, -1, 0
	s_cmp_eq_u32 s24, 0
	s_cselect_b32 s25, s25, -1
	s_cmp_lg_u32 s25, 0
	s_cselect_b32 s25, s30, s24
	s_cselect_b32 s24, s31, s1
	s_andn2_b32 vcc_lo, exec_lo, s0
	s_cbranch_vccnz .LBB641_9
.LBB641_8:
	v_cvt_f32_u32_e32 v2, s27
	s_sub_i32 s1, 0, s27
	s_mov_b32 s25, 0
	v_rcp_iflag_f32_e32 v2, v2
	v_mul_f32_e32 v2, 0x4f7ffffe, v2
	v_cvt_u32_f32_e32 v2, v2
	v_readfirstlane_b32 s0, v2
	s_mul_i32 s1, s1, s0
	s_mul_hi_u32 s1, s0, s1
	s_add_i32 s0, s0, s1
	s_mul_hi_u32 s0, s20, s0
	s_mul_i32 s0, s0, s27
	s_sub_i32 s0, s20, s0
	s_sub_i32 s1, s0, s27
	s_cmp_ge_u32 s0, s27
	s_cselect_b32 s0, s1, s0
	s_sub_i32 s1, s0, s27
	s_cmp_ge_u32 s0, s27
	s_cselect_b32 s24, s1, s0
.LBB641_9:
	v_lshlrev_b32_e32 v2, 4, v0
	v_mov_b32_e32 v5, v1
	v_lshlrev_b32_e32 v8, 4, v7
	v_mov_b32_e32 v4, v0
	s_sub_u32 s24, s20, s24
	v_add_co_u32 v2, s0, s22, v2
	v_add_co_ci_u32_e64 v3, null, s23, 0, s0
	s_subb_u32 s25, s21, s25
	s_mov_b32 s1, 0
	s_inst_prefetch 0x1
	.p2align	6
.LBB641_10:                             ; =>This Inner Loop Header: Depth=1
	global_load_dwordx4 v[9:12], v[2:3], off
	v_add_co_u32 v4, vcc_lo, v4, v7
	v_add_co_ci_u32_e64 v5, null, 0, v5, vcc_lo
	v_add_co_u32 v2, s0, v2, v8
	v_add_co_ci_u32_e64 v3, null, 0, v3, s0
	s_waitcnt vmcnt(0)
	v_lshlrev_b32_e32 v1, 16, v9
	v_and_b32_e32 v9, 0xffff0000, v9
	v_add_f32_e32 v1, v6, v1
	v_lshlrev_b32_e32 v6, 16, v10
	v_add_f32_e32 v1, v1, v9
	v_and_b32_e32 v9, 0xffff0000, v10
	v_add_f32_e32 v1, v1, v6
	v_lshlrev_b32_e32 v6, 16, v11
	v_and_b32_e32 v11, 0xffff0000, v11
	v_add_f32_e32 v1, v1, v9
	v_lshlrev_b64 v[9:10], 3, v[4:5]
	v_add_f32_e32 v1, v1, v6
	v_lshlrev_b32_e32 v6, 16, v12
	v_cmp_le_i64_e32 vcc_lo, s[24:25], v[9:10]
	v_and_b32_e32 v9, 0xffff0000, v12
	v_add_f32_e32 v1, v1, v11
	s_or_b32 s1, vcc_lo, s1
	v_add_f32_e32 v1, v1, v6
	v_add_f32_e32 v6, v1, v9
	s_andn2_b32 exec_lo, exec_lo, s1
	s_cbranch_execnz .LBB641_10
; %bb.11:
	s_inst_prefetch 0x2
	s_or_b32 exec_lo, exec_lo, s1
	v_add_co_u32 v1, s0, s24, v0
	v_add_co_ci_u32_e64 v2, null, s25, 0, s0
	s_mov_b32 s0, exec_lo
	v_cmpx_gt_u64_e64 s[20:21], v[1:2]
	s_cbranch_execz .LBB641_15
; %bb.12:
	s_mov_b32 s1, 0
	.p2align	6
.LBB641_13:                             ; =>This Inner Loop Header: Depth=1
	v_lshlrev_b64 v[3:4], 1, v[1:2]
	v_add_co_u32 v3, vcc_lo, s22, v3
	v_add_co_ci_u32_e64 v4, null, s23, v4, vcc_lo
	v_add_co_u32 v1, vcc_lo, v1, v7
	v_add_co_ci_u32_e64 v2, null, 0, v2, vcc_lo
	global_load_ushort v3, v[3:4], off
	v_cmp_le_i64_e32 vcc_lo, s[20:21], v[1:2]
	s_or_b32 s1, vcc_lo, s1
	s_waitcnt vmcnt(0)
	v_lshlrev_b32_e32 v3, 16, v3
	v_add_f32_e32 v6, v6, v3
	s_andn2_b32 exec_lo, exec_lo, s1
	s_cbranch_execnz .LBB641_13
; %bb.14:
	s_or_b32 exec_lo, exec_lo, s1
.LBB641_15:
	s_or_b32 exec_lo, exec_lo, s0
	s_branch .LBB641_31
.LBB641_16:
                                        ; implicit-def: $vgpr6
	s_cbranch_execz .LBB641_31
; %bb.17:
	s_add_u32 s20, s4, 32
	s_addc_u32 s21, s5, 0
	s_and_b32 vcc_lo, exec_lo, s26
	s_cbranch_vccz .LBB641_41
; %bb.18:
	s_lshl_b64 s[0:1], s[28:29], 1
	v_cmp_le_u32_e32 vcc_lo, s28, v0
	s_sub_u32 s22, s16, s0
	s_subb_u32 s23, s17, s1
	s_add_i32 s1, s28, s14
	v_mov_b32_e32 v6, 0
	v_cmp_gt_i32_e64 s0, s1, v0
	s_and_b32 s20, vcc_lo, s0
	s_and_saveexec_b32 s0, s20
	s_cbranch_execz .LBB641_20
; %bb.19:
	v_lshlrev_b32_e32 v1, 1, v0
	global_load_ushort v1, v1, s[22:23]
	s_waitcnt vmcnt(0)
	v_lshlrev_b32_e32 v1, 16, v1
	v_add_f32_e32 v6, 0, v1
.LBB641_20:
	s_or_b32 exec_lo, exec_lo, s0
	s_load_dword s0, s[4:5], 0x2c
	s_add_u32 s20, s4, 32
	s_addc_u32 s21, s5, 0
	s_waitcnt lgkmcnt(0)
	s_and_b32 s0, s0, 0xffff
	v_sub_nc_u32_e64 v1, s1, s0 clamp
	s_lshl_b32 s0, s0, 1
	s_add_u32 s0, s22, s0
	s_addc_u32 s1, s23, 0
	v_readfirstlane_b32 s24, v1
	s_branch .LBB641_22
.LBB641_21:
	v_mov_b32_e32 v6, 0
	s_mov_b32 s24, s14
	s_mov_b64 s[0:1], s[16:17]
.LBB641_22:
	s_load_dword s22, s[20:21], 0x0
	v_mov_b32_e32 v1, 0
	s_waitcnt lgkmcnt(0)
	s_cmp_lt_u32 s6, s22
	s_cselect_b32 s22, 12, 18
	s_add_u32 s20, s20, s22
	s_addc_u32 s21, s21, 0
	global_load_ushort v3, v1, s[20:21]
	s_waitcnt vmcnt(0)
	v_readfirstlane_b32 s20, v3
	s_lshl_b32 s20, s20, 3
	v_cvt_f32_u32_e32 v1, s20
	s_sub_i32 s22, 0, s20
	v_rcp_iflag_f32_e32 v1, v1
	v_mul_f32_e32 v1, 0x4f7ffffe, v1
	v_cvt_u32_f32_e32 v1, v1
	v_readfirstlane_b32 s21, v1
	v_lshlrev_b32_e32 v1, 3, v0
	s_mul_i32 s22, s22, s21
	s_mul_hi_u32 s22, s21, s22
	s_add_i32 s21, s21, s22
	s_mul_hi_u32 s21, s24, s21
	s_mul_i32 s21, s21, s20
	s_sub_i32 s21, s24, s21
	s_sub_i32 s22, s21, s20
	s_cmp_ge_u32 s21, s20
	s_cselect_b32 s21, s22, s21
	s_sub_i32 s22, s21, s20
	s_cmp_ge_u32 s21, s20
	s_cselect_b32 s20, s22, s21
	s_mov_b32 s22, 0
	s_sub_i32 s20, s24, s20
	s_mov_b32 s21, exec_lo
	v_cmpx_gt_i32_e64 s20, v1
	s_cbranch_execz .LBB641_26
; %bb.23:
	v_mov_b32_e32 v1, v0
	s_inst_prefetch 0x1
	.p2align	6
.LBB641_24:                             ; =>This Inner Loop Header: Depth=1
	v_ashrrev_i32_e32 v2, 31, v1
	v_lshlrev_b64 v[4:5], 4, v[1:2]
	v_add_nc_u32_e32 v1, v1, v3
	v_add_co_u32 v4, vcc_lo, s0, v4
	v_add_co_ci_u32_e64 v5, null, s1, v5, vcc_lo
	global_load_dwordx4 v[7:10], v[4:5], off
	s_waitcnt vmcnt(0)
	v_lshlrev_b32_e32 v2, 16, v7
	v_and_b32_e32 v4, 0xffff0000, v7
	v_lshlrev_b32_e32 v5, 16, v8
	v_add_f32_e32 v2, v6, v2
	v_and_b32_e32 v6, 0xffff0000, v10
	v_add_f32_e32 v2, v2, v4
	v_and_b32_e32 v4, 0xffff0000, v8
	v_add_f32_e32 v2, v2, v5
	v_lshlrev_b32_e32 v5, 16, v9
	v_add_f32_e32 v2, v2, v4
	v_and_b32_e32 v4, 0xffff0000, v9
	v_add_f32_e32 v2, v2, v5
	v_lshlrev_b32_e32 v5, 16, v10
	v_add_f32_e32 v2, v2, v4
	v_lshlrev_b32_e32 v4, 3, v1
	v_add_f32_e32 v2, v2, v5
	v_cmp_le_i32_e32 vcc_lo, s20, v4
	v_add_f32_e32 v6, v2, v6
	s_or_b32 s22, vcc_lo, s22
	s_andn2_b32 exec_lo, exec_lo, s22
	s_cbranch_execnz .LBB641_24
; %bb.25:
	s_inst_prefetch 0x2
	s_or_b32 exec_lo, exec_lo, s22
.LBB641_26:
	s_or_b32 exec_lo, exec_lo, s21
	v_add_nc_u32_e32 v1, s20, v0
	s_mov_b32 s20, exec_lo
	v_cmpx_gt_i32_e64 s24, v1
	s_cbranch_execz .LBB641_30
; %bb.27:
	s_mov_b32 s21, 0
.LBB641_28:                             ; =>This Inner Loop Header: Depth=1
	v_ashrrev_i32_e32 v2, 31, v1
	v_lshlrev_b64 v[4:5], 1, v[1:2]
	v_add_nc_u32_e32 v1, v1, v3
	v_add_co_u32 v4, vcc_lo, s0, v4
	v_add_co_ci_u32_e64 v5, null, s1, v5, vcc_lo
	v_cmp_le_i32_e32 vcc_lo, s24, v1
	global_load_ushort v2, v[4:5], off
	s_or_b32 s21, vcc_lo, s21
	s_waitcnt vmcnt(0)
	v_lshlrev_b32_e32 v2, 16, v2
	v_add_f32_e32 v6, v6, v2
	s_andn2_b32 exec_lo, exec_lo, s21
	s_cbranch_execnz .LBB641_28
; %bb.29:
	s_or_b32 exec_lo, exec_lo, s21
.LBB641_30:
	s_or_b32 exec_lo, exec_lo, s20
.LBB641_31:
	v_lshl_add_u32 v1, v0, 2, 0
	s_barrier
	buffer_gl0_inv
	s_add_u32 s20, s4, 32
	ds_write_b32 v1, v6
	s_waitcnt lgkmcnt(0)
	s_barrier
	buffer_gl0_inv
	s_load_dword s1, s[4:5], 0x2c
	s_addc_u32 s21, s5, 0
	s_waitcnt lgkmcnt(0)
	s_bfe_u32 s0, s1, 0xb0005
	s_and_b32 s0, s0, 0xffff
	s_min_u32 s4, s0, 32
	v_cmp_gt_u32_e32 vcc_lo, s4, v0
	s_and_saveexec_b32 s4, vcc_lo
	s_cbranch_execz .LBB641_33
; %bb.32:
	v_mad_u32_u24 v10, 0x7c, v0, v1
	ds_read2_b32 v[2:3], v10 offset1:1
	ds_read2_b32 v[4:5], v10 offset0:2 offset1:3
	ds_read2_b32 v[6:7], v10 offset0:4 offset1:5
	;; [unrolled: 1-line block ×3, first 2 shown]
	s_waitcnt lgkmcnt(3)
	v_add_f32_e32 v2, 0, v2
	v_add_f32_e32 v2, v2, v3
	s_waitcnt lgkmcnt(2)
	v_add_f32_e32 v2, v2, v4
	v_add_f32_e32 v4, v2, v5
	ds_read2_b32 v[2:3], v10 offset0:8 offset1:9
	s_waitcnt lgkmcnt(2)
	v_add_f32_e32 v4, v4, v6
	v_add_f32_e32 v6, v4, v7
	ds_read2_b32 v[4:5], v10 offset0:10 offset1:11
	;; [unrolled: 4-line block ×3, first 2 shown]
	ds_read2_b32 v[8:9], v10 offset0:14 offset1:15
	s_waitcnt lgkmcnt(3)
	v_add_f32_e32 v2, v11, v2
	v_add_f32_e32 v2, v2, v3
	s_waitcnt lgkmcnt(2)
	v_add_f32_e32 v2, v2, v4
	v_add_f32_e32 v4, v2, v5
	ds_read2_b32 v[2:3], v10 offset0:16 offset1:17
	s_waitcnt lgkmcnt(2)
	v_add_f32_e32 v4, v4, v6
	v_add_f32_e32 v6, v4, v7
	ds_read2_b32 v[4:5], v10 offset0:18 offset1:19
	;; [unrolled: 4-line block ×3, first 2 shown]
	ds_read2_b32 v[8:9], v10 offset0:22 offset1:23
	s_waitcnt lgkmcnt(3)
	v_add_f32_e32 v2, v11, v2
	v_add_f32_e32 v2, v2, v3
	s_waitcnt lgkmcnt(2)
	v_add_f32_e32 v2, v2, v4
	v_add_f32_e32 v2, v2, v5
	s_waitcnt lgkmcnt(1)
	v_add_f32_e32 v4, v2, v6
	ds_read2_b32 v[2:3], v10 offset0:24 offset1:25
	v_add_f32_e32 v4, v4, v7
	s_waitcnt lgkmcnt(1)
	v_add_f32_e32 v6, v4, v8
	ds_read2_b32 v[4:5], v10 offset0:26 offset1:27
	v_add_f32_e32 v11, v6, v9
	ds_read2_b32 v[6:7], v10 offset0:28 offset1:29
	ds_read2_b32 v[8:9], v10 offset0:30 offset1:31
	s_waitcnt lgkmcnt(3)
	v_add_f32_e32 v2, v11, v2
	v_add_f32_e32 v2, v2, v3
	s_waitcnt lgkmcnt(2)
	v_add_f32_e32 v2, v2, v4
	v_add_f32_e32 v2, v2, v5
	;; [unrolled: 3-line block ×4, first 2 shown]
	ds_write_b32 v1, v2
.LBB641_33:
	s_or_b32 exec_lo, exec_lo, s4
	s_and_b32 s33, 0xffff, s1
	s_mov_b32 s1, exec_lo
	s_waitcnt lgkmcnt(0)
	s_barrier
	buffer_gl0_inv
	v_cmpx_eq_u32_e32 0, v0
	s_cbranch_execz .LBB641_46
; %bb.34:
	v_mov_b32_e32 v1, 0
	s_cmp_lt_u32 s33, 32
	s_cbranch_scc1 .LBB641_45
; %bb.35:
	s_add_i32 s4, s0, -1
	v_mov_b32_e32 v1, 0
	s_and_b32 s4, s4, 0xffff
	s_cmp_lt_u32 s4, 7
	s_cbranch_scc1 .LBB641_42
; %bb.36:
	s_and_b32 s4, s0, 0x7f8
	s_mov_b32 s5, 0
	s_mov_b32 s22, 0
	.p2align	6
.LBB641_37:                             ; =>This Inner Loop Header: Depth=1
	v_mov_b32_e32 v8, s22
	s_add_i32 s5, s5, 8
	s_add_i32 s22, s22, 32
	s_cmp_eq_u32 s4, s5
	ds_read2_b32 v[2:3], v8 offset1:1
	ds_read2_b32 v[4:5], v8 offset0:2 offset1:3
	ds_read2_b32 v[6:7], v8 offset0:4 offset1:5
	;; [unrolled: 1-line block ×3, first 2 shown]
	s_waitcnt lgkmcnt(3)
	v_add_f32_e32 v1, v1, v2
	v_add_f32_e32 v1, v1, v3
	s_waitcnt lgkmcnt(2)
	v_add_f32_e32 v1, v1, v4
	v_add_f32_e32 v1, v1, v5
	s_waitcnt lgkmcnt(1)
	v_add_f32_e32 v1, v1, v6
	v_add_f32_e32 v1, v1, v7
	s_waitcnt lgkmcnt(0)
	v_add_f32_e32 v1, v1, v8
	v_add_f32_e32 v1, v1, v9
	s_cbranch_scc0 .LBB641_37
; %bb.38:
	s_and_b32 s0, s0, 7
	s_cmp_eq_u32 s0, 0
	s_cbranch_scc0 .LBB641_43
	s_branch .LBB641_45
.LBB641_39:
                                        ; implicit-def: $sgpr22_sgpr23
                                        ; implicit-def: $sgpr20_sgpr21
                                        ; implicit-def: $vgpr6
	s_cbranch_execnz .LBB641_5
	s_branch .LBB641_6
.LBB641_40:
                                        ; implicit-def: $sgpr24_sgpr25
	s_branch .LBB641_8
.LBB641_41:
                                        ; implicit-def: $sgpr0_sgpr1
                                        ; implicit-def: $sgpr24
                                        ; implicit-def: $vgpr6
	s_cbranch_execnz .LBB641_21
	s_branch .LBB641_22
.LBB641_42:
	s_mov_b32 s4, 0
	s_and_b32 s0, s0, 7
	s_cmp_eq_u32 s0, 0
	s_cbranch_scc1 .LBB641_45
.LBB641_43:
	s_lshl_b32 s4, s4, 2
	s_add_i32 s4, s4, 0
.LBB641_44:                             ; =>This Inner Loop Header: Depth=1
	v_mov_b32_e32 v2, s4
	s_add_i32 s0, s0, -1
	s_add_i32 s4, s4, 4
	s_cmp_lg_u32 s0, 0
	ds_read_b32 v2, v2
	s_waitcnt lgkmcnt(0)
	v_add_f32_e32 v1, v1, v2
	s_cbranch_scc1 .LBB641_44
.LBB641_45:
	v_mov_b32_e32 v2, 0
	ds_write_b32 v2, v1
.LBB641_46:
	s_or_b32 exec_lo, exec_lo, s1
	v_mov_b32_e32 v1, 0
	s_waitcnt lgkmcnt(0)
	s_barrier
	buffer_gl0_inv
	s_add_u32 s22, s8, s2
	ds_read_b32 v6, v1
	s_addc_u32 s23, s9, s3
	s_add_u32 s24, s10, s2
	s_addc_u32 s25, s11, s3
	s_lshr_b64 s[0:1], s[22:23], 1
	s_mov_b32 s27, 0
	s_and_b32 s26, s0, 7
	s_bfe_u32 s0, s24, 0x30001
	s_mov_b32 s1, s27
	s_cmp_eq_u64 s[26:27], s[0:1]
	s_cselect_b32 s0, -1, 0
	s_cmp_eq_u64 s[26:27], s[28:29]
	s_cselect_b32 s1, -1, 0
	s_and_b32 s0, s0, s1
	s_andn2_b32 vcc_lo, exec_lo, s0
	s_mov_b32 s0, -1
	s_cbranch_vccz .LBB641_65
; %bb.47:
	s_and_b32 vcc_lo, exec_lo, s7
	s_cbranch_vccz .LBB641_56
; %bb.48:
	s_lshl_b32 s1, s33, 3
	s_mov_b32 s31, 0
	v_cvt_f32_u32_e32 v1, s1
	s_sub_i32 s4, 0, s1
	s_mov_b32 s30, exec_lo
	v_rcp_iflag_f32_e32 v1, v1
	v_mul_f32_e32 v1, 0x4f7ffffe, v1
	v_cvt_u32_f32_e32 v1, v1
	v_readfirstlane_b32 s0, v1
	v_mov_b32_e32 v1, 0
	s_mul_i32 s4, s4, s0
	v_mov_b32_e32 v3, v1
	s_mul_hi_u32 s4, s0, s4
	v_mov_b32_e32 v2, v0
	s_add_i32 s0, s0, s4
	s_mul_hi_u32 s0, s14, s0
	s_mul_i32 s0, s0, s1
	s_sub_i32 s0, s14, s0
	s_sub_i32 s4, s0, s1
	s_cmp_ge_u32 s0, s1
	s_cselect_b32 s0, s4, s0
	s_sub_i32 s4, s0, s1
	s_cmp_ge_u32 s0, s1
	s_cselect_b32 s0, s4, s0
	s_bfe_i64 s[4:5], s[14:15], 0x200000
	s_sub_u32 s28, s4, s0
	s_subb_u32 s29, s5, 0
	v_cmpx_gt_i64_e64 s[28:29], v[0:1]
	s_cbranch_execz .LBB641_52
; %bb.49:
	v_lshlrev_b64 v[2:3], 1, v[0:1]
	s_lshl_b32 s34, s33, 1
	s_lshl_b32 s35, s33, 4
	v_add_co_u32 v4, vcc_lo, s2, v2
	v_add_co_ci_u32_e64 v5, null, s3, v3, vcc_lo
	v_mov_b32_e32 v3, v1
	v_mov_b32_e32 v2, v0
.LBB641_50:                             ; =>This Inner Loop Header: Depth=1
	v_add_co_u32 v7, vcc_lo, s10, v4
	v_add_co_ci_u32_e64 v8, null, s11, v5, vcc_lo
	v_add_co_u32 v9, vcc_lo, s12, v4
	v_add_co_ci_u32_e64 v10, null, s13, v5, vcc_lo
	;; [unrolled: 2-line block ×4, first 2 shown]
	global_load_ushort v1, v[7:8], off
	global_load_ushort v23, v[9:10], off
	v_add_co_u32 v7, vcc_lo, v11, s34
	v_add_co_ci_u32_e64 v8, null, 0, v12, vcc_lo
	v_add_co_u32 v9, vcc_lo, v13, s34
	v_add_co_ci_u32_e64 v10, null, 0, v14, vcc_lo
	global_load_ushort v24, v[11:12], off
	global_load_ushort v25, v[13:14], off
	v_add_co_u32 v11, vcc_lo, v7, s34
	v_add_co_ci_u32_e64 v12, null, 0, v8, vcc_lo
	v_add_co_u32 v13, vcc_lo, v9, s34
	v_add_co_ci_u32_e64 v14, null, 0, v10, vcc_lo
	;; [unrolled: 6-line block ×6, first 2 shown]
	global_load_ushort v34, v[7:8], off
	global_load_ushort v35, v[9:10], off
	;; [unrolled: 1-line block ×4, first 2 shown]
	v_add_co_u32 v7, vcc_lo, s8, v4
	v_add_co_ci_u32_e64 v8, null, s9, v5, vcc_lo
	v_add_co_u32 v2, vcc_lo, v2, s1
	v_add_co_ci_u32_e64 v3, null, 0, v3, vcc_lo
	;; [unrolled: 2-line block ×4, first 2 shown]
	v_cmp_le_i64_e32 vcc_lo, s[28:29], v[2:3]
	v_add_co_u32 v11, s0, v9, s34
	v_add_co_ci_u32_e64 v12, null, 0, v10, s0
	s_or_b32 s31, vcc_lo, s31
	v_add_co_u32 v13, vcc_lo, v11, s34
	v_add_co_ci_u32_e64 v14, null, 0, v12, vcc_lo
	v_add_co_u32 v15, vcc_lo, v13, s34
	v_add_co_ci_u32_e64 v16, null, 0, v14, vcc_lo
	;; [unrolled: 2-line block ×5, first 2 shown]
	s_waitcnt vmcnt(15)
	v_lshlrev_b32_e32 v1, 16, v1
	s_waitcnt vmcnt(14)
	v_lshlrev_b32_e32 v23, 16, v23
	s_waitcnt lgkmcnt(0)
	v_fma_f32 v1, -v6, v1, v23
	s_waitcnt vmcnt(13)
	v_lshlrev_b32_e32 v23, 16, v24
	s_waitcnt vmcnt(12)
	v_lshlrev_b32_e32 v24, 16, v25
	v_bfe_u32 v25, v1, 16, 1
	v_cmp_o_f32_e32 vcc_lo, v1, v1
	v_fma_f32 v23, -v6, v23, v24
	v_add3_u32 v25, v1, v25, 0x7fff
	s_waitcnt vmcnt(11)
	v_lshlrev_b32_e32 v24, 16, v26
	s_waitcnt vmcnt(10)
	v_lshlrev_b32_e32 v26, 16, v27
	v_bfe_u32 v27, v23, 16, 1
	v_lshrrev_b32_e32 v25, 16, v25
	v_fma_f32 v24, -v6, v24, v26
	v_add3_u32 v27, v23, v27, 0x7fff
	v_cndmask_b32_e32 v1, 0x7fc0, v25, vcc_lo
	s_waitcnt vmcnt(9)
	v_lshlrev_b32_e32 v26, 16, v28
	s_waitcnt vmcnt(8)
	v_lshlrev_b32_e32 v28, 16, v29
	v_bfe_u32 v29, v24, 16, 1
	v_lshrrev_b32_e32 v25, 16, v27
	v_cmp_o_f32_e32 vcc_lo, v23, v23
	global_store_short v[7:8], v1, off
	v_fma_f32 v26, -v6, v26, v28
	v_add3_u32 v23, v24, v29, 0x7fff
	s_waitcnt vmcnt(7)
	v_lshlrev_b32_e32 v28, 16, v30
	s_waitcnt vmcnt(6)
	v_lshlrev_b32_e32 v30, 16, v31
	v_bfe_u32 v27, v26, 16, 1
	v_cndmask_b32_e32 v1, 0x7fc0, v25, vcc_lo
	v_lshrrev_b32_e32 v7, 16, v23
	v_cmp_o_f32_e32 vcc_lo, v24, v24
	v_fma_f32 v28, -v6, v28, v30
	v_add3_u32 v8, v26, v27, 0x7fff
	global_store_short v[9:10], v1, off
	s_waitcnt vmcnt(5)
	v_lshlrev_b32_e32 v29, 16, v32
	s_waitcnt vmcnt(4)
	v_lshlrev_b32_e32 v30, 16, v33
	v_bfe_u32 v23, v28, 16, 1
	v_cndmask_b32_e32 v1, 0x7fc0, v7, vcc_lo
	v_lshrrev_b32_e32 v7, 16, v8
	v_cmp_o_f32_e32 vcc_lo, v26, v26
	v_fma_f32 v24, -v6, v29, v30
	s_waitcnt vmcnt(3)
	v_lshlrev_b32_e32 v25, 16, v34
	s_waitcnt vmcnt(2)
	v_lshlrev_b32_e32 v27, 16, v35
	;; [unrolled: 2-line block ×4, first 2 shown]
	v_add3_u32 v10, v28, v23, 0x7fff
	global_store_short v[11:12], v1, off
	v_fma_f32 v23, -v6, v25, v27
	v_bfe_u32 v25, v24, 16, 1
	v_fma_f32 v8, -v6, v8, v9
	v_cndmask_b32_e32 v1, 0x7fc0, v7, vcc_lo
	v_lshrrev_b32_e32 v9, 16, v10
	v_bfe_u32 v7, v23, 16, 1
	v_add3_u32 v11, v24, v25, 0x7fff
	v_cmp_o_f32_e32 vcc_lo, v28, v28
	v_bfe_u32 v10, v8, 16, 1
	v_add3_u32 v7, v23, v7, 0x7fff
	v_lshrrev_b32_e32 v11, 16, v11
	v_cndmask_b32_e32 v9, 0x7fc0, v9, vcc_lo
	v_cmp_o_f32_e32 vcc_lo, v24, v24
	v_add3_u32 v10, v8, v10, 0x7fff
	v_lshrrev_b32_e32 v7, 16, v7
	v_cndmask_b32_e32 v11, 0x7fc0, v11, vcc_lo
	v_cmp_o_f32_e32 vcc_lo, v23, v23
	v_lshrrev_b32_e32 v10, 16, v10
	v_cndmask_b32_e32 v7, 0x7fc0, v7, vcc_lo
	v_cmp_o_f32_e32 vcc_lo, v8, v8
	v_cndmask_b32_e32 v8, 0x7fc0, v10, vcc_lo
	global_store_short v[13:14], v1, off
	global_store_short v[15:16], v9, off
	;; [unrolled: 1-line block ×5, first 2 shown]
	s_andn2_b32 exec_lo, exec_lo, s31
	s_cbranch_execnz .LBB641_50
; %bb.51:
	s_or_b32 exec_lo, exec_lo, s31
.LBB641_52:
	s_or_b32 exec_lo, exec_lo, s30
	s_mov_b32 s28, exec_lo
	v_cmpx_gt_i64_e64 s[4:5], v[2:3]
	s_cbranch_execz .LBB641_55
; %bb.53:
	v_lshlrev_b64 v[4:5], 1, v[2:3]
	v_add_co_u32 v1, vcc_lo, s2, v4
	v_add_co_ci_u32_e64 v4, null, s3, v5, vcc_lo
	s_mov_b32 s2, 0
	s_lshl_b32 s3, s33, 1
	s_inst_prefetch 0x1
	.p2align	6
.LBB641_54:                             ; =>This Inner Loop Header: Depth=1
	v_add_co_u32 v7, vcc_lo, s10, v1
	v_add_co_ci_u32_e64 v8, null, s11, v4, vcc_lo
	v_add_co_u32 v9, vcc_lo, s12, v1
	v_add_co_ci_u32_e64 v10, null, s13, v4, vcc_lo
	global_load_ushort v5, v[7:8], off
	global_load_ushort v7, v[9:10], off
	v_add_co_u32 v2, vcc_lo, v2, s33
	v_add_co_ci_u32_e64 v3, null, 0, v3, vcc_lo
	v_cmp_le_i64_e64 s0, s[4:5], v[2:3]
	s_or_b32 s2, s0, s2
	s_waitcnt vmcnt(1)
	v_lshlrev_b32_e32 v5, 16, v5
	s_waitcnt vmcnt(0)
	v_lshlrev_b32_e32 v7, 16, v7
	s_waitcnt lgkmcnt(0)
	v_fma_f32 v5, -v6, v5, v7
	v_bfe_u32 v7, v5, 16, 1
	v_cmp_o_f32_e64 s1, v5, v5
	v_add3_u32 v9, v5, v7, 0x7fff
	v_add_co_u32 v7, vcc_lo, s8, v1
	v_add_co_ci_u32_e64 v8, null, s9, v4, vcc_lo
	v_lshrrev_b32_e32 v9, 16, v9
	v_add_co_u32 v1, vcc_lo, v1, s3
	v_add_co_ci_u32_e64 v4, null, 0, v4, vcc_lo
	v_cndmask_b32_e64 v5, 0x7fc0, v9, s1
	global_store_short v[7:8], v5, off
	s_andn2_b32 exec_lo, exec_lo, s2
	s_cbranch_execnz .LBB641_54
.LBB641_55:
	s_inst_prefetch 0x2
	s_or_b32 exec_lo, exec_lo, s28
	s_mov_b32 s0, 0
.LBB641_56:
	s_and_b32 vcc_lo, exec_lo, s0
	s_cbranch_vccz .LBB641_91
; %bb.57:
	s_lshl_b32 s0, s33, 3
	s_mov_b32 s10, 0
	v_cvt_f32_u32_e32 v1, s0
	s_sub_i32 s2, 0, s0
	s_mov_b32 s8, exec_lo
	v_rcp_iflag_f32_e32 v1, v1
	v_mul_f32_e32 v1, 0x4f7ffffe, v1
	v_cvt_u32_f32_e32 v1, v1
	v_readfirstlane_b32 s1, v1
	v_mov_b32_e32 v1, v0
	s_mul_i32 s2, s2, s1
	s_mul_hi_u32 s2, s1, s2
	s_add_i32 s1, s1, s2
	s_mul_hi_u32 s1, s14, s1
	s_mul_i32 s1, s1, s0
	s_sub_i32 s1, s14, s1
	s_sub_i32 s2, s1, s0
	s_cmp_ge_u32 s1, s0
	s_cselect_b32 s1, s2, s1
	s_sub_i32 s2, s1, s0
	s_cmp_ge_u32 s1, s0
	s_cselect_b32 s0, s2, s1
	s_sub_i32 s9, s14, s0
	v_cmpx_gt_i32_e64 s9, v0
	s_cbranch_execz .LBB641_61
; %bb.58:
	s_add_i32 s30, s33, s33
	v_mov_b32_e32 v2, 0
	v_mov_b32_e32 v3, 0x7fc0
	;; [unrolled: 1-line block ×3, first 2 shown]
	s_add_i32 s0, s30, s33
	s_lshl_b32 s11, s33, 1
	s_mul_i32 s12, s33, 3
	s_lshl_b32 s13, s33, 2
	s_mul_i32 s28, s33, 5
	s_mul_i32 s29, s33, 6
	;; [unrolled: 1-line block ×3, first 2 shown]
	s_add_i32 s34, s30, s0
.LBB641_59:                             ; =>This Inner Loop Header: Depth=1
	v_add_nc_u32_e32 v7, s33, v1
	v_mov_b32_e32 v8, v2
	v_lshlrev_b64 v[4:5], 1, v[1:2]
	v_add_nc_u32_e32 v9, s11, v1
	v_mov_b32_e32 v10, v2
	v_add_nc_u32_e32 v11, s12, v1
	v_lshlrev_b64 v[19:20], 1, v[7:8]
	v_mov_b32_e32 v12, v2
	v_add_co_u32 v23, vcc_lo, s24, v4
	v_lshlrev_b64 v[8:9], 1, v[9:10]
	v_add_co_ci_u32_e64 v24, null, s25, v5, vcc_lo
	v_add_co_u32 v25, vcc_lo, s16, v4
	v_add_co_ci_u32_e64 v26, null, s17, v5, vcc_lo
	v_add_co_u32 v27, vcc_lo, s24, v19
	v_add_nc_u32_e32 v13, s13, v1
	v_mov_b32_e32 v14, v2
	v_lshlrev_b64 v[10:11], 1, v[11:12]
	v_add_co_ci_u32_e64 v28, null, s25, v20, vcc_lo
	v_add_co_u32 v29, vcc_lo, s16, v19
	v_add_co_ci_u32_e64 v30, null, s17, v20, vcc_lo
	v_add_co_u32 v31, vcc_lo, s24, v8
	v_add_nc_u32_e32 v15, s28, v1
	v_mov_b32_e32 v16, v2
	;; [unrolled: 7-line block ×3, first 2 shown]
	v_lshlrev_b64 v[14:15], 1, v[15:16]
	v_add_co_ci_u32_e64 v36, null, s25, v11, vcc_lo
	v_add_co_u32 v37, vcc_lo, s16, v10
	v_add_co_ci_u32_e64 v38, null, s17, v11, vcc_lo
	v_add_co_u32 v39, vcc_lo, s24, v12
	v_add_nc_u32_e32 v1, s31, v1
	v_lshlrev_b64 v[16:17], 1, v[17:18]
	v_add_co_ci_u32_e64 v40, null, s25, v13, vcc_lo
	v_add_co_u32 v41, vcc_lo, s16, v12
	v_add_co_ci_u32_e64 v42, null, s17, v13, vcc_lo
	v_add_co_u32 v43, vcc_lo, s24, v14
	v_lshlrev_b64 v[21:22], 1, v[1:2]
	v_add_co_ci_u32_e64 v44, null, s25, v15, vcc_lo
	v_add_co_u32 v45, vcc_lo, s16, v14
	global_load_ushort v51, v[23:24], off
	global_load_ushort v52, v[25:26], off
	v_add_co_ci_u32_e64 v46, null, s17, v15, vcc_lo
	v_add_co_u32 v47, vcc_lo, s24, v16
	v_add_co_ci_u32_e64 v48, null, s25, v17, vcc_lo
	v_add_co_u32 v49, vcc_lo, s16, v16
	;; [unrolled: 2-line block ×4, first 2 shown]
	v_add_co_ci_u32_e64 v26, null, s17, v22, vcc_lo
	global_load_ushort v27, v[27:28], off
	global_load_ushort v28, v[29:30], off
	global_load_ushort v29, v[31:32], off
	global_load_ushort v30, v[33:34], off
	global_load_ushort v31, v[35:36], off
	global_load_ushort v32, v[37:38], off
	global_load_ushort v33, v[39:40], off
	global_load_ushort v34, v[41:42], off
	global_load_ushort v35, v[43:44], off
	global_load_ushort v36, v[45:46], off
	global_load_ushort v37, v[47:48], off
	global_load_ushort v38, v[49:50], off
	global_load_ushort v23, v[23:24], off
	global_load_ushort v24, v[25:26], off
	v_add_co_u32 v18, s0, s22, v19
	v_add3_u32 v1, s30, s34, v7
	v_add_co_ci_u32_e64 v19, null, s23, v20, s0
	v_add_co_u32 v7, s0, s22, v8
	v_add_co_ci_u32_e64 v8, null, s23, v9, s0
	v_add_co_u32 v9, s0, s22, v10
	;; [unrolled: 2-line block ×6, first 2 shown]
	v_add_co_ci_u32_e64 v21, null, s23, v22, s0
	v_add_co_u32 v4, vcc_lo, s22, v4
	v_add_co_ci_u32_e64 v5, null, s23, v5, vcc_lo
	v_cmp_le_i32_e32 vcc_lo, s9, v1
	s_or_b32 s10, vcc_lo, s10
	s_waitcnt vmcnt(15)
	v_lshlrev_b32_e32 v17, 16, v51
	s_waitcnt vmcnt(14)
	v_lshlrev_b32_e32 v22, 16, v52
	s_waitcnt lgkmcnt(0)
	v_fma_f32 v17, -v6, v17, v22
	s_waitcnt vmcnt(13)
	v_lshlrev_b32_e32 v22, 16, v27
	s_waitcnt vmcnt(12)
	v_lshlrev_b32_e32 v25, 16, v28
	;; [unrolled: 2-line block ×14, first 2 shown]
	v_bfe_u32 v36, v17, 16, 1
	v_fma_f32 v22, -v6, v22, v25
	v_fma_f32 v25, -v6, v26, v27
	;; [unrolled: 1-line block ×7, first 2 shown]
	v_add3_u32 v24, v17, v36, 0x7fff
	v_bfe_u32 v30, v22, 16, 1
	v_bfe_u32 v31, v25, 16, 1
	;; [unrolled: 1-line block ×6, first 2 shown]
	v_lshrrev_b32_e32 v24, 16, v24
	v_add3_u32 v30, v22, v30, 0x7fff
	v_cmp_o_f32_e64 s0, v17, v17
	v_add3_u32 v31, v25, v31, 0x7fff
	v_add3_u32 v32, v26, v32, 0x7fff
	v_add3_u32 v33, v27, v33, 0x7fff
	v_add3_u32 v34, v28, v34, 0x7fff
	v_bfe_u32 v36, v23, 16, 1
	v_add3_u32 v35, v29, v35, 0x7fff
	v_cndmask_b32_e64 v17, 0x7fc0, v24, s0
	v_lshrrev_b32_e32 v24, 16, v30
	v_cmp_o_f32_e64 s0, v22, v22
	v_lshrrev_b32_e32 v22, 16, v31
	v_cmp_o_f32_e64 s1, v25, v25
	;; [unrolled: 2-line block ×5, first 2 shown]
	v_cmp_o_f32_e32 vcc_lo, v23, v23
	v_add3_u32 v23, v23, v36, 0x7fff
	v_lshrrev_b32_e32 v28, 16, v35
	v_cmp_o_f32_e64 s5, v29, v29
	global_store_short v[4:5], v17, off
	v_cndmask_b32_e64 v4, 0x7fc0, v24, s0
	v_cndmask_b32_e64 v5, 0x7fc0, v22, s1
	v_cndmask_b32_e64 v17, 0x7fc0, v25, s2
	v_cndmask_b32_e64 v22, 0x7fc0, v26, s3
	v_cndmask_b32_e64 v24, 0x7fc0, v27, s4
	v_cndmask_b32_sdwa v23, v3, v23, vcc_lo dst_sel:DWORD dst_unused:UNUSED_PAD src0_sel:DWORD src1_sel:WORD_1
	v_cndmask_b32_e64 v25, 0x7fc0, v28, s5
	global_store_short v[18:19], v4, off
	global_store_short v[7:8], v5, off
	;; [unrolled: 1-line block ×7, first 2 shown]
	s_andn2_b32 exec_lo, exec_lo, s10
	s_cbranch_execnz .LBB641_59
; %bb.60:
	s_or_b32 exec_lo, exec_lo, s10
.LBB641_61:
	s_or_b32 exec_lo, exec_lo, s8
	s_mov_b32 s1, exec_lo
	v_cmpx_gt_i32_e64 s14, v1
	s_cbranch_execz .LBB641_64
; %bb.62:
	v_mov_b32_e32 v3, 0x7fc0
	s_mov_b32 s2, 0
	s_inst_prefetch 0x1
	.p2align	6
.LBB641_63:                             ; =>This Inner Loop Header: Depth=1
	v_ashrrev_i32_e32 v2, 31, v1
	v_lshlrev_b64 v[4:5], 1, v[1:2]
	v_add_nc_u32_e32 v1, s33, v1
	v_cmp_le_i32_e64 s0, s14, v1
	v_add_co_u32 v7, vcc_lo, s24, v4
	v_add_co_ci_u32_e64 v8, null, s25, v5, vcc_lo
	v_add_co_u32 v9, vcc_lo, s16, v4
	v_add_co_ci_u32_e64 v10, null, s17, v5, vcc_lo
	global_load_ushort v2, v[7:8], off
	global_load_ushort v7, v[9:10], off
	s_or_b32 s2, s0, s2
	s_waitcnt vmcnt(1)
	v_lshlrev_b32_e32 v2, 16, v2
	s_waitcnt vmcnt(0)
	v_lshlrev_b32_e32 v7, 16, v7
	s_waitcnt lgkmcnt(0)
	v_fma_f32 v2, -v6, v2, v7
	v_bfe_u32 v7, v2, 16, 1
	v_cmp_o_f32_e32 vcc_lo, v2, v2
	v_add3_u32 v2, v2, v7, 0x7fff
	v_cndmask_b32_sdwa v2, v3, v2, vcc_lo dst_sel:DWORD dst_unused:UNUSED_PAD src0_sel:DWORD src1_sel:WORD_1
	v_add_co_u32 v4, vcc_lo, s22, v4
	v_add_co_ci_u32_e64 v5, null, s23, v5, vcc_lo
	global_store_short v[4:5], v2, off
	s_andn2_b32 exec_lo, exec_lo, s2
	s_cbranch_execnz .LBB641_63
.LBB641_64:
	s_inst_prefetch 0x2
	s_or_b32 exec_lo, exec_lo, s1
	s_mov_b32 s0, 0
.LBB641_65:
	s_andn2_b32 vcc_lo, exec_lo, s0
	s_cbranch_vccnz .LBB641_92
.LBB641_66:
	s_cmp_lg_u64 s[26:27], 0
	s_mov_b32 s1, -1
	s_cselect_b32 s38, -1, 0
	s_and_b32 vcc_lo, exec_lo, s7
	v_cndmask_b32_e64 v1, 0, 1, s38
	v_cmp_ne_u32_e64 s0, 1, v1
	s_cbranch_vccz .LBB641_80
; %bb.67:
	v_mov_b32_e32 v1, 0
	s_and_b32 vcc_lo, exec_lo, s0
	s_mov_b64 s[8:9], s[22:23]
	s_mov_b64 s[10:11], s[24:25]
	;; [unrolled: 1-line block ×3, first 2 shown]
	s_cbranch_vccnz .LBB641_71
; %bb.68:
	s_lshl_b32 s2, s26, 1
	s_mov_b32 s7, exec_lo
	s_sub_u32 s0, s22, s2
	s_subb_u32 s1, s23, 0
	s_sub_u32 s4, s24, s2
	s_subb_u32 s5, s25, 0
	;; [unrolled: 2-line block ×3, first 2 shown]
	v_cmpx_le_u64_e64 s[26:27], v[0:1]
	s_cbranch_execz .LBB641_70
; %bb.69:
	v_lshlrev_b64 v[2:3], 1, v[0:1]
	v_add_co_u32 v4, vcc_lo, s4, v2
	v_add_co_ci_u32_e64 v5, null, s5, v3, vcc_lo
	v_add_co_u32 v7, vcc_lo, s2, v2
	v_add_co_ci_u32_e64 v8, null, s3, v3, vcc_lo
	global_load_ushort v4, v[4:5], off
	global_load_ushort v5, v[7:8], off
	v_mov_b32_e32 v7, 0x7fc0
	s_waitcnt vmcnt(1)
	v_lshlrev_b32_e32 v4, 16, v4
	s_waitcnt vmcnt(0)
	v_lshlrev_b32_e32 v5, 16, v5
	s_waitcnt lgkmcnt(0)
	v_fma_f32 v4, -v6, v4, v5
	v_bfe_u32 v5, v4, 16, 1
	v_cmp_o_f32_e32 vcc_lo, v4, v4
	v_add3_u32 v4, v4, v5, 0x7fff
	v_cndmask_b32_sdwa v4, v7, v4, vcc_lo dst_sel:DWORD dst_unused:UNUSED_PAD src0_sel:DWORD src1_sel:WORD_1
	v_add_co_u32 v2, vcc_lo, s0, v2
	v_add_co_ci_u32_e64 v3, null, s1, v3, vcc_lo
	global_store_short v[2:3], v4, off
.LBB641_70:
	s_or_b32 exec_lo, exec_lo, s7
	s_add_u32 s7, s26, s14
	s_addc_u32 s8, 0, s15
	s_sub_u32 s18, s7, s33
	s_subb_u32 s19, s8, 0
	s_lshl_b32 s7, s33, 1
	s_add_u32 s8, s0, s7
	s_addc_u32 s9, s1, 0
	s_add_u32 s10, s4, s7
	s_addc_u32 s11, s5, 0
	;; [unrolled: 2-line block ×3, first 2 shown]
.LBB641_71:
	s_load_dword s0, s[20:21], 0x0
	v_mov_b32_e32 v2, 0
	s_waitcnt lgkmcnt(0)
	s_cmp_lt_u32 s6, s0
	s_cselect_b32 s0, 12, 18
	s_add_u32 s0, s20, s0
	s_addc_u32 s1, s21, 0
	global_load_ushort v2, v2, s[0:1]
	s_mov_b32 s0, 0
	s_waitcnt vmcnt(0)
	v_readfirstlane_b32 s1, v2
	s_and_b32 s15, s1, 0xffff
	s_mov_b32 s1, s19
	s_lshl_b32 s4, s15, 3
	s_cmp_lg_u64 s[0:1], 0
	s_cbranch_scc0 .LBB641_93
; %bb.72:
	v_cvt_f32_u32_e32 v2, s4
	s_sub_u32 s3, 0, s4
	s_subb_u32 s5, 0, 0
	v_fmamk_f32 v2, 0, 0x4f800000, v2
	v_rcp_f32_e32 v2, v2
	v_mul_f32_e32 v2, 0x5f7ffffc, v2
	v_mul_f32_e32 v3, 0x2f800000, v2
	v_trunc_f32_e32 v3, v3
	v_fmamk_f32 v2, v3, 0xcf800000, v2
	v_cvt_u32_f32_e32 v3, v3
	v_cvt_u32_f32_e32 v2, v2
	v_readfirstlane_b32 s1, v3
	v_readfirstlane_b32 s2, v2
	s_mul_i32 s7, s3, s1
	s_mul_hi_u32 s28, s3, s2
	s_mul_i32 s27, s5, s2
	s_add_i32 s7, s28, s7
	s_mul_i32 s29, s3, s2
	s_add_i32 s7, s7, s27
	s_mul_hi_u32 s28, s2, s29
	s_mul_i32 s31, s2, s7
	s_mul_hi_u32 s30, s1, s29
	s_mul_i32 s27, s1, s29
	s_mul_hi_u32 s29, s2, s7
	s_add_u32 s28, s28, s31
	s_addc_u32 s29, 0, s29
	s_mul_hi_u32 s34, s1, s7
	s_add_u32 s27, s28, s27
	s_mul_i32 s7, s1, s7
	s_addc_u32 s27, s29, s30
	s_addc_u32 s28, s34, 0
	s_add_u32 s7, s27, s7
	s_addc_u32 s27, 0, s28
	s_add_u32 s2, s2, s7
	s_cselect_b32 s7, -1, 0
	s_mul_hi_u32 s28, s3, s2
	s_cmp_lg_u32 s7, 0
	s_mul_i32 s7, s3, s2
	s_addc_u32 s1, s1, s27
	s_mul_i32 s5, s5, s2
	s_mul_i32 s3, s3, s1
	s_mul_hi_u32 s27, s2, s7
	s_add_i32 s3, s28, s3
	s_mul_hi_u32 s28, s1, s7
	s_add_i32 s3, s3, s5
	s_mul_i32 s5, s1, s7
	s_mul_i32 s30, s2, s3
	s_mul_hi_u32 s29, s2, s3
	s_add_u32 s27, s27, s30
	s_addc_u32 s29, 0, s29
	s_mul_hi_u32 s7, s1, s3
	s_add_u32 s5, s27, s5
	s_mul_i32 s3, s1, s3
	s_addc_u32 s5, s29, s28
	s_addc_u32 s7, s7, 0
	s_add_u32 s3, s5, s3
	s_addc_u32 s5, 0, s7
	s_add_u32 s2, s2, s3
	s_cselect_b32 s3, -1, 0
	s_mul_hi_u32 s7, s18, s2
	s_cmp_lg_u32 s3, 0
	s_mul_hi_u32 s3, s19, s2
	s_addc_u32 s1, s1, s5
	s_mul_i32 s2, s19, s2
	s_mul_i32 s27, s18, s1
	s_mul_hi_u32 s5, s18, s1
	s_add_u32 s7, s7, s27
	s_addc_u32 s5, 0, s5
	s_mul_hi_u32 s28, s19, s1
	s_add_u32 s2, s7, s2
	s_mul_i32 s1, s19, s1
	s_addc_u32 s2, s5, s3
	s_addc_u32 s3, s28, 0
	s_add_u32 s1, s2, s1
	s_addc_u32 s2, 0, s3
	s_mul_hi_u32 s3, s4, s1
	s_mul_i32 s2, s4, s2
	s_mul_i32 s1, s4, s1
	s_add_i32 s3, s3, s2
	s_sub_u32 s1, s18, s1
	s_cselect_b32 s2, -1, 0
	s_cmp_lg_u32 s2, 0
	s_subb_u32 s2, s19, s3
	s_sub_u32 s3, s1, s4
	s_cselect_b32 s5, -1, 0
	s_cmp_lg_u32 s5, 0
	s_subb_u32 s5, s2, 0
	;; [unrolled: 4-line block ×3, first 2 shown]
	s_cmp_ge_u32 s3, s4
	s_cselect_b32 s28, -1, 0
	s_cmp_eq_u32 s5, 0
	s_cselect_b32 s28, s28, -1
	s_cmp_lg_u32 s28, 0
	s_cselect_b32 s5, s27, s5
	s_cselect_b32 s7, s7, s3
	s_cmp_ge_u32 s1, s4
	s_cselect_b32 s3, -1, 0
	s_cmp_eq_u32 s2, 0
	s_cselect_b32 s3, s3, -1
	s_cmp_lg_u32 s3, 0
	s_cselect_b32 s3, s5, s2
	s_cselect_b32 s2, s7, s1
	s_andn2_b32 vcc_lo, exec_lo, s0
	s_cbranch_vccnz .LBB641_74
.LBB641_73:
	v_cvt_f32_u32_e32 v2, s4
	s_sub_i32 s1, 0, s4
	s_mov_b32 s3, 0
	v_rcp_iflag_f32_e32 v2, v2
	v_mul_f32_e32 v2, 0x4f7ffffe, v2
	v_cvt_u32_f32_e32 v2, v2
	v_readfirstlane_b32 s0, v2
	s_mul_i32 s1, s1, s0
	s_mul_hi_u32 s1, s0, s1
	s_add_i32 s0, s0, s1
	s_mul_hi_u32 s0, s18, s0
	s_mul_i32 s0, s0, s4
	s_sub_i32 s0, s18, s0
	s_sub_i32 s1, s0, s4
	s_cmp_ge_u32 s0, s4
	s_cselect_b32 s0, s1, s0
	s_sub_i32 s1, s0, s4
	s_cmp_ge_u32 s0, s4
	s_cselect_b32 s2, s1, s0
.LBB641_74:
	v_lshlrev_b64 v[2:3], 4, v[0:1]
	v_mov_b32_e32 v5, v1
	v_mov_b32_e32 v7, 1
	;; [unrolled: 1-line block ×3, first 2 shown]
	s_sub_u32 s28, s18, s2
	s_subb_u32 s29, s19, s3
	s_lshl_b32 s39, s15, 4
	s_mov_b32 s27, 0
	s_mov_b64 s[30:31], s[12:13]
	s_mov_b64 s[34:35], s[10:11]
	;; [unrolled: 1-line block ×3, first 2 shown]
.LBB641_75:                             ; =>This Inner Loop Header: Depth=1
	v_add_co_u32 v8, vcc_lo, s34, v2
	v_add_co_ci_u32_e64 v9, null, s35, v3, vcc_lo
	v_add_co_u32 v12, vcc_lo, s30, v2
	v_add_co_ci_u32_e64 v13, null, s31, v3, vcc_lo
	global_load_dwordx4 v[8:11], v[8:9], off
	global_load_dwordx4 v[12:15], v[12:13], off
	v_add_co_u32 v16, vcc_lo, s36, v2
	v_add_co_ci_u32_e64 v17, null, s37, v3, vcc_lo
	v_add_co_u32 v4, vcc_lo, v4, s15
	v_add_co_ci_u32_e64 v5, null, 0, v5, vcc_lo
	s_add_u32 s36, s36, s39
	s_addc_u32 s37, s37, 0
	s_add_u32 s34, s34, s39
	v_lshlrev_b64 v[18:19], 3, v[4:5]
	s_addc_u32 s35, s35, 0
	s_add_u32 s30, s30, s39
	s_addc_u32 s31, s31, 0
	s_waitcnt vmcnt(1)
	v_and_b32_e32 v1, 0xffff0000, v8
	v_lshlrev_b32_e32 v8, 16, v8
	s_waitcnt vmcnt(0)
	v_and_b32_e32 v20, 0xffff0000, v12
	v_lshlrev_b32_e32 v12, 16, v12
	v_and_b32_e32 v21, 0xffff0000, v9
	v_lshlrev_b32_e32 v9, 16, v9
	;; [unrolled: 2-line block ×7, first 2 shown]
	v_fma_f32 v8, -v6, v8, v12
	v_fma_f32 v1, -v6, v1, v20
	;; [unrolled: 1-line block ×8, first 2 shown]
	v_and_b32_sdwa v15, v1, v7 dst_sel:DWORD dst_unused:UNUSED_PAD src0_sel:WORD_1 src1_sel:DWORD
	v_and_b32_sdwa v20, v8, v7 dst_sel:DWORD dst_unused:UNUSED_PAD src0_sel:WORD_1 src1_sel:DWORD
	;; [unrolled: 1-line block ×8, first 2 shown]
	v_add3_u32 v15, v1, v15, 0x7fff
	v_add3_u32 v20, v8, v20, 0x7fff
	;; [unrolled: 1-line block ×8, first 2 shown]
	v_lshrrev_b32_e32 v20, 16, v20
	v_lshrrev_b32_e32 v15, 16, v15
	v_cmp_o_f32_e32 vcc_lo, v1, v1
	v_lshrrev_b32_e32 v1, 16, v22
	v_lshrrev_b32_e32 v21, 16, v21
	v_cmp_o_f32_e64 s0, v9, v9
	v_cmp_o_f32_e64 s1, v12, v12
	v_lshrrev_b32_e32 v9, 16, v24
	v_lshrrev_b32_e32 v12, 16, v23
	v_cmp_o_f32_e64 s2, v10, v10
	v_cmp_o_f32_e64 s3, v13, v13
	;; [unrolled: 4-line block ×3, first 2 shown]
	v_cmp_o_f32_e64 s7, v8, v8
	v_cndmask_b32_e64 v1, 0x7fc0, v1, s0
	v_cndmask_b32_e64 v9, 0x7fc0, v9, s2
	;; [unrolled: 1-line block ×7, first 2 shown]
	v_cndmask_b32_e32 v14, 0x7fc0, v15, vcc_lo
	v_cmp_le_i64_e32 vcc_lo, s[28:29], v[18:19]
	v_perm_b32 v11, v11, v10, 0x5040100
	v_perm_b32 v10, v12, v9, 0x5040100
	v_perm_b32 v9, v13, v1, 0x5040100
	v_perm_b32 v8, v14, v8, 0x5040100
	s_or_b32 s27, vcc_lo, s27
	global_store_dwordx4 v[16:17], v[8:11], off
	s_andn2_b32 exec_lo, exec_lo, s27
	s_cbranch_execnz .LBB641_75
; %bb.76:
	s_or_b32 exec_lo, exec_lo, s27
	v_add_co_u32 v1, s0, s28, v0
	v_add_co_ci_u32_e64 v2, null, s29, 0, s0
	s_mov_b32 s1, exec_lo
	v_cmpx_gt_u64_e64 s[18:19], v[1:2]
	s_cbranch_execz .LBB641_79
; %bb.77:
	s_mov_b32 s2, 0
	s_inst_prefetch 0x1
	.p2align	6
.LBB641_78:                             ; =>This Inner Loop Header: Depth=1
	v_lshlrev_b64 v[3:4], 1, v[1:2]
	v_add_co_u32 v7, vcc_lo, s10, v3
	v_add_co_ci_u32_e64 v8, null, s11, v4, vcc_lo
	v_add_co_u32 v9, vcc_lo, s12, v3
	v_add_co_ci_u32_e64 v10, null, s13, v4, vcc_lo
	global_load_ushort v5, v[7:8], off
	global_load_ushort v7, v[9:10], off
	v_add_co_u32 v1, vcc_lo, v1, s15
	v_add_co_ci_u32_e64 v2, null, 0, v2, vcc_lo
	v_add_co_u32 v3, s0, s8, v3
	v_add_co_ci_u32_e64 v4, null, s9, v4, s0
	v_cmp_le_i64_e32 vcc_lo, s[18:19], v[1:2]
	s_or_b32 s2, vcc_lo, s2
	s_waitcnt vmcnt(1)
	v_lshlrev_b32_e32 v5, 16, v5
	s_waitcnt vmcnt(0)
	v_lshlrev_b32_e32 v7, 16, v7
	v_fma_f32 v5, -v6, v5, v7
	v_bfe_u32 v7, v5, 16, 1
	v_cmp_o_f32_e64 s0, v5, v5
	v_add3_u32 v7, v5, v7, 0x7fff
	v_lshrrev_b32_e32 v7, 16, v7
	v_cndmask_b32_e64 v5, 0x7fc0, v7, s0
	global_store_short v[3:4], v5, off
	s_andn2_b32 exec_lo, exec_lo, s2
	s_cbranch_execnz .LBB641_78
.LBB641_79:
	s_inst_prefetch 0x2
	s_or_b32 exec_lo, exec_lo, s1
	s_mov_b32 s1, 0
.LBB641_80:
	s_and_b32 vcc_lo, exec_lo, s1
	s_cbranch_vccz .LBB641_92
; %bb.81:
	s_andn2_b32 vcc_lo, exec_lo, s38
	s_cbranch_vccnz .LBB641_85
; %bb.82:
	s_lshl_b32 s1, s26, 1
	s_mov_b32 s7, exec_lo
	s_sub_u32 s3, s22, s1
	s_subb_u32 s4, s23, 0
	s_sub_u32 s0, s24, s1
	s_subb_u32 s5, s25, 0
	;; [unrolled: 2-line block ×3, first 2 shown]
	v_cmpx_le_u32_e64 s26, v0
	s_cbranch_execz .LBB641_84
; %bb.83:
	v_mov_b32_e32 v1, 0
	v_mov_b32_e32 v5, 0x7fc0
	v_lshlrev_b64 v[1:2], 1, v[0:1]
	v_add_co_u32 v3, vcc_lo, s0, v1
	v_add_co_ci_u32_e64 v4, null, s5, v2, vcc_lo
	v_add_co_u32 v7, vcc_lo, s1, v1
	v_add_co_ci_u32_e64 v8, null, s2, v2, vcc_lo
	global_load_ushort v3, v[3:4], off
	global_load_ushort v4, v[7:8], off
	s_waitcnt vmcnt(1)
	v_lshlrev_b32_e32 v3, 16, v3
	s_waitcnt vmcnt(0)
	v_lshlrev_b32_e32 v4, 16, v4
	s_waitcnt lgkmcnt(0)
	v_fma_f32 v3, -v6, v3, v4
	v_bfe_u32 v4, v3, 16, 1
	v_cmp_o_f32_e32 vcc_lo, v3, v3
	v_add3_u32 v3, v3, v4, 0x7fff
	v_cndmask_b32_sdwa v3, v5, v3, vcc_lo dst_sel:DWORD dst_unused:UNUSED_PAD src0_sel:DWORD src1_sel:WORD_1
	v_add_co_u32 v1, vcc_lo, s3, v1
	v_add_co_ci_u32_e64 v2, null, s4, v2, vcc_lo
	global_store_short v[1:2], v3, off
.LBB641_84:
	s_or_b32 exec_lo, exec_lo, s7
	s_add_i32 s7, s26, s14
	v_sub_nc_u32_e64 v1, s7, s33 clamp
	s_lshl_b32 s7, s33, 1
	s_add_u32 s22, s3, s7
	s_addc_u32 s23, s4, 0
	v_readfirstlane_b32 s14, v1
	s_add_u32 s24, s0, s7
	s_addc_u32 s25, s5, 0
	s_add_u32 s16, s1, s7
	s_addc_u32 s17, s2, 0
.LBB641_85:
	s_load_dword s0, s[20:21], 0x0
	v_mov_b32_e32 v1, 0
	s_waitcnt lgkmcnt(0)
	s_cmp_lt_u32 s6, s0
	s_cselect_b32 s0, 12, 18
	s_add_u32 s0, s20, s0
	s_addc_u32 s1, s21, 0
	global_load_ushort v3, v1, s[0:1]
	s_waitcnt vmcnt(0)
	v_readfirstlane_b32 s0, v3
	s_lshl_b32 s0, s0, 3
	v_cvt_f32_u32_e32 v1, s0
	s_sub_i32 s2, 0, s0
	v_rcp_iflag_f32_e32 v1, v1
	v_mul_f32_e32 v1, 0x4f7ffffe, v1
	v_cvt_u32_f32_e32 v1, v1
	v_readfirstlane_b32 s1, v1
	v_lshlrev_b32_e32 v1, 3, v0
	s_mul_i32 s2, s2, s1
	s_mul_hi_u32 s2, s1, s2
	s_add_i32 s1, s1, s2
	s_mul_hi_u32 s1, s14, s1
	s_mul_i32 s1, s1, s0
	s_sub_i32 s1, s14, s1
	s_sub_i32 s2, s1, s0
	s_cmp_ge_u32 s1, s0
	s_cselect_b32 s1, s2, s1
	s_sub_i32 s2, s1, s0
	s_cmp_ge_u32 s1, s0
	s_cselect_b32 s0, s2, s1
	s_mov_b32 s2, 0
	s_sub_i32 s0, s14, s0
	s_mov_b32 s1, exec_lo
	v_cmpx_gt_i32_e64 s0, v1
	s_cbranch_execz .LBB641_88
; %bb.86:
	v_mov_b32_e32 v4, 1
	v_mov_b32_e32 v1, v0
.LBB641_87:                             ; =>This Inner Loop Header: Depth=1
	v_ashrrev_i32_e32 v2, 31, v1
	v_lshlrev_b64 v[15:16], 4, v[1:2]
	v_add_nc_u32_e32 v1, v1, v3
	v_lshlrev_b32_e32 v2, 3, v1
	v_add_co_u32 v7, vcc_lo, s24, v15
	v_add_co_ci_u32_e64 v8, null, s25, v16, vcc_lo
	v_add_co_u32 v11, vcc_lo, s16, v15
	v_add_co_ci_u32_e64 v12, null, s17, v16, vcc_lo
	global_load_dwordx4 v[7:10], v[7:8], off
	global_load_dwordx4 v[11:14], v[11:12], off
	v_add_co_u32 v15, vcc_lo, s22, v15
	v_add_co_ci_u32_e64 v16, null, s23, v16, vcc_lo
	s_waitcnt vmcnt(1)
	v_and_b32_e32 v5, 0xffff0000, v7
	v_lshlrev_b32_e32 v7, 16, v7
	s_waitcnt vmcnt(0)
	v_and_b32_e32 v17, 0xffff0000, v11
	v_lshlrev_b32_e32 v11, 16, v11
	v_and_b32_e32 v18, 0xffff0000, v8
	v_lshlrev_b32_e32 v8, 16, v8
	;; [unrolled: 2-line block ×3, first 2 shown]
	v_fma_f32 v7, -v6, v7, v11
	v_fma_f32 v5, -v6, v5, v17
	v_and_b32_e32 v20, 0xffff0000, v9
	v_lshlrev_b32_e32 v9, 16, v9
	v_fma_f32 v8, -v6, v8, v12
	v_and_b32_sdwa v17, v7, v4 dst_sel:DWORD dst_unused:UNUSED_PAD src0_sel:WORD_1 src1_sel:DWORD
	v_and_b32_e32 v21, 0xffff0000, v13
	v_lshlrev_b32_e32 v13, 16, v13
	v_fma_f32 v11, -v6, v18, v19
	v_and_b32_sdwa v19, v8, v4 dst_sel:DWORD dst_unused:UNUSED_PAD src0_sel:WORD_1 src1_sel:DWORD
	v_add3_u32 v17, v7, v17, 0x7fff
	v_and_b32_e32 v22, 0xffff0000, v10
	v_lshlrev_b32_e32 v10, 16, v10
	v_and_b32_e32 v23, 0xffff0000, v14
	v_lshlrev_b32_e32 v14, 16, v14
	v_fma_f32 v9, -v6, v9, v13
	v_and_b32_sdwa v18, v11, v4 dst_sel:DWORD dst_unused:UNUSED_PAD src0_sel:WORD_1 src1_sel:DWORD
	v_add3_u32 v19, v8, v19, 0x7fff
	v_lshrrev_b32_e32 v17, 16, v17
	v_cmp_o_f32_e32 vcc_lo, v7, v7
	v_fma_f32 v12, -v6, v20, v21
	v_fma_f32 v10, -v6, v10, v14
	v_and_b32_sdwa v21, v9, v4 dst_sel:DWORD dst_unused:UNUSED_PAD src0_sel:WORD_1 src1_sel:DWORD
	v_add3_u32 v18, v11, v18, 0x7fff
	v_lshrrev_b32_e32 v19, 16, v19
	v_cndmask_b32_e32 v7, 0x7fc0, v17, vcc_lo
	v_cmp_o_f32_e32 vcc_lo, v8, v8
	v_fma_f32 v13, -v6, v22, v23
	v_and_b32_sdwa v23, v10, v4 dst_sel:DWORD dst_unused:UNUSED_PAD src0_sel:WORD_1 src1_sel:DWORD
	v_add3_u32 v21, v9, v21, 0x7fff
	v_lshrrev_b32_e32 v18, 16, v18
	v_cndmask_b32_e32 v8, 0x7fc0, v19, vcc_lo
	v_cmp_o_f32_e32 vcc_lo, v11, v11
	v_and_b32_sdwa v22, v13, v4 dst_sel:DWORD dst_unused:UNUSED_PAD src0_sel:WORD_1 src1_sel:DWORD
	v_add3_u32 v23, v10, v23, 0x7fff
	v_lshrrev_b32_e32 v21, 16, v21
	v_and_b32_sdwa v20, v12, v4 dst_sel:DWORD dst_unused:UNUSED_PAD src0_sel:WORD_1 src1_sel:DWORD
	v_cndmask_b32_e32 v11, 0x7fc0, v18, vcc_lo
	v_cmp_o_f32_e32 vcc_lo, v9, v9
	v_add3_u32 v22, v13, v22, 0x7fff
	v_lshrrev_b32_e32 v23, 16, v23
	v_and_b32_sdwa v14, v5, v4 dst_sel:DWORD dst_unused:UNUSED_PAD src0_sel:WORD_1 src1_sel:DWORD
	v_add3_u32 v20, v12, v20, 0x7fff
	v_cndmask_b32_e32 v9, 0x7fc0, v21, vcc_lo
	v_cmp_o_f32_e32 vcc_lo, v10, v10
	v_lshrrev_b32_e32 v22, 16, v22
	v_add3_u32 v14, v5, v14, 0x7fff
	v_lshrrev_b32_e32 v20, 16, v20
	v_perm_b32 v8, v11, v8, 0x5040100
	v_cndmask_b32_e32 v10, 0x7fc0, v23, vcc_lo
	v_cmp_o_f32_e32 vcc_lo, v13, v13
	v_lshrrev_b32_e32 v14, 16, v14
	v_cndmask_b32_e32 v13, 0x7fc0, v22, vcc_lo
	v_cmp_o_f32_e32 vcc_lo, v12, v12
	v_perm_b32 v10, v13, v10, 0x5040100
	v_cndmask_b32_e32 v12, 0x7fc0, v20, vcc_lo
	v_cmp_o_f32_e32 vcc_lo, v5, v5
	v_perm_b32 v9, v12, v9, 0x5040100
	v_cndmask_b32_e32 v5, 0x7fc0, v14, vcc_lo
	v_cmp_le_i32_e32 vcc_lo, s0, v2
	v_perm_b32 v7, v5, v7, 0x5040100
	s_or_b32 s2, vcc_lo, s2
	global_store_dwordx4 v[15:16], v[7:10], off
	s_andn2_b32 exec_lo, exec_lo, s2
	s_cbranch_execnz .LBB641_87
.LBB641_88:
	s_or_b32 exec_lo, exec_lo, s1
	v_add_nc_u32_e32 v0, s0, v0
	s_mov_b32 s0, exec_lo
	v_cmpx_gt_i32_e64 s14, v0
	s_cbranch_execz .LBB641_92
; %bb.89:
	v_mov_b32_e32 v2, 0x7fc0
	s_mov_b32 s1, 0
	s_inst_prefetch 0x1
	.p2align	6
.LBB641_90:                             ; =>This Inner Loop Header: Depth=1
	v_ashrrev_i32_e32 v1, 31, v0
	v_lshlrev_b64 v[4:5], 1, v[0:1]
	v_add_nc_u32_e32 v0, v0, v3
	v_cmp_le_i32_e64 s0, s14, v0
	v_add_co_u32 v7, vcc_lo, s24, v4
	v_add_co_ci_u32_e64 v8, null, s25, v5, vcc_lo
	v_add_co_u32 v9, vcc_lo, s16, v4
	v_add_co_ci_u32_e64 v10, null, s17, v5, vcc_lo
	global_load_ushort v1, v[7:8], off
	global_load_ushort v7, v[9:10], off
	s_or_b32 s1, s0, s1
	s_waitcnt vmcnt(1)
	v_lshlrev_b32_e32 v1, 16, v1
	s_waitcnt vmcnt(0)
	v_lshlrev_b32_e32 v7, 16, v7
	v_fma_f32 v1, -v6, v1, v7
	v_bfe_u32 v7, v1, 16, 1
	v_cmp_o_f32_e32 vcc_lo, v1, v1
	v_add3_u32 v1, v1, v7, 0x7fff
	v_cndmask_b32_sdwa v1, v2, v1, vcc_lo dst_sel:DWORD dst_unused:UNUSED_PAD src0_sel:DWORD src1_sel:WORD_1
	v_add_co_u32 v4, vcc_lo, s22, v4
	v_add_co_ci_u32_e64 v5, null, s23, v5, vcc_lo
	global_store_short v[4:5], v1, off
	s_andn2_b32 exec_lo, exec_lo, s1
	s_cbranch_execnz .LBB641_90
	s_branch .LBB641_92
.LBB641_91:
	s_cbranch_execz .LBB641_66
.LBB641_92:
	s_inst_prefetch 0x2
	s_endpgm
.LBB641_93:
                                        ; implicit-def: $sgpr2_sgpr3
	s_branch .LBB641_73
	.section	.rodata,"a",@progbits
	.p2align	6, 0x0
	.amdhsa_kernel _ZN2at6native12_GLOBAL__N_120cunn_SoftMaxBackwardILi8EN3c108BFloat16EfS4_NS1_23SoftMaxBackwardEpilogueEEEvPT0_PKT2_SA_l
		.amdhsa_group_segment_fixed_size 0
		.amdhsa_private_segment_fixed_size 0
		.amdhsa_kernarg_size 288
		.amdhsa_user_sgpr_count 6
		.amdhsa_user_sgpr_private_segment_buffer 1
		.amdhsa_user_sgpr_dispatch_ptr 0
		.amdhsa_user_sgpr_queue_ptr 0
		.amdhsa_user_sgpr_kernarg_segment_ptr 1
		.amdhsa_user_sgpr_dispatch_id 0
		.amdhsa_user_sgpr_flat_scratch_init 0
		.amdhsa_user_sgpr_private_segment_size 0
		.amdhsa_wavefront_size32 1
		.amdhsa_uses_dynamic_stack 0
		.amdhsa_system_sgpr_private_segment_wavefront_offset 0
		.amdhsa_system_sgpr_workgroup_id_x 1
		.amdhsa_system_sgpr_workgroup_id_y 0
		.amdhsa_system_sgpr_workgroup_id_z 0
		.amdhsa_system_sgpr_workgroup_info 0
		.amdhsa_system_vgpr_workitem_id 0
		.amdhsa_next_free_vgpr 53
		.amdhsa_next_free_sgpr 40
		.amdhsa_reserve_vcc 1
		.amdhsa_reserve_flat_scratch 0
		.amdhsa_float_round_mode_32 0
		.amdhsa_float_round_mode_16_64 0
		.amdhsa_float_denorm_mode_32 3
		.amdhsa_float_denorm_mode_16_64 3
		.amdhsa_dx10_clamp 1
		.amdhsa_ieee_mode 1
		.amdhsa_fp16_overflow 0
		.amdhsa_workgroup_processor_mode 1
		.amdhsa_memory_ordered 1
		.amdhsa_forward_progress 1
		.amdhsa_shared_vgpr_count 0
		.amdhsa_exception_fp_ieee_invalid_op 0
		.amdhsa_exception_fp_denorm_src 0
		.amdhsa_exception_fp_ieee_div_zero 0
		.amdhsa_exception_fp_ieee_overflow 0
		.amdhsa_exception_fp_ieee_underflow 0
		.amdhsa_exception_fp_ieee_inexact 0
		.amdhsa_exception_int_div_zero 0
	.end_amdhsa_kernel
	.section	.text._ZN2at6native12_GLOBAL__N_120cunn_SoftMaxBackwardILi8EN3c108BFloat16EfS4_NS1_23SoftMaxBackwardEpilogueEEEvPT0_PKT2_SA_l,"axG",@progbits,_ZN2at6native12_GLOBAL__N_120cunn_SoftMaxBackwardILi8EN3c108BFloat16EfS4_NS1_23SoftMaxBackwardEpilogueEEEvPT0_PKT2_SA_l,comdat
.Lfunc_end641:
	.size	_ZN2at6native12_GLOBAL__N_120cunn_SoftMaxBackwardILi8EN3c108BFloat16EfS4_NS1_23SoftMaxBackwardEpilogueEEEvPT0_PKT2_SA_l, .Lfunc_end641-_ZN2at6native12_GLOBAL__N_120cunn_SoftMaxBackwardILi8EN3c108BFloat16EfS4_NS1_23SoftMaxBackwardEpilogueEEEvPT0_PKT2_SA_l
                                        ; -- End function
	.set _ZN2at6native12_GLOBAL__N_120cunn_SoftMaxBackwardILi8EN3c108BFloat16EfS4_NS1_23SoftMaxBackwardEpilogueEEEvPT0_PKT2_SA_l.num_vgpr, 53
	.set _ZN2at6native12_GLOBAL__N_120cunn_SoftMaxBackwardILi8EN3c108BFloat16EfS4_NS1_23SoftMaxBackwardEpilogueEEEvPT0_PKT2_SA_l.num_agpr, 0
	.set _ZN2at6native12_GLOBAL__N_120cunn_SoftMaxBackwardILi8EN3c108BFloat16EfS4_NS1_23SoftMaxBackwardEpilogueEEEvPT0_PKT2_SA_l.numbered_sgpr, 40
	.set _ZN2at6native12_GLOBAL__N_120cunn_SoftMaxBackwardILi8EN3c108BFloat16EfS4_NS1_23SoftMaxBackwardEpilogueEEEvPT0_PKT2_SA_l.num_named_barrier, 0
	.set _ZN2at6native12_GLOBAL__N_120cunn_SoftMaxBackwardILi8EN3c108BFloat16EfS4_NS1_23SoftMaxBackwardEpilogueEEEvPT0_PKT2_SA_l.private_seg_size, 0
	.set _ZN2at6native12_GLOBAL__N_120cunn_SoftMaxBackwardILi8EN3c108BFloat16EfS4_NS1_23SoftMaxBackwardEpilogueEEEvPT0_PKT2_SA_l.uses_vcc, 1
	.set _ZN2at6native12_GLOBAL__N_120cunn_SoftMaxBackwardILi8EN3c108BFloat16EfS4_NS1_23SoftMaxBackwardEpilogueEEEvPT0_PKT2_SA_l.uses_flat_scratch, 0
	.set _ZN2at6native12_GLOBAL__N_120cunn_SoftMaxBackwardILi8EN3c108BFloat16EfS4_NS1_23SoftMaxBackwardEpilogueEEEvPT0_PKT2_SA_l.has_dyn_sized_stack, 0
	.set _ZN2at6native12_GLOBAL__N_120cunn_SoftMaxBackwardILi8EN3c108BFloat16EfS4_NS1_23SoftMaxBackwardEpilogueEEEvPT0_PKT2_SA_l.has_recursion, 0
	.set _ZN2at6native12_GLOBAL__N_120cunn_SoftMaxBackwardILi8EN3c108BFloat16EfS4_NS1_23SoftMaxBackwardEpilogueEEEvPT0_PKT2_SA_l.has_indirect_call, 0
	.section	.AMDGPU.csdata,"",@progbits
; Kernel info:
; codeLenInByte = 9208
; TotalNumSgprs: 42
; NumVgprs: 53
; ScratchSize: 0
; MemoryBound: 0
; FloatMode: 240
; IeeeMode: 1
; LDSByteSize: 0 bytes/workgroup (compile time only)
; SGPRBlocks: 0
; VGPRBlocks: 6
; NumSGPRsForWavesPerEU: 42
; NumVGPRsForWavesPerEU: 53
; Occupancy: 16
; WaveLimiterHint : 0
; COMPUTE_PGM_RSRC2:SCRATCH_EN: 0
; COMPUTE_PGM_RSRC2:USER_SGPR: 6
; COMPUTE_PGM_RSRC2:TRAP_HANDLER: 0
; COMPUTE_PGM_RSRC2:TGID_X_EN: 1
; COMPUTE_PGM_RSRC2:TGID_Y_EN: 0
; COMPUTE_PGM_RSRC2:TGID_Z_EN: 0
; COMPUTE_PGM_RSRC2:TIDIG_COMP_CNT: 0
	.section	.text._ZN12_GLOBAL__N_121softmax_warp_backwardIfN3c108BFloat16EfLi0ELb0ELb0ELi64EEEvPT0_PKT_S7_iiiPKb,"axG",@progbits,_ZN12_GLOBAL__N_121softmax_warp_backwardIfN3c108BFloat16EfLi0ELb0ELb0ELi64EEEvPT0_PKT_S7_iiiPKb,comdat
	.globl	_ZN12_GLOBAL__N_121softmax_warp_backwardIfN3c108BFloat16EfLi0ELb0ELb0ELi64EEEvPT0_PKT_S7_iiiPKb ; -- Begin function _ZN12_GLOBAL__N_121softmax_warp_backwardIfN3c108BFloat16EfLi0ELb0ELb0ELi64EEEvPT0_PKT_S7_iiiPKb
	.p2align	8
	.type	_ZN12_GLOBAL__N_121softmax_warp_backwardIfN3c108BFloat16EfLi0ELb0ELb0ELi64EEEvPT0_PKT_S7_iiiPKb,@function
_ZN12_GLOBAL__N_121softmax_warp_backwardIfN3c108BFloat16EfLi0ELb0ELb0ELi64EEEvPT0_PKT_S7_iiiPKb: ; @_ZN12_GLOBAL__N_121softmax_warp_backwardIfN3c108BFloat16EfLi0ELb0ELb0ELi64EEEvPT0_PKT_S7_iiiPKb
; %bb.0:
	s_clause 0x3
	s_load_dword s7, s[4:5], 0x3c
	s_load_dwordx4 s[0:3], s[4:5], 0x18
	s_load_dwordx4 s[8:11], s[4:5], 0x0
	s_load_dwordx2 s[4:5], s[4:5], 0x10
	v_mov_b32_e32 v7, 0
	v_mov_b32_e32 v8, 0
	s_waitcnt lgkmcnt(0)
	s_lshr_b32 s3, s7, 16
	s_and_b32 s3, s3, 0xffff
	s_cmp_gt_i32 s2, 0
	s_mul_i32 s6, s6, s3
	v_add_lshl_u32 v2, s6, v1, 1
	v_mul_lo_u32 v0, v2, s1
	v_sub_nc_u32_e32 v6, s0, v2
	s_cselect_b32 s1, -1, 0
	v_cmp_lt_i32_e32 vcc_lo, 0, v6
	v_ashrrev_i32_e32 v1, 31, v0
	s_and_b32 s3, s1, vcc_lo
	v_lshlrev_b64 v[2:3], 2, v[0:1]
	v_add_co_u32 v4, s0, s10, v2
	v_add_co_ci_u32_e64 v5, null, s11, v3, s0
	v_add_co_u32 v2, s0, s4, v2
	v_add_co_ci_u32_e64 v3, null, s5, v3, s0
	s_and_saveexec_b32 s0, s3
	s_cbranch_execz .LBB642_2
; %bb.1:
	global_load_dword v8, v[4:5], off
	global_load_dword v7, v[2:3], off
.LBB642_2:
	s_or_b32 exec_lo, exec_lo, s0
	v_cmp_gt_i32_e64 s0, 2, v6
	s_xor_b32 s3, s1, -1
	s_or_b32 s0, s3, s0
	s_and_saveexec_b32 s3, s0
	s_xor_b32 s0, exec_lo, s3
                                        ; implicit-def: $vgpr9
	s_cbranch_execnz .LBB642_6
; %bb.3:
	s_or_saveexec_b32 s4, s0
	v_mov_b32_e32 v10, 0
	s_xor_b32 exec_lo, exec_lo, s4
	s_cbranch_execnz .LBB642_7
.LBB642_4:
	s_or_b32 exec_lo, exec_lo, s4
	s_and_saveexec_b32 s0, vcc_lo
	s_cbranch_execnz .LBB642_8
.LBB642_5:
	s_endpgm
.LBB642_6:
	v_mov_b32_e32 v9, 0
                                        ; implicit-def: $vgpr2
                                        ; implicit-def: $vgpr4
	s_or_saveexec_b32 s4, s0
	v_mov_b32_e32 v10, 0
	s_xor_b32 exec_lo, exec_lo, s4
	s_cbranch_execz .LBB642_4
.LBB642_7:
	s_mov_b32 s3, 0
	s_lshl_b64 s[6:7], s[2:3], 2
	v_add_co_u32 v4, s0, v4, s6
	v_add_co_ci_u32_e64 v5, null, s7, v5, s0
	v_add_co_u32 v2, s0, v2, s6
	v_add_co_ci_u32_e64 v3, null, s7, v3, s0
	global_load_dword v9, v[4:5], off
	global_load_dword v10, v[2:3], off
	s_or_b32 exec_lo, exec_lo, s4
	s_and_saveexec_b32 s0, vcc_lo
	s_cbranch_execz .LBB642_5
.LBB642_8:
	v_lshlrev_b64 v[0:1], 1, v[0:1]
	v_add_co_u32 v0, vcc_lo, s8, v0
	v_add_co_ci_u32_e64 v1, null, s9, v1, vcc_lo
	s_andn2_b32 vcc_lo, exec_lo, s1
	s_cbranch_vccnz .LBB642_10
; %bb.9:
	s_waitcnt vmcnt(1)
	v_add_f32_e32 v2, 0, v8
	s_waitcnt vmcnt(0)
	v_fma_f32 v2, -v7, v2, v8
	v_bfe_u32 v3, v2, 16, 1
	v_cmp_o_f32_e32 vcc_lo, v2, v2
	v_add3_u32 v2, v2, v3, 0x7fff
	v_mov_b32_e32 v3, 0x7fc0
	v_cndmask_b32_sdwa v2, v3, v2, vcc_lo dst_sel:DWORD dst_unused:UNUSED_PAD src0_sel:DWORD src1_sel:WORD_1
	global_store_short v[0:1], v2, off
.LBB642_10:
	v_cmp_ne_u32_e32 vcc_lo, 1, v6
	s_and_b32 s0, vcc_lo, s1
	s_and_b32 exec_lo, exec_lo, s0
	s_cbranch_execz .LBB642_5
; %bb.11:
	s_waitcnt vmcnt(1)
	v_add_f32_e32 v2, 0, v9
	s_mov_b32 s3, 0
	v_mov_b32_e32 v4, 0x7fc0
	s_lshl_b64 s[0:1], s[2:3], 1
	v_add_co_u32 v0, s0, v0, s0
	s_waitcnt vmcnt(0)
	v_fma_f32 v2, -v10, v2, v9
	v_add_co_ci_u32_e64 v1, null, s1, v1, s0
	v_bfe_u32 v3, v2, 16, 1
	v_cmp_o_f32_e32 vcc_lo, v2, v2
	v_add3_u32 v2, v2, v3, 0x7fff
	v_cndmask_b32_sdwa v2, v4, v2, vcc_lo dst_sel:DWORD dst_unused:UNUSED_PAD src0_sel:DWORD src1_sel:WORD_1
	global_store_short v[0:1], v2, off
	s_endpgm
	.section	.rodata,"a",@progbits
	.p2align	6, 0x0
	.amdhsa_kernel _ZN12_GLOBAL__N_121softmax_warp_backwardIfN3c108BFloat16EfLi0ELb0ELb0ELi64EEEvPT0_PKT_S7_iiiPKb
		.amdhsa_group_segment_fixed_size 0
		.amdhsa_private_segment_fixed_size 0
		.amdhsa_kernarg_size 304
		.amdhsa_user_sgpr_count 6
		.amdhsa_user_sgpr_private_segment_buffer 1
		.amdhsa_user_sgpr_dispatch_ptr 0
		.amdhsa_user_sgpr_queue_ptr 0
		.amdhsa_user_sgpr_kernarg_segment_ptr 1
		.amdhsa_user_sgpr_dispatch_id 0
		.amdhsa_user_sgpr_flat_scratch_init 0
		.amdhsa_user_sgpr_private_segment_size 0
		.amdhsa_wavefront_size32 1
		.amdhsa_uses_dynamic_stack 0
		.amdhsa_system_sgpr_private_segment_wavefront_offset 0
		.amdhsa_system_sgpr_workgroup_id_x 1
		.amdhsa_system_sgpr_workgroup_id_y 0
		.amdhsa_system_sgpr_workgroup_id_z 0
		.amdhsa_system_sgpr_workgroup_info 0
		.amdhsa_system_vgpr_workitem_id 1
		.amdhsa_next_free_vgpr 11
		.amdhsa_next_free_sgpr 12
		.amdhsa_reserve_vcc 1
		.amdhsa_reserve_flat_scratch 0
		.amdhsa_float_round_mode_32 0
		.amdhsa_float_round_mode_16_64 0
		.amdhsa_float_denorm_mode_32 3
		.amdhsa_float_denorm_mode_16_64 3
		.amdhsa_dx10_clamp 1
		.amdhsa_ieee_mode 1
		.amdhsa_fp16_overflow 0
		.amdhsa_workgroup_processor_mode 1
		.amdhsa_memory_ordered 1
		.amdhsa_forward_progress 1
		.amdhsa_shared_vgpr_count 0
		.amdhsa_exception_fp_ieee_invalid_op 0
		.amdhsa_exception_fp_denorm_src 0
		.amdhsa_exception_fp_ieee_div_zero 0
		.amdhsa_exception_fp_ieee_overflow 0
		.amdhsa_exception_fp_ieee_underflow 0
		.amdhsa_exception_fp_ieee_inexact 0
		.amdhsa_exception_int_div_zero 0
	.end_amdhsa_kernel
	.section	.text._ZN12_GLOBAL__N_121softmax_warp_backwardIfN3c108BFloat16EfLi0ELb0ELb0ELi64EEEvPT0_PKT_S7_iiiPKb,"axG",@progbits,_ZN12_GLOBAL__N_121softmax_warp_backwardIfN3c108BFloat16EfLi0ELb0ELb0ELi64EEEvPT0_PKT_S7_iiiPKb,comdat
.Lfunc_end642:
	.size	_ZN12_GLOBAL__N_121softmax_warp_backwardIfN3c108BFloat16EfLi0ELb0ELb0ELi64EEEvPT0_PKT_S7_iiiPKb, .Lfunc_end642-_ZN12_GLOBAL__N_121softmax_warp_backwardIfN3c108BFloat16EfLi0ELb0ELb0ELi64EEEvPT0_PKT_S7_iiiPKb
                                        ; -- End function
	.set _ZN12_GLOBAL__N_121softmax_warp_backwardIfN3c108BFloat16EfLi0ELb0ELb0ELi64EEEvPT0_PKT_S7_iiiPKb.num_vgpr, 11
	.set _ZN12_GLOBAL__N_121softmax_warp_backwardIfN3c108BFloat16EfLi0ELb0ELb0ELi64EEEvPT0_PKT_S7_iiiPKb.num_agpr, 0
	.set _ZN12_GLOBAL__N_121softmax_warp_backwardIfN3c108BFloat16EfLi0ELb0ELb0ELi64EEEvPT0_PKT_S7_iiiPKb.numbered_sgpr, 12
	.set _ZN12_GLOBAL__N_121softmax_warp_backwardIfN3c108BFloat16EfLi0ELb0ELb0ELi64EEEvPT0_PKT_S7_iiiPKb.num_named_barrier, 0
	.set _ZN12_GLOBAL__N_121softmax_warp_backwardIfN3c108BFloat16EfLi0ELb0ELb0ELi64EEEvPT0_PKT_S7_iiiPKb.private_seg_size, 0
	.set _ZN12_GLOBAL__N_121softmax_warp_backwardIfN3c108BFloat16EfLi0ELb0ELb0ELi64EEEvPT0_PKT_S7_iiiPKb.uses_vcc, 1
	.set _ZN12_GLOBAL__N_121softmax_warp_backwardIfN3c108BFloat16EfLi0ELb0ELb0ELi64EEEvPT0_PKT_S7_iiiPKb.uses_flat_scratch, 0
	.set _ZN12_GLOBAL__N_121softmax_warp_backwardIfN3c108BFloat16EfLi0ELb0ELb0ELi64EEEvPT0_PKT_S7_iiiPKb.has_dyn_sized_stack, 0
	.set _ZN12_GLOBAL__N_121softmax_warp_backwardIfN3c108BFloat16EfLi0ELb0ELb0ELi64EEEvPT0_PKT_S7_iiiPKb.has_recursion, 0
	.set _ZN12_GLOBAL__N_121softmax_warp_backwardIfN3c108BFloat16EfLi0ELb0ELb0ELi64EEEvPT0_PKT_S7_iiiPKb.has_indirect_call, 0
	.section	.AMDGPU.csdata,"",@progbits
; Kernel info:
; codeLenInByte = 532
; TotalNumSgprs: 14
; NumVgprs: 11
; ScratchSize: 0
; MemoryBound: 0
; FloatMode: 240
; IeeeMode: 1
; LDSByteSize: 0 bytes/workgroup (compile time only)
; SGPRBlocks: 0
; VGPRBlocks: 1
; NumSGPRsForWavesPerEU: 14
; NumVGPRsForWavesPerEU: 11
; Occupancy: 16
; WaveLimiterHint : 0
; COMPUTE_PGM_RSRC2:SCRATCH_EN: 0
; COMPUTE_PGM_RSRC2:USER_SGPR: 6
; COMPUTE_PGM_RSRC2:TRAP_HANDLER: 0
; COMPUTE_PGM_RSRC2:TGID_X_EN: 1
; COMPUTE_PGM_RSRC2:TGID_Y_EN: 0
; COMPUTE_PGM_RSRC2:TGID_Z_EN: 0
; COMPUTE_PGM_RSRC2:TIDIG_COMP_CNT: 1
	.section	.text._ZN12_GLOBAL__N_121softmax_warp_backwardIfN3c108BFloat16EfLi0ELb0ELb0ELi32EEEvPT0_PKT_S7_iiiPKb,"axG",@progbits,_ZN12_GLOBAL__N_121softmax_warp_backwardIfN3c108BFloat16EfLi0ELb0ELb0ELi32EEEvPT0_PKT_S7_iiiPKb,comdat
	.globl	_ZN12_GLOBAL__N_121softmax_warp_backwardIfN3c108BFloat16EfLi0ELb0ELb0ELi32EEEvPT0_PKT_S7_iiiPKb ; -- Begin function _ZN12_GLOBAL__N_121softmax_warp_backwardIfN3c108BFloat16EfLi0ELb0ELb0ELi32EEEvPT0_PKT_S7_iiiPKb
	.p2align	8
	.type	_ZN12_GLOBAL__N_121softmax_warp_backwardIfN3c108BFloat16EfLi0ELb0ELb0ELi32EEEvPT0_PKT_S7_iiiPKb,@function
_ZN12_GLOBAL__N_121softmax_warp_backwardIfN3c108BFloat16EfLi0ELb0ELb0ELi32EEEvPT0_PKT_S7_iiiPKb: ; @_ZN12_GLOBAL__N_121softmax_warp_backwardIfN3c108BFloat16EfLi0ELb0ELb0ELi32EEEvPT0_PKT_S7_iiiPKb
; %bb.0:
	s_clause 0x3
	s_load_dword s7, s[4:5], 0x3c
	s_load_dwordx4 s[0:3], s[4:5], 0x18
	s_load_dwordx4 s[8:11], s[4:5], 0x0
	s_load_dwordx2 s[4:5], s[4:5], 0x10
	v_mov_b32_e32 v7, 0
	v_mov_b32_e32 v8, 0
	s_waitcnt lgkmcnt(0)
	s_lshr_b32 s3, s7, 16
	s_and_b32 s3, s3, 0xffff
	s_cmp_gt_i32 s2, 0
	s_mul_i32 s6, s6, s3
	v_add_lshl_u32 v2, s6, v1, 1
	v_mul_lo_u32 v0, v2, s1
	v_sub_nc_u32_e32 v6, s0, v2
	s_cselect_b32 s1, -1, 0
	v_cmp_lt_i32_e32 vcc_lo, 0, v6
	v_ashrrev_i32_e32 v1, 31, v0
	s_and_b32 s3, s1, vcc_lo
	v_lshlrev_b64 v[2:3], 2, v[0:1]
	v_add_co_u32 v4, s0, s10, v2
	v_add_co_ci_u32_e64 v5, null, s11, v3, s0
	v_add_co_u32 v2, s0, s4, v2
	v_add_co_ci_u32_e64 v3, null, s5, v3, s0
	s_and_saveexec_b32 s0, s3
	s_cbranch_execz .LBB643_2
; %bb.1:
	global_load_dword v8, v[4:5], off
	global_load_dword v7, v[2:3], off
.LBB643_2:
	s_or_b32 exec_lo, exec_lo, s0
	v_cmp_gt_i32_e64 s0, 2, v6
	s_xor_b32 s3, s1, -1
	s_or_b32 s0, s3, s0
	s_and_saveexec_b32 s3, s0
	s_xor_b32 s0, exec_lo, s3
                                        ; implicit-def: $vgpr9
	s_cbranch_execnz .LBB643_6
; %bb.3:
	s_or_saveexec_b32 s4, s0
	v_mov_b32_e32 v10, 0
	s_xor_b32 exec_lo, exec_lo, s4
	s_cbranch_execnz .LBB643_7
.LBB643_4:
	s_or_b32 exec_lo, exec_lo, s4
	s_and_saveexec_b32 s0, vcc_lo
	s_cbranch_execnz .LBB643_8
.LBB643_5:
	s_endpgm
.LBB643_6:
	v_mov_b32_e32 v9, 0
                                        ; implicit-def: $vgpr2
                                        ; implicit-def: $vgpr4
	s_or_saveexec_b32 s4, s0
	v_mov_b32_e32 v10, 0
	s_xor_b32 exec_lo, exec_lo, s4
	s_cbranch_execz .LBB643_4
.LBB643_7:
	s_mov_b32 s3, 0
	s_lshl_b64 s[6:7], s[2:3], 2
	v_add_co_u32 v4, s0, v4, s6
	v_add_co_ci_u32_e64 v5, null, s7, v5, s0
	v_add_co_u32 v2, s0, v2, s6
	v_add_co_ci_u32_e64 v3, null, s7, v3, s0
	global_load_dword v9, v[4:5], off
	global_load_dword v10, v[2:3], off
	s_or_b32 exec_lo, exec_lo, s4
	s_and_saveexec_b32 s0, vcc_lo
	s_cbranch_execz .LBB643_5
.LBB643_8:
	v_lshlrev_b64 v[0:1], 1, v[0:1]
	v_add_co_u32 v0, vcc_lo, s8, v0
	v_add_co_ci_u32_e64 v1, null, s9, v1, vcc_lo
	s_andn2_b32 vcc_lo, exec_lo, s1
	s_cbranch_vccnz .LBB643_10
; %bb.9:
	s_waitcnt vmcnt(1)
	v_add_f32_e32 v2, 0, v8
	s_waitcnt vmcnt(0)
	v_fma_f32 v2, -v7, v2, v8
	v_bfe_u32 v3, v2, 16, 1
	v_cmp_o_f32_e32 vcc_lo, v2, v2
	v_add3_u32 v2, v2, v3, 0x7fff
	v_mov_b32_e32 v3, 0x7fc0
	v_cndmask_b32_sdwa v2, v3, v2, vcc_lo dst_sel:DWORD dst_unused:UNUSED_PAD src0_sel:DWORD src1_sel:WORD_1
	global_store_short v[0:1], v2, off
.LBB643_10:
	v_cmp_ne_u32_e32 vcc_lo, 1, v6
	s_and_b32 s0, vcc_lo, s1
	s_and_b32 exec_lo, exec_lo, s0
	s_cbranch_execz .LBB643_5
; %bb.11:
	s_waitcnt vmcnt(1)
	v_add_f32_e32 v2, 0, v9
	s_mov_b32 s3, 0
	v_mov_b32_e32 v4, 0x7fc0
	s_lshl_b64 s[0:1], s[2:3], 1
	v_add_co_u32 v0, s0, v0, s0
	s_waitcnt vmcnt(0)
	v_fma_f32 v2, -v10, v2, v9
	v_add_co_ci_u32_e64 v1, null, s1, v1, s0
	v_bfe_u32 v3, v2, 16, 1
	v_cmp_o_f32_e32 vcc_lo, v2, v2
	v_add3_u32 v2, v2, v3, 0x7fff
	v_cndmask_b32_sdwa v2, v4, v2, vcc_lo dst_sel:DWORD dst_unused:UNUSED_PAD src0_sel:DWORD src1_sel:WORD_1
	global_store_short v[0:1], v2, off
	s_endpgm
	.section	.rodata,"a",@progbits
	.p2align	6, 0x0
	.amdhsa_kernel _ZN12_GLOBAL__N_121softmax_warp_backwardIfN3c108BFloat16EfLi0ELb0ELb0ELi32EEEvPT0_PKT_S7_iiiPKb
		.amdhsa_group_segment_fixed_size 0
		.amdhsa_private_segment_fixed_size 0
		.amdhsa_kernarg_size 304
		.amdhsa_user_sgpr_count 6
		.amdhsa_user_sgpr_private_segment_buffer 1
		.amdhsa_user_sgpr_dispatch_ptr 0
		.amdhsa_user_sgpr_queue_ptr 0
		.amdhsa_user_sgpr_kernarg_segment_ptr 1
		.amdhsa_user_sgpr_dispatch_id 0
		.amdhsa_user_sgpr_flat_scratch_init 0
		.amdhsa_user_sgpr_private_segment_size 0
		.amdhsa_wavefront_size32 1
		.amdhsa_uses_dynamic_stack 0
		.amdhsa_system_sgpr_private_segment_wavefront_offset 0
		.amdhsa_system_sgpr_workgroup_id_x 1
		.amdhsa_system_sgpr_workgroup_id_y 0
		.amdhsa_system_sgpr_workgroup_id_z 0
		.amdhsa_system_sgpr_workgroup_info 0
		.amdhsa_system_vgpr_workitem_id 1
		.amdhsa_next_free_vgpr 11
		.amdhsa_next_free_sgpr 12
		.amdhsa_reserve_vcc 1
		.amdhsa_reserve_flat_scratch 0
		.amdhsa_float_round_mode_32 0
		.amdhsa_float_round_mode_16_64 0
		.amdhsa_float_denorm_mode_32 3
		.amdhsa_float_denorm_mode_16_64 3
		.amdhsa_dx10_clamp 1
		.amdhsa_ieee_mode 1
		.amdhsa_fp16_overflow 0
		.amdhsa_workgroup_processor_mode 1
		.amdhsa_memory_ordered 1
		.amdhsa_forward_progress 1
		.amdhsa_shared_vgpr_count 0
		.amdhsa_exception_fp_ieee_invalid_op 0
		.amdhsa_exception_fp_denorm_src 0
		.amdhsa_exception_fp_ieee_div_zero 0
		.amdhsa_exception_fp_ieee_overflow 0
		.amdhsa_exception_fp_ieee_underflow 0
		.amdhsa_exception_fp_ieee_inexact 0
		.amdhsa_exception_int_div_zero 0
	.end_amdhsa_kernel
	.section	.text._ZN12_GLOBAL__N_121softmax_warp_backwardIfN3c108BFloat16EfLi0ELb0ELb0ELi32EEEvPT0_PKT_S7_iiiPKb,"axG",@progbits,_ZN12_GLOBAL__N_121softmax_warp_backwardIfN3c108BFloat16EfLi0ELb0ELb0ELi32EEEvPT0_PKT_S7_iiiPKb,comdat
.Lfunc_end643:
	.size	_ZN12_GLOBAL__N_121softmax_warp_backwardIfN3c108BFloat16EfLi0ELb0ELb0ELi32EEEvPT0_PKT_S7_iiiPKb, .Lfunc_end643-_ZN12_GLOBAL__N_121softmax_warp_backwardIfN3c108BFloat16EfLi0ELb0ELb0ELi32EEEvPT0_PKT_S7_iiiPKb
                                        ; -- End function
	.set _ZN12_GLOBAL__N_121softmax_warp_backwardIfN3c108BFloat16EfLi0ELb0ELb0ELi32EEEvPT0_PKT_S7_iiiPKb.num_vgpr, 11
	.set _ZN12_GLOBAL__N_121softmax_warp_backwardIfN3c108BFloat16EfLi0ELb0ELb0ELi32EEEvPT0_PKT_S7_iiiPKb.num_agpr, 0
	.set _ZN12_GLOBAL__N_121softmax_warp_backwardIfN3c108BFloat16EfLi0ELb0ELb0ELi32EEEvPT0_PKT_S7_iiiPKb.numbered_sgpr, 12
	.set _ZN12_GLOBAL__N_121softmax_warp_backwardIfN3c108BFloat16EfLi0ELb0ELb0ELi32EEEvPT0_PKT_S7_iiiPKb.num_named_barrier, 0
	.set _ZN12_GLOBAL__N_121softmax_warp_backwardIfN3c108BFloat16EfLi0ELb0ELb0ELi32EEEvPT0_PKT_S7_iiiPKb.private_seg_size, 0
	.set _ZN12_GLOBAL__N_121softmax_warp_backwardIfN3c108BFloat16EfLi0ELb0ELb0ELi32EEEvPT0_PKT_S7_iiiPKb.uses_vcc, 1
	.set _ZN12_GLOBAL__N_121softmax_warp_backwardIfN3c108BFloat16EfLi0ELb0ELb0ELi32EEEvPT0_PKT_S7_iiiPKb.uses_flat_scratch, 0
	.set _ZN12_GLOBAL__N_121softmax_warp_backwardIfN3c108BFloat16EfLi0ELb0ELb0ELi32EEEvPT0_PKT_S7_iiiPKb.has_dyn_sized_stack, 0
	.set _ZN12_GLOBAL__N_121softmax_warp_backwardIfN3c108BFloat16EfLi0ELb0ELb0ELi32EEEvPT0_PKT_S7_iiiPKb.has_recursion, 0
	.set _ZN12_GLOBAL__N_121softmax_warp_backwardIfN3c108BFloat16EfLi0ELb0ELb0ELi32EEEvPT0_PKT_S7_iiiPKb.has_indirect_call, 0
	.section	.AMDGPU.csdata,"",@progbits
; Kernel info:
; codeLenInByte = 532
; TotalNumSgprs: 14
; NumVgprs: 11
; ScratchSize: 0
; MemoryBound: 0
; FloatMode: 240
; IeeeMode: 1
; LDSByteSize: 0 bytes/workgroup (compile time only)
; SGPRBlocks: 0
; VGPRBlocks: 1
; NumSGPRsForWavesPerEU: 14
; NumVGPRsForWavesPerEU: 11
; Occupancy: 16
; WaveLimiterHint : 0
; COMPUTE_PGM_RSRC2:SCRATCH_EN: 0
; COMPUTE_PGM_RSRC2:USER_SGPR: 6
; COMPUTE_PGM_RSRC2:TRAP_HANDLER: 0
; COMPUTE_PGM_RSRC2:TGID_X_EN: 1
; COMPUTE_PGM_RSRC2:TGID_Y_EN: 0
; COMPUTE_PGM_RSRC2:TGID_Z_EN: 0
; COMPUTE_PGM_RSRC2:TIDIG_COMP_CNT: 1
	.section	.text._ZN12_GLOBAL__N_121softmax_warp_backwardIfN3c108BFloat16EfLi1ELb0ELb0ELi64EEEvPT0_PKT_S7_iiiPKb,"axG",@progbits,_ZN12_GLOBAL__N_121softmax_warp_backwardIfN3c108BFloat16EfLi1ELb0ELb0ELi64EEEvPT0_PKT_S7_iiiPKb,comdat
	.globl	_ZN12_GLOBAL__N_121softmax_warp_backwardIfN3c108BFloat16EfLi1ELb0ELb0ELi64EEEvPT0_PKT_S7_iiiPKb ; -- Begin function _ZN12_GLOBAL__N_121softmax_warp_backwardIfN3c108BFloat16EfLi1ELb0ELb0ELi64EEEvPT0_PKT_S7_iiiPKb
	.p2align	8
	.type	_ZN12_GLOBAL__N_121softmax_warp_backwardIfN3c108BFloat16EfLi1ELb0ELb0ELi64EEEvPT0_PKT_S7_iiiPKb,@function
_ZN12_GLOBAL__N_121softmax_warp_backwardIfN3c108BFloat16EfLi1ELb0ELb0ELi64EEEvPT0_PKT_S7_iiiPKb: ; @_ZN12_GLOBAL__N_121softmax_warp_backwardIfN3c108BFloat16EfLi1ELb0ELb0ELi64EEEvPT0_PKT_S7_iiiPKb
; %bb.0:
	s_clause 0x1
	s_load_dword s7, s[4:5], 0x3c
	s_load_dwordx4 s[0:3], s[4:5], 0x18
	v_and_b32_e32 v4, 1, v0
	s_clause 0x1
	s_load_dwordx4 s[8:11], s[4:5], 0x0
	s_load_dwordx2 s[4:5], s[4:5], 0x10
	v_mov_b32_e32 v7, 0
	v_mov_b32_e32 v8, 0
	s_waitcnt lgkmcnt(0)
	s_lshr_b32 s3, s7, 16
	s_and_b32 s3, s3, 0xffff
	s_mul_i32 s6, s6, s3
	v_add_lshl_u32 v2, s6, v1, 1
	v_mul_lo_u32 v1, v2, s1
	v_sub_nc_u32_e32 v6, s0, v2
	v_cmp_gt_i32_e64 s0, s2, v4
	v_cmp_lt_i32_e32 vcc_lo, 0, v6
	v_or_b32_e32 v0, v1, v4
	s_and_b32 s3, s0, vcc_lo
	v_ashrrev_i32_e32 v1, 31, v0
	v_lshlrev_b64 v[2:3], 2, v[0:1]
	v_add_co_u32 v4, s1, s10, v2
	v_add_co_ci_u32_e64 v5, null, s11, v3, s1
	v_add_co_u32 v2, s1, s4, v2
	v_add_co_ci_u32_e64 v3, null, s5, v3, s1
	s_and_saveexec_b32 s1, s3
	s_cbranch_execz .LBB644_2
; %bb.1:
	global_load_dword v8, v[4:5], off
	global_load_dword v7, v[2:3], off
.LBB644_2:
	s_or_b32 exec_lo, exec_lo, s1
	v_cmp_gt_i32_e64 s1, 2, v6
	s_xor_b32 s3, s0, -1
	s_or_b32 s1, s3, s1
	s_and_saveexec_b32 s3, s1
	s_xor_b32 s1, exec_lo, s3
                                        ; implicit-def: $vgpr9
; %bb.3:
	v_mov_b32_e32 v9, 0
                                        ; implicit-def: $vgpr2
                                        ; implicit-def: $vgpr4
; %bb.4:
	s_or_saveexec_b32 s4, s1
	v_mov_b32_e32 v10, 0
	s_xor_b32 exec_lo, exec_lo, s4
	s_cbranch_execz .LBB644_6
; %bb.5:
	s_mov_b32 s3, 0
	s_lshl_b64 s[6:7], s[2:3], 2
	v_add_co_u32 v4, s1, v4, s6
	v_add_co_ci_u32_e64 v5, null, s7, v5, s1
	v_add_co_u32 v2, s1, v2, s6
	v_add_co_ci_u32_e64 v3, null, s7, v3, s1
	global_load_dword v9, v[4:5], off
	global_load_dword v10, v[2:3], off
.LBB644_6:
	s_or_b32 exec_lo, exec_lo, s4
	v_mbcnt_lo_u32_b32 v2, -1, 0
	v_and_b32_e32 v3, 30, v2
	v_xor_b32_e32 v4, 1, v2
	v_add_nc_u32_e32 v3, 2, v3
	v_cmp_lt_i32_e64 s1, v4, v3
	v_cndmask_b32_e64 v2, v2, v4, s1
	s_waitcnt vmcnt(1)
	v_add_f32_e32 v4, 0, v8
	v_lshlrev_b32_e32 v3, 2, v2
	v_add_f32_e32 v2, 0, v9
	ds_bpermute_b32 v5, v3, v4
	ds_bpermute_b32 v3, v3, v2
	s_and_saveexec_b32 s1, vcc_lo
	s_cbranch_execz .LBB644_11
; %bb.7:
	v_lshlrev_b64 v[0:1], 1, v[0:1]
	v_add_co_u32 v0, vcc_lo, s8, v0
	v_add_co_ci_u32_e64 v1, null, s9, v1, vcc_lo
	s_and_saveexec_b32 s1, s0
	s_cbranch_execz .LBB644_9
; %bb.8:
	s_waitcnt lgkmcnt(1)
	v_add_f32_e32 v4, v4, v5
	s_waitcnt vmcnt(0)
	v_fma_f32 v4, -v7, v4, v8
	v_bfe_u32 v5, v4, 16, 1
	v_cmp_o_f32_e32 vcc_lo, v4, v4
	v_add3_u32 v4, v4, v5, 0x7fff
	v_mov_b32_e32 v5, 0x7fc0
	v_cndmask_b32_sdwa v4, v5, v4, vcc_lo dst_sel:DWORD dst_unused:UNUSED_PAD src0_sel:DWORD src1_sel:WORD_1
	global_store_short v[0:1], v4, off
.LBB644_9:
	s_or_b32 exec_lo, exec_lo, s1
	v_cmp_ne_u32_e32 vcc_lo, 1, v6
	s_and_b32 s0, vcc_lo, s0
	s_and_b32 exec_lo, exec_lo, s0
	s_cbranch_execz .LBB644_11
; %bb.10:
	s_waitcnt lgkmcnt(0)
	v_add_f32_e32 v2, v2, v3
	s_mov_b32 s3, 0
	v_mov_b32_e32 v4, 0x7fc0
	s_lshl_b64 s[0:1], s[2:3], 1
	v_add_co_u32 v0, s0, v0, s0
	s_waitcnt vmcnt(0)
	v_fma_f32 v2, -v10, v2, v9
	v_add_co_ci_u32_e64 v1, null, s1, v1, s0
	v_bfe_u32 v3, v2, 16, 1
	v_cmp_o_f32_e32 vcc_lo, v2, v2
	v_add3_u32 v2, v2, v3, 0x7fff
	v_cndmask_b32_sdwa v2, v4, v2, vcc_lo dst_sel:DWORD dst_unused:UNUSED_PAD src0_sel:DWORD src1_sel:WORD_1
	global_store_short v[0:1], v2, off
.LBB644_11:
	s_endpgm
	.section	.rodata,"a",@progbits
	.p2align	6, 0x0
	.amdhsa_kernel _ZN12_GLOBAL__N_121softmax_warp_backwardIfN3c108BFloat16EfLi1ELb0ELb0ELi64EEEvPT0_PKT_S7_iiiPKb
		.amdhsa_group_segment_fixed_size 0
		.amdhsa_private_segment_fixed_size 0
		.amdhsa_kernarg_size 304
		.amdhsa_user_sgpr_count 6
		.amdhsa_user_sgpr_private_segment_buffer 1
		.amdhsa_user_sgpr_dispatch_ptr 0
		.amdhsa_user_sgpr_queue_ptr 0
		.amdhsa_user_sgpr_kernarg_segment_ptr 1
		.amdhsa_user_sgpr_dispatch_id 0
		.amdhsa_user_sgpr_flat_scratch_init 0
		.amdhsa_user_sgpr_private_segment_size 0
		.amdhsa_wavefront_size32 1
		.amdhsa_uses_dynamic_stack 0
		.amdhsa_system_sgpr_private_segment_wavefront_offset 0
		.amdhsa_system_sgpr_workgroup_id_x 1
		.amdhsa_system_sgpr_workgroup_id_y 0
		.amdhsa_system_sgpr_workgroup_id_z 0
		.amdhsa_system_sgpr_workgroup_info 0
		.amdhsa_system_vgpr_workitem_id 1
		.amdhsa_next_free_vgpr 11
		.amdhsa_next_free_sgpr 12
		.amdhsa_reserve_vcc 1
		.amdhsa_reserve_flat_scratch 0
		.amdhsa_float_round_mode_32 0
		.amdhsa_float_round_mode_16_64 0
		.amdhsa_float_denorm_mode_32 3
		.amdhsa_float_denorm_mode_16_64 3
		.amdhsa_dx10_clamp 1
		.amdhsa_ieee_mode 1
		.amdhsa_fp16_overflow 0
		.amdhsa_workgroup_processor_mode 1
		.amdhsa_memory_ordered 1
		.amdhsa_forward_progress 1
		.amdhsa_shared_vgpr_count 0
		.amdhsa_exception_fp_ieee_invalid_op 0
		.amdhsa_exception_fp_denorm_src 0
		.amdhsa_exception_fp_ieee_div_zero 0
		.amdhsa_exception_fp_ieee_overflow 0
		.amdhsa_exception_fp_ieee_underflow 0
		.amdhsa_exception_fp_ieee_inexact 0
		.amdhsa_exception_int_div_zero 0
	.end_amdhsa_kernel
	.section	.text._ZN12_GLOBAL__N_121softmax_warp_backwardIfN3c108BFloat16EfLi1ELb0ELb0ELi64EEEvPT0_PKT_S7_iiiPKb,"axG",@progbits,_ZN12_GLOBAL__N_121softmax_warp_backwardIfN3c108BFloat16EfLi1ELb0ELb0ELi64EEEvPT0_PKT_S7_iiiPKb,comdat
.Lfunc_end644:
	.size	_ZN12_GLOBAL__N_121softmax_warp_backwardIfN3c108BFloat16EfLi1ELb0ELb0ELi64EEEvPT0_PKT_S7_iiiPKb, .Lfunc_end644-_ZN12_GLOBAL__N_121softmax_warp_backwardIfN3c108BFloat16EfLi1ELb0ELb0ELi64EEEvPT0_PKT_S7_iiiPKb
                                        ; -- End function
	.set _ZN12_GLOBAL__N_121softmax_warp_backwardIfN3c108BFloat16EfLi1ELb0ELb0ELi64EEEvPT0_PKT_S7_iiiPKb.num_vgpr, 11
	.set _ZN12_GLOBAL__N_121softmax_warp_backwardIfN3c108BFloat16EfLi1ELb0ELb0ELi64EEEvPT0_PKT_S7_iiiPKb.num_agpr, 0
	.set _ZN12_GLOBAL__N_121softmax_warp_backwardIfN3c108BFloat16EfLi1ELb0ELb0ELi64EEEvPT0_PKT_S7_iiiPKb.numbered_sgpr, 12
	.set _ZN12_GLOBAL__N_121softmax_warp_backwardIfN3c108BFloat16EfLi1ELb0ELb0ELi64EEEvPT0_PKT_S7_iiiPKb.num_named_barrier, 0
	.set _ZN12_GLOBAL__N_121softmax_warp_backwardIfN3c108BFloat16EfLi1ELb0ELb0ELi64EEEvPT0_PKT_S7_iiiPKb.private_seg_size, 0
	.set _ZN12_GLOBAL__N_121softmax_warp_backwardIfN3c108BFloat16EfLi1ELb0ELb0ELi64EEEvPT0_PKT_S7_iiiPKb.uses_vcc, 1
	.set _ZN12_GLOBAL__N_121softmax_warp_backwardIfN3c108BFloat16EfLi1ELb0ELb0ELi64EEEvPT0_PKT_S7_iiiPKb.uses_flat_scratch, 0
	.set _ZN12_GLOBAL__N_121softmax_warp_backwardIfN3c108BFloat16EfLi1ELb0ELb0ELi64EEEvPT0_PKT_S7_iiiPKb.has_dyn_sized_stack, 0
	.set _ZN12_GLOBAL__N_121softmax_warp_backwardIfN3c108BFloat16EfLi1ELb0ELb0ELi64EEEvPT0_PKT_S7_iiiPKb.has_recursion, 0
	.set _ZN12_GLOBAL__N_121softmax_warp_backwardIfN3c108BFloat16EfLi1ELb0ELb0ELi64EEEvPT0_PKT_S7_iiiPKb.has_indirect_call, 0
	.section	.AMDGPU.csdata,"",@progbits
; Kernel info:
; codeLenInByte = 580
; TotalNumSgprs: 14
; NumVgprs: 11
; ScratchSize: 0
; MemoryBound: 0
; FloatMode: 240
; IeeeMode: 1
; LDSByteSize: 0 bytes/workgroup (compile time only)
; SGPRBlocks: 0
; VGPRBlocks: 1
; NumSGPRsForWavesPerEU: 14
; NumVGPRsForWavesPerEU: 11
; Occupancy: 16
; WaveLimiterHint : 0
; COMPUTE_PGM_RSRC2:SCRATCH_EN: 0
; COMPUTE_PGM_RSRC2:USER_SGPR: 6
; COMPUTE_PGM_RSRC2:TRAP_HANDLER: 0
; COMPUTE_PGM_RSRC2:TGID_X_EN: 1
; COMPUTE_PGM_RSRC2:TGID_Y_EN: 0
; COMPUTE_PGM_RSRC2:TGID_Z_EN: 0
; COMPUTE_PGM_RSRC2:TIDIG_COMP_CNT: 1
	.section	.text._ZN12_GLOBAL__N_121softmax_warp_backwardIfN3c108BFloat16EfLi1ELb0ELb0ELi32EEEvPT0_PKT_S7_iiiPKb,"axG",@progbits,_ZN12_GLOBAL__N_121softmax_warp_backwardIfN3c108BFloat16EfLi1ELb0ELb0ELi32EEEvPT0_PKT_S7_iiiPKb,comdat
	.globl	_ZN12_GLOBAL__N_121softmax_warp_backwardIfN3c108BFloat16EfLi1ELb0ELb0ELi32EEEvPT0_PKT_S7_iiiPKb ; -- Begin function _ZN12_GLOBAL__N_121softmax_warp_backwardIfN3c108BFloat16EfLi1ELb0ELb0ELi32EEEvPT0_PKT_S7_iiiPKb
	.p2align	8
	.type	_ZN12_GLOBAL__N_121softmax_warp_backwardIfN3c108BFloat16EfLi1ELb0ELb0ELi32EEEvPT0_PKT_S7_iiiPKb,@function
_ZN12_GLOBAL__N_121softmax_warp_backwardIfN3c108BFloat16EfLi1ELb0ELb0ELi32EEEvPT0_PKT_S7_iiiPKb: ; @_ZN12_GLOBAL__N_121softmax_warp_backwardIfN3c108BFloat16EfLi1ELb0ELb0ELi32EEEvPT0_PKT_S7_iiiPKb
; %bb.0:
	s_clause 0x1
	s_load_dword s7, s[4:5], 0x3c
	s_load_dwordx4 s[0:3], s[4:5], 0x18
	v_and_b32_e32 v4, 1, v0
	s_clause 0x1
	s_load_dwordx4 s[8:11], s[4:5], 0x0
	s_load_dwordx2 s[4:5], s[4:5], 0x10
	v_mov_b32_e32 v7, 0
	v_mov_b32_e32 v8, 0
	s_waitcnt lgkmcnt(0)
	s_lshr_b32 s3, s7, 16
	s_and_b32 s3, s3, 0xffff
	s_mul_i32 s6, s6, s3
	v_add_lshl_u32 v2, s6, v1, 1
	v_mul_lo_u32 v1, v2, s1
	v_sub_nc_u32_e32 v6, s0, v2
	v_cmp_gt_i32_e64 s0, s2, v4
	v_cmp_lt_i32_e32 vcc_lo, 0, v6
	v_or_b32_e32 v0, v1, v4
	s_and_b32 s3, s0, vcc_lo
	v_ashrrev_i32_e32 v1, 31, v0
	v_lshlrev_b64 v[2:3], 2, v[0:1]
	v_add_co_u32 v4, s1, s10, v2
	v_add_co_ci_u32_e64 v5, null, s11, v3, s1
	v_add_co_u32 v2, s1, s4, v2
	v_add_co_ci_u32_e64 v3, null, s5, v3, s1
	s_and_saveexec_b32 s1, s3
	s_cbranch_execz .LBB645_2
; %bb.1:
	global_load_dword v8, v[4:5], off
	global_load_dword v7, v[2:3], off
.LBB645_2:
	s_or_b32 exec_lo, exec_lo, s1
	v_cmp_gt_i32_e64 s1, 2, v6
	s_xor_b32 s3, s0, -1
	s_or_b32 s1, s3, s1
	s_and_saveexec_b32 s3, s1
	s_xor_b32 s1, exec_lo, s3
                                        ; implicit-def: $vgpr9
; %bb.3:
	v_mov_b32_e32 v9, 0
                                        ; implicit-def: $vgpr2
                                        ; implicit-def: $vgpr4
; %bb.4:
	s_or_saveexec_b32 s4, s1
	v_mov_b32_e32 v10, 0
	s_xor_b32 exec_lo, exec_lo, s4
	s_cbranch_execz .LBB645_6
; %bb.5:
	s_mov_b32 s3, 0
	s_lshl_b64 s[6:7], s[2:3], 2
	v_add_co_u32 v4, s1, v4, s6
	v_add_co_ci_u32_e64 v5, null, s7, v5, s1
	v_add_co_u32 v2, s1, v2, s6
	v_add_co_ci_u32_e64 v3, null, s7, v3, s1
	global_load_dword v9, v[4:5], off
	global_load_dword v10, v[2:3], off
.LBB645_6:
	s_or_b32 exec_lo, exec_lo, s4
	v_mbcnt_lo_u32_b32 v2, -1, 0
	v_and_b32_e32 v3, 30, v2
	v_xor_b32_e32 v4, 1, v2
	v_add_nc_u32_e32 v3, 2, v3
	v_cmp_lt_i32_e64 s1, v4, v3
	v_cndmask_b32_e64 v2, v2, v4, s1
	s_waitcnt vmcnt(1)
	v_add_f32_e32 v4, 0, v8
	v_lshlrev_b32_e32 v3, 2, v2
	v_add_f32_e32 v2, 0, v9
	ds_bpermute_b32 v5, v3, v4
	ds_bpermute_b32 v3, v3, v2
	s_and_saveexec_b32 s1, vcc_lo
	s_cbranch_execz .LBB645_11
; %bb.7:
	v_lshlrev_b64 v[0:1], 1, v[0:1]
	v_add_co_u32 v0, vcc_lo, s8, v0
	v_add_co_ci_u32_e64 v1, null, s9, v1, vcc_lo
	s_and_saveexec_b32 s1, s0
	s_cbranch_execz .LBB645_9
; %bb.8:
	s_waitcnt lgkmcnt(1)
	v_add_f32_e32 v4, v4, v5
	s_waitcnt vmcnt(0)
	v_fma_f32 v4, -v7, v4, v8
	v_bfe_u32 v5, v4, 16, 1
	v_cmp_o_f32_e32 vcc_lo, v4, v4
	v_add3_u32 v4, v4, v5, 0x7fff
	v_mov_b32_e32 v5, 0x7fc0
	v_cndmask_b32_sdwa v4, v5, v4, vcc_lo dst_sel:DWORD dst_unused:UNUSED_PAD src0_sel:DWORD src1_sel:WORD_1
	global_store_short v[0:1], v4, off
.LBB645_9:
	s_or_b32 exec_lo, exec_lo, s1
	v_cmp_ne_u32_e32 vcc_lo, 1, v6
	s_and_b32 s0, vcc_lo, s0
	s_and_b32 exec_lo, exec_lo, s0
	s_cbranch_execz .LBB645_11
; %bb.10:
	s_waitcnt lgkmcnt(0)
	v_add_f32_e32 v2, v2, v3
	s_mov_b32 s3, 0
	v_mov_b32_e32 v4, 0x7fc0
	s_lshl_b64 s[0:1], s[2:3], 1
	v_add_co_u32 v0, s0, v0, s0
	s_waitcnt vmcnt(0)
	v_fma_f32 v2, -v10, v2, v9
	v_add_co_ci_u32_e64 v1, null, s1, v1, s0
	v_bfe_u32 v3, v2, 16, 1
	v_cmp_o_f32_e32 vcc_lo, v2, v2
	v_add3_u32 v2, v2, v3, 0x7fff
	v_cndmask_b32_sdwa v2, v4, v2, vcc_lo dst_sel:DWORD dst_unused:UNUSED_PAD src0_sel:DWORD src1_sel:WORD_1
	global_store_short v[0:1], v2, off
.LBB645_11:
	s_endpgm
	.section	.rodata,"a",@progbits
	.p2align	6, 0x0
	.amdhsa_kernel _ZN12_GLOBAL__N_121softmax_warp_backwardIfN3c108BFloat16EfLi1ELb0ELb0ELi32EEEvPT0_PKT_S7_iiiPKb
		.amdhsa_group_segment_fixed_size 0
		.amdhsa_private_segment_fixed_size 0
		.amdhsa_kernarg_size 304
		.amdhsa_user_sgpr_count 6
		.amdhsa_user_sgpr_private_segment_buffer 1
		.amdhsa_user_sgpr_dispatch_ptr 0
		.amdhsa_user_sgpr_queue_ptr 0
		.amdhsa_user_sgpr_kernarg_segment_ptr 1
		.amdhsa_user_sgpr_dispatch_id 0
		.amdhsa_user_sgpr_flat_scratch_init 0
		.amdhsa_user_sgpr_private_segment_size 0
		.amdhsa_wavefront_size32 1
		.amdhsa_uses_dynamic_stack 0
		.amdhsa_system_sgpr_private_segment_wavefront_offset 0
		.amdhsa_system_sgpr_workgroup_id_x 1
		.amdhsa_system_sgpr_workgroup_id_y 0
		.amdhsa_system_sgpr_workgroup_id_z 0
		.amdhsa_system_sgpr_workgroup_info 0
		.amdhsa_system_vgpr_workitem_id 1
		.amdhsa_next_free_vgpr 11
		.amdhsa_next_free_sgpr 12
		.amdhsa_reserve_vcc 1
		.amdhsa_reserve_flat_scratch 0
		.amdhsa_float_round_mode_32 0
		.amdhsa_float_round_mode_16_64 0
		.amdhsa_float_denorm_mode_32 3
		.amdhsa_float_denorm_mode_16_64 3
		.amdhsa_dx10_clamp 1
		.amdhsa_ieee_mode 1
		.amdhsa_fp16_overflow 0
		.amdhsa_workgroup_processor_mode 1
		.amdhsa_memory_ordered 1
		.amdhsa_forward_progress 1
		.amdhsa_shared_vgpr_count 0
		.amdhsa_exception_fp_ieee_invalid_op 0
		.amdhsa_exception_fp_denorm_src 0
		.amdhsa_exception_fp_ieee_div_zero 0
		.amdhsa_exception_fp_ieee_overflow 0
		.amdhsa_exception_fp_ieee_underflow 0
		.amdhsa_exception_fp_ieee_inexact 0
		.amdhsa_exception_int_div_zero 0
	.end_amdhsa_kernel
	.section	.text._ZN12_GLOBAL__N_121softmax_warp_backwardIfN3c108BFloat16EfLi1ELb0ELb0ELi32EEEvPT0_PKT_S7_iiiPKb,"axG",@progbits,_ZN12_GLOBAL__N_121softmax_warp_backwardIfN3c108BFloat16EfLi1ELb0ELb0ELi32EEEvPT0_PKT_S7_iiiPKb,comdat
.Lfunc_end645:
	.size	_ZN12_GLOBAL__N_121softmax_warp_backwardIfN3c108BFloat16EfLi1ELb0ELb0ELi32EEEvPT0_PKT_S7_iiiPKb, .Lfunc_end645-_ZN12_GLOBAL__N_121softmax_warp_backwardIfN3c108BFloat16EfLi1ELb0ELb0ELi32EEEvPT0_PKT_S7_iiiPKb
                                        ; -- End function
	.set _ZN12_GLOBAL__N_121softmax_warp_backwardIfN3c108BFloat16EfLi1ELb0ELb0ELi32EEEvPT0_PKT_S7_iiiPKb.num_vgpr, 11
	.set _ZN12_GLOBAL__N_121softmax_warp_backwardIfN3c108BFloat16EfLi1ELb0ELb0ELi32EEEvPT0_PKT_S7_iiiPKb.num_agpr, 0
	.set _ZN12_GLOBAL__N_121softmax_warp_backwardIfN3c108BFloat16EfLi1ELb0ELb0ELi32EEEvPT0_PKT_S7_iiiPKb.numbered_sgpr, 12
	.set _ZN12_GLOBAL__N_121softmax_warp_backwardIfN3c108BFloat16EfLi1ELb0ELb0ELi32EEEvPT0_PKT_S7_iiiPKb.num_named_barrier, 0
	.set _ZN12_GLOBAL__N_121softmax_warp_backwardIfN3c108BFloat16EfLi1ELb0ELb0ELi32EEEvPT0_PKT_S7_iiiPKb.private_seg_size, 0
	.set _ZN12_GLOBAL__N_121softmax_warp_backwardIfN3c108BFloat16EfLi1ELb0ELb0ELi32EEEvPT0_PKT_S7_iiiPKb.uses_vcc, 1
	.set _ZN12_GLOBAL__N_121softmax_warp_backwardIfN3c108BFloat16EfLi1ELb0ELb0ELi32EEEvPT0_PKT_S7_iiiPKb.uses_flat_scratch, 0
	.set _ZN12_GLOBAL__N_121softmax_warp_backwardIfN3c108BFloat16EfLi1ELb0ELb0ELi32EEEvPT0_PKT_S7_iiiPKb.has_dyn_sized_stack, 0
	.set _ZN12_GLOBAL__N_121softmax_warp_backwardIfN3c108BFloat16EfLi1ELb0ELb0ELi32EEEvPT0_PKT_S7_iiiPKb.has_recursion, 0
	.set _ZN12_GLOBAL__N_121softmax_warp_backwardIfN3c108BFloat16EfLi1ELb0ELb0ELi32EEEvPT0_PKT_S7_iiiPKb.has_indirect_call, 0
	.section	.AMDGPU.csdata,"",@progbits
; Kernel info:
; codeLenInByte = 580
; TotalNumSgprs: 14
; NumVgprs: 11
; ScratchSize: 0
; MemoryBound: 0
; FloatMode: 240
; IeeeMode: 1
; LDSByteSize: 0 bytes/workgroup (compile time only)
; SGPRBlocks: 0
; VGPRBlocks: 1
; NumSGPRsForWavesPerEU: 14
; NumVGPRsForWavesPerEU: 11
; Occupancy: 16
; WaveLimiterHint : 0
; COMPUTE_PGM_RSRC2:SCRATCH_EN: 0
; COMPUTE_PGM_RSRC2:USER_SGPR: 6
; COMPUTE_PGM_RSRC2:TRAP_HANDLER: 0
; COMPUTE_PGM_RSRC2:TGID_X_EN: 1
; COMPUTE_PGM_RSRC2:TGID_Y_EN: 0
; COMPUTE_PGM_RSRC2:TGID_Z_EN: 0
; COMPUTE_PGM_RSRC2:TIDIG_COMP_CNT: 1
	.section	.text._ZN12_GLOBAL__N_121softmax_warp_backwardIfN3c108BFloat16EfLi2ELb0ELb0ELi64EEEvPT0_PKT_S7_iiiPKb,"axG",@progbits,_ZN12_GLOBAL__N_121softmax_warp_backwardIfN3c108BFloat16EfLi2ELb0ELb0ELi64EEEvPT0_PKT_S7_iiiPKb,comdat
	.globl	_ZN12_GLOBAL__N_121softmax_warp_backwardIfN3c108BFloat16EfLi2ELb0ELb0ELi64EEEvPT0_PKT_S7_iiiPKb ; -- Begin function _ZN12_GLOBAL__N_121softmax_warp_backwardIfN3c108BFloat16EfLi2ELb0ELb0ELi64EEEvPT0_PKT_S7_iiiPKb
	.p2align	8
	.type	_ZN12_GLOBAL__N_121softmax_warp_backwardIfN3c108BFloat16EfLi2ELb0ELb0ELi64EEEvPT0_PKT_S7_iiiPKb,@function
_ZN12_GLOBAL__N_121softmax_warp_backwardIfN3c108BFloat16EfLi2ELb0ELb0ELi64EEEvPT0_PKT_S7_iiiPKb: ; @_ZN12_GLOBAL__N_121softmax_warp_backwardIfN3c108BFloat16EfLi2ELb0ELb0ELi64EEEvPT0_PKT_S7_iiiPKb
; %bb.0:
	s_clause 0x1
	s_load_dword s7, s[4:5], 0x3c
	s_load_dwordx4 s[0:3], s[4:5], 0x18
	v_and_b32_e32 v2, 3, v0
	s_clause 0x1
	s_load_dwordx4 s[8:11], s[4:5], 0x0
	s_load_dwordx2 s[4:5], s[4:5], 0x10
	v_mov_b32_e32 v7, 0
	s_waitcnt lgkmcnt(0)
	s_lshr_b32 s3, s7, 16
	s_and_b32 s3, s3, 0xffff
	s_mul_i32 s6, s6, s3
	v_add_lshl_u32 v3, s6, v1, 1
	v_mad_u64_u32 v[0:1], null, v3, s1, v[2:3]
	v_sub_nc_u32_e32 v6, s0, v3
	v_cmp_gt_i32_e64 s0, s2, v2
	v_cmp_lt_i32_e32 vcc_lo, 0, v6
	v_ashrrev_i32_e32 v1, 31, v0
	s_and_b32 s3, s0, vcc_lo
	v_lshlrev_b64 v[8:9], 2, v[0:1]
	v_add_co_u32 v4, s1, s10, v8
	v_add_co_ci_u32_e64 v5, null, s11, v9, s1
	v_add_co_u32 v2, s1, s4, v8
	v_add_co_ci_u32_e64 v3, null, s5, v9, s1
	v_mov_b32_e32 v8, 0
	s_and_saveexec_b32 s1, s3
	s_cbranch_execz .LBB646_2
; %bb.1:
	global_load_dword v8, v[4:5], off
	global_load_dword v7, v[2:3], off
.LBB646_2:
	s_or_b32 exec_lo, exec_lo, s1
	v_cmp_gt_i32_e64 s1, 2, v6
	s_xor_b32 s3, s0, -1
	s_or_b32 s1, s3, s1
	s_and_saveexec_b32 s3, s1
	s_xor_b32 s1, exec_lo, s3
                                        ; implicit-def: $vgpr9
; %bb.3:
	v_mov_b32_e32 v9, 0
                                        ; implicit-def: $vgpr2
                                        ; implicit-def: $vgpr4
; %bb.4:
	s_or_saveexec_b32 s4, s1
	v_mov_b32_e32 v10, 0
	s_xor_b32 exec_lo, exec_lo, s4
	s_cbranch_execz .LBB646_6
; %bb.5:
	s_mov_b32 s3, 0
	s_lshl_b64 s[6:7], s[2:3], 2
	v_add_co_u32 v4, s1, v4, s6
	v_add_co_ci_u32_e64 v5, null, s7, v5, s1
	v_add_co_u32 v2, s1, v2, s6
	v_add_co_ci_u32_e64 v3, null, s7, v3, s1
	global_load_dword v9, v[4:5], off
	global_load_dword v10, v[2:3], off
.LBB646_6:
	s_or_b32 exec_lo, exec_lo, s4
	v_mbcnt_lo_u32_b32 v2, -1, 0
	s_waitcnt vmcnt(1)
	v_add_f32_e32 v5, 0, v8
	v_add_f32_e32 v11, 0, v9
	v_and_b32_e32 v3, 28, v2
	v_xor_b32_e32 v4, 2, v2
	v_add_nc_u32_e32 v3, 4, v3
	v_cmp_lt_i32_e64 s1, v4, v3
	v_cndmask_b32_e64 v4, v2, v4, s1
	v_lshlrev_b32_e32 v4, 2, v4
	ds_bpermute_b32 v12, v4, v5
	ds_bpermute_b32 v13, v4, v11
	v_xor_b32_e32 v4, 1, v2
	v_cmp_lt_i32_e64 s1, v4, v3
	v_cndmask_b32_e64 v2, v2, v4, s1
	v_lshlrev_b32_e32 v3, 2, v2
	s_waitcnt lgkmcnt(1)
	v_add_f32_e32 v4, v5, v12
	s_waitcnt lgkmcnt(0)
	v_add_f32_e32 v2, v11, v13
	ds_bpermute_b32 v5, v3, v4
	ds_bpermute_b32 v3, v3, v2
	s_and_saveexec_b32 s1, vcc_lo
	s_cbranch_execz .LBB646_11
; %bb.7:
	v_lshlrev_b64 v[0:1], 1, v[0:1]
	v_add_co_u32 v0, vcc_lo, s8, v0
	v_add_co_ci_u32_e64 v1, null, s9, v1, vcc_lo
	s_and_saveexec_b32 s1, s0
	s_cbranch_execz .LBB646_9
; %bb.8:
	s_waitcnt lgkmcnt(1)
	v_add_f32_e32 v4, v4, v5
	s_waitcnt vmcnt(0)
	v_fma_f32 v4, -v7, v4, v8
	v_bfe_u32 v5, v4, 16, 1
	v_cmp_o_f32_e32 vcc_lo, v4, v4
	v_add3_u32 v4, v4, v5, 0x7fff
	v_mov_b32_e32 v5, 0x7fc0
	v_cndmask_b32_sdwa v4, v5, v4, vcc_lo dst_sel:DWORD dst_unused:UNUSED_PAD src0_sel:DWORD src1_sel:WORD_1
	global_store_short v[0:1], v4, off
.LBB646_9:
	s_or_b32 exec_lo, exec_lo, s1
	v_cmp_ne_u32_e32 vcc_lo, 1, v6
	s_and_b32 s0, vcc_lo, s0
	s_and_b32 exec_lo, exec_lo, s0
	s_cbranch_execz .LBB646_11
; %bb.10:
	s_waitcnt lgkmcnt(0)
	v_add_f32_e32 v2, v2, v3
	s_mov_b32 s3, 0
	v_mov_b32_e32 v4, 0x7fc0
	s_lshl_b64 s[0:1], s[2:3], 1
	v_add_co_u32 v0, s0, v0, s0
	s_waitcnt vmcnt(0)
	v_fma_f32 v2, -v10, v2, v9
	v_add_co_ci_u32_e64 v1, null, s1, v1, s0
	v_bfe_u32 v3, v2, 16, 1
	v_cmp_o_f32_e32 vcc_lo, v2, v2
	v_add3_u32 v2, v2, v3, 0x7fff
	v_cndmask_b32_sdwa v2, v4, v2, vcc_lo dst_sel:DWORD dst_unused:UNUSED_PAD src0_sel:DWORD src1_sel:WORD_1
	global_store_short v[0:1], v2, off
.LBB646_11:
	s_endpgm
	.section	.rodata,"a",@progbits
	.p2align	6, 0x0
	.amdhsa_kernel _ZN12_GLOBAL__N_121softmax_warp_backwardIfN3c108BFloat16EfLi2ELb0ELb0ELi64EEEvPT0_PKT_S7_iiiPKb
		.amdhsa_group_segment_fixed_size 0
		.amdhsa_private_segment_fixed_size 0
		.amdhsa_kernarg_size 304
		.amdhsa_user_sgpr_count 6
		.amdhsa_user_sgpr_private_segment_buffer 1
		.amdhsa_user_sgpr_dispatch_ptr 0
		.amdhsa_user_sgpr_queue_ptr 0
		.amdhsa_user_sgpr_kernarg_segment_ptr 1
		.amdhsa_user_sgpr_dispatch_id 0
		.amdhsa_user_sgpr_flat_scratch_init 0
		.amdhsa_user_sgpr_private_segment_size 0
		.amdhsa_wavefront_size32 1
		.amdhsa_uses_dynamic_stack 0
		.amdhsa_system_sgpr_private_segment_wavefront_offset 0
		.amdhsa_system_sgpr_workgroup_id_x 1
		.amdhsa_system_sgpr_workgroup_id_y 0
		.amdhsa_system_sgpr_workgroup_id_z 0
		.amdhsa_system_sgpr_workgroup_info 0
		.amdhsa_system_vgpr_workitem_id 1
		.amdhsa_next_free_vgpr 14
		.amdhsa_next_free_sgpr 12
		.amdhsa_reserve_vcc 1
		.amdhsa_reserve_flat_scratch 0
		.amdhsa_float_round_mode_32 0
		.amdhsa_float_round_mode_16_64 0
		.amdhsa_float_denorm_mode_32 3
		.amdhsa_float_denorm_mode_16_64 3
		.amdhsa_dx10_clamp 1
		.amdhsa_ieee_mode 1
		.amdhsa_fp16_overflow 0
		.amdhsa_workgroup_processor_mode 1
		.amdhsa_memory_ordered 1
		.amdhsa_forward_progress 1
		.amdhsa_shared_vgpr_count 0
		.amdhsa_exception_fp_ieee_invalid_op 0
		.amdhsa_exception_fp_denorm_src 0
		.amdhsa_exception_fp_ieee_div_zero 0
		.amdhsa_exception_fp_ieee_overflow 0
		.amdhsa_exception_fp_ieee_underflow 0
		.amdhsa_exception_fp_ieee_inexact 0
		.amdhsa_exception_int_div_zero 0
	.end_amdhsa_kernel
	.section	.text._ZN12_GLOBAL__N_121softmax_warp_backwardIfN3c108BFloat16EfLi2ELb0ELb0ELi64EEEvPT0_PKT_S7_iiiPKb,"axG",@progbits,_ZN12_GLOBAL__N_121softmax_warp_backwardIfN3c108BFloat16EfLi2ELb0ELb0ELi64EEEvPT0_PKT_S7_iiiPKb,comdat
.Lfunc_end646:
	.size	_ZN12_GLOBAL__N_121softmax_warp_backwardIfN3c108BFloat16EfLi2ELb0ELb0ELi64EEEvPT0_PKT_S7_iiiPKb, .Lfunc_end646-_ZN12_GLOBAL__N_121softmax_warp_backwardIfN3c108BFloat16EfLi2ELb0ELb0ELi64EEEvPT0_PKT_S7_iiiPKb
                                        ; -- End function
	.set _ZN12_GLOBAL__N_121softmax_warp_backwardIfN3c108BFloat16EfLi2ELb0ELb0ELi64EEEvPT0_PKT_S7_iiiPKb.num_vgpr, 14
	.set _ZN12_GLOBAL__N_121softmax_warp_backwardIfN3c108BFloat16EfLi2ELb0ELb0ELi64EEEvPT0_PKT_S7_iiiPKb.num_agpr, 0
	.set _ZN12_GLOBAL__N_121softmax_warp_backwardIfN3c108BFloat16EfLi2ELb0ELb0ELi64EEEvPT0_PKT_S7_iiiPKb.numbered_sgpr, 12
	.set _ZN12_GLOBAL__N_121softmax_warp_backwardIfN3c108BFloat16EfLi2ELb0ELb0ELi64EEEvPT0_PKT_S7_iiiPKb.num_named_barrier, 0
	.set _ZN12_GLOBAL__N_121softmax_warp_backwardIfN3c108BFloat16EfLi2ELb0ELb0ELi64EEEvPT0_PKT_S7_iiiPKb.private_seg_size, 0
	.set _ZN12_GLOBAL__N_121softmax_warp_backwardIfN3c108BFloat16EfLi2ELb0ELb0ELi64EEEvPT0_PKT_S7_iiiPKb.uses_vcc, 1
	.set _ZN12_GLOBAL__N_121softmax_warp_backwardIfN3c108BFloat16EfLi2ELb0ELb0ELi64EEEvPT0_PKT_S7_iiiPKb.uses_flat_scratch, 0
	.set _ZN12_GLOBAL__N_121softmax_warp_backwardIfN3c108BFloat16EfLi2ELb0ELb0ELi64EEEvPT0_PKT_S7_iiiPKb.has_dyn_sized_stack, 0
	.set _ZN12_GLOBAL__N_121softmax_warp_backwardIfN3c108BFloat16EfLi2ELb0ELb0ELi64EEEvPT0_PKT_S7_iiiPKb.has_recursion, 0
	.set _ZN12_GLOBAL__N_121softmax_warp_backwardIfN3c108BFloat16EfLi2ELb0ELb0ELi64EEEvPT0_PKT_S7_iiiPKb.has_indirect_call, 0
	.section	.AMDGPU.csdata,"",@progbits
; Kernel info:
; codeLenInByte = 632
; TotalNumSgprs: 14
; NumVgprs: 14
; ScratchSize: 0
; MemoryBound: 0
; FloatMode: 240
; IeeeMode: 1
; LDSByteSize: 0 bytes/workgroup (compile time only)
; SGPRBlocks: 0
; VGPRBlocks: 1
; NumSGPRsForWavesPerEU: 14
; NumVGPRsForWavesPerEU: 14
; Occupancy: 16
; WaveLimiterHint : 0
; COMPUTE_PGM_RSRC2:SCRATCH_EN: 0
; COMPUTE_PGM_RSRC2:USER_SGPR: 6
; COMPUTE_PGM_RSRC2:TRAP_HANDLER: 0
; COMPUTE_PGM_RSRC2:TGID_X_EN: 1
; COMPUTE_PGM_RSRC2:TGID_Y_EN: 0
; COMPUTE_PGM_RSRC2:TGID_Z_EN: 0
; COMPUTE_PGM_RSRC2:TIDIG_COMP_CNT: 1
	.section	.text._ZN12_GLOBAL__N_121softmax_warp_backwardIfN3c108BFloat16EfLi2ELb0ELb0ELi32EEEvPT0_PKT_S7_iiiPKb,"axG",@progbits,_ZN12_GLOBAL__N_121softmax_warp_backwardIfN3c108BFloat16EfLi2ELb0ELb0ELi32EEEvPT0_PKT_S7_iiiPKb,comdat
	.globl	_ZN12_GLOBAL__N_121softmax_warp_backwardIfN3c108BFloat16EfLi2ELb0ELb0ELi32EEEvPT0_PKT_S7_iiiPKb ; -- Begin function _ZN12_GLOBAL__N_121softmax_warp_backwardIfN3c108BFloat16EfLi2ELb0ELb0ELi32EEEvPT0_PKT_S7_iiiPKb
	.p2align	8
	.type	_ZN12_GLOBAL__N_121softmax_warp_backwardIfN3c108BFloat16EfLi2ELb0ELb0ELi32EEEvPT0_PKT_S7_iiiPKb,@function
_ZN12_GLOBAL__N_121softmax_warp_backwardIfN3c108BFloat16EfLi2ELb0ELb0ELi32EEEvPT0_PKT_S7_iiiPKb: ; @_ZN12_GLOBAL__N_121softmax_warp_backwardIfN3c108BFloat16EfLi2ELb0ELb0ELi32EEEvPT0_PKT_S7_iiiPKb
; %bb.0:
	s_clause 0x1
	s_load_dword s7, s[4:5], 0x3c
	s_load_dwordx4 s[0:3], s[4:5], 0x18
	v_and_b32_e32 v2, 3, v0
	s_clause 0x1
	s_load_dwordx4 s[8:11], s[4:5], 0x0
	s_load_dwordx2 s[4:5], s[4:5], 0x10
	v_mov_b32_e32 v7, 0
	s_waitcnt lgkmcnt(0)
	s_lshr_b32 s3, s7, 16
	s_and_b32 s3, s3, 0xffff
	s_mul_i32 s6, s6, s3
	v_add_lshl_u32 v3, s6, v1, 1
	v_mad_u64_u32 v[0:1], null, v3, s1, v[2:3]
	v_sub_nc_u32_e32 v6, s0, v3
	v_cmp_gt_i32_e64 s0, s2, v2
	v_cmp_lt_i32_e32 vcc_lo, 0, v6
	v_ashrrev_i32_e32 v1, 31, v0
	s_and_b32 s3, s0, vcc_lo
	v_lshlrev_b64 v[8:9], 2, v[0:1]
	v_add_co_u32 v4, s1, s10, v8
	v_add_co_ci_u32_e64 v5, null, s11, v9, s1
	v_add_co_u32 v2, s1, s4, v8
	v_add_co_ci_u32_e64 v3, null, s5, v9, s1
	v_mov_b32_e32 v8, 0
	s_and_saveexec_b32 s1, s3
	s_cbranch_execz .LBB647_2
; %bb.1:
	global_load_dword v8, v[4:5], off
	global_load_dword v7, v[2:3], off
.LBB647_2:
	s_or_b32 exec_lo, exec_lo, s1
	v_cmp_gt_i32_e64 s1, 2, v6
	s_xor_b32 s3, s0, -1
	s_or_b32 s1, s3, s1
	s_and_saveexec_b32 s3, s1
	s_xor_b32 s1, exec_lo, s3
                                        ; implicit-def: $vgpr9
; %bb.3:
	v_mov_b32_e32 v9, 0
                                        ; implicit-def: $vgpr2
                                        ; implicit-def: $vgpr4
; %bb.4:
	s_or_saveexec_b32 s4, s1
	v_mov_b32_e32 v10, 0
	s_xor_b32 exec_lo, exec_lo, s4
	s_cbranch_execz .LBB647_6
; %bb.5:
	s_mov_b32 s3, 0
	s_lshl_b64 s[6:7], s[2:3], 2
	v_add_co_u32 v4, s1, v4, s6
	v_add_co_ci_u32_e64 v5, null, s7, v5, s1
	v_add_co_u32 v2, s1, v2, s6
	v_add_co_ci_u32_e64 v3, null, s7, v3, s1
	global_load_dword v9, v[4:5], off
	global_load_dword v10, v[2:3], off
.LBB647_6:
	s_or_b32 exec_lo, exec_lo, s4
	v_mbcnt_lo_u32_b32 v2, -1, 0
	s_waitcnt vmcnt(1)
	v_add_f32_e32 v5, 0, v8
	v_add_f32_e32 v11, 0, v9
	v_and_b32_e32 v3, 28, v2
	v_xor_b32_e32 v4, 2, v2
	v_add_nc_u32_e32 v3, 4, v3
	v_cmp_lt_i32_e64 s1, v4, v3
	v_cndmask_b32_e64 v4, v2, v4, s1
	v_lshlrev_b32_e32 v4, 2, v4
	ds_bpermute_b32 v12, v4, v5
	ds_bpermute_b32 v13, v4, v11
	v_xor_b32_e32 v4, 1, v2
	v_cmp_lt_i32_e64 s1, v4, v3
	v_cndmask_b32_e64 v2, v2, v4, s1
	v_lshlrev_b32_e32 v3, 2, v2
	s_waitcnt lgkmcnt(1)
	v_add_f32_e32 v4, v5, v12
	s_waitcnt lgkmcnt(0)
	v_add_f32_e32 v2, v11, v13
	ds_bpermute_b32 v5, v3, v4
	ds_bpermute_b32 v3, v3, v2
	s_and_saveexec_b32 s1, vcc_lo
	s_cbranch_execz .LBB647_11
; %bb.7:
	v_lshlrev_b64 v[0:1], 1, v[0:1]
	v_add_co_u32 v0, vcc_lo, s8, v0
	v_add_co_ci_u32_e64 v1, null, s9, v1, vcc_lo
	s_and_saveexec_b32 s1, s0
	s_cbranch_execz .LBB647_9
; %bb.8:
	s_waitcnt lgkmcnt(1)
	v_add_f32_e32 v4, v4, v5
	s_waitcnt vmcnt(0)
	v_fma_f32 v4, -v7, v4, v8
	v_bfe_u32 v5, v4, 16, 1
	v_cmp_o_f32_e32 vcc_lo, v4, v4
	v_add3_u32 v4, v4, v5, 0x7fff
	v_mov_b32_e32 v5, 0x7fc0
	v_cndmask_b32_sdwa v4, v5, v4, vcc_lo dst_sel:DWORD dst_unused:UNUSED_PAD src0_sel:DWORD src1_sel:WORD_1
	global_store_short v[0:1], v4, off
.LBB647_9:
	s_or_b32 exec_lo, exec_lo, s1
	v_cmp_ne_u32_e32 vcc_lo, 1, v6
	s_and_b32 s0, vcc_lo, s0
	s_and_b32 exec_lo, exec_lo, s0
	s_cbranch_execz .LBB647_11
; %bb.10:
	s_waitcnt lgkmcnt(0)
	v_add_f32_e32 v2, v2, v3
	s_mov_b32 s3, 0
	v_mov_b32_e32 v4, 0x7fc0
	s_lshl_b64 s[0:1], s[2:3], 1
	v_add_co_u32 v0, s0, v0, s0
	s_waitcnt vmcnt(0)
	v_fma_f32 v2, -v10, v2, v9
	v_add_co_ci_u32_e64 v1, null, s1, v1, s0
	v_bfe_u32 v3, v2, 16, 1
	v_cmp_o_f32_e32 vcc_lo, v2, v2
	v_add3_u32 v2, v2, v3, 0x7fff
	v_cndmask_b32_sdwa v2, v4, v2, vcc_lo dst_sel:DWORD dst_unused:UNUSED_PAD src0_sel:DWORD src1_sel:WORD_1
	global_store_short v[0:1], v2, off
.LBB647_11:
	s_endpgm
	.section	.rodata,"a",@progbits
	.p2align	6, 0x0
	.amdhsa_kernel _ZN12_GLOBAL__N_121softmax_warp_backwardIfN3c108BFloat16EfLi2ELb0ELb0ELi32EEEvPT0_PKT_S7_iiiPKb
		.amdhsa_group_segment_fixed_size 0
		.amdhsa_private_segment_fixed_size 0
		.amdhsa_kernarg_size 304
		.amdhsa_user_sgpr_count 6
		.amdhsa_user_sgpr_private_segment_buffer 1
		.amdhsa_user_sgpr_dispatch_ptr 0
		.amdhsa_user_sgpr_queue_ptr 0
		.amdhsa_user_sgpr_kernarg_segment_ptr 1
		.amdhsa_user_sgpr_dispatch_id 0
		.amdhsa_user_sgpr_flat_scratch_init 0
		.amdhsa_user_sgpr_private_segment_size 0
		.amdhsa_wavefront_size32 1
		.amdhsa_uses_dynamic_stack 0
		.amdhsa_system_sgpr_private_segment_wavefront_offset 0
		.amdhsa_system_sgpr_workgroup_id_x 1
		.amdhsa_system_sgpr_workgroup_id_y 0
		.amdhsa_system_sgpr_workgroup_id_z 0
		.amdhsa_system_sgpr_workgroup_info 0
		.amdhsa_system_vgpr_workitem_id 1
		.amdhsa_next_free_vgpr 14
		.amdhsa_next_free_sgpr 12
		.amdhsa_reserve_vcc 1
		.amdhsa_reserve_flat_scratch 0
		.amdhsa_float_round_mode_32 0
		.amdhsa_float_round_mode_16_64 0
		.amdhsa_float_denorm_mode_32 3
		.amdhsa_float_denorm_mode_16_64 3
		.amdhsa_dx10_clamp 1
		.amdhsa_ieee_mode 1
		.amdhsa_fp16_overflow 0
		.amdhsa_workgroup_processor_mode 1
		.amdhsa_memory_ordered 1
		.amdhsa_forward_progress 1
		.amdhsa_shared_vgpr_count 0
		.amdhsa_exception_fp_ieee_invalid_op 0
		.amdhsa_exception_fp_denorm_src 0
		.amdhsa_exception_fp_ieee_div_zero 0
		.amdhsa_exception_fp_ieee_overflow 0
		.amdhsa_exception_fp_ieee_underflow 0
		.amdhsa_exception_fp_ieee_inexact 0
		.amdhsa_exception_int_div_zero 0
	.end_amdhsa_kernel
	.section	.text._ZN12_GLOBAL__N_121softmax_warp_backwardIfN3c108BFloat16EfLi2ELb0ELb0ELi32EEEvPT0_PKT_S7_iiiPKb,"axG",@progbits,_ZN12_GLOBAL__N_121softmax_warp_backwardIfN3c108BFloat16EfLi2ELb0ELb0ELi32EEEvPT0_PKT_S7_iiiPKb,comdat
.Lfunc_end647:
	.size	_ZN12_GLOBAL__N_121softmax_warp_backwardIfN3c108BFloat16EfLi2ELb0ELb0ELi32EEEvPT0_PKT_S7_iiiPKb, .Lfunc_end647-_ZN12_GLOBAL__N_121softmax_warp_backwardIfN3c108BFloat16EfLi2ELb0ELb0ELi32EEEvPT0_PKT_S7_iiiPKb
                                        ; -- End function
	.set _ZN12_GLOBAL__N_121softmax_warp_backwardIfN3c108BFloat16EfLi2ELb0ELb0ELi32EEEvPT0_PKT_S7_iiiPKb.num_vgpr, 14
	.set _ZN12_GLOBAL__N_121softmax_warp_backwardIfN3c108BFloat16EfLi2ELb0ELb0ELi32EEEvPT0_PKT_S7_iiiPKb.num_agpr, 0
	.set _ZN12_GLOBAL__N_121softmax_warp_backwardIfN3c108BFloat16EfLi2ELb0ELb0ELi32EEEvPT0_PKT_S7_iiiPKb.numbered_sgpr, 12
	.set _ZN12_GLOBAL__N_121softmax_warp_backwardIfN3c108BFloat16EfLi2ELb0ELb0ELi32EEEvPT0_PKT_S7_iiiPKb.num_named_barrier, 0
	.set _ZN12_GLOBAL__N_121softmax_warp_backwardIfN3c108BFloat16EfLi2ELb0ELb0ELi32EEEvPT0_PKT_S7_iiiPKb.private_seg_size, 0
	.set _ZN12_GLOBAL__N_121softmax_warp_backwardIfN3c108BFloat16EfLi2ELb0ELb0ELi32EEEvPT0_PKT_S7_iiiPKb.uses_vcc, 1
	.set _ZN12_GLOBAL__N_121softmax_warp_backwardIfN3c108BFloat16EfLi2ELb0ELb0ELi32EEEvPT0_PKT_S7_iiiPKb.uses_flat_scratch, 0
	.set _ZN12_GLOBAL__N_121softmax_warp_backwardIfN3c108BFloat16EfLi2ELb0ELb0ELi32EEEvPT0_PKT_S7_iiiPKb.has_dyn_sized_stack, 0
	.set _ZN12_GLOBAL__N_121softmax_warp_backwardIfN3c108BFloat16EfLi2ELb0ELb0ELi32EEEvPT0_PKT_S7_iiiPKb.has_recursion, 0
	.set _ZN12_GLOBAL__N_121softmax_warp_backwardIfN3c108BFloat16EfLi2ELb0ELb0ELi32EEEvPT0_PKT_S7_iiiPKb.has_indirect_call, 0
	.section	.AMDGPU.csdata,"",@progbits
; Kernel info:
; codeLenInByte = 632
; TotalNumSgprs: 14
; NumVgprs: 14
; ScratchSize: 0
; MemoryBound: 0
; FloatMode: 240
; IeeeMode: 1
; LDSByteSize: 0 bytes/workgroup (compile time only)
; SGPRBlocks: 0
; VGPRBlocks: 1
; NumSGPRsForWavesPerEU: 14
; NumVGPRsForWavesPerEU: 14
; Occupancy: 16
; WaveLimiterHint : 0
; COMPUTE_PGM_RSRC2:SCRATCH_EN: 0
; COMPUTE_PGM_RSRC2:USER_SGPR: 6
; COMPUTE_PGM_RSRC2:TRAP_HANDLER: 0
; COMPUTE_PGM_RSRC2:TGID_X_EN: 1
; COMPUTE_PGM_RSRC2:TGID_Y_EN: 0
; COMPUTE_PGM_RSRC2:TGID_Z_EN: 0
; COMPUTE_PGM_RSRC2:TIDIG_COMP_CNT: 1
	.section	.text._ZN12_GLOBAL__N_121softmax_warp_backwardIfN3c108BFloat16EfLi3ELb0ELb0ELi64EEEvPT0_PKT_S7_iiiPKb,"axG",@progbits,_ZN12_GLOBAL__N_121softmax_warp_backwardIfN3c108BFloat16EfLi3ELb0ELb0ELi64EEEvPT0_PKT_S7_iiiPKb,comdat
	.globl	_ZN12_GLOBAL__N_121softmax_warp_backwardIfN3c108BFloat16EfLi3ELb0ELb0ELi64EEEvPT0_PKT_S7_iiiPKb ; -- Begin function _ZN12_GLOBAL__N_121softmax_warp_backwardIfN3c108BFloat16EfLi3ELb0ELb0ELi64EEEvPT0_PKT_S7_iiiPKb
	.p2align	8
	.type	_ZN12_GLOBAL__N_121softmax_warp_backwardIfN3c108BFloat16EfLi3ELb0ELb0ELi64EEEvPT0_PKT_S7_iiiPKb,@function
_ZN12_GLOBAL__N_121softmax_warp_backwardIfN3c108BFloat16EfLi3ELb0ELb0ELi64EEEvPT0_PKT_S7_iiiPKb: ; @_ZN12_GLOBAL__N_121softmax_warp_backwardIfN3c108BFloat16EfLi3ELb0ELb0ELi64EEEvPT0_PKT_S7_iiiPKb
; %bb.0:
	s_clause 0x1
	s_load_dword s7, s[4:5], 0x3c
	s_load_dwordx4 s[0:3], s[4:5], 0x18
	v_and_b32_e32 v2, 7, v0
	s_clause 0x1
	s_load_dwordx4 s[8:11], s[4:5], 0x0
	s_load_dwordx2 s[4:5], s[4:5], 0x10
	v_mov_b32_e32 v7, 0
	s_waitcnt lgkmcnt(0)
	s_lshr_b32 s3, s7, 16
	s_and_b32 s3, s3, 0xffff
	s_mul_i32 s6, s6, s3
	v_add_lshl_u32 v3, s6, v1, 1
	v_mad_u64_u32 v[0:1], null, v3, s1, v[2:3]
	v_sub_nc_u32_e32 v6, s0, v3
	v_cmp_gt_i32_e64 s0, s2, v2
	v_cmp_lt_i32_e32 vcc_lo, 0, v6
	v_ashrrev_i32_e32 v1, 31, v0
	s_and_b32 s3, s0, vcc_lo
	v_lshlrev_b64 v[8:9], 2, v[0:1]
	v_add_co_u32 v4, s1, s10, v8
	v_add_co_ci_u32_e64 v5, null, s11, v9, s1
	v_add_co_u32 v2, s1, s4, v8
	v_add_co_ci_u32_e64 v3, null, s5, v9, s1
	v_mov_b32_e32 v8, 0
	s_and_saveexec_b32 s1, s3
	s_cbranch_execz .LBB648_2
; %bb.1:
	global_load_dword v8, v[4:5], off
	global_load_dword v7, v[2:3], off
.LBB648_2:
	s_or_b32 exec_lo, exec_lo, s1
	v_cmp_gt_i32_e64 s1, 2, v6
	s_xor_b32 s3, s0, -1
	s_or_b32 s1, s3, s1
	s_and_saveexec_b32 s3, s1
	s_xor_b32 s1, exec_lo, s3
                                        ; implicit-def: $vgpr9
; %bb.3:
	v_mov_b32_e32 v9, 0
                                        ; implicit-def: $vgpr2
                                        ; implicit-def: $vgpr4
; %bb.4:
	s_or_saveexec_b32 s4, s1
	v_mov_b32_e32 v10, 0
	s_xor_b32 exec_lo, exec_lo, s4
	s_cbranch_execz .LBB648_6
; %bb.5:
	s_mov_b32 s3, 0
	s_lshl_b64 s[6:7], s[2:3], 2
	v_add_co_u32 v4, s1, v4, s6
	v_add_co_ci_u32_e64 v5, null, s7, v5, s1
	v_add_co_u32 v2, s1, v2, s6
	v_add_co_ci_u32_e64 v3, null, s7, v3, s1
	global_load_dword v9, v[4:5], off
	global_load_dword v10, v[2:3], off
.LBB648_6:
	s_or_b32 exec_lo, exec_lo, s4
	v_mbcnt_lo_u32_b32 v2, -1, 0
	s_waitcnt vmcnt(1)
	v_add_f32_e32 v5, 0, v8
	v_add_f32_e32 v11, 0, v9
	v_and_b32_e32 v3, 24, v2
	v_xor_b32_e32 v4, 4, v2
	v_xor_b32_e32 v13, 2, v2
	v_add_nc_u32_e32 v3, 8, v3
	v_cmp_lt_i32_e64 s1, v4, v3
	v_cndmask_b32_e64 v4, v2, v4, s1
	v_cmp_lt_i32_e64 s1, v13, v3
	v_lshlrev_b32_e32 v4, 2, v4
	v_cndmask_b32_e64 v13, v2, v13, s1
	ds_bpermute_b32 v12, v4, v5
	ds_bpermute_b32 v4, v4, v11
	v_lshlrev_b32_e32 v13, 2, v13
	s_waitcnt lgkmcnt(1)
	v_add_f32_e32 v5, v5, v12
	s_waitcnt lgkmcnt(0)
	v_add_f32_e32 v11, v11, v4
	ds_bpermute_b32 v4, v13, v5
	ds_bpermute_b32 v12, v13, v11
	v_xor_b32_e32 v13, 1, v2
	v_cmp_lt_i32_e64 s1, v13, v3
	v_cndmask_b32_e64 v2, v2, v13, s1
	v_lshlrev_b32_e32 v3, 2, v2
	s_waitcnt lgkmcnt(1)
	v_add_f32_e32 v4, v5, v4
	s_waitcnt lgkmcnt(0)
	v_add_f32_e32 v2, v11, v12
	ds_bpermute_b32 v5, v3, v4
	ds_bpermute_b32 v3, v3, v2
	s_and_saveexec_b32 s1, vcc_lo
	s_cbranch_execz .LBB648_11
; %bb.7:
	v_lshlrev_b64 v[0:1], 1, v[0:1]
	v_add_co_u32 v0, vcc_lo, s8, v0
	v_add_co_ci_u32_e64 v1, null, s9, v1, vcc_lo
	s_and_saveexec_b32 s1, s0
	s_cbranch_execz .LBB648_9
; %bb.8:
	s_waitcnt lgkmcnt(1)
	v_add_f32_e32 v4, v4, v5
	s_waitcnt vmcnt(0)
	v_fma_f32 v4, -v7, v4, v8
	v_bfe_u32 v5, v4, 16, 1
	v_cmp_o_f32_e32 vcc_lo, v4, v4
	v_add3_u32 v4, v4, v5, 0x7fff
	v_mov_b32_e32 v5, 0x7fc0
	v_cndmask_b32_sdwa v4, v5, v4, vcc_lo dst_sel:DWORD dst_unused:UNUSED_PAD src0_sel:DWORD src1_sel:WORD_1
	global_store_short v[0:1], v4, off
.LBB648_9:
	s_or_b32 exec_lo, exec_lo, s1
	v_cmp_ne_u32_e32 vcc_lo, 1, v6
	s_and_b32 s0, vcc_lo, s0
	s_and_b32 exec_lo, exec_lo, s0
	s_cbranch_execz .LBB648_11
; %bb.10:
	s_waitcnt lgkmcnt(0)
	v_add_f32_e32 v2, v2, v3
	s_mov_b32 s3, 0
	v_mov_b32_e32 v4, 0x7fc0
	s_lshl_b64 s[0:1], s[2:3], 1
	v_add_co_u32 v0, s0, v0, s0
	s_waitcnt vmcnt(0)
	v_fma_f32 v2, -v10, v2, v9
	v_add_co_ci_u32_e64 v1, null, s1, v1, s0
	v_bfe_u32 v3, v2, 16, 1
	v_cmp_o_f32_e32 vcc_lo, v2, v2
	v_add3_u32 v2, v2, v3, 0x7fff
	v_cndmask_b32_sdwa v2, v4, v2, vcc_lo dst_sel:DWORD dst_unused:UNUSED_PAD src0_sel:DWORD src1_sel:WORD_1
	global_store_short v[0:1], v2, off
.LBB648_11:
	s_endpgm
	.section	.rodata,"a",@progbits
	.p2align	6, 0x0
	.amdhsa_kernel _ZN12_GLOBAL__N_121softmax_warp_backwardIfN3c108BFloat16EfLi3ELb0ELb0ELi64EEEvPT0_PKT_S7_iiiPKb
		.amdhsa_group_segment_fixed_size 0
		.amdhsa_private_segment_fixed_size 0
		.amdhsa_kernarg_size 304
		.amdhsa_user_sgpr_count 6
		.amdhsa_user_sgpr_private_segment_buffer 1
		.amdhsa_user_sgpr_dispatch_ptr 0
		.amdhsa_user_sgpr_queue_ptr 0
		.amdhsa_user_sgpr_kernarg_segment_ptr 1
		.amdhsa_user_sgpr_dispatch_id 0
		.amdhsa_user_sgpr_flat_scratch_init 0
		.amdhsa_user_sgpr_private_segment_size 0
		.amdhsa_wavefront_size32 1
		.amdhsa_uses_dynamic_stack 0
		.amdhsa_system_sgpr_private_segment_wavefront_offset 0
		.amdhsa_system_sgpr_workgroup_id_x 1
		.amdhsa_system_sgpr_workgroup_id_y 0
		.amdhsa_system_sgpr_workgroup_id_z 0
		.amdhsa_system_sgpr_workgroup_info 0
		.amdhsa_system_vgpr_workitem_id 1
		.amdhsa_next_free_vgpr 14
		.amdhsa_next_free_sgpr 12
		.amdhsa_reserve_vcc 1
		.amdhsa_reserve_flat_scratch 0
		.amdhsa_float_round_mode_32 0
		.amdhsa_float_round_mode_16_64 0
		.amdhsa_float_denorm_mode_32 3
		.amdhsa_float_denorm_mode_16_64 3
		.amdhsa_dx10_clamp 1
		.amdhsa_ieee_mode 1
		.amdhsa_fp16_overflow 0
		.amdhsa_workgroup_processor_mode 1
		.amdhsa_memory_ordered 1
		.amdhsa_forward_progress 1
		.amdhsa_shared_vgpr_count 0
		.amdhsa_exception_fp_ieee_invalid_op 0
		.amdhsa_exception_fp_denorm_src 0
		.amdhsa_exception_fp_ieee_div_zero 0
		.amdhsa_exception_fp_ieee_overflow 0
		.amdhsa_exception_fp_ieee_underflow 0
		.amdhsa_exception_fp_ieee_inexact 0
		.amdhsa_exception_int_div_zero 0
	.end_amdhsa_kernel
	.section	.text._ZN12_GLOBAL__N_121softmax_warp_backwardIfN3c108BFloat16EfLi3ELb0ELb0ELi64EEEvPT0_PKT_S7_iiiPKb,"axG",@progbits,_ZN12_GLOBAL__N_121softmax_warp_backwardIfN3c108BFloat16EfLi3ELb0ELb0ELi64EEEvPT0_PKT_S7_iiiPKb,comdat
.Lfunc_end648:
	.size	_ZN12_GLOBAL__N_121softmax_warp_backwardIfN3c108BFloat16EfLi3ELb0ELb0ELi64EEEvPT0_PKT_S7_iiiPKb, .Lfunc_end648-_ZN12_GLOBAL__N_121softmax_warp_backwardIfN3c108BFloat16EfLi3ELb0ELb0ELi64EEEvPT0_PKT_S7_iiiPKb
                                        ; -- End function
	.set _ZN12_GLOBAL__N_121softmax_warp_backwardIfN3c108BFloat16EfLi3ELb0ELb0ELi64EEEvPT0_PKT_S7_iiiPKb.num_vgpr, 14
	.set _ZN12_GLOBAL__N_121softmax_warp_backwardIfN3c108BFloat16EfLi3ELb0ELb0ELi64EEEvPT0_PKT_S7_iiiPKb.num_agpr, 0
	.set _ZN12_GLOBAL__N_121softmax_warp_backwardIfN3c108BFloat16EfLi3ELb0ELb0ELi64EEEvPT0_PKT_S7_iiiPKb.numbered_sgpr, 12
	.set _ZN12_GLOBAL__N_121softmax_warp_backwardIfN3c108BFloat16EfLi3ELb0ELb0ELi64EEEvPT0_PKT_S7_iiiPKb.num_named_barrier, 0
	.set _ZN12_GLOBAL__N_121softmax_warp_backwardIfN3c108BFloat16EfLi3ELb0ELb0ELi64EEEvPT0_PKT_S7_iiiPKb.private_seg_size, 0
	.set _ZN12_GLOBAL__N_121softmax_warp_backwardIfN3c108BFloat16EfLi3ELb0ELb0ELi64EEEvPT0_PKT_S7_iiiPKb.uses_vcc, 1
	.set _ZN12_GLOBAL__N_121softmax_warp_backwardIfN3c108BFloat16EfLi3ELb0ELb0ELi64EEEvPT0_PKT_S7_iiiPKb.uses_flat_scratch, 0
	.set _ZN12_GLOBAL__N_121softmax_warp_backwardIfN3c108BFloat16EfLi3ELb0ELb0ELi64EEEvPT0_PKT_S7_iiiPKb.has_dyn_sized_stack, 0
	.set _ZN12_GLOBAL__N_121softmax_warp_backwardIfN3c108BFloat16EfLi3ELb0ELb0ELi64EEEvPT0_PKT_S7_iiiPKb.has_recursion, 0
	.set _ZN12_GLOBAL__N_121softmax_warp_backwardIfN3c108BFloat16EfLi3ELb0ELb0ELi64EEEvPT0_PKT_S7_iiiPKb.has_indirect_call, 0
	.section	.AMDGPU.csdata,"",@progbits
; Kernel info:
; codeLenInByte = 688
; TotalNumSgprs: 14
; NumVgprs: 14
; ScratchSize: 0
; MemoryBound: 0
; FloatMode: 240
; IeeeMode: 1
; LDSByteSize: 0 bytes/workgroup (compile time only)
; SGPRBlocks: 0
; VGPRBlocks: 1
; NumSGPRsForWavesPerEU: 14
; NumVGPRsForWavesPerEU: 14
; Occupancy: 16
; WaveLimiterHint : 0
; COMPUTE_PGM_RSRC2:SCRATCH_EN: 0
; COMPUTE_PGM_RSRC2:USER_SGPR: 6
; COMPUTE_PGM_RSRC2:TRAP_HANDLER: 0
; COMPUTE_PGM_RSRC2:TGID_X_EN: 1
; COMPUTE_PGM_RSRC2:TGID_Y_EN: 0
; COMPUTE_PGM_RSRC2:TGID_Z_EN: 0
; COMPUTE_PGM_RSRC2:TIDIG_COMP_CNT: 1
	.section	.text._ZN12_GLOBAL__N_121softmax_warp_backwardIfN3c108BFloat16EfLi3ELb0ELb0ELi32EEEvPT0_PKT_S7_iiiPKb,"axG",@progbits,_ZN12_GLOBAL__N_121softmax_warp_backwardIfN3c108BFloat16EfLi3ELb0ELb0ELi32EEEvPT0_PKT_S7_iiiPKb,comdat
	.globl	_ZN12_GLOBAL__N_121softmax_warp_backwardIfN3c108BFloat16EfLi3ELb0ELb0ELi32EEEvPT0_PKT_S7_iiiPKb ; -- Begin function _ZN12_GLOBAL__N_121softmax_warp_backwardIfN3c108BFloat16EfLi3ELb0ELb0ELi32EEEvPT0_PKT_S7_iiiPKb
	.p2align	8
	.type	_ZN12_GLOBAL__N_121softmax_warp_backwardIfN3c108BFloat16EfLi3ELb0ELb0ELi32EEEvPT0_PKT_S7_iiiPKb,@function
_ZN12_GLOBAL__N_121softmax_warp_backwardIfN3c108BFloat16EfLi3ELb0ELb0ELi32EEEvPT0_PKT_S7_iiiPKb: ; @_ZN12_GLOBAL__N_121softmax_warp_backwardIfN3c108BFloat16EfLi3ELb0ELb0ELi32EEEvPT0_PKT_S7_iiiPKb
; %bb.0:
	s_clause 0x1
	s_load_dword s7, s[4:5], 0x3c
	s_load_dwordx4 s[0:3], s[4:5], 0x18
	v_and_b32_e32 v2, 7, v0
	s_clause 0x1
	s_load_dwordx4 s[8:11], s[4:5], 0x0
	s_load_dwordx2 s[4:5], s[4:5], 0x10
	v_mov_b32_e32 v7, 0
	s_waitcnt lgkmcnt(0)
	s_lshr_b32 s3, s7, 16
	s_and_b32 s3, s3, 0xffff
	s_mul_i32 s6, s6, s3
	v_add_lshl_u32 v3, s6, v1, 1
	v_mad_u64_u32 v[0:1], null, v3, s1, v[2:3]
	v_sub_nc_u32_e32 v6, s0, v3
	v_cmp_gt_i32_e64 s0, s2, v2
	v_cmp_lt_i32_e32 vcc_lo, 0, v6
	v_ashrrev_i32_e32 v1, 31, v0
	s_and_b32 s3, s0, vcc_lo
	v_lshlrev_b64 v[8:9], 2, v[0:1]
	v_add_co_u32 v4, s1, s10, v8
	v_add_co_ci_u32_e64 v5, null, s11, v9, s1
	v_add_co_u32 v2, s1, s4, v8
	v_add_co_ci_u32_e64 v3, null, s5, v9, s1
	v_mov_b32_e32 v8, 0
	s_and_saveexec_b32 s1, s3
	s_cbranch_execz .LBB649_2
; %bb.1:
	global_load_dword v8, v[4:5], off
	global_load_dword v7, v[2:3], off
.LBB649_2:
	s_or_b32 exec_lo, exec_lo, s1
	v_cmp_gt_i32_e64 s1, 2, v6
	s_xor_b32 s3, s0, -1
	s_or_b32 s1, s3, s1
	s_and_saveexec_b32 s3, s1
	s_xor_b32 s1, exec_lo, s3
                                        ; implicit-def: $vgpr9
; %bb.3:
	v_mov_b32_e32 v9, 0
                                        ; implicit-def: $vgpr2
                                        ; implicit-def: $vgpr4
; %bb.4:
	s_or_saveexec_b32 s4, s1
	v_mov_b32_e32 v10, 0
	s_xor_b32 exec_lo, exec_lo, s4
	s_cbranch_execz .LBB649_6
; %bb.5:
	s_mov_b32 s3, 0
	s_lshl_b64 s[6:7], s[2:3], 2
	v_add_co_u32 v4, s1, v4, s6
	v_add_co_ci_u32_e64 v5, null, s7, v5, s1
	v_add_co_u32 v2, s1, v2, s6
	v_add_co_ci_u32_e64 v3, null, s7, v3, s1
	global_load_dword v9, v[4:5], off
	global_load_dword v10, v[2:3], off
.LBB649_6:
	s_or_b32 exec_lo, exec_lo, s4
	v_mbcnt_lo_u32_b32 v2, -1, 0
	s_waitcnt vmcnt(1)
	v_add_f32_e32 v5, 0, v8
	v_add_f32_e32 v11, 0, v9
	v_and_b32_e32 v3, 24, v2
	v_xor_b32_e32 v4, 4, v2
	v_xor_b32_e32 v13, 2, v2
	v_add_nc_u32_e32 v3, 8, v3
	v_cmp_lt_i32_e64 s1, v4, v3
	v_cndmask_b32_e64 v4, v2, v4, s1
	v_cmp_lt_i32_e64 s1, v13, v3
	v_lshlrev_b32_e32 v4, 2, v4
	v_cndmask_b32_e64 v13, v2, v13, s1
	ds_bpermute_b32 v12, v4, v5
	ds_bpermute_b32 v4, v4, v11
	v_lshlrev_b32_e32 v13, 2, v13
	s_waitcnt lgkmcnt(1)
	v_add_f32_e32 v5, v5, v12
	s_waitcnt lgkmcnt(0)
	v_add_f32_e32 v11, v11, v4
	ds_bpermute_b32 v4, v13, v5
	ds_bpermute_b32 v12, v13, v11
	v_xor_b32_e32 v13, 1, v2
	v_cmp_lt_i32_e64 s1, v13, v3
	v_cndmask_b32_e64 v2, v2, v13, s1
	v_lshlrev_b32_e32 v3, 2, v2
	s_waitcnt lgkmcnt(1)
	v_add_f32_e32 v4, v5, v4
	s_waitcnt lgkmcnt(0)
	v_add_f32_e32 v2, v11, v12
	ds_bpermute_b32 v5, v3, v4
	ds_bpermute_b32 v3, v3, v2
	s_and_saveexec_b32 s1, vcc_lo
	s_cbranch_execz .LBB649_11
; %bb.7:
	v_lshlrev_b64 v[0:1], 1, v[0:1]
	v_add_co_u32 v0, vcc_lo, s8, v0
	v_add_co_ci_u32_e64 v1, null, s9, v1, vcc_lo
	s_and_saveexec_b32 s1, s0
	s_cbranch_execz .LBB649_9
; %bb.8:
	s_waitcnt lgkmcnt(1)
	v_add_f32_e32 v4, v4, v5
	s_waitcnt vmcnt(0)
	v_fma_f32 v4, -v7, v4, v8
	v_bfe_u32 v5, v4, 16, 1
	v_cmp_o_f32_e32 vcc_lo, v4, v4
	v_add3_u32 v4, v4, v5, 0x7fff
	v_mov_b32_e32 v5, 0x7fc0
	v_cndmask_b32_sdwa v4, v5, v4, vcc_lo dst_sel:DWORD dst_unused:UNUSED_PAD src0_sel:DWORD src1_sel:WORD_1
	global_store_short v[0:1], v4, off
.LBB649_9:
	s_or_b32 exec_lo, exec_lo, s1
	v_cmp_ne_u32_e32 vcc_lo, 1, v6
	s_and_b32 s0, vcc_lo, s0
	s_and_b32 exec_lo, exec_lo, s0
	s_cbranch_execz .LBB649_11
; %bb.10:
	s_waitcnt lgkmcnt(0)
	v_add_f32_e32 v2, v2, v3
	s_mov_b32 s3, 0
	v_mov_b32_e32 v4, 0x7fc0
	s_lshl_b64 s[0:1], s[2:3], 1
	v_add_co_u32 v0, s0, v0, s0
	s_waitcnt vmcnt(0)
	v_fma_f32 v2, -v10, v2, v9
	v_add_co_ci_u32_e64 v1, null, s1, v1, s0
	v_bfe_u32 v3, v2, 16, 1
	v_cmp_o_f32_e32 vcc_lo, v2, v2
	v_add3_u32 v2, v2, v3, 0x7fff
	v_cndmask_b32_sdwa v2, v4, v2, vcc_lo dst_sel:DWORD dst_unused:UNUSED_PAD src0_sel:DWORD src1_sel:WORD_1
	global_store_short v[0:1], v2, off
.LBB649_11:
	s_endpgm
	.section	.rodata,"a",@progbits
	.p2align	6, 0x0
	.amdhsa_kernel _ZN12_GLOBAL__N_121softmax_warp_backwardIfN3c108BFloat16EfLi3ELb0ELb0ELi32EEEvPT0_PKT_S7_iiiPKb
		.amdhsa_group_segment_fixed_size 0
		.amdhsa_private_segment_fixed_size 0
		.amdhsa_kernarg_size 304
		.amdhsa_user_sgpr_count 6
		.amdhsa_user_sgpr_private_segment_buffer 1
		.amdhsa_user_sgpr_dispatch_ptr 0
		.amdhsa_user_sgpr_queue_ptr 0
		.amdhsa_user_sgpr_kernarg_segment_ptr 1
		.amdhsa_user_sgpr_dispatch_id 0
		.amdhsa_user_sgpr_flat_scratch_init 0
		.amdhsa_user_sgpr_private_segment_size 0
		.amdhsa_wavefront_size32 1
		.amdhsa_uses_dynamic_stack 0
		.amdhsa_system_sgpr_private_segment_wavefront_offset 0
		.amdhsa_system_sgpr_workgroup_id_x 1
		.amdhsa_system_sgpr_workgroup_id_y 0
		.amdhsa_system_sgpr_workgroup_id_z 0
		.amdhsa_system_sgpr_workgroup_info 0
		.amdhsa_system_vgpr_workitem_id 1
		.amdhsa_next_free_vgpr 14
		.amdhsa_next_free_sgpr 12
		.amdhsa_reserve_vcc 1
		.amdhsa_reserve_flat_scratch 0
		.amdhsa_float_round_mode_32 0
		.amdhsa_float_round_mode_16_64 0
		.amdhsa_float_denorm_mode_32 3
		.amdhsa_float_denorm_mode_16_64 3
		.amdhsa_dx10_clamp 1
		.amdhsa_ieee_mode 1
		.amdhsa_fp16_overflow 0
		.amdhsa_workgroup_processor_mode 1
		.amdhsa_memory_ordered 1
		.amdhsa_forward_progress 1
		.amdhsa_shared_vgpr_count 0
		.amdhsa_exception_fp_ieee_invalid_op 0
		.amdhsa_exception_fp_denorm_src 0
		.amdhsa_exception_fp_ieee_div_zero 0
		.amdhsa_exception_fp_ieee_overflow 0
		.amdhsa_exception_fp_ieee_underflow 0
		.amdhsa_exception_fp_ieee_inexact 0
		.amdhsa_exception_int_div_zero 0
	.end_amdhsa_kernel
	.section	.text._ZN12_GLOBAL__N_121softmax_warp_backwardIfN3c108BFloat16EfLi3ELb0ELb0ELi32EEEvPT0_PKT_S7_iiiPKb,"axG",@progbits,_ZN12_GLOBAL__N_121softmax_warp_backwardIfN3c108BFloat16EfLi3ELb0ELb0ELi32EEEvPT0_PKT_S7_iiiPKb,comdat
.Lfunc_end649:
	.size	_ZN12_GLOBAL__N_121softmax_warp_backwardIfN3c108BFloat16EfLi3ELb0ELb0ELi32EEEvPT0_PKT_S7_iiiPKb, .Lfunc_end649-_ZN12_GLOBAL__N_121softmax_warp_backwardIfN3c108BFloat16EfLi3ELb0ELb0ELi32EEEvPT0_PKT_S7_iiiPKb
                                        ; -- End function
	.set _ZN12_GLOBAL__N_121softmax_warp_backwardIfN3c108BFloat16EfLi3ELb0ELb0ELi32EEEvPT0_PKT_S7_iiiPKb.num_vgpr, 14
	.set _ZN12_GLOBAL__N_121softmax_warp_backwardIfN3c108BFloat16EfLi3ELb0ELb0ELi32EEEvPT0_PKT_S7_iiiPKb.num_agpr, 0
	.set _ZN12_GLOBAL__N_121softmax_warp_backwardIfN3c108BFloat16EfLi3ELb0ELb0ELi32EEEvPT0_PKT_S7_iiiPKb.numbered_sgpr, 12
	.set _ZN12_GLOBAL__N_121softmax_warp_backwardIfN3c108BFloat16EfLi3ELb0ELb0ELi32EEEvPT0_PKT_S7_iiiPKb.num_named_barrier, 0
	.set _ZN12_GLOBAL__N_121softmax_warp_backwardIfN3c108BFloat16EfLi3ELb0ELb0ELi32EEEvPT0_PKT_S7_iiiPKb.private_seg_size, 0
	.set _ZN12_GLOBAL__N_121softmax_warp_backwardIfN3c108BFloat16EfLi3ELb0ELb0ELi32EEEvPT0_PKT_S7_iiiPKb.uses_vcc, 1
	.set _ZN12_GLOBAL__N_121softmax_warp_backwardIfN3c108BFloat16EfLi3ELb0ELb0ELi32EEEvPT0_PKT_S7_iiiPKb.uses_flat_scratch, 0
	.set _ZN12_GLOBAL__N_121softmax_warp_backwardIfN3c108BFloat16EfLi3ELb0ELb0ELi32EEEvPT0_PKT_S7_iiiPKb.has_dyn_sized_stack, 0
	.set _ZN12_GLOBAL__N_121softmax_warp_backwardIfN3c108BFloat16EfLi3ELb0ELb0ELi32EEEvPT0_PKT_S7_iiiPKb.has_recursion, 0
	.set _ZN12_GLOBAL__N_121softmax_warp_backwardIfN3c108BFloat16EfLi3ELb0ELb0ELi32EEEvPT0_PKT_S7_iiiPKb.has_indirect_call, 0
	.section	.AMDGPU.csdata,"",@progbits
; Kernel info:
; codeLenInByte = 688
; TotalNumSgprs: 14
; NumVgprs: 14
; ScratchSize: 0
; MemoryBound: 0
; FloatMode: 240
; IeeeMode: 1
; LDSByteSize: 0 bytes/workgroup (compile time only)
; SGPRBlocks: 0
; VGPRBlocks: 1
; NumSGPRsForWavesPerEU: 14
; NumVGPRsForWavesPerEU: 14
; Occupancy: 16
; WaveLimiterHint : 0
; COMPUTE_PGM_RSRC2:SCRATCH_EN: 0
; COMPUTE_PGM_RSRC2:USER_SGPR: 6
; COMPUTE_PGM_RSRC2:TRAP_HANDLER: 0
; COMPUTE_PGM_RSRC2:TGID_X_EN: 1
; COMPUTE_PGM_RSRC2:TGID_Y_EN: 0
; COMPUTE_PGM_RSRC2:TGID_Z_EN: 0
; COMPUTE_PGM_RSRC2:TIDIG_COMP_CNT: 1
	.section	.text._ZN12_GLOBAL__N_121softmax_warp_backwardIfN3c108BFloat16EfLi4ELb0ELb0ELi64EEEvPT0_PKT_S7_iiiPKb,"axG",@progbits,_ZN12_GLOBAL__N_121softmax_warp_backwardIfN3c108BFloat16EfLi4ELb0ELb0ELi64EEEvPT0_PKT_S7_iiiPKb,comdat
	.globl	_ZN12_GLOBAL__N_121softmax_warp_backwardIfN3c108BFloat16EfLi4ELb0ELb0ELi64EEEvPT0_PKT_S7_iiiPKb ; -- Begin function _ZN12_GLOBAL__N_121softmax_warp_backwardIfN3c108BFloat16EfLi4ELb0ELb0ELi64EEEvPT0_PKT_S7_iiiPKb
	.p2align	8
	.type	_ZN12_GLOBAL__N_121softmax_warp_backwardIfN3c108BFloat16EfLi4ELb0ELb0ELi64EEEvPT0_PKT_S7_iiiPKb,@function
_ZN12_GLOBAL__N_121softmax_warp_backwardIfN3c108BFloat16EfLi4ELb0ELb0ELi64EEEvPT0_PKT_S7_iiiPKb: ; @_ZN12_GLOBAL__N_121softmax_warp_backwardIfN3c108BFloat16EfLi4ELb0ELb0ELi64EEEvPT0_PKT_S7_iiiPKb
; %bb.0:
	s_clause 0x1
	s_load_dword s7, s[4:5], 0x3c
	s_load_dwordx4 s[0:3], s[4:5], 0x18
	v_and_b32_e32 v2, 15, v0
	s_clause 0x1
	s_load_dwordx4 s[8:11], s[4:5], 0x0
	s_load_dwordx2 s[4:5], s[4:5], 0x10
	v_mov_b32_e32 v7, 0
	s_waitcnt lgkmcnt(0)
	s_lshr_b32 s3, s7, 16
	s_and_b32 s3, s3, 0xffff
	s_mul_i32 s6, s6, s3
	v_add_lshl_u32 v3, s6, v1, 1
	v_mad_u64_u32 v[0:1], null, v3, s1, v[2:3]
	v_sub_nc_u32_e32 v6, s0, v3
	v_cmp_gt_i32_e64 s0, s2, v2
	v_cmp_lt_i32_e32 vcc_lo, 0, v6
	v_ashrrev_i32_e32 v1, 31, v0
	s_and_b32 s3, s0, vcc_lo
	v_lshlrev_b64 v[8:9], 2, v[0:1]
	v_add_co_u32 v4, s1, s10, v8
	v_add_co_ci_u32_e64 v5, null, s11, v9, s1
	v_add_co_u32 v2, s1, s4, v8
	v_add_co_ci_u32_e64 v3, null, s5, v9, s1
	v_mov_b32_e32 v8, 0
	s_and_saveexec_b32 s1, s3
	s_cbranch_execz .LBB650_2
; %bb.1:
	global_load_dword v8, v[4:5], off
	global_load_dword v7, v[2:3], off
.LBB650_2:
	s_or_b32 exec_lo, exec_lo, s1
	v_cmp_gt_i32_e64 s1, 2, v6
	s_xor_b32 s3, s0, -1
	s_or_b32 s1, s3, s1
	s_and_saveexec_b32 s3, s1
	s_xor_b32 s1, exec_lo, s3
                                        ; implicit-def: $vgpr9
; %bb.3:
	v_mov_b32_e32 v9, 0
                                        ; implicit-def: $vgpr2
                                        ; implicit-def: $vgpr4
; %bb.4:
	s_or_saveexec_b32 s4, s1
	v_mov_b32_e32 v10, 0
	s_xor_b32 exec_lo, exec_lo, s4
	s_cbranch_execz .LBB650_6
; %bb.5:
	s_mov_b32 s3, 0
	s_lshl_b64 s[6:7], s[2:3], 2
	v_add_co_u32 v4, s1, v4, s6
	v_add_co_ci_u32_e64 v5, null, s7, v5, s1
	v_add_co_u32 v2, s1, v2, s6
	v_add_co_ci_u32_e64 v3, null, s7, v3, s1
	global_load_dword v9, v[4:5], off
	global_load_dword v10, v[2:3], off
.LBB650_6:
	s_or_b32 exec_lo, exec_lo, s4
	v_mbcnt_lo_u32_b32 v2, -1, 0
	s_waitcnt vmcnt(1)
	v_add_f32_e32 v5, 0, v8
	v_add_f32_e32 v11, 0, v9
	v_and_b32_e32 v3, 16, v2
	v_xor_b32_e32 v4, 8, v2
	v_xor_b32_e32 v13, 4, v2
	v_add_nc_u32_e32 v3, 16, v3
	v_cmp_lt_i32_e64 s1, v4, v3
	v_cndmask_b32_e64 v4, v2, v4, s1
	v_cmp_lt_i32_e64 s1, v13, v3
	v_lshlrev_b32_e32 v4, 2, v4
	v_cndmask_b32_e64 v13, v2, v13, s1
	ds_bpermute_b32 v12, v4, v5
	ds_bpermute_b32 v4, v4, v11
	v_lshlrev_b32_e32 v13, 2, v13
	s_waitcnt lgkmcnt(1)
	v_add_f32_e32 v5, v5, v12
	s_waitcnt lgkmcnt(0)
	v_add_f32_e32 v4, v11, v4
	ds_bpermute_b32 v11, v13, v5
	ds_bpermute_b32 v12, v13, v4
	v_xor_b32_e32 v13, 2, v2
	v_cmp_lt_i32_e64 s1, v13, v3
	v_cndmask_b32_e64 v13, v2, v13, s1
	v_lshlrev_b32_e32 v13, 2, v13
	s_waitcnt lgkmcnt(1)
	v_add_f32_e32 v5, v5, v11
	s_waitcnt lgkmcnt(0)
	v_add_f32_e32 v11, v4, v12
	ds_bpermute_b32 v4, v13, v5
	ds_bpermute_b32 v12, v13, v11
	v_xor_b32_e32 v13, 1, v2
	v_cmp_lt_i32_e64 s1, v13, v3
	v_cndmask_b32_e64 v2, v2, v13, s1
	v_lshlrev_b32_e32 v3, 2, v2
	s_waitcnt lgkmcnt(1)
	v_add_f32_e32 v4, v5, v4
	s_waitcnt lgkmcnt(0)
	v_add_f32_e32 v2, v11, v12
	ds_bpermute_b32 v5, v3, v4
	ds_bpermute_b32 v3, v3, v2
	s_and_saveexec_b32 s1, vcc_lo
	s_cbranch_execz .LBB650_11
; %bb.7:
	v_lshlrev_b64 v[0:1], 1, v[0:1]
	v_add_co_u32 v0, vcc_lo, s8, v0
	v_add_co_ci_u32_e64 v1, null, s9, v1, vcc_lo
	s_and_saveexec_b32 s1, s0
	s_cbranch_execz .LBB650_9
; %bb.8:
	s_waitcnt lgkmcnt(1)
	v_add_f32_e32 v4, v4, v5
	s_waitcnt vmcnt(0)
	v_fma_f32 v4, -v7, v4, v8
	v_bfe_u32 v5, v4, 16, 1
	v_cmp_o_f32_e32 vcc_lo, v4, v4
	v_add3_u32 v4, v4, v5, 0x7fff
	v_mov_b32_e32 v5, 0x7fc0
	v_cndmask_b32_sdwa v4, v5, v4, vcc_lo dst_sel:DWORD dst_unused:UNUSED_PAD src0_sel:DWORD src1_sel:WORD_1
	global_store_short v[0:1], v4, off
.LBB650_9:
	s_or_b32 exec_lo, exec_lo, s1
	v_cmp_ne_u32_e32 vcc_lo, 1, v6
	s_and_b32 s0, vcc_lo, s0
	s_and_b32 exec_lo, exec_lo, s0
	s_cbranch_execz .LBB650_11
; %bb.10:
	s_waitcnt lgkmcnt(0)
	v_add_f32_e32 v2, v2, v3
	s_mov_b32 s3, 0
	v_mov_b32_e32 v4, 0x7fc0
	s_lshl_b64 s[0:1], s[2:3], 1
	v_add_co_u32 v0, s0, v0, s0
	s_waitcnt vmcnt(0)
	v_fma_f32 v2, -v10, v2, v9
	v_add_co_ci_u32_e64 v1, null, s1, v1, s0
	v_bfe_u32 v3, v2, 16, 1
	v_cmp_o_f32_e32 vcc_lo, v2, v2
	v_add3_u32 v2, v2, v3, 0x7fff
	v_cndmask_b32_sdwa v2, v4, v2, vcc_lo dst_sel:DWORD dst_unused:UNUSED_PAD src0_sel:DWORD src1_sel:WORD_1
	global_store_short v[0:1], v2, off
.LBB650_11:
	s_endpgm
	.section	.rodata,"a",@progbits
	.p2align	6, 0x0
	.amdhsa_kernel _ZN12_GLOBAL__N_121softmax_warp_backwardIfN3c108BFloat16EfLi4ELb0ELb0ELi64EEEvPT0_PKT_S7_iiiPKb
		.amdhsa_group_segment_fixed_size 0
		.amdhsa_private_segment_fixed_size 0
		.amdhsa_kernarg_size 304
		.amdhsa_user_sgpr_count 6
		.amdhsa_user_sgpr_private_segment_buffer 1
		.amdhsa_user_sgpr_dispatch_ptr 0
		.amdhsa_user_sgpr_queue_ptr 0
		.amdhsa_user_sgpr_kernarg_segment_ptr 1
		.amdhsa_user_sgpr_dispatch_id 0
		.amdhsa_user_sgpr_flat_scratch_init 0
		.amdhsa_user_sgpr_private_segment_size 0
		.amdhsa_wavefront_size32 1
		.amdhsa_uses_dynamic_stack 0
		.amdhsa_system_sgpr_private_segment_wavefront_offset 0
		.amdhsa_system_sgpr_workgroup_id_x 1
		.amdhsa_system_sgpr_workgroup_id_y 0
		.amdhsa_system_sgpr_workgroup_id_z 0
		.amdhsa_system_sgpr_workgroup_info 0
		.amdhsa_system_vgpr_workitem_id 1
		.amdhsa_next_free_vgpr 14
		.amdhsa_next_free_sgpr 12
		.amdhsa_reserve_vcc 1
		.amdhsa_reserve_flat_scratch 0
		.amdhsa_float_round_mode_32 0
		.amdhsa_float_round_mode_16_64 0
		.amdhsa_float_denorm_mode_32 3
		.amdhsa_float_denorm_mode_16_64 3
		.amdhsa_dx10_clamp 1
		.amdhsa_ieee_mode 1
		.amdhsa_fp16_overflow 0
		.amdhsa_workgroup_processor_mode 1
		.amdhsa_memory_ordered 1
		.amdhsa_forward_progress 1
		.amdhsa_shared_vgpr_count 0
		.amdhsa_exception_fp_ieee_invalid_op 0
		.amdhsa_exception_fp_denorm_src 0
		.amdhsa_exception_fp_ieee_div_zero 0
		.amdhsa_exception_fp_ieee_overflow 0
		.amdhsa_exception_fp_ieee_underflow 0
		.amdhsa_exception_fp_ieee_inexact 0
		.amdhsa_exception_int_div_zero 0
	.end_amdhsa_kernel
	.section	.text._ZN12_GLOBAL__N_121softmax_warp_backwardIfN3c108BFloat16EfLi4ELb0ELb0ELi64EEEvPT0_PKT_S7_iiiPKb,"axG",@progbits,_ZN12_GLOBAL__N_121softmax_warp_backwardIfN3c108BFloat16EfLi4ELb0ELb0ELi64EEEvPT0_PKT_S7_iiiPKb,comdat
.Lfunc_end650:
	.size	_ZN12_GLOBAL__N_121softmax_warp_backwardIfN3c108BFloat16EfLi4ELb0ELb0ELi64EEEvPT0_PKT_S7_iiiPKb, .Lfunc_end650-_ZN12_GLOBAL__N_121softmax_warp_backwardIfN3c108BFloat16EfLi4ELb0ELb0ELi64EEEvPT0_PKT_S7_iiiPKb
                                        ; -- End function
	.set _ZN12_GLOBAL__N_121softmax_warp_backwardIfN3c108BFloat16EfLi4ELb0ELb0ELi64EEEvPT0_PKT_S7_iiiPKb.num_vgpr, 14
	.set _ZN12_GLOBAL__N_121softmax_warp_backwardIfN3c108BFloat16EfLi4ELb0ELb0ELi64EEEvPT0_PKT_S7_iiiPKb.num_agpr, 0
	.set _ZN12_GLOBAL__N_121softmax_warp_backwardIfN3c108BFloat16EfLi4ELb0ELb0ELi64EEEvPT0_PKT_S7_iiiPKb.numbered_sgpr, 12
	.set _ZN12_GLOBAL__N_121softmax_warp_backwardIfN3c108BFloat16EfLi4ELb0ELb0ELi64EEEvPT0_PKT_S7_iiiPKb.num_named_barrier, 0
	.set _ZN12_GLOBAL__N_121softmax_warp_backwardIfN3c108BFloat16EfLi4ELb0ELb0ELi64EEEvPT0_PKT_S7_iiiPKb.private_seg_size, 0
	.set _ZN12_GLOBAL__N_121softmax_warp_backwardIfN3c108BFloat16EfLi4ELb0ELb0ELi64EEEvPT0_PKT_S7_iiiPKb.uses_vcc, 1
	.set _ZN12_GLOBAL__N_121softmax_warp_backwardIfN3c108BFloat16EfLi4ELb0ELb0ELi64EEEvPT0_PKT_S7_iiiPKb.uses_flat_scratch, 0
	.set _ZN12_GLOBAL__N_121softmax_warp_backwardIfN3c108BFloat16EfLi4ELb0ELb0ELi64EEEvPT0_PKT_S7_iiiPKb.has_dyn_sized_stack, 0
	.set _ZN12_GLOBAL__N_121softmax_warp_backwardIfN3c108BFloat16EfLi4ELb0ELb0ELi64EEEvPT0_PKT_S7_iiiPKb.has_recursion, 0
	.set _ZN12_GLOBAL__N_121softmax_warp_backwardIfN3c108BFloat16EfLi4ELb0ELb0ELi64EEEvPT0_PKT_S7_iiiPKb.has_indirect_call, 0
	.section	.AMDGPU.csdata,"",@progbits
; Kernel info:
; codeLenInByte = 744
; TotalNumSgprs: 14
; NumVgprs: 14
; ScratchSize: 0
; MemoryBound: 0
; FloatMode: 240
; IeeeMode: 1
; LDSByteSize: 0 bytes/workgroup (compile time only)
; SGPRBlocks: 0
; VGPRBlocks: 1
; NumSGPRsForWavesPerEU: 14
; NumVGPRsForWavesPerEU: 14
; Occupancy: 16
; WaveLimiterHint : 0
; COMPUTE_PGM_RSRC2:SCRATCH_EN: 0
; COMPUTE_PGM_RSRC2:USER_SGPR: 6
; COMPUTE_PGM_RSRC2:TRAP_HANDLER: 0
; COMPUTE_PGM_RSRC2:TGID_X_EN: 1
; COMPUTE_PGM_RSRC2:TGID_Y_EN: 0
; COMPUTE_PGM_RSRC2:TGID_Z_EN: 0
; COMPUTE_PGM_RSRC2:TIDIG_COMP_CNT: 1
	.section	.text._ZN12_GLOBAL__N_121softmax_warp_backwardIfN3c108BFloat16EfLi4ELb0ELb0ELi32EEEvPT0_PKT_S7_iiiPKb,"axG",@progbits,_ZN12_GLOBAL__N_121softmax_warp_backwardIfN3c108BFloat16EfLi4ELb0ELb0ELi32EEEvPT0_PKT_S7_iiiPKb,comdat
	.globl	_ZN12_GLOBAL__N_121softmax_warp_backwardIfN3c108BFloat16EfLi4ELb0ELb0ELi32EEEvPT0_PKT_S7_iiiPKb ; -- Begin function _ZN12_GLOBAL__N_121softmax_warp_backwardIfN3c108BFloat16EfLi4ELb0ELb0ELi32EEEvPT0_PKT_S7_iiiPKb
	.p2align	8
	.type	_ZN12_GLOBAL__N_121softmax_warp_backwardIfN3c108BFloat16EfLi4ELb0ELb0ELi32EEEvPT0_PKT_S7_iiiPKb,@function
_ZN12_GLOBAL__N_121softmax_warp_backwardIfN3c108BFloat16EfLi4ELb0ELb0ELi32EEEvPT0_PKT_S7_iiiPKb: ; @_ZN12_GLOBAL__N_121softmax_warp_backwardIfN3c108BFloat16EfLi4ELb0ELb0ELi32EEEvPT0_PKT_S7_iiiPKb
; %bb.0:
	s_clause 0x1
	s_load_dword s7, s[4:5], 0x3c
	s_load_dwordx4 s[0:3], s[4:5], 0x18
	v_and_b32_e32 v2, 15, v0
	s_clause 0x1
	s_load_dwordx4 s[8:11], s[4:5], 0x0
	s_load_dwordx2 s[4:5], s[4:5], 0x10
	v_mov_b32_e32 v7, 0
	s_waitcnt lgkmcnt(0)
	s_lshr_b32 s3, s7, 16
	s_and_b32 s3, s3, 0xffff
	s_mul_i32 s6, s6, s3
	v_add_lshl_u32 v3, s6, v1, 1
	v_mad_u64_u32 v[0:1], null, v3, s1, v[2:3]
	v_sub_nc_u32_e32 v6, s0, v3
	v_cmp_gt_i32_e64 s0, s2, v2
	v_cmp_lt_i32_e32 vcc_lo, 0, v6
	v_ashrrev_i32_e32 v1, 31, v0
	s_and_b32 s3, s0, vcc_lo
	v_lshlrev_b64 v[8:9], 2, v[0:1]
	v_add_co_u32 v4, s1, s10, v8
	v_add_co_ci_u32_e64 v5, null, s11, v9, s1
	v_add_co_u32 v2, s1, s4, v8
	v_add_co_ci_u32_e64 v3, null, s5, v9, s1
	v_mov_b32_e32 v8, 0
	s_and_saveexec_b32 s1, s3
	s_cbranch_execz .LBB651_2
; %bb.1:
	global_load_dword v8, v[4:5], off
	global_load_dword v7, v[2:3], off
.LBB651_2:
	s_or_b32 exec_lo, exec_lo, s1
	v_cmp_gt_i32_e64 s1, 2, v6
	s_xor_b32 s3, s0, -1
	s_or_b32 s1, s3, s1
	s_and_saveexec_b32 s3, s1
	s_xor_b32 s1, exec_lo, s3
                                        ; implicit-def: $vgpr9
; %bb.3:
	v_mov_b32_e32 v9, 0
                                        ; implicit-def: $vgpr2
                                        ; implicit-def: $vgpr4
; %bb.4:
	s_or_saveexec_b32 s4, s1
	v_mov_b32_e32 v10, 0
	s_xor_b32 exec_lo, exec_lo, s4
	s_cbranch_execz .LBB651_6
; %bb.5:
	s_mov_b32 s3, 0
	s_lshl_b64 s[6:7], s[2:3], 2
	v_add_co_u32 v4, s1, v4, s6
	v_add_co_ci_u32_e64 v5, null, s7, v5, s1
	v_add_co_u32 v2, s1, v2, s6
	v_add_co_ci_u32_e64 v3, null, s7, v3, s1
	global_load_dword v9, v[4:5], off
	global_load_dword v10, v[2:3], off
.LBB651_6:
	s_or_b32 exec_lo, exec_lo, s4
	v_mbcnt_lo_u32_b32 v2, -1, 0
	s_waitcnt vmcnt(1)
	v_add_f32_e32 v5, 0, v8
	v_add_f32_e32 v11, 0, v9
	v_and_b32_e32 v3, 16, v2
	v_xor_b32_e32 v4, 8, v2
	v_xor_b32_e32 v13, 4, v2
	v_add_nc_u32_e32 v3, 16, v3
	v_cmp_lt_i32_e64 s1, v4, v3
	v_cndmask_b32_e64 v4, v2, v4, s1
	v_cmp_lt_i32_e64 s1, v13, v3
	v_lshlrev_b32_e32 v4, 2, v4
	v_cndmask_b32_e64 v13, v2, v13, s1
	ds_bpermute_b32 v12, v4, v5
	ds_bpermute_b32 v4, v4, v11
	v_lshlrev_b32_e32 v13, 2, v13
	s_waitcnt lgkmcnt(1)
	v_add_f32_e32 v5, v5, v12
	s_waitcnt lgkmcnt(0)
	v_add_f32_e32 v4, v11, v4
	ds_bpermute_b32 v11, v13, v5
	ds_bpermute_b32 v12, v13, v4
	v_xor_b32_e32 v13, 2, v2
	v_cmp_lt_i32_e64 s1, v13, v3
	v_cndmask_b32_e64 v13, v2, v13, s1
	v_lshlrev_b32_e32 v13, 2, v13
	s_waitcnt lgkmcnt(1)
	v_add_f32_e32 v5, v5, v11
	s_waitcnt lgkmcnt(0)
	v_add_f32_e32 v11, v4, v12
	ds_bpermute_b32 v4, v13, v5
	ds_bpermute_b32 v12, v13, v11
	v_xor_b32_e32 v13, 1, v2
	v_cmp_lt_i32_e64 s1, v13, v3
	v_cndmask_b32_e64 v2, v2, v13, s1
	v_lshlrev_b32_e32 v3, 2, v2
	s_waitcnt lgkmcnt(1)
	v_add_f32_e32 v4, v5, v4
	s_waitcnt lgkmcnt(0)
	v_add_f32_e32 v2, v11, v12
	ds_bpermute_b32 v5, v3, v4
	ds_bpermute_b32 v3, v3, v2
	s_and_saveexec_b32 s1, vcc_lo
	s_cbranch_execz .LBB651_11
; %bb.7:
	v_lshlrev_b64 v[0:1], 1, v[0:1]
	v_add_co_u32 v0, vcc_lo, s8, v0
	v_add_co_ci_u32_e64 v1, null, s9, v1, vcc_lo
	s_and_saveexec_b32 s1, s0
	s_cbranch_execz .LBB651_9
; %bb.8:
	s_waitcnt lgkmcnt(1)
	v_add_f32_e32 v4, v4, v5
	s_waitcnt vmcnt(0)
	v_fma_f32 v4, -v7, v4, v8
	v_bfe_u32 v5, v4, 16, 1
	v_cmp_o_f32_e32 vcc_lo, v4, v4
	v_add3_u32 v4, v4, v5, 0x7fff
	v_mov_b32_e32 v5, 0x7fc0
	v_cndmask_b32_sdwa v4, v5, v4, vcc_lo dst_sel:DWORD dst_unused:UNUSED_PAD src0_sel:DWORD src1_sel:WORD_1
	global_store_short v[0:1], v4, off
.LBB651_9:
	s_or_b32 exec_lo, exec_lo, s1
	v_cmp_ne_u32_e32 vcc_lo, 1, v6
	s_and_b32 s0, vcc_lo, s0
	s_and_b32 exec_lo, exec_lo, s0
	s_cbranch_execz .LBB651_11
; %bb.10:
	s_waitcnt lgkmcnt(0)
	v_add_f32_e32 v2, v2, v3
	s_mov_b32 s3, 0
	v_mov_b32_e32 v4, 0x7fc0
	s_lshl_b64 s[0:1], s[2:3], 1
	v_add_co_u32 v0, s0, v0, s0
	s_waitcnt vmcnt(0)
	v_fma_f32 v2, -v10, v2, v9
	v_add_co_ci_u32_e64 v1, null, s1, v1, s0
	v_bfe_u32 v3, v2, 16, 1
	v_cmp_o_f32_e32 vcc_lo, v2, v2
	v_add3_u32 v2, v2, v3, 0x7fff
	v_cndmask_b32_sdwa v2, v4, v2, vcc_lo dst_sel:DWORD dst_unused:UNUSED_PAD src0_sel:DWORD src1_sel:WORD_1
	global_store_short v[0:1], v2, off
.LBB651_11:
	s_endpgm
	.section	.rodata,"a",@progbits
	.p2align	6, 0x0
	.amdhsa_kernel _ZN12_GLOBAL__N_121softmax_warp_backwardIfN3c108BFloat16EfLi4ELb0ELb0ELi32EEEvPT0_PKT_S7_iiiPKb
		.amdhsa_group_segment_fixed_size 0
		.amdhsa_private_segment_fixed_size 0
		.amdhsa_kernarg_size 304
		.amdhsa_user_sgpr_count 6
		.amdhsa_user_sgpr_private_segment_buffer 1
		.amdhsa_user_sgpr_dispatch_ptr 0
		.amdhsa_user_sgpr_queue_ptr 0
		.amdhsa_user_sgpr_kernarg_segment_ptr 1
		.amdhsa_user_sgpr_dispatch_id 0
		.amdhsa_user_sgpr_flat_scratch_init 0
		.amdhsa_user_sgpr_private_segment_size 0
		.amdhsa_wavefront_size32 1
		.amdhsa_uses_dynamic_stack 0
		.amdhsa_system_sgpr_private_segment_wavefront_offset 0
		.amdhsa_system_sgpr_workgroup_id_x 1
		.amdhsa_system_sgpr_workgroup_id_y 0
		.amdhsa_system_sgpr_workgroup_id_z 0
		.amdhsa_system_sgpr_workgroup_info 0
		.amdhsa_system_vgpr_workitem_id 1
		.amdhsa_next_free_vgpr 14
		.amdhsa_next_free_sgpr 12
		.amdhsa_reserve_vcc 1
		.amdhsa_reserve_flat_scratch 0
		.amdhsa_float_round_mode_32 0
		.amdhsa_float_round_mode_16_64 0
		.amdhsa_float_denorm_mode_32 3
		.amdhsa_float_denorm_mode_16_64 3
		.amdhsa_dx10_clamp 1
		.amdhsa_ieee_mode 1
		.amdhsa_fp16_overflow 0
		.amdhsa_workgroup_processor_mode 1
		.amdhsa_memory_ordered 1
		.amdhsa_forward_progress 1
		.amdhsa_shared_vgpr_count 0
		.amdhsa_exception_fp_ieee_invalid_op 0
		.amdhsa_exception_fp_denorm_src 0
		.amdhsa_exception_fp_ieee_div_zero 0
		.amdhsa_exception_fp_ieee_overflow 0
		.amdhsa_exception_fp_ieee_underflow 0
		.amdhsa_exception_fp_ieee_inexact 0
		.amdhsa_exception_int_div_zero 0
	.end_amdhsa_kernel
	.section	.text._ZN12_GLOBAL__N_121softmax_warp_backwardIfN3c108BFloat16EfLi4ELb0ELb0ELi32EEEvPT0_PKT_S7_iiiPKb,"axG",@progbits,_ZN12_GLOBAL__N_121softmax_warp_backwardIfN3c108BFloat16EfLi4ELb0ELb0ELi32EEEvPT0_PKT_S7_iiiPKb,comdat
.Lfunc_end651:
	.size	_ZN12_GLOBAL__N_121softmax_warp_backwardIfN3c108BFloat16EfLi4ELb0ELb0ELi32EEEvPT0_PKT_S7_iiiPKb, .Lfunc_end651-_ZN12_GLOBAL__N_121softmax_warp_backwardIfN3c108BFloat16EfLi4ELb0ELb0ELi32EEEvPT0_PKT_S7_iiiPKb
                                        ; -- End function
	.set _ZN12_GLOBAL__N_121softmax_warp_backwardIfN3c108BFloat16EfLi4ELb0ELb0ELi32EEEvPT0_PKT_S7_iiiPKb.num_vgpr, 14
	.set _ZN12_GLOBAL__N_121softmax_warp_backwardIfN3c108BFloat16EfLi4ELb0ELb0ELi32EEEvPT0_PKT_S7_iiiPKb.num_agpr, 0
	.set _ZN12_GLOBAL__N_121softmax_warp_backwardIfN3c108BFloat16EfLi4ELb0ELb0ELi32EEEvPT0_PKT_S7_iiiPKb.numbered_sgpr, 12
	.set _ZN12_GLOBAL__N_121softmax_warp_backwardIfN3c108BFloat16EfLi4ELb0ELb0ELi32EEEvPT0_PKT_S7_iiiPKb.num_named_barrier, 0
	.set _ZN12_GLOBAL__N_121softmax_warp_backwardIfN3c108BFloat16EfLi4ELb0ELb0ELi32EEEvPT0_PKT_S7_iiiPKb.private_seg_size, 0
	.set _ZN12_GLOBAL__N_121softmax_warp_backwardIfN3c108BFloat16EfLi4ELb0ELb0ELi32EEEvPT0_PKT_S7_iiiPKb.uses_vcc, 1
	.set _ZN12_GLOBAL__N_121softmax_warp_backwardIfN3c108BFloat16EfLi4ELb0ELb0ELi32EEEvPT0_PKT_S7_iiiPKb.uses_flat_scratch, 0
	.set _ZN12_GLOBAL__N_121softmax_warp_backwardIfN3c108BFloat16EfLi4ELb0ELb0ELi32EEEvPT0_PKT_S7_iiiPKb.has_dyn_sized_stack, 0
	.set _ZN12_GLOBAL__N_121softmax_warp_backwardIfN3c108BFloat16EfLi4ELb0ELb0ELi32EEEvPT0_PKT_S7_iiiPKb.has_recursion, 0
	.set _ZN12_GLOBAL__N_121softmax_warp_backwardIfN3c108BFloat16EfLi4ELb0ELb0ELi32EEEvPT0_PKT_S7_iiiPKb.has_indirect_call, 0
	.section	.AMDGPU.csdata,"",@progbits
; Kernel info:
; codeLenInByte = 744
; TotalNumSgprs: 14
; NumVgprs: 14
; ScratchSize: 0
; MemoryBound: 0
; FloatMode: 240
; IeeeMode: 1
; LDSByteSize: 0 bytes/workgroup (compile time only)
; SGPRBlocks: 0
; VGPRBlocks: 1
; NumSGPRsForWavesPerEU: 14
; NumVGPRsForWavesPerEU: 14
; Occupancy: 16
; WaveLimiterHint : 0
; COMPUTE_PGM_RSRC2:SCRATCH_EN: 0
; COMPUTE_PGM_RSRC2:USER_SGPR: 6
; COMPUTE_PGM_RSRC2:TRAP_HANDLER: 0
; COMPUTE_PGM_RSRC2:TGID_X_EN: 1
; COMPUTE_PGM_RSRC2:TGID_Y_EN: 0
; COMPUTE_PGM_RSRC2:TGID_Z_EN: 0
; COMPUTE_PGM_RSRC2:TIDIG_COMP_CNT: 1
	.section	.text._ZN12_GLOBAL__N_121softmax_warp_backwardIfN3c108BFloat16EfLi5ELb0ELb0ELi64EEEvPT0_PKT_S7_iiiPKb,"axG",@progbits,_ZN12_GLOBAL__N_121softmax_warp_backwardIfN3c108BFloat16EfLi5ELb0ELb0ELi64EEEvPT0_PKT_S7_iiiPKb,comdat
	.globl	_ZN12_GLOBAL__N_121softmax_warp_backwardIfN3c108BFloat16EfLi5ELb0ELb0ELi64EEEvPT0_PKT_S7_iiiPKb ; -- Begin function _ZN12_GLOBAL__N_121softmax_warp_backwardIfN3c108BFloat16EfLi5ELb0ELb0ELi64EEEvPT0_PKT_S7_iiiPKb
	.p2align	8
	.type	_ZN12_GLOBAL__N_121softmax_warp_backwardIfN3c108BFloat16EfLi5ELb0ELb0ELi64EEEvPT0_PKT_S7_iiiPKb,@function
_ZN12_GLOBAL__N_121softmax_warp_backwardIfN3c108BFloat16EfLi5ELb0ELb0ELi64EEEvPT0_PKT_S7_iiiPKb: ; @_ZN12_GLOBAL__N_121softmax_warp_backwardIfN3c108BFloat16EfLi5ELb0ELb0ELi64EEEvPT0_PKT_S7_iiiPKb
; %bb.0:
	s_clause 0x1
	s_load_dword s7, s[4:5], 0x3c
	s_load_dwordx4 s[0:3], s[4:5], 0x18
	v_and_b32_e32 v2, 31, v0
	s_clause 0x1
	s_load_dwordx4 s[8:11], s[4:5], 0x0
	s_load_dwordx2 s[4:5], s[4:5], 0x10
	v_mov_b32_e32 v7, 0
	s_waitcnt lgkmcnt(0)
	s_lshr_b32 s3, s7, 16
	s_and_b32 s3, s3, 0xffff
	s_mul_i32 s6, s6, s3
	v_add_lshl_u32 v3, s6, v1, 1
	v_mad_u64_u32 v[0:1], null, v3, s1, v[2:3]
	v_sub_nc_u32_e32 v6, s0, v3
	v_cmp_gt_i32_e64 s0, s2, v2
	v_cmp_lt_i32_e32 vcc_lo, 0, v6
	v_ashrrev_i32_e32 v1, 31, v0
	s_and_b32 s3, s0, vcc_lo
	v_lshlrev_b64 v[8:9], 2, v[0:1]
	v_add_co_u32 v4, s1, s10, v8
	v_add_co_ci_u32_e64 v5, null, s11, v9, s1
	v_add_co_u32 v2, s1, s4, v8
	v_add_co_ci_u32_e64 v3, null, s5, v9, s1
	v_mov_b32_e32 v8, 0
	s_and_saveexec_b32 s1, s3
	s_cbranch_execz .LBB652_2
; %bb.1:
	global_load_dword v8, v[4:5], off
	global_load_dword v7, v[2:3], off
.LBB652_2:
	s_or_b32 exec_lo, exec_lo, s1
	v_cmp_gt_i32_e64 s1, 2, v6
	s_xor_b32 s3, s0, -1
	s_or_b32 s1, s3, s1
	s_and_saveexec_b32 s3, s1
	s_xor_b32 s1, exec_lo, s3
                                        ; implicit-def: $vgpr9
; %bb.3:
	v_mov_b32_e32 v9, 0
                                        ; implicit-def: $vgpr2
                                        ; implicit-def: $vgpr4
; %bb.4:
	s_or_saveexec_b32 s4, s1
	v_mov_b32_e32 v10, 0
	s_xor_b32 exec_lo, exec_lo, s4
	s_cbranch_execz .LBB652_6
; %bb.5:
	s_mov_b32 s3, 0
	s_lshl_b64 s[6:7], s[2:3], 2
	v_add_co_u32 v4, s1, v4, s6
	v_add_co_ci_u32_e64 v5, null, s7, v5, s1
	v_add_co_u32 v2, s1, v2, s6
	v_add_co_ci_u32_e64 v3, null, s7, v3, s1
	global_load_dword v9, v[4:5], off
	global_load_dword v10, v[2:3], off
.LBB652_6:
	s_or_b32 exec_lo, exec_lo, s4
	v_mbcnt_lo_u32_b32 v2, -1, 0
	s_waitcnt vmcnt(1)
	v_add_f32_e32 v4, 0, v8
	v_add_f32_e32 v5, 0, v9
	v_xor_b32_e32 v3, 16, v2
	v_xor_b32_e32 v12, 8, v2
	v_cmp_gt_i32_e64 s1, 32, v3
	v_cndmask_b32_e64 v3, v2, v3, s1
	v_cmp_gt_i32_e64 s1, 32, v12
	v_lshlrev_b32_e32 v3, 2, v3
	v_cndmask_b32_e64 v12, v2, v12, s1
	ds_bpermute_b32 v11, v3, v4
	ds_bpermute_b32 v3, v3, v5
	v_lshlrev_b32_e32 v12, 2, v12
	s_waitcnt lgkmcnt(1)
	v_add_f32_e32 v4, v4, v11
	s_waitcnt lgkmcnt(0)
	v_add_f32_e32 v3, v5, v3
	ds_bpermute_b32 v5, v12, v4
	ds_bpermute_b32 v11, v12, v3
	v_xor_b32_e32 v12, 4, v2
	v_cmp_gt_i32_e64 s1, 32, v12
	v_cndmask_b32_e64 v12, v2, v12, s1
	v_lshlrev_b32_e32 v12, 2, v12
	s_waitcnt lgkmcnt(1)
	v_add_f32_e32 v4, v4, v5
	s_waitcnt lgkmcnt(0)
	v_add_f32_e32 v3, v3, v11
	ds_bpermute_b32 v5, v12, v4
	ds_bpermute_b32 v11, v12, v3
	v_xor_b32_e32 v12, 2, v2
	v_cmp_gt_i32_e64 s1, 32, v12
	v_cndmask_b32_e64 v12, v2, v12, s1
	;; [unrolled: 10-line block ×3, first 2 shown]
	v_lshlrev_b32_e32 v12, 2, v2
	s_waitcnt lgkmcnt(1)
	v_add_f32_e32 v4, v4, v5
	s_waitcnt lgkmcnt(0)
	v_add_f32_e32 v2, v3, v11
	ds_bpermute_b32 v5, v12, v4
	ds_bpermute_b32 v3, v12, v2
	s_and_saveexec_b32 s1, vcc_lo
	s_cbranch_execz .LBB652_11
; %bb.7:
	v_lshlrev_b64 v[0:1], 1, v[0:1]
	v_add_co_u32 v0, vcc_lo, s8, v0
	v_add_co_ci_u32_e64 v1, null, s9, v1, vcc_lo
	s_and_saveexec_b32 s1, s0
	s_cbranch_execz .LBB652_9
; %bb.8:
	s_waitcnt lgkmcnt(1)
	v_add_f32_e32 v4, v4, v5
	s_waitcnt vmcnt(0)
	v_fma_f32 v4, -v7, v4, v8
	v_bfe_u32 v5, v4, 16, 1
	v_cmp_o_f32_e32 vcc_lo, v4, v4
	v_add3_u32 v4, v4, v5, 0x7fff
	v_mov_b32_e32 v5, 0x7fc0
	v_cndmask_b32_sdwa v4, v5, v4, vcc_lo dst_sel:DWORD dst_unused:UNUSED_PAD src0_sel:DWORD src1_sel:WORD_1
	global_store_short v[0:1], v4, off
.LBB652_9:
	s_or_b32 exec_lo, exec_lo, s1
	v_cmp_ne_u32_e32 vcc_lo, 1, v6
	s_and_b32 s0, vcc_lo, s0
	s_and_b32 exec_lo, exec_lo, s0
	s_cbranch_execz .LBB652_11
; %bb.10:
	s_waitcnt lgkmcnt(0)
	v_add_f32_e32 v2, v2, v3
	s_mov_b32 s3, 0
	v_mov_b32_e32 v4, 0x7fc0
	s_lshl_b64 s[0:1], s[2:3], 1
	v_add_co_u32 v0, s0, v0, s0
	s_waitcnt vmcnt(0)
	v_fma_f32 v2, -v10, v2, v9
	v_add_co_ci_u32_e64 v1, null, s1, v1, s0
	v_bfe_u32 v3, v2, 16, 1
	v_cmp_o_f32_e32 vcc_lo, v2, v2
	v_add3_u32 v2, v2, v3, 0x7fff
	v_cndmask_b32_sdwa v2, v4, v2, vcc_lo dst_sel:DWORD dst_unused:UNUSED_PAD src0_sel:DWORD src1_sel:WORD_1
	global_store_short v[0:1], v2, off
.LBB652_11:
	s_endpgm
	.section	.rodata,"a",@progbits
	.p2align	6, 0x0
	.amdhsa_kernel _ZN12_GLOBAL__N_121softmax_warp_backwardIfN3c108BFloat16EfLi5ELb0ELb0ELi64EEEvPT0_PKT_S7_iiiPKb
		.amdhsa_group_segment_fixed_size 0
		.amdhsa_private_segment_fixed_size 0
		.amdhsa_kernarg_size 304
		.amdhsa_user_sgpr_count 6
		.amdhsa_user_sgpr_private_segment_buffer 1
		.amdhsa_user_sgpr_dispatch_ptr 0
		.amdhsa_user_sgpr_queue_ptr 0
		.amdhsa_user_sgpr_kernarg_segment_ptr 1
		.amdhsa_user_sgpr_dispatch_id 0
		.amdhsa_user_sgpr_flat_scratch_init 0
		.amdhsa_user_sgpr_private_segment_size 0
		.amdhsa_wavefront_size32 1
		.amdhsa_uses_dynamic_stack 0
		.amdhsa_system_sgpr_private_segment_wavefront_offset 0
		.amdhsa_system_sgpr_workgroup_id_x 1
		.amdhsa_system_sgpr_workgroup_id_y 0
		.amdhsa_system_sgpr_workgroup_id_z 0
		.amdhsa_system_sgpr_workgroup_info 0
		.amdhsa_system_vgpr_workitem_id 1
		.amdhsa_next_free_vgpr 13
		.amdhsa_next_free_sgpr 12
		.amdhsa_reserve_vcc 1
		.amdhsa_reserve_flat_scratch 0
		.amdhsa_float_round_mode_32 0
		.amdhsa_float_round_mode_16_64 0
		.amdhsa_float_denorm_mode_32 3
		.amdhsa_float_denorm_mode_16_64 3
		.amdhsa_dx10_clamp 1
		.amdhsa_ieee_mode 1
		.amdhsa_fp16_overflow 0
		.amdhsa_workgroup_processor_mode 1
		.amdhsa_memory_ordered 1
		.amdhsa_forward_progress 1
		.amdhsa_shared_vgpr_count 0
		.amdhsa_exception_fp_ieee_invalid_op 0
		.amdhsa_exception_fp_denorm_src 0
		.amdhsa_exception_fp_ieee_div_zero 0
		.amdhsa_exception_fp_ieee_overflow 0
		.amdhsa_exception_fp_ieee_underflow 0
		.amdhsa_exception_fp_ieee_inexact 0
		.amdhsa_exception_int_div_zero 0
	.end_amdhsa_kernel
	.section	.text._ZN12_GLOBAL__N_121softmax_warp_backwardIfN3c108BFloat16EfLi5ELb0ELb0ELi64EEEvPT0_PKT_S7_iiiPKb,"axG",@progbits,_ZN12_GLOBAL__N_121softmax_warp_backwardIfN3c108BFloat16EfLi5ELb0ELb0ELi64EEEvPT0_PKT_S7_iiiPKb,comdat
.Lfunc_end652:
	.size	_ZN12_GLOBAL__N_121softmax_warp_backwardIfN3c108BFloat16EfLi5ELb0ELb0ELi64EEEvPT0_PKT_S7_iiiPKb, .Lfunc_end652-_ZN12_GLOBAL__N_121softmax_warp_backwardIfN3c108BFloat16EfLi5ELb0ELb0ELi64EEEvPT0_PKT_S7_iiiPKb
                                        ; -- End function
	.set _ZN12_GLOBAL__N_121softmax_warp_backwardIfN3c108BFloat16EfLi5ELb0ELb0ELi64EEEvPT0_PKT_S7_iiiPKb.num_vgpr, 13
	.set _ZN12_GLOBAL__N_121softmax_warp_backwardIfN3c108BFloat16EfLi5ELb0ELb0ELi64EEEvPT0_PKT_S7_iiiPKb.num_agpr, 0
	.set _ZN12_GLOBAL__N_121softmax_warp_backwardIfN3c108BFloat16EfLi5ELb0ELb0ELi64EEEvPT0_PKT_S7_iiiPKb.numbered_sgpr, 12
	.set _ZN12_GLOBAL__N_121softmax_warp_backwardIfN3c108BFloat16EfLi5ELb0ELb0ELi64EEEvPT0_PKT_S7_iiiPKb.num_named_barrier, 0
	.set _ZN12_GLOBAL__N_121softmax_warp_backwardIfN3c108BFloat16EfLi5ELb0ELb0ELi64EEEvPT0_PKT_S7_iiiPKb.private_seg_size, 0
	.set _ZN12_GLOBAL__N_121softmax_warp_backwardIfN3c108BFloat16EfLi5ELb0ELb0ELi64EEEvPT0_PKT_S7_iiiPKb.uses_vcc, 1
	.set _ZN12_GLOBAL__N_121softmax_warp_backwardIfN3c108BFloat16EfLi5ELb0ELb0ELi64EEEvPT0_PKT_S7_iiiPKb.uses_flat_scratch, 0
	.set _ZN12_GLOBAL__N_121softmax_warp_backwardIfN3c108BFloat16EfLi5ELb0ELb0ELi64EEEvPT0_PKT_S7_iiiPKb.has_dyn_sized_stack, 0
	.set _ZN12_GLOBAL__N_121softmax_warp_backwardIfN3c108BFloat16EfLi5ELb0ELb0ELi64EEEvPT0_PKT_S7_iiiPKb.has_recursion, 0
	.set _ZN12_GLOBAL__N_121softmax_warp_backwardIfN3c108BFloat16EfLi5ELb0ELb0ELi64EEEvPT0_PKT_S7_iiiPKb.has_indirect_call, 0
	.section	.AMDGPU.csdata,"",@progbits
; Kernel info:
; codeLenInByte = 792
; TotalNumSgprs: 14
; NumVgprs: 13
; ScratchSize: 0
; MemoryBound: 0
; FloatMode: 240
; IeeeMode: 1
; LDSByteSize: 0 bytes/workgroup (compile time only)
; SGPRBlocks: 0
; VGPRBlocks: 1
; NumSGPRsForWavesPerEU: 14
; NumVGPRsForWavesPerEU: 13
; Occupancy: 16
; WaveLimiterHint : 0
; COMPUTE_PGM_RSRC2:SCRATCH_EN: 0
; COMPUTE_PGM_RSRC2:USER_SGPR: 6
; COMPUTE_PGM_RSRC2:TRAP_HANDLER: 0
; COMPUTE_PGM_RSRC2:TGID_X_EN: 1
; COMPUTE_PGM_RSRC2:TGID_Y_EN: 0
; COMPUTE_PGM_RSRC2:TGID_Z_EN: 0
; COMPUTE_PGM_RSRC2:TIDIG_COMP_CNT: 1
	.section	.text._ZN12_GLOBAL__N_121softmax_warp_backwardIfN3c108BFloat16EfLi5ELb0ELb0ELi32EEEvPT0_PKT_S7_iiiPKb,"axG",@progbits,_ZN12_GLOBAL__N_121softmax_warp_backwardIfN3c108BFloat16EfLi5ELb0ELb0ELi32EEEvPT0_PKT_S7_iiiPKb,comdat
	.globl	_ZN12_GLOBAL__N_121softmax_warp_backwardIfN3c108BFloat16EfLi5ELb0ELb0ELi32EEEvPT0_PKT_S7_iiiPKb ; -- Begin function _ZN12_GLOBAL__N_121softmax_warp_backwardIfN3c108BFloat16EfLi5ELb0ELb0ELi32EEEvPT0_PKT_S7_iiiPKb
	.p2align	8
	.type	_ZN12_GLOBAL__N_121softmax_warp_backwardIfN3c108BFloat16EfLi5ELb0ELb0ELi32EEEvPT0_PKT_S7_iiiPKb,@function
_ZN12_GLOBAL__N_121softmax_warp_backwardIfN3c108BFloat16EfLi5ELb0ELb0ELi32EEEvPT0_PKT_S7_iiiPKb: ; @_ZN12_GLOBAL__N_121softmax_warp_backwardIfN3c108BFloat16EfLi5ELb0ELb0ELi32EEEvPT0_PKT_S7_iiiPKb
; %bb.0:
	s_clause 0x1
	s_load_dword s7, s[4:5], 0x3c
	s_load_dwordx4 s[0:3], s[4:5], 0x18
	v_and_b32_e32 v2, 31, v0
	s_clause 0x1
	s_load_dwordx4 s[8:11], s[4:5], 0x0
	s_load_dwordx2 s[4:5], s[4:5], 0x10
	v_mov_b32_e32 v7, 0
	s_waitcnt lgkmcnt(0)
	s_lshr_b32 s3, s7, 16
	s_and_b32 s3, s3, 0xffff
	s_mul_i32 s6, s6, s3
	v_add_lshl_u32 v3, s6, v1, 1
	v_mad_u64_u32 v[0:1], null, v3, s1, v[2:3]
	v_sub_nc_u32_e32 v6, s0, v3
	v_cmp_gt_i32_e64 s0, s2, v2
	v_cmp_lt_i32_e32 vcc_lo, 0, v6
	v_ashrrev_i32_e32 v1, 31, v0
	s_and_b32 s3, s0, vcc_lo
	v_lshlrev_b64 v[8:9], 2, v[0:1]
	v_add_co_u32 v4, s1, s10, v8
	v_add_co_ci_u32_e64 v5, null, s11, v9, s1
	v_add_co_u32 v2, s1, s4, v8
	v_add_co_ci_u32_e64 v3, null, s5, v9, s1
	v_mov_b32_e32 v8, 0
	s_and_saveexec_b32 s1, s3
	s_cbranch_execz .LBB653_2
; %bb.1:
	global_load_dword v8, v[4:5], off
	global_load_dword v7, v[2:3], off
.LBB653_2:
	s_or_b32 exec_lo, exec_lo, s1
	v_cmp_gt_i32_e64 s1, 2, v6
	s_xor_b32 s3, s0, -1
	s_or_b32 s1, s3, s1
	s_and_saveexec_b32 s3, s1
	s_xor_b32 s1, exec_lo, s3
                                        ; implicit-def: $vgpr9
; %bb.3:
	v_mov_b32_e32 v9, 0
                                        ; implicit-def: $vgpr2
                                        ; implicit-def: $vgpr4
; %bb.4:
	s_or_saveexec_b32 s4, s1
	v_mov_b32_e32 v10, 0
	s_xor_b32 exec_lo, exec_lo, s4
	s_cbranch_execz .LBB653_6
; %bb.5:
	s_mov_b32 s3, 0
	s_lshl_b64 s[6:7], s[2:3], 2
	v_add_co_u32 v4, s1, v4, s6
	v_add_co_ci_u32_e64 v5, null, s7, v5, s1
	v_add_co_u32 v2, s1, v2, s6
	v_add_co_ci_u32_e64 v3, null, s7, v3, s1
	global_load_dword v9, v[4:5], off
	global_load_dword v10, v[2:3], off
.LBB653_6:
	s_or_b32 exec_lo, exec_lo, s4
	v_mbcnt_lo_u32_b32 v2, -1, 0
	s_waitcnt vmcnt(1)
	v_add_f32_e32 v4, 0, v8
	v_add_f32_e32 v5, 0, v9
	v_xor_b32_e32 v3, 16, v2
	v_xor_b32_e32 v12, 8, v2
	v_cmp_gt_i32_e64 s1, 32, v3
	v_cndmask_b32_e64 v3, v2, v3, s1
	v_cmp_gt_i32_e64 s1, 32, v12
	v_lshlrev_b32_e32 v3, 2, v3
	v_cndmask_b32_e64 v12, v2, v12, s1
	ds_bpermute_b32 v11, v3, v4
	ds_bpermute_b32 v3, v3, v5
	v_lshlrev_b32_e32 v12, 2, v12
	s_waitcnt lgkmcnt(1)
	v_add_f32_e32 v4, v4, v11
	s_waitcnt lgkmcnt(0)
	v_add_f32_e32 v3, v5, v3
	ds_bpermute_b32 v5, v12, v4
	ds_bpermute_b32 v11, v12, v3
	v_xor_b32_e32 v12, 4, v2
	v_cmp_gt_i32_e64 s1, 32, v12
	v_cndmask_b32_e64 v12, v2, v12, s1
	v_lshlrev_b32_e32 v12, 2, v12
	s_waitcnt lgkmcnt(1)
	v_add_f32_e32 v4, v4, v5
	s_waitcnt lgkmcnt(0)
	v_add_f32_e32 v3, v3, v11
	ds_bpermute_b32 v5, v12, v4
	ds_bpermute_b32 v11, v12, v3
	v_xor_b32_e32 v12, 2, v2
	v_cmp_gt_i32_e64 s1, 32, v12
	v_cndmask_b32_e64 v12, v2, v12, s1
	;; [unrolled: 10-line block ×3, first 2 shown]
	v_lshlrev_b32_e32 v12, 2, v2
	s_waitcnt lgkmcnt(1)
	v_add_f32_e32 v4, v4, v5
	s_waitcnt lgkmcnt(0)
	v_add_f32_e32 v2, v3, v11
	ds_bpermute_b32 v5, v12, v4
	ds_bpermute_b32 v3, v12, v2
	s_and_saveexec_b32 s1, vcc_lo
	s_cbranch_execz .LBB653_11
; %bb.7:
	v_lshlrev_b64 v[0:1], 1, v[0:1]
	v_add_co_u32 v0, vcc_lo, s8, v0
	v_add_co_ci_u32_e64 v1, null, s9, v1, vcc_lo
	s_and_saveexec_b32 s1, s0
	s_cbranch_execz .LBB653_9
; %bb.8:
	s_waitcnt lgkmcnt(1)
	v_add_f32_e32 v4, v4, v5
	s_waitcnt vmcnt(0)
	v_fma_f32 v4, -v7, v4, v8
	v_bfe_u32 v5, v4, 16, 1
	v_cmp_o_f32_e32 vcc_lo, v4, v4
	v_add3_u32 v4, v4, v5, 0x7fff
	v_mov_b32_e32 v5, 0x7fc0
	v_cndmask_b32_sdwa v4, v5, v4, vcc_lo dst_sel:DWORD dst_unused:UNUSED_PAD src0_sel:DWORD src1_sel:WORD_1
	global_store_short v[0:1], v4, off
.LBB653_9:
	s_or_b32 exec_lo, exec_lo, s1
	v_cmp_ne_u32_e32 vcc_lo, 1, v6
	s_and_b32 s0, vcc_lo, s0
	s_and_b32 exec_lo, exec_lo, s0
	s_cbranch_execz .LBB653_11
; %bb.10:
	s_waitcnt lgkmcnt(0)
	v_add_f32_e32 v2, v2, v3
	s_mov_b32 s3, 0
	v_mov_b32_e32 v4, 0x7fc0
	s_lshl_b64 s[0:1], s[2:3], 1
	v_add_co_u32 v0, s0, v0, s0
	s_waitcnt vmcnt(0)
	v_fma_f32 v2, -v10, v2, v9
	v_add_co_ci_u32_e64 v1, null, s1, v1, s0
	v_bfe_u32 v3, v2, 16, 1
	v_cmp_o_f32_e32 vcc_lo, v2, v2
	v_add3_u32 v2, v2, v3, 0x7fff
	v_cndmask_b32_sdwa v2, v4, v2, vcc_lo dst_sel:DWORD dst_unused:UNUSED_PAD src0_sel:DWORD src1_sel:WORD_1
	global_store_short v[0:1], v2, off
.LBB653_11:
	s_endpgm
	.section	.rodata,"a",@progbits
	.p2align	6, 0x0
	.amdhsa_kernel _ZN12_GLOBAL__N_121softmax_warp_backwardIfN3c108BFloat16EfLi5ELb0ELb0ELi32EEEvPT0_PKT_S7_iiiPKb
		.amdhsa_group_segment_fixed_size 0
		.amdhsa_private_segment_fixed_size 0
		.amdhsa_kernarg_size 304
		.amdhsa_user_sgpr_count 6
		.amdhsa_user_sgpr_private_segment_buffer 1
		.amdhsa_user_sgpr_dispatch_ptr 0
		.amdhsa_user_sgpr_queue_ptr 0
		.amdhsa_user_sgpr_kernarg_segment_ptr 1
		.amdhsa_user_sgpr_dispatch_id 0
		.amdhsa_user_sgpr_flat_scratch_init 0
		.amdhsa_user_sgpr_private_segment_size 0
		.amdhsa_wavefront_size32 1
		.amdhsa_uses_dynamic_stack 0
		.amdhsa_system_sgpr_private_segment_wavefront_offset 0
		.amdhsa_system_sgpr_workgroup_id_x 1
		.amdhsa_system_sgpr_workgroup_id_y 0
		.amdhsa_system_sgpr_workgroup_id_z 0
		.amdhsa_system_sgpr_workgroup_info 0
		.amdhsa_system_vgpr_workitem_id 1
		.amdhsa_next_free_vgpr 13
		.amdhsa_next_free_sgpr 12
		.amdhsa_reserve_vcc 1
		.amdhsa_reserve_flat_scratch 0
		.amdhsa_float_round_mode_32 0
		.amdhsa_float_round_mode_16_64 0
		.amdhsa_float_denorm_mode_32 3
		.amdhsa_float_denorm_mode_16_64 3
		.amdhsa_dx10_clamp 1
		.amdhsa_ieee_mode 1
		.amdhsa_fp16_overflow 0
		.amdhsa_workgroup_processor_mode 1
		.amdhsa_memory_ordered 1
		.amdhsa_forward_progress 1
		.amdhsa_shared_vgpr_count 0
		.amdhsa_exception_fp_ieee_invalid_op 0
		.amdhsa_exception_fp_denorm_src 0
		.amdhsa_exception_fp_ieee_div_zero 0
		.amdhsa_exception_fp_ieee_overflow 0
		.amdhsa_exception_fp_ieee_underflow 0
		.amdhsa_exception_fp_ieee_inexact 0
		.amdhsa_exception_int_div_zero 0
	.end_amdhsa_kernel
	.section	.text._ZN12_GLOBAL__N_121softmax_warp_backwardIfN3c108BFloat16EfLi5ELb0ELb0ELi32EEEvPT0_PKT_S7_iiiPKb,"axG",@progbits,_ZN12_GLOBAL__N_121softmax_warp_backwardIfN3c108BFloat16EfLi5ELb0ELb0ELi32EEEvPT0_PKT_S7_iiiPKb,comdat
.Lfunc_end653:
	.size	_ZN12_GLOBAL__N_121softmax_warp_backwardIfN3c108BFloat16EfLi5ELb0ELb0ELi32EEEvPT0_PKT_S7_iiiPKb, .Lfunc_end653-_ZN12_GLOBAL__N_121softmax_warp_backwardIfN3c108BFloat16EfLi5ELb0ELb0ELi32EEEvPT0_PKT_S7_iiiPKb
                                        ; -- End function
	.set _ZN12_GLOBAL__N_121softmax_warp_backwardIfN3c108BFloat16EfLi5ELb0ELb0ELi32EEEvPT0_PKT_S7_iiiPKb.num_vgpr, 13
	.set _ZN12_GLOBAL__N_121softmax_warp_backwardIfN3c108BFloat16EfLi5ELb0ELb0ELi32EEEvPT0_PKT_S7_iiiPKb.num_agpr, 0
	.set _ZN12_GLOBAL__N_121softmax_warp_backwardIfN3c108BFloat16EfLi5ELb0ELb0ELi32EEEvPT0_PKT_S7_iiiPKb.numbered_sgpr, 12
	.set _ZN12_GLOBAL__N_121softmax_warp_backwardIfN3c108BFloat16EfLi5ELb0ELb0ELi32EEEvPT0_PKT_S7_iiiPKb.num_named_barrier, 0
	.set _ZN12_GLOBAL__N_121softmax_warp_backwardIfN3c108BFloat16EfLi5ELb0ELb0ELi32EEEvPT0_PKT_S7_iiiPKb.private_seg_size, 0
	.set _ZN12_GLOBAL__N_121softmax_warp_backwardIfN3c108BFloat16EfLi5ELb0ELb0ELi32EEEvPT0_PKT_S7_iiiPKb.uses_vcc, 1
	.set _ZN12_GLOBAL__N_121softmax_warp_backwardIfN3c108BFloat16EfLi5ELb0ELb0ELi32EEEvPT0_PKT_S7_iiiPKb.uses_flat_scratch, 0
	.set _ZN12_GLOBAL__N_121softmax_warp_backwardIfN3c108BFloat16EfLi5ELb0ELb0ELi32EEEvPT0_PKT_S7_iiiPKb.has_dyn_sized_stack, 0
	.set _ZN12_GLOBAL__N_121softmax_warp_backwardIfN3c108BFloat16EfLi5ELb0ELb0ELi32EEEvPT0_PKT_S7_iiiPKb.has_recursion, 0
	.set _ZN12_GLOBAL__N_121softmax_warp_backwardIfN3c108BFloat16EfLi5ELb0ELb0ELi32EEEvPT0_PKT_S7_iiiPKb.has_indirect_call, 0
	.section	.AMDGPU.csdata,"",@progbits
; Kernel info:
; codeLenInByte = 792
; TotalNumSgprs: 14
; NumVgprs: 13
; ScratchSize: 0
; MemoryBound: 0
; FloatMode: 240
; IeeeMode: 1
; LDSByteSize: 0 bytes/workgroup (compile time only)
; SGPRBlocks: 0
; VGPRBlocks: 1
; NumSGPRsForWavesPerEU: 14
; NumVGPRsForWavesPerEU: 13
; Occupancy: 16
; WaveLimiterHint : 0
; COMPUTE_PGM_RSRC2:SCRATCH_EN: 0
; COMPUTE_PGM_RSRC2:USER_SGPR: 6
; COMPUTE_PGM_RSRC2:TRAP_HANDLER: 0
; COMPUTE_PGM_RSRC2:TGID_X_EN: 1
; COMPUTE_PGM_RSRC2:TGID_Y_EN: 0
; COMPUTE_PGM_RSRC2:TGID_Z_EN: 0
; COMPUTE_PGM_RSRC2:TIDIG_COMP_CNT: 1
	.section	.text._ZN12_GLOBAL__N_121softmax_warp_backwardIfN3c108BFloat16EfLi6ELb0ELb0ELi64EEEvPT0_PKT_S7_iiiPKb,"axG",@progbits,_ZN12_GLOBAL__N_121softmax_warp_backwardIfN3c108BFloat16EfLi6ELb0ELb0ELi64EEEvPT0_PKT_S7_iiiPKb,comdat
	.globl	_ZN12_GLOBAL__N_121softmax_warp_backwardIfN3c108BFloat16EfLi6ELb0ELb0ELi64EEEvPT0_PKT_S7_iiiPKb ; -- Begin function _ZN12_GLOBAL__N_121softmax_warp_backwardIfN3c108BFloat16EfLi6ELb0ELb0ELi64EEEvPT0_PKT_S7_iiiPKb
	.p2align	8
	.type	_ZN12_GLOBAL__N_121softmax_warp_backwardIfN3c108BFloat16EfLi6ELb0ELb0ELi64EEEvPT0_PKT_S7_iiiPKb,@function
_ZN12_GLOBAL__N_121softmax_warp_backwardIfN3c108BFloat16EfLi6ELb0ELb0ELi64EEEvPT0_PKT_S7_iiiPKb: ; @_ZN12_GLOBAL__N_121softmax_warp_backwardIfN3c108BFloat16EfLi6ELb0ELb0ELi64EEEvPT0_PKT_S7_iiiPKb
; %bb.0:
	s_clause 0x1
	s_load_dword s7, s[4:5], 0x3c
	s_load_dwordx4 s[0:3], s[4:5], 0x18
	v_and_b32_e32 v2, 63, v0
	s_clause 0x1
	s_load_dwordx4 s[8:11], s[4:5], 0x0
	s_load_dwordx2 s[4:5], s[4:5], 0x10
	v_mov_b32_e32 v7, 0
	s_waitcnt lgkmcnt(0)
	s_lshr_b32 s3, s7, 16
	s_and_b32 s3, s3, 0xffff
	s_mul_i32 s6, s6, s3
	v_add_lshl_u32 v3, s6, v1, 1
	v_mad_u64_u32 v[0:1], null, v3, s1, v[2:3]
	v_sub_nc_u32_e32 v6, s0, v3
	v_cmp_gt_i32_e64 s0, s2, v2
	v_cmp_lt_i32_e32 vcc_lo, 0, v6
	v_ashrrev_i32_e32 v1, 31, v0
	s_and_b32 s3, s0, vcc_lo
	v_lshlrev_b64 v[8:9], 2, v[0:1]
	v_add_co_u32 v4, s1, s10, v8
	v_add_co_ci_u32_e64 v5, null, s11, v9, s1
	v_add_co_u32 v2, s1, s4, v8
	v_add_co_ci_u32_e64 v3, null, s5, v9, s1
	v_mov_b32_e32 v8, 0
	s_and_saveexec_b32 s1, s3
	s_cbranch_execz .LBB654_2
; %bb.1:
	global_load_dword v8, v[4:5], off
	global_load_dword v7, v[2:3], off
.LBB654_2:
	s_or_b32 exec_lo, exec_lo, s1
	v_cmp_gt_i32_e64 s1, 2, v6
	s_xor_b32 s3, s0, -1
	s_or_b32 s1, s3, s1
	s_and_saveexec_b32 s3, s1
	s_xor_b32 s1, exec_lo, s3
                                        ; implicit-def: $vgpr9
; %bb.3:
	v_mov_b32_e32 v9, 0
                                        ; implicit-def: $vgpr2
                                        ; implicit-def: $vgpr4
; %bb.4:
	s_or_saveexec_b32 s4, s1
	v_mov_b32_e32 v10, 0
	s_xor_b32 exec_lo, exec_lo, s4
	s_cbranch_execz .LBB654_6
; %bb.5:
	s_mov_b32 s3, 0
	s_lshl_b64 s[6:7], s[2:3], 2
	v_add_co_u32 v4, s1, v4, s6
	v_add_co_ci_u32_e64 v5, null, s7, v5, s1
	v_add_co_u32 v2, s1, v2, s6
	v_add_co_ci_u32_e64 v3, null, s7, v3, s1
	global_load_dword v9, v[4:5], off
	global_load_dword v10, v[2:3], off
.LBB654_6:
	s_or_b32 exec_lo, exec_lo, s4
	v_mbcnt_lo_u32_b32 v2, -1, 0
	s_waitcnt vmcnt(1)
	v_add_f32_e32 v4, 0, v8
	v_add_f32_e32 v5, 0, v9
	v_or_b32_e32 v3, 32, v2
	v_xor_b32_e32 v12, 16, v2
	v_cmp_gt_i32_e64 s1, 64, v3
	v_cndmask_b32_e64 v3, v2, v3, s1
	v_cmp_gt_i32_e64 s1, 64, v12
	v_lshlrev_b32_e32 v3, 2, v3
	v_cndmask_b32_e64 v12, v2, v12, s1
	ds_bpermute_b32 v11, v3, v4
	ds_bpermute_b32 v3, v3, v5
	v_lshlrev_b32_e32 v12, 2, v12
	s_waitcnt lgkmcnt(1)
	v_add_f32_e32 v4, v4, v11
	s_waitcnt lgkmcnt(0)
	v_add_f32_e32 v3, v5, v3
	ds_bpermute_b32 v5, v12, v4
	ds_bpermute_b32 v11, v12, v3
	v_xor_b32_e32 v12, 8, v2
	v_cmp_gt_i32_e64 s1, 64, v12
	v_cndmask_b32_e64 v12, v2, v12, s1
	v_lshlrev_b32_e32 v12, 2, v12
	s_waitcnt lgkmcnt(1)
	v_add_f32_e32 v4, v4, v5
	s_waitcnt lgkmcnt(0)
	v_add_f32_e32 v3, v3, v11
	ds_bpermute_b32 v5, v12, v4
	ds_bpermute_b32 v11, v12, v3
	v_xor_b32_e32 v12, 4, v2
	v_cmp_gt_i32_e64 s1, 64, v12
	v_cndmask_b32_e64 v12, v2, v12, s1
	;; [unrolled: 10-line block ×4, first 2 shown]
	v_lshlrev_b32_e32 v12, 2, v2
	s_waitcnt lgkmcnt(1)
	v_add_f32_e32 v4, v4, v5
	s_waitcnt lgkmcnt(0)
	v_add_f32_e32 v2, v3, v11
	ds_bpermute_b32 v5, v12, v4
	ds_bpermute_b32 v3, v12, v2
	s_and_saveexec_b32 s1, vcc_lo
	s_cbranch_execz .LBB654_11
; %bb.7:
	v_lshlrev_b64 v[0:1], 1, v[0:1]
	v_add_co_u32 v0, vcc_lo, s8, v0
	v_add_co_ci_u32_e64 v1, null, s9, v1, vcc_lo
	s_and_saveexec_b32 s1, s0
	s_cbranch_execz .LBB654_9
; %bb.8:
	s_waitcnt lgkmcnt(1)
	v_add_f32_e32 v4, v4, v5
	s_waitcnt vmcnt(0)
	v_fma_f32 v4, -v7, v4, v8
	v_bfe_u32 v5, v4, 16, 1
	v_cmp_o_f32_e32 vcc_lo, v4, v4
	v_add3_u32 v4, v4, v5, 0x7fff
	v_mov_b32_e32 v5, 0x7fc0
	v_cndmask_b32_sdwa v4, v5, v4, vcc_lo dst_sel:DWORD dst_unused:UNUSED_PAD src0_sel:DWORD src1_sel:WORD_1
	global_store_short v[0:1], v4, off
.LBB654_9:
	s_or_b32 exec_lo, exec_lo, s1
	v_cmp_ne_u32_e32 vcc_lo, 1, v6
	s_and_b32 s0, vcc_lo, s0
	s_and_b32 exec_lo, exec_lo, s0
	s_cbranch_execz .LBB654_11
; %bb.10:
	s_waitcnt lgkmcnt(0)
	v_add_f32_e32 v2, v2, v3
	s_mov_b32 s3, 0
	v_mov_b32_e32 v4, 0x7fc0
	s_lshl_b64 s[0:1], s[2:3], 1
	v_add_co_u32 v0, s0, v0, s0
	s_waitcnt vmcnt(0)
	v_fma_f32 v2, -v10, v2, v9
	v_add_co_ci_u32_e64 v1, null, s1, v1, s0
	v_bfe_u32 v3, v2, 16, 1
	v_cmp_o_f32_e32 vcc_lo, v2, v2
	v_add3_u32 v2, v2, v3, 0x7fff
	v_cndmask_b32_sdwa v2, v4, v2, vcc_lo dst_sel:DWORD dst_unused:UNUSED_PAD src0_sel:DWORD src1_sel:WORD_1
	global_store_short v[0:1], v2, off
.LBB654_11:
	s_endpgm
	.section	.rodata,"a",@progbits
	.p2align	6, 0x0
	.amdhsa_kernel _ZN12_GLOBAL__N_121softmax_warp_backwardIfN3c108BFloat16EfLi6ELb0ELb0ELi64EEEvPT0_PKT_S7_iiiPKb
		.amdhsa_group_segment_fixed_size 0
		.amdhsa_private_segment_fixed_size 0
		.amdhsa_kernarg_size 304
		.amdhsa_user_sgpr_count 6
		.amdhsa_user_sgpr_private_segment_buffer 1
		.amdhsa_user_sgpr_dispatch_ptr 0
		.amdhsa_user_sgpr_queue_ptr 0
		.amdhsa_user_sgpr_kernarg_segment_ptr 1
		.amdhsa_user_sgpr_dispatch_id 0
		.amdhsa_user_sgpr_flat_scratch_init 0
		.amdhsa_user_sgpr_private_segment_size 0
		.amdhsa_wavefront_size32 1
		.amdhsa_uses_dynamic_stack 0
		.amdhsa_system_sgpr_private_segment_wavefront_offset 0
		.amdhsa_system_sgpr_workgroup_id_x 1
		.amdhsa_system_sgpr_workgroup_id_y 0
		.amdhsa_system_sgpr_workgroup_id_z 0
		.amdhsa_system_sgpr_workgroup_info 0
		.amdhsa_system_vgpr_workitem_id 1
		.amdhsa_next_free_vgpr 13
		.amdhsa_next_free_sgpr 12
		.amdhsa_reserve_vcc 1
		.amdhsa_reserve_flat_scratch 0
		.amdhsa_float_round_mode_32 0
		.amdhsa_float_round_mode_16_64 0
		.amdhsa_float_denorm_mode_32 3
		.amdhsa_float_denorm_mode_16_64 3
		.amdhsa_dx10_clamp 1
		.amdhsa_ieee_mode 1
		.amdhsa_fp16_overflow 0
		.amdhsa_workgroup_processor_mode 1
		.amdhsa_memory_ordered 1
		.amdhsa_forward_progress 1
		.amdhsa_shared_vgpr_count 0
		.amdhsa_exception_fp_ieee_invalid_op 0
		.amdhsa_exception_fp_denorm_src 0
		.amdhsa_exception_fp_ieee_div_zero 0
		.amdhsa_exception_fp_ieee_overflow 0
		.amdhsa_exception_fp_ieee_underflow 0
		.amdhsa_exception_fp_ieee_inexact 0
		.amdhsa_exception_int_div_zero 0
	.end_amdhsa_kernel
	.section	.text._ZN12_GLOBAL__N_121softmax_warp_backwardIfN3c108BFloat16EfLi6ELb0ELb0ELi64EEEvPT0_PKT_S7_iiiPKb,"axG",@progbits,_ZN12_GLOBAL__N_121softmax_warp_backwardIfN3c108BFloat16EfLi6ELb0ELb0ELi64EEEvPT0_PKT_S7_iiiPKb,comdat
.Lfunc_end654:
	.size	_ZN12_GLOBAL__N_121softmax_warp_backwardIfN3c108BFloat16EfLi6ELb0ELb0ELi64EEEvPT0_PKT_S7_iiiPKb, .Lfunc_end654-_ZN12_GLOBAL__N_121softmax_warp_backwardIfN3c108BFloat16EfLi6ELb0ELb0ELi64EEEvPT0_PKT_S7_iiiPKb
                                        ; -- End function
	.set _ZN12_GLOBAL__N_121softmax_warp_backwardIfN3c108BFloat16EfLi6ELb0ELb0ELi64EEEvPT0_PKT_S7_iiiPKb.num_vgpr, 13
	.set _ZN12_GLOBAL__N_121softmax_warp_backwardIfN3c108BFloat16EfLi6ELb0ELb0ELi64EEEvPT0_PKT_S7_iiiPKb.num_agpr, 0
	.set _ZN12_GLOBAL__N_121softmax_warp_backwardIfN3c108BFloat16EfLi6ELb0ELb0ELi64EEEvPT0_PKT_S7_iiiPKb.numbered_sgpr, 12
	.set _ZN12_GLOBAL__N_121softmax_warp_backwardIfN3c108BFloat16EfLi6ELb0ELb0ELi64EEEvPT0_PKT_S7_iiiPKb.num_named_barrier, 0
	.set _ZN12_GLOBAL__N_121softmax_warp_backwardIfN3c108BFloat16EfLi6ELb0ELb0ELi64EEEvPT0_PKT_S7_iiiPKb.private_seg_size, 0
	.set _ZN12_GLOBAL__N_121softmax_warp_backwardIfN3c108BFloat16EfLi6ELb0ELb0ELi64EEEvPT0_PKT_S7_iiiPKb.uses_vcc, 1
	.set _ZN12_GLOBAL__N_121softmax_warp_backwardIfN3c108BFloat16EfLi6ELb0ELb0ELi64EEEvPT0_PKT_S7_iiiPKb.uses_flat_scratch, 0
	.set _ZN12_GLOBAL__N_121softmax_warp_backwardIfN3c108BFloat16EfLi6ELb0ELb0ELi64EEEvPT0_PKT_S7_iiiPKb.has_dyn_sized_stack, 0
	.set _ZN12_GLOBAL__N_121softmax_warp_backwardIfN3c108BFloat16EfLi6ELb0ELb0ELi64EEEvPT0_PKT_S7_iiiPKb.has_recursion, 0
	.set _ZN12_GLOBAL__N_121softmax_warp_backwardIfN3c108BFloat16EfLi6ELb0ELb0ELi64EEEvPT0_PKT_S7_iiiPKb.has_indirect_call, 0
	.section	.AMDGPU.csdata,"",@progbits
; Kernel info:
; codeLenInByte = 848
; TotalNumSgprs: 14
; NumVgprs: 13
; ScratchSize: 0
; MemoryBound: 0
; FloatMode: 240
; IeeeMode: 1
; LDSByteSize: 0 bytes/workgroup (compile time only)
; SGPRBlocks: 0
; VGPRBlocks: 1
; NumSGPRsForWavesPerEU: 14
; NumVGPRsForWavesPerEU: 13
; Occupancy: 16
; WaveLimiterHint : 0
; COMPUTE_PGM_RSRC2:SCRATCH_EN: 0
; COMPUTE_PGM_RSRC2:USER_SGPR: 6
; COMPUTE_PGM_RSRC2:TRAP_HANDLER: 0
; COMPUTE_PGM_RSRC2:TGID_X_EN: 1
; COMPUTE_PGM_RSRC2:TGID_Y_EN: 0
; COMPUTE_PGM_RSRC2:TGID_Z_EN: 0
; COMPUTE_PGM_RSRC2:TIDIG_COMP_CNT: 1
	.section	.text._ZN12_GLOBAL__N_121softmax_warp_backwardIfN3c108BFloat16EfLi6ELb0ELb0ELi32EEEvPT0_PKT_S7_iiiPKb,"axG",@progbits,_ZN12_GLOBAL__N_121softmax_warp_backwardIfN3c108BFloat16EfLi6ELb0ELb0ELi32EEEvPT0_PKT_S7_iiiPKb,comdat
	.globl	_ZN12_GLOBAL__N_121softmax_warp_backwardIfN3c108BFloat16EfLi6ELb0ELb0ELi32EEEvPT0_PKT_S7_iiiPKb ; -- Begin function _ZN12_GLOBAL__N_121softmax_warp_backwardIfN3c108BFloat16EfLi6ELb0ELb0ELi32EEEvPT0_PKT_S7_iiiPKb
	.p2align	8
	.type	_ZN12_GLOBAL__N_121softmax_warp_backwardIfN3c108BFloat16EfLi6ELb0ELb0ELi32EEEvPT0_PKT_S7_iiiPKb,@function
_ZN12_GLOBAL__N_121softmax_warp_backwardIfN3c108BFloat16EfLi6ELb0ELb0ELi32EEEvPT0_PKT_S7_iiiPKb: ; @_ZN12_GLOBAL__N_121softmax_warp_backwardIfN3c108BFloat16EfLi6ELb0ELb0ELi32EEEvPT0_PKT_S7_iiiPKb
; %bb.0:
	s_clause 0x1
	s_load_dword s0, s[4:5], 0x3c
	s_load_dwordx4 s[8:11], s[4:5], 0x18
	v_and_b32_e32 v6, 31, v0
	s_clause 0x1
	s_load_dwordx4 s[12:15], s[4:5], 0x0
	s_load_dwordx2 s[2:3], s[4:5], 0x10
	v_mov_b32_e32 v8, 0
	v_mov_b32_e32 v9, 0
	;; [unrolled: 1-line block ×3, first 2 shown]
	s_waitcnt lgkmcnt(0)
	s_lshr_b32 s0, s0, 16
	v_cmp_gt_i32_e64 s1, s10, v6
	s_and_b32 s0, s0, 0xffff
	s_mul_i32 s6, s6, s0
	v_add_lshl_u32 v2, s6, v1, 1
	v_mad_u64_u32 v[0:1], null, v2, s9, v[6:7]
	v_sub_nc_u32_e32 v7, s8, v2
	v_cmp_lt_i32_e32 vcc_lo, 0, v7
	v_ashrrev_i32_e32 v1, 31, v0
	v_lshlrev_b64 v[2:3], 2, v[0:1]
	v_add_co_u32 v4, s0, s14, v2
	v_add_co_ci_u32_e64 v5, null, s15, v3, s0
	v_add_co_u32 v2, s0, s2, v2
	v_add_co_ci_u32_e64 v3, null, s3, v3, s0
	s_and_b32 s2, vcc_lo, s1
	s_and_saveexec_b32 s0, s2
	s_cbranch_execz .LBB655_2
; %bb.1:
	global_load_dword v9, v[4:5], off
	global_load_dword v10, v[2:3], off
.LBB655_2:
	s_or_b32 exec_lo, exec_lo, s0
	v_or_b32_e32 v6, 32, v6
	v_mov_b32_e32 v11, 0
	v_cmp_gt_i32_e64 s0, s10, v6
	s_and_b32 s3, vcc_lo, s0
	s_and_saveexec_b32 s2, s3
	s_cbranch_execz .LBB655_4
; %bb.3:
	global_load_dword v8, v[4:5], off offset:128
	global_load_dword v11, v[2:3], off offset:128
.LBB655_4:
	s_or_b32 exec_lo, exec_lo, s2
	v_cmp_lt_i32_e64 s2, 1, v7
	v_mov_b32_e32 v6, 0
	v_mov_b32_e32 v12, 0
	;; [unrolled: 1-line block ×3, first 2 shown]
	s_and_b32 s3, s2, s1
	s_and_saveexec_b32 s4, s3
	s_cbranch_execz .LBB655_6
; %bb.5:
	s_mov_b32 s11, 0
	s_lshl_b64 s[6:7], s[10:11], 2
	v_add_co_u32 v12, s3, v4, s6
	v_add_co_ci_u32_e64 v13, null, s7, v5, s3
	v_add_co_u32 v14, s3, v2, s6
	v_add_co_ci_u32_e64 v15, null, s7, v3, s3
	global_load_dword v12, v[12:13], off
	global_load_dword v13, v[14:15], off
.LBB655_6:
	s_or_b32 exec_lo, exec_lo, s4
	v_mov_b32_e32 v14, 0
	s_and_b32 s2, s2, s0
	s_and_saveexec_b32 s3, s2
	s_cbranch_execz .LBB655_8
; %bb.7:
	s_mov_b32 s11, 0
	s_lshl_b64 s[4:5], s[10:11], 2
	v_add_co_u32 v4, s2, v4, s4
	v_add_co_ci_u32_e64 v5, null, s5, v5, s2
	v_add_co_u32 v2, s2, v2, s4
	v_add_co_ci_u32_e64 v3, null, s5, v3, s2
	global_load_dword v6, v[4:5], off offset:128
	global_load_dword v14, v[2:3], off offset:128
.LBB655_8:
	s_or_b32 exec_lo, exec_lo, s3
	v_mbcnt_lo_u32_b32 v2, -1, 0
	s_waitcnt vmcnt(1)
	v_add_f32_e32 v4, 0, v9
	v_add_f32_e32 v5, 0, v12
	v_xor_b32_e32 v3, 16, v2
	v_add_f32_e32 v4, v4, v8
	v_add_f32_e32 v5, v5, v6
	v_xor_b32_e32 v16, 8, v2
	v_cmp_gt_i32_e64 s2, 32, v3
	v_cndmask_b32_e64 v3, v2, v3, s2
	v_cmp_gt_i32_e64 s2, 32, v16
	v_lshlrev_b32_e32 v3, 2, v3
	v_cndmask_b32_e64 v16, v2, v16, s2
	ds_bpermute_b32 v15, v3, v4
	ds_bpermute_b32 v3, v3, v5
	v_lshlrev_b32_e32 v16, 2, v16
	s_waitcnt lgkmcnt(1)
	v_add_f32_e32 v4, v4, v15
	s_waitcnt lgkmcnt(0)
	v_add_f32_e32 v3, v5, v3
	ds_bpermute_b32 v5, v16, v4
	ds_bpermute_b32 v15, v16, v3
	v_xor_b32_e32 v16, 4, v2
	v_cmp_gt_i32_e64 s2, 32, v16
	v_cndmask_b32_e64 v16, v2, v16, s2
	v_lshlrev_b32_e32 v16, 2, v16
	s_waitcnt lgkmcnt(1)
	v_add_f32_e32 v4, v4, v5
	s_waitcnt lgkmcnt(0)
	v_add_f32_e32 v3, v3, v15
	ds_bpermute_b32 v5, v16, v4
	ds_bpermute_b32 v15, v16, v3
	v_xor_b32_e32 v16, 2, v2
	v_cmp_gt_i32_e64 s2, 32, v16
	v_cndmask_b32_e64 v16, v2, v16, s2
	;; [unrolled: 10-line block ×3, first 2 shown]
	v_lshlrev_b32_e32 v16, 2, v2
	s_waitcnt lgkmcnt(1)
	v_add_f32_e32 v4, v4, v5
	s_waitcnt lgkmcnt(0)
	v_add_f32_e32 v2, v3, v15
	ds_bpermute_b32 v5, v16, v4
	ds_bpermute_b32 v3, v16, v2
	s_and_saveexec_b32 s2, vcc_lo
	s_cbranch_execz .LBB655_12
; %bb.9:
	v_lshlrev_b64 v[0:1], 1, v[0:1]
	s_waitcnt lgkmcnt(1)
	v_add_f32_e32 v4, v4, v5
	v_add_co_u32 v0, vcc_lo, s12, v0
	v_add_co_ci_u32_e64 v1, null, s13, v1, vcc_lo
	s_and_saveexec_b32 s2, s1
	s_cbranch_execnz .LBB655_13
; %bb.10:
	s_or_b32 exec_lo, exec_lo, s2
	s_and_saveexec_b32 s2, s0
	s_cbranch_execnz .LBB655_14
.LBB655_11:
	s_or_b32 exec_lo, exec_lo, s2
	v_cmp_ne_u32_e32 vcc_lo, 1, v7
	s_and_b32 exec_lo, exec_lo, vcc_lo
	s_cbranch_execnz .LBB655_15
.LBB655_12:
	s_endpgm
.LBB655_13:
	s_waitcnt vmcnt(0)
	v_fma_f32 v5, -v4, v10, v9
	v_bfe_u32 v9, v5, 16, 1
	v_cmp_o_f32_e32 vcc_lo, v5, v5
	v_add3_u32 v5, v5, v9, 0x7fff
	v_mov_b32_e32 v9, 0x7fc0
	v_cndmask_b32_sdwa v5, v9, v5, vcc_lo dst_sel:DWORD dst_unused:UNUSED_PAD src0_sel:DWORD src1_sel:WORD_1
	global_store_short v[0:1], v5, off
	s_or_b32 exec_lo, exec_lo, s2
	s_and_saveexec_b32 s2, s0
	s_cbranch_execz .LBB655_11
.LBB655_14:
	s_waitcnt vmcnt(0)
	v_fma_f32 v4, -v4, v11, v8
	v_bfe_u32 v5, v4, 16, 1
	v_cmp_o_f32_e32 vcc_lo, v4, v4
	v_add3_u32 v4, v4, v5, 0x7fff
	v_mov_b32_e32 v5, 0x7fc0
	v_cndmask_b32_sdwa v4, v5, v4, vcc_lo dst_sel:DWORD dst_unused:UNUSED_PAD src0_sel:DWORD src1_sel:WORD_1
	global_store_short v[0:1], v4, off offset:64
	s_or_b32 exec_lo, exec_lo, s2
	v_cmp_ne_u32_e32 vcc_lo, 1, v7
	s_and_b32 exec_lo, exec_lo, vcc_lo
	s_cbranch_execz .LBB655_12
.LBB655_15:
	s_waitcnt lgkmcnt(0)
	v_add_f32_e32 v2, v2, v3
	s_and_saveexec_b32 s2, s1
	s_cbranch_execz .LBB655_17
; %bb.16:
	s_waitcnt vmcnt(0)
	v_fma_f32 v3, -v2, v13, v12
	v_mov_b32_e32 v5, 0x7fc0
	s_mov_b32 s11, 0
	s_lshl_b64 s[4:5], s[10:11], 1
	v_bfe_u32 v4, v3, 16, 1
	v_cmp_o_f32_e32 vcc_lo, v3, v3
	v_add3_u32 v3, v3, v4, 0x7fff
	v_cndmask_b32_sdwa v5, v5, v3, vcc_lo dst_sel:DWORD dst_unused:UNUSED_PAD src0_sel:DWORD src1_sel:WORD_1
	v_add_co_u32 v3, vcc_lo, v0, s4
	v_add_co_ci_u32_e64 v4, null, s5, v1, vcc_lo
	global_store_short v[3:4], v5, off
.LBB655_17:
	s_or_b32 exec_lo, exec_lo, s2
	s_and_b32 exec_lo, exec_lo, s0
	s_cbranch_execz .LBB655_12
; %bb.18:
	s_waitcnt vmcnt(0)
	v_fma_f32 v2, -v2, v14, v6
	v_mov_b32_e32 v4, 0x7fc0
	s_mov_b32 s11, 0
	s_lshl_b64 s[0:1], s[10:11], 1
	v_bfe_u32 v3, v2, 16, 1
	v_cmp_o_f32_e32 vcc_lo, v2, v2
	v_add3_u32 v2, v2, v3, 0x7fff
	v_cndmask_b32_sdwa v2, v4, v2, vcc_lo dst_sel:DWORD dst_unused:UNUSED_PAD src0_sel:DWORD src1_sel:WORD_1
	v_add_co_u32 v0, vcc_lo, v0, s0
	v_add_co_ci_u32_e64 v1, null, s1, v1, vcc_lo
	global_store_short v[0:1], v2, off offset:64
	s_endpgm
	.section	.rodata,"a",@progbits
	.p2align	6, 0x0
	.amdhsa_kernel _ZN12_GLOBAL__N_121softmax_warp_backwardIfN3c108BFloat16EfLi6ELb0ELb0ELi32EEEvPT0_PKT_S7_iiiPKb
		.amdhsa_group_segment_fixed_size 0
		.amdhsa_private_segment_fixed_size 0
		.amdhsa_kernarg_size 304
		.amdhsa_user_sgpr_count 6
		.amdhsa_user_sgpr_private_segment_buffer 1
		.amdhsa_user_sgpr_dispatch_ptr 0
		.amdhsa_user_sgpr_queue_ptr 0
		.amdhsa_user_sgpr_kernarg_segment_ptr 1
		.amdhsa_user_sgpr_dispatch_id 0
		.amdhsa_user_sgpr_flat_scratch_init 0
		.amdhsa_user_sgpr_private_segment_size 0
		.amdhsa_wavefront_size32 1
		.amdhsa_uses_dynamic_stack 0
		.amdhsa_system_sgpr_private_segment_wavefront_offset 0
		.amdhsa_system_sgpr_workgroup_id_x 1
		.amdhsa_system_sgpr_workgroup_id_y 0
		.amdhsa_system_sgpr_workgroup_id_z 0
		.amdhsa_system_sgpr_workgroup_info 0
		.amdhsa_system_vgpr_workitem_id 1
		.amdhsa_next_free_vgpr 17
		.amdhsa_next_free_sgpr 16
		.amdhsa_reserve_vcc 1
		.amdhsa_reserve_flat_scratch 0
		.amdhsa_float_round_mode_32 0
		.amdhsa_float_round_mode_16_64 0
		.amdhsa_float_denorm_mode_32 3
		.amdhsa_float_denorm_mode_16_64 3
		.amdhsa_dx10_clamp 1
		.amdhsa_ieee_mode 1
		.amdhsa_fp16_overflow 0
		.amdhsa_workgroup_processor_mode 1
		.amdhsa_memory_ordered 1
		.amdhsa_forward_progress 1
		.amdhsa_shared_vgpr_count 0
		.amdhsa_exception_fp_ieee_invalid_op 0
		.amdhsa_exception_fp_denorm_src 0
		.amdhsa_exception_fp_ieee_div_zero 0
		.amdhsa_exception_fp_ieee_overflow 0
		.amdhsa_exception_fp_ieee_underflow 0
		.amdhsa_exception_fp_ieee_inexact 0
		.amdhsa_exception_int_div_zero 0
	.end_amdhsa_kernel
	.section	.text._ZN12_GLOBAL__N_121softmax_warp_backwardIfN3c108BFloat16EfLi6ELb0ELb0ELi32EEEvPT0_PKT_S7_iiiPKb,"axG",@progbits,_ZN12_GLOBAL__N_121softmax_warp_backwardIfN3c108BFloat16EfLi6ELb0ELb0ELi32EEEvPT0_PKT_S7_iiiPKb,comdat
.Lfunc_end655:
	.size	_ZN12_GLOBAL__N_121softmax_warp_backwardIfN3c108BFloat16EfLi6ELb0ELb0ELi32EEEvPT0_PKT_S7_iiiPKb, .Lfunc_end655-_ZN12_GLOBAL__N_121softmax_warp_backwardIfN3c108BFloat16EfLi6ELb0ELb0ELi32EEEvPT0_PKT_S7_iiiPKb
                                        ; -- End function
	.set _ZN12_GLOBAL__N_121softmax_warp_backwardIfN3c108BFloat16EfLi6ELb0ELb0ELi32EEEvPT0_PKT_S7_iiiPKb.num_vgpr, 17
	.set _ZN12_GLOBAL__N_121softmax_warp_backwardIfN3c108BFloat16EfLi6ELb0ELb0ELi32EEEvPT0_PKT_S7_iiiPKb.num_agpr, 0
	.set _ZN12_GLOBAL__N_121softmax_warp_backwardIfN3c108BFloat16EfLi6ELb0ELb0ELi32EEEvPT0_PKT_S7_iiiPKb.numbered_sgpr, 16
	.set _ZN12_GLOBAL__N_121softmax_warp_backwardIfN3c108BFloat16EfLi6ELb0ELb0ELi32EEEvPT0_PKT_S7_iiiPKb.num_named_barrier, 0
	.set _ZN12_GLOBAL__N_121softmax_warp_backwardIfN3c108BFloat16EfLi6ELb0ELb0ELi32EEEvPT0_PKT_S7_iiiPKb.private_seg_size, 0
	.set _ZN12_GLOBAL__N_121softmax_warp_backwardIfN3c108BFloat16EfLi6ELb0ELb0ELi32EEEvPT0_PKT_S7_iiiPKb.uses_vcc, 1
	.set _ZN12_GLOBAL__N_121softmax_warp_backwardIfN3c108BFloat16EfLi6ELb0ELb0ELi32EEEvPT0_PKT_S7_iiiPKb.uses_flat_scratch, 0
	.set _ZN12_GLOBAL__N_121softmax_warp_backwardIfN3c108BFloat16EfLi6ELb0ELb0ELi32EEEvPT0_PKT_S7_iiiPKb.has_dyn_sized_stack, 0
	.set _ZN12_GLOBAL__N_121softmax_warp_backwardIfN3c108BFloat16EfLi6ELb0ELb0ELi32EEEvPT0_PKT_S7_iiiPKb.has_recursion, 0
	.set _ZN12_GLOBAL__N_121softmax_warp_backwardIfN3c108BFloat16EfLi6ELb0ELb0ELi32EEEvPT0_PKT_S7_iiiPKb.has_indirect_call, 0
	.section	.AMDGPU.csdata,"",@progbits
; Kernel info:
; codeLenInByte = 1120
; TotalNumSgprs: 18
; NumVgprs: 17
; ScratchSize: 0
; MemoryBound: 0
; FloatMode: 240
; IeeeMode: 1
; LDSByteSize: 0 bytes/workgroup (compile time only)
; SGPRBlocks: 0
; VGPRBlocks: 2
; NumSGPRsForWavesPerEU: 18
; NumVGPRsForWavesPerEU: 17
; Occupancy: 16
; WaveLimiterHint : 0
; COMPUTE_PGM_RSRC2:SCRATCH_EN: 0
; COMPUTE_PGM_RSRC2:USER_SGPR: 6
; COMPUTE_PGM_RSRC2:TRAP_HANDLER: 0
; COMPUTE_PGM_RSRC2:TGID_X_EN: 1
; COMPUTE_PGM_RSRC2:TGID_Y_EN: 0
; COMPUTE_PGM_RSRC2:TGID_Z_EN: 0
; COMPUTE_PGM_RSRC2:TIDIG_COMP_CNT: 1
	.section	.text._ZN12_GLOBAL__N_121softmax_warp_backwardIfN3c108BFloat16EfLi7ELb0ELb0ELi64EEEvPT0_PKT_S7_iiiPKb,"axG",@progbits,_ZN12_GLOBAL__N_121softmax_warp_backwardIfN3c108BFloat16EfLi7ELb0ELb0ELi64EEEvPT0_PKT_S7_iiiPKb,comdat
	.globl	_ZN12_GLOBAL__N_121softmax_warp_backwardIfN3c108BFloat16EfLi7ELb0ELb0ELi64EEEvPT0_PKT_S7_iiiPKb ; -- Begin function _ZN12_GLOBAL__N_121softmax_warp_backwardIfN3c108BFloat16EfLi7ELb0ELb0ELi64EEEvPT0_PKT_S7_iiiPKb
	.p2align	8
	.type	_ZN12_GLOBAL__N_121softmax_warp_backwardIfN3c108BFloat16EfLi7ELb0ELb0ELi64EEEvPT0_PKT_S7_iiiPKb,@function
_ZN12_GLOBAL__N_121softmax_warp_backwardIfN3c108BFloat16EfLi7ELb0ELb0ELi64EEEvPT0_PKT_S7_iiiPKb: ; @_ZN12_GLOBAL__N_121softmax_warp_backwardIfN3c108BFloat16EfLi7ELb0ELb0ELi64EEEvPT0_PKT_S7_iiiPKb
; %bb.0:
	s_clause 0x1
	s_load_dword s0, s[4:5], 0x3c
	s_load_dwordx4 s[8:11], s[4:5], 0x18
	v_and_b32_e32 v6, 63, v0
	s_clause 0x1
	s_load_dwordx4 s[12:15], s[4:5], 0x0
	s_load_dwordx2 s[2:3], s[4:5], 0x10
	v_mov_b32_e32 v8, 0
	v_mov_b32_e32 v9, 0
	;; [unrolled: 1-line block ×3, first 2 shown]
	s_waitcnt lgkmcnt(0)
	s_lshr_b32 s0, s0, 16
	v_cmp_gt_i32_e64 s1, s10, v6
	s_and_b32 s0, s0, 0xffff
	s_mul_i32 s6, s6, s0
	v_add_lshl_u32 v2, s6, v1, 1
	v_mad_u64_u32 v[0:1], null, v2, s9, v[6:7]
	v_sub_nc_u32_e32 v7, s8, v2
	v_cmp_lt_i32_e32 vcc_lo, 0, v7
	v_ashrrev_i32_e32 v1, 31, v0
	v_lshlrev_b64 v[2:3], 2, v[0:1]
	v_add_co_u32 v4, s0, s14, v2
	v_add_co_ci_u32_e64 v5, null, s15, v3, s0
	v_add_co_u32 v2, s0, s2, v2
	v_add_co_ci_u32_e64 v3, null, s3, v3, s0
	s_and_b32 s2, vcc_lo, s1
	s_and_saveexec_b32 s0, s2
	s_cbranch_execz .LBB656_2
; %bb.1:
	global_load_dword v9, v[4:5], off
	global_load_dword v10, v[2:3], off
.LBB656_2:
	s_or_b32 exec_lo, exec_lo, s0
	v_or_b32_e32 v6, 64, v6
	v_mov_b32_e32 v11, 0
	v_cmp_gt_i32_e64 s0, s10, v6
	s_and_b32 s3, vcc_lo, s0
	s_and_saveexec_b32 s2, s3
	s_cbranch_execz .LBB656_4
; %bb.3:
	global_load_dword v8, v[4:5], off offset:256
	global_load_dword v11, v[2:3], off offset:256
.LBB656_4:
	s_or_b32 exec_lo, exec_lo, s2
	v_cmp_lt_i32_e64 s2, 1, v7
	v_mov_b32_e32 v6, 0
	v_mov_b32_e32 v12, 0
	;; [unrolled: 1-line block ×3, first 2 shown]
	s_and_b32 s3, s2, s1
	s_and_saveexec_b32 s4, s3
	s_cbranch_execz .LBB656_6
; %bb.5:
	s_mov_b32 s11, 0
	s_lshl_b64 s[6:7], s[10:11], 2
	v_add_co_u32 v12, s3, v4, s6
	v_add_co_ci_u32_e64 v13, null, s7, v5, s3
	v_add_co_u32 v14, s3, v2, s6
	v_add_co_ci_u32_e64 v15, null, s7, v3, s3
	global_load_dword v12, v[12:13], off
	global_load_dword v13, v[14:15], off
.LBB656_6:
	s_or_b32 exec_lo, exec_lo, s4
	v_mov_b32_e32 v14, 0
	s_and_b32 s2, s2, s0
	s_and_saveexec_b32 s3, s2
	s_cbranch_execz .LBB656_8
; %bb.7:
	s_mov_b32 s11, 0
	s_lshl_b64 s[4:5], s[10:11], 2
	v_add_co_u32 v4, s2, v4, s4
	v_add_co_ci_u32_e64 v5, null, s5, v5, s2
	v_add_co_u32 v2, s2, v2, s4
	v_add_co_ci_u32_e64 v3, null, s5, v3, s2
	global_load_dword v6, v[4:5], off offset:256
	global_load_dword v14, v[2:3], off offset:256
.LBB656_8:
	s_or_b32 exec_lo, exec_lo, s3
	v_mbcnt_lo_u32_b32 v2, -1, 0
	s_waitcnt vmcnt(1)
	v_add_f32_e32 v4, 0, v9
	v_add_f32_e32 v5, 0, v12
	v_or_b32_e32 v3, 32, v2
	v_add_f32_e32 v4, v4, v8
	v_add_f32_e32 v5, v5, v6
	v_xor_b32_e32 v16, 16, v2
	v_cmp_gt_i32_e64 s2, 64, v3
	v_cndmask_b32_e64 v3, v2, v3, s2
	v_cmp_gt_i32_e64 s2, 64, v16
	v_lshlrev_b32_e32 v3, 2, v3
	v_cndmask_b32_e64 v16, v2, v16, s2
	ds_bpermute_b32 v15, v3, v4
	ds_bpermute_b32 v3, v3, v5
	v_lshlrev_b32_e32 v16, 2, v16
	s_waitcnt lgkmcnt(1)
	v_add_f32_e32 v4, v4, v15
	s_waitcnt lgkmcnt(0)
	v_add_f32_e32 v3, v5, v3
	ds_bpermute_b32 v5, v16, v4
	ds_bpermute_b32 v15, v16, v3
	v_xor_b32_e32 v16, 8, v2
	v_cmp_gt_i32_e64 s2, 64, v16
	v_cndmask_b32_e64 v16, v2, v16, s2
	v_lshlrev_b32_e32 v16, 2, v16
	s_waitcnt lgkmcnt(1)
	v_add_f32_e32 v4, v4, v5
	s_waitcnt lgkmcnt(0)
	v_add_f32_e32 v3, v3, v15
	ds_bpermute_b32 v5, v16, v4
	ds_bpermute_b32 v15, v16, v3
	v_xor_b32_e32 v16, 4, v2
	v_cmp_gt_i32_e64 s2, 64, v16
	v_cndmask_b32_e64 v16, v2, v16, s2
	;; [unrolled: 10-line block ×4, first 2 shown]
	v_lshlrev_b32_e32 v16, 2, v2
	s_waitcnt lgkmcnt(1)
	v_add_f32_e32 v4, v4, v5
	s_waitcnt lgkmcnt(0)
	v_add_f32_e32 v2, v3, v15
	ds_bpermute_b32 v5, v16, v4
	ds_bpermute_b32 v3, v16, v2
	s_and_saveexec_b32 s2, vcc_lo
	s_cbranch_execz .LBB656_12
; %bb.9:
	v_lshlrev_b64 v[0:1], 1, v[0:1]
	s_waitcnt lgkmcnt(1)
	v_add_f32_e32 v4, v4, v5
	v_add_co_u32 v0, vcc_lo, s12, v0
	v_add_co_ci_u32_e64 v1, null, s13, v1, vcc_lo
	s_and_saveexec_b32 s2, s1
	s_cbranch_execnz .LBB656_13
; %bb.10:
	s_or_b32 exec_lo, exec_lo, s2
	s_and_saveexec_b32 s2, s0
	s_cbranch_execnz .LBB656_14
.LBB656_11:
	s_or_b32 exec_lo, exec_lo, s2
	v_cmp_ne_u32_e32 vcc_lo, 1, v7
	s_and_b32 exec_lo, exec_lo, vcc_lo
	s_cbranch_execnz .LBB656_15
.LBB656_12:
	s_endpgm
.LBB656_13:
	s_waitcnt vmcnt(0)
	v_fma_f32 v5, -v4, v10, v9
	v_bfe_u32 v9, v5, 16, 1
	v_cmp_o_f32_e32 vcc_lo, v5, v5
	v_add3_u32 v5, v5, v9, 0x7fff
	v_mov_b32_e32 v9, 0x7fc0
	v_cndmask_b32_sdwa v5, v9, v5, vcc_lo dst_sel:DWORD dst_unused:UNUSED_PAD src0_sel:DWORD src1_sel:WORD_1
	global_store_short v[0:1], v5, off
	s_or_b32 exec_lo, exec_lo, s2
	s_and_saveexec_b32 s2, s0
	s_cbranch_execz .LBB656_11
.LBB656_14:
	s_waitcnt vmcnt(0)
	v_fma_f32 v4, -v4, v11, v8
	v_bfe_u32 v5, v4, 16, 1
	v_cmp_o_f32_e32 vcc_lo, v4, v4
	v_add3_u32 v4, v4, v5, 0x7fff
	v_mov_b32_e32 v5, 0x7fc0
	v_cndmask_b32_sdwa v4, v5, v4, vcc_lo dst_sel:DWORD dst_unused:UNUSED_PAD src0_sel:DWORD src1_sel:WORD_1
	global_store_short v[0:1], v4, off offset:128
	s_or_b32 exec_lo, exec_lo, s2
	v_cmp_ne_u32_e32 vcc_lo, 1, v7
	s_and_b32 exec_lo, exec_lo, vcc_lo
	s_cbranch_execz .LBB656_12
.LBB656_15:
	s_waitcnt lgkmcnt(0)
	v_add_f32_e32 v2, v2, v3
	s_and_saveexec_b32 s2, s1
	s_cbranch_execz .LBB656_17
; %bb.16:
	s_waitcnt vmcnt(0)
	v_fma_f32 v3, -v2, v13, v12
	v_mov_b32_e32 v5, 0x7fc0
	s_mov_b32 s11, 0
	s_lshl_b64 s[4:5], s[10:11], 1
	v_bfe_u32 v4, v3, 16, 1
	v_cmp_o_f32_e32 vcc_lo, v3, v3
	v_add3_u32 v3, v3, v4, 0x7fff
	v_cndmask_b32_sdwa v5, v5, v3, vcc_lo dst_sel:DWORD dst_unused:UNUSED_PAD src0_sel:DWORD src1_sel:WORD_1
	v_add_co_u32 v3, vcc_lo, v0, s4
	v_add_co_ci_u32_e64 v4, null, s5, v1, vcc_lo
	global_store_short v[3:4], v5, off
.LBB656_17:
	s_or_b32 exec_lo, exec_lo, s2
	s_and_b32 exec_lo, exec_lo, s0
	s_cbranch_execz .LBB656_12
; %bb.18:
	s_waitcnt vmcnt(0)
	v_fma_f32 v2, -v2, v14, v6
	v_mov_b32_e32 v4, 0x7fc0
	s_mov_b32 s11, 0
	s_lshl_b64 s[0:1], s[10:11], 1
	v_bfe_u32 v3, v2, 16, 1
	v_cmp_o_f32_e32 vcc_lo, v2, v2
	v_add3_u32 v2, v2, v3, 0x7fff
	v_cndmask_b32_sdwa v2, v4, v2, vcc_lo dst_sel:DWORD dst_unused:UNUSED_PAD src0_sel:DWORD src1_sel:WORD_1
	v_add_co_u32 v0, vcc_lo, v0, s0
	v_add_co_ci_u32_e64 v1, null, s1, v1, vcc_lo
	global_store_short v[0:1], v2, off offset:128
	s_endpgm
	.section	.rodata,"a",@progbits
	.p2align	6, 0x0
	.amdhsa_kernel _ZN12_GLOBAL__N_121softmax_warp_backwardIfN3c108BFloat16EfLi7ELb0ELb0ELi64EEEvPT0_PKT_S7_iiiPKb
		.amdhsa_group_segment_fixed_size 0
		.amdhsa_private_segment_fixed_size 0
		.amdhsa_kernarg_size 304
		.amdhsa_user_sgpr_count 6
		.amdhsa_user_sgpr_private_segment_buffer 1
		.amdhsa_user_sgpr_dispatch_ptr 0
		.amdhsa_user_sgpr_queue_ptr 0
		.amdhsa_user_sgpr_kernarg_segment_ptr 1
		.amdhsa_user_sgpr_dispatch_id 0
		.amdhsa_user_sgpr_flat_scratch_init 0
		.amdhsa_user_sgpr_private_segment_size 0
		.amdhsa_wavefront_size32 1
		.amdhsa_uses_dynamic_stack 0
		.amdhsa_system_sgpr_private_segment_wavefront_offset 0
		.amdhsa_system_sgpr_workgroup_id_x 1
		.amdhsa_system_sgpr_workgroup_id_y 0
		.amdhsa_system_sgpr_workgroup_id_z 0
		.amdhsa_system_sgpr_workgroup_info 0
		.amdhsa_system_vgpr_workitem_id 1
		.amdhsa_next_free_vgpr 17
		.amdhsa_next_free_sgpr 16
		.amdhsa_reserve_vcc 1
		.amdhsa_reserve_flat_scratch 0
		.amdhsa_float_round_mode_32 0
		.amdhsa_float_round_mode_16_64 0
		.amdhsa_float_denorm_mode_32 3
		.amdhsa_float_denorm_mode_16_64 3
		.amdhsa_dx10_clamp 1
		.amdhsa_ieee_mode 1
		.amdhsa_fp16_overflow 0
		.amdhsa_workgroup_processor_mode 1
		.amdhsa_memory_ordered 1
		.amdhsa_forward_progress 1
		.amdhsa_shared_vgpr_count 0
		.amdhsa_exception_fp_ieee_invalid_op 0
		.amdhsa_exception_fp_denorm_src 0
		.amdhsa_exception_fp_ieee_div_zero 0
		.amdhsa_exception_fp_ieee_overflow 0
		.amdhsa_exception_fp_ieee_underflow 0
		.amdhsa_exception_fp_ieee_inexact 0
		.amdhsa_exception_int_div_zero 0
	.end_amdhsa_kernel
	.section	.text._ZN12_GLOBAL__N_121softmax_warp_backwardIfN3c108BFloat16EfLi7ELb0ELb0ELi64EEEvPT0_PKT_S7_iiiPKb,"axG",@progbits,_ZN12_GLOBAL__N_121softmax_warp_backwardIfN3c108BFloat16EfLi7ELb0ELb0ELi64EEEvPT0_PKT_S7_iiiPKb,comdat
.Lfunc_end656:
	.size	_ZN12_GLOBAL__N_121softmax_warp_backwardIfN3c108BFloat16EfLi7ELb0ELb0ELi64EEEvPT0_PKT_S7_iiiPKb, .Lfunc_end656-_ZN12_GLOBAL__N_121softmax_warp_backwardIfN3c108BFloat16EfLi7ELb0ELb0ELi64EEEvPT0_PKT_S7_iiiPKb
                                        ; -- End function
	.set _ZN12_GLOBAL__N_121softmax_warp_backwardIfN3c108BFloat16EfLi7ELb0ELb0ELi64EEEvPT0_PKT_S7_iiiPKb.num_vgpr, 17
	.set _ZN12_GLOBAL__N_121softmax_warp_backwardIfN3c108BFloat16EfLi7ELb0ELb0ELi64EEEvPT0_PKT_S7_iiiPKb.num_agpr, 0
	.set _ZN12_GLOBAL__N_121softmax_warp_backwardIfN3c108BFloat16EfLi7ELb0ELb0ELi64EEEvPT0_PKT_S7_iiiPKb.numbered_sgpr, 16
	.set _ZN12_GLOBAL__N_121softmax_warp_backwardIfN3c108BFloat16EfLi7ELb0ELb0ELi64EEEvPT0_PKT_S7_iiiPKb.num_named_barrier, 0
	.set _ZN12_GLOBAL__N_121softmax_warp_backwardIfN3c108BFloat16EfLi7ELb0ELb0ELi64EEEvPT0_PKT_S7_iiiPKb.private_seg_size, 0
	.set _ZN12_GLOBAL__N_121softmax_warp_backwardIfN3c108BFloat16EfLi7ELb0ELb0ELi64EEEvPT0_PKT_S7_iiiPKb.uses_vcc, 1
	.set _ZN12_GLOBAL__N_121softmax_warp_backwardIfN3c108BFloat16EfLi7ELb0ELb0ELi64EEEvPT0_PKT_S7_iiiPKb.uses_flat_scratch, 0
	.set _ZN12_GLOBAL__N_121softmax_warp_backwardIfN3c108BFloat16EfLi7ELb0ELb0ELi64EEEvPT0_PKT_S7_iiiPKb.has_dyn_sized_stack, 0
	.set _ZN12_GLOBAL__N_121softmax_warp_backwardIfN3c108BFloat16EfLi7ELb0ELb0ELi64EEEvPT0_PKT_S7_iiiPKb.has_recursion, 0
	.set _ZN12_GLOBAL__N_121softmax_warp_backwardIfN3c108BFloat16EfLi7ELb0ELb0ELi64EEEvPT0_PKT_S7_iiiPKb.has_indirect_call, 0
	.section	.AMDGPU.csdata,"",@progbits
; Kernel info:
; codeLenInByte = 1176
; TotalNumSgprs: 18
; NumVgprs: 17
; ScratchSize: 0
; MemoryBound: 0
; FloatMode: 240
; IeeeMode: 1
; LDSByteSize: 0 bytes/workgroup (compile time only)
; SGPRBlocks: 0
; VGPRBlocks: 2
; NumSGPRsForWavesPerEU: 18
; NumVGPRsForWavesPerEU: 17
; Occupancy: 16
; WaveLimiterHint : 0
; COMPUTE_PGM_RSRC2:SCRATCH_EN: 0
; COMPUTE_PGM_RSRC2:USER_SGPR: 6
; COMPUTE_PGM_RSRC2:TRAP_HANDLER: 0
; COMPUTE_PGM_RSRC2:TGID_X_EN: 1
; COMPUTE_PGM_RSRC2:TGID_Y_EN: 0
; COMPUTE_PGM_RSRC2:TGID_Z_EN: 0
; COMPUTE_PGM_RSRC2:TIDIG_COMP_CNT: 1
	.section	.text._ZN12_GLOBAL__N_121softmax_warp_backwardIfN3c108BFloat16EfLi7ELb0ELb0ELi32EEEvPT0_PKT_S7_iiiPKb,"axG",@progbits,_ZN12_GLOBAL__N_121softmax_warp_backwardIfN3c108BFloat16EfLi7ELb0ELb0ELi32EEEvPT0_PKT_S7_iiiPKb,comdat
	.globl	_ZN12_GLOBAL__N_121softmax_warp_backwardIfN3c108BFloat16EfLi7ELb0ELb0ELi32EEEvPT0_PKT_S7_iiiPKb ; -- Begin function _ZN12_GLOBAL__N_121softmax_warp_backwardIfN3c108BFloat16EfLi7ELb0ELb0ELi32EEEvPT0_PKT_S7_iiiPKb
	.p2align	8
	.type	_ZN12_GLOBAL__N_121softmax_warp_backwardIfN3c108BFloat16EfLi7ELb0ELb0ELi32EEEvPT0_PKT_S7_iiiPKb,@function
_ZN12_GLOBAL__N_121softmax_warp_backwardIfN3c108BFloat16EfLi7ELb0ELb0ELi32EEEvPT0_PKT_S7_iiiPKb: ; @_ZN12_GLOBAL__N_121softmax_warp_backwardIfN3c108BFloat16EfLi7ELb0ELb0ELi32EEEvPT0_PKT_S7_iiiPKb
; %bb.0:
	s_clause 0x1
	s_load_dword s0, s[4:5], 0x3c
	s_load_dwordx4 s[8:11], s[4:5], 0x18
	v_and_b32_e32 v6, 31, v0
	s_clause 0x1
	s_load_dwordx4 s[12:15], s[4:5], 0x0
	s_load_dwordx2 s[4:5], s[4:5], 0x10
	v_mov_b32_e32 v8, 0
	v_mov_b32_e32 v11, 0
	;; [unrolled: 1-line block ×3, first 2 shown]
	s_waitcnt lgkmcnt(0)
	s_lshr_b32 s0, s0, 16
	v_cmp_gt_i32_e64 s3, s10, v6
	s_and_b32 s0, s0, 0xffff
	s_mul_i32 s6, s6, s0
	v_add_lshl_u32 v2, s6, v1, 1
	v_mad_u64_u32 v[0:1], null, v2, s9, v[6:7]
	v_sub_nc_u32_e32 v7, s8, v2
	v_cmp_lt_i32_e32 vcc_lo, 0, v7
	v_ashrrev_i32_e32 v1, 31, v0
	s_and_b32 s1, vcc_lo, s3
	v_lshlrev_b64 v[2:3], 2, v[0:1]
	v_add_co_u32 v4, s0, s14, v2
	v_add_co_ci_u32_e64 v5, null, s15, v3, s0
	v_add_co_u32 v2, s0, s4, v2
	v_add_co_ci_u32_e64 v3, null, s5, v3, s0
	s_and_saveexec_b32 s0, s1
	s_cbranch_execz .LBB657_2
; %bb.1:
	global_load_dword v11, v[4:5], off
	global_load_dword v12, v[2:3], off
.LBB657_2:
	s_or_b32 exec_lo, exec_lo, s0
	v_or_b32_e32 v9, 32, v6
	v_mov_b32_e32 v13, 0
	v_cmp_gt_i32_e64 s2, s10, v9
	s_and_b32 s1, vcc_lo, s2
	s_and_saveexec_b32 s0, s1
	s_cbranch_execz .LBB657_4
; %bb.3:
	global_load_dword v8, v[4:5], off offset:128
	global_load_dword v13, v[2:3], off offset:128
.LBB657_4:
	s_or_b32 exec_lo, exec_lo, s0
	v_or_b32_e32 v9, 64, v6
	v_mov_b32_e32 v14, 0
	v_mov_b32_e32 v15, 0
	v_cmp_gt_i32_e64 s1, s10, v9
	v_mov_b32_e32 v9, 0
	s_and_b32 s4, vcc_lo, s1
	s_and_saveexec_b32 s0, s4
	s_cbranch_execz .LBB657_6
; %bb.5:
	global_load_dword v14, v[4:5], off offset:256
	global_load_dword v15, v[2:3], off offset:256
.LBB657_6:
	s_or_b32 exec_lo, exec_lo, s0
	v_or_b32_e32 v6, 0x60, v6
	v_mov_b32_e32 v16, 0
	v_cmp_gt_i32_e64 s0, s10, v6
	s_and_b32 s5, vcc_lo, s0
	s_and_saveexec_b32 s4, s5
	s_cbranch_execz .LBB657_8
; %bb.7:
	global_load_dword v9, v[4:5], off offset:384
	global_load_dword v16, v[2:3], off offset:384
.LBB657_8:
	s_or_b32 exec_lo, exec_lo, s4
	v_cmp_lt_i32_e64 s4, 1, v7
	v_mov_b32_e32 v6, 0
	v_mov_b32_e32 v17, 0
	;; [unrolled: 1-line block ×3, first 2 shown]
	s_and_b32 s5, s4, s3
	s_and_saveexec_b32 s6, s5
	s_cbranch_execz .LBB657_10
; %bb.9:
	s_mov_b32 s11, 0
	s_lshl_b64 s[8:9], s[10:11], 2
	v_add_co_u32 v17, s5, v4, s8
	v_add_co_ci_u32_e64 v18, null, s9, v5, s5
	v_add_co_u32 v19, s5, v2, s8
	v_add_co_ci_u32_e64 v20, null, s9, v3, s5
	global_load_dword v17, v[17:18], off
	global_load_dword v18, v[19:20], off
.LBB657_10:
	s_or_b32 exec_lo, exec_lo, s6
	v_mov_b32_e32 v19, 0
	s_and_b32 s5, s4, s2
	s_and_saveexec_b32 s6, s5
	s_cbranch_execz .LBB657_12
; %bb.11:
	s_mov_b32 s11, 0
	s_lshl_b64 s[8:9], s[10:11], 2
	v_add_co_u32 v19, s5, v4, s8
	v_add_co_ci_u32_e64 v20, null, s9, v5, s5
	v_add_co_u32 v21, s5, v2, s8
	v_add_co_ci_u32_e64 v22, null, s9, v3, s5
	global_load_dword v6, v[19:20], off offset:128
	global_load_dword v19, v[21:22], off offset:128
.LBB657_12:
	s_or_b32 exec_lo, exec_lo, s6
	v_mov_b32_e32 v10, 0
	v_mov_b32_e32 v20, 0
	v_mov_b32_e32 v21, 0
	s_and_b32 s5, s4, s1
	s_and_saveexec_b32 s6, s5
	s_cbranch_execz .LBB657_14
; %bb.13:
	s_mov_b32 s11, 0
	s_lshl_b64 s[8:9], s[10:11], 2
	v_add_co_u32 v20, s5, v4, s8
	v_add_co_ci_u32_e64 v21, null, s9, v5, s5
	v_add_co_u32 v22, s5, v2, s8
	v_add_co_ci_u32_e64 v23, null, s9, v3, s5
	global_load_dword v20, v[20:21], off offset:256
	global_load_dword v21, v[22:23], off offset:256
.LBB657_14:
	s_or_b32 exec_lo, exec_lo, s6
	v_mov_b32_e32 v22, 0
	s_and_b32 s4, s4, s0
	s_and_saveexec_b32 s5, s4
	s_cbranch_execz .LBB657_16
; %bb.15:
	s_mov_b32 s11, 0
	s_lshl_b64 s[6:7], s[10:11], 2
	v_add_co_u32 v4, s4, v4, s6
	v_add_co_ci_u32_e64 v5, null, s7, v5, s4
	v_add_co_u32 v2, s4, v2, s6
	v_add_co_ci_u32_e64 v3, null, s7, v3, s4
	global_load_dword v10, v[4:5], off offset:384
	global_load_dword v22, v[2:3], off offset:384
.LBB657_16:
	s_or_b32 exec_lo, exec_lo, s5
	v_mbcnt_lo_u32_b32 v3, -1, 0
	s_waitcnt vmcnt(1)
	v_add_f32_e32 v2, 0, v11
	v_add_f32_e32 v4, 0, v17
	v_xor_b32_e32 v5, 16, v3
	v_add_f32_e32 v2, v2, v8
	v_add_f32_e32 v4, v4, v6
	v_xor_b32_e32 v24, 8, v3
	v_cmp_gt_i32_e64 s4, 32, v5
	v_add_f32_e32 v2, v2, v14
	v_add_f32_e32 v4, v4, v20
	v_cndmask_b32_e64 v5, v3, v5, s4
	v_add_f32_e32 v2, v2, v9
	v_add_f32_e32 v4, v4, v10
	v_cmp_gt_i32_e64 s4, 32, v24
	v_lshlrev_b32_e32 v5, 2, v5
	v_cndmask_b32_e64 v24, v3, v24, s4
	ds_bpermute_b32 v23, v5, v2
	ds_bpermute_b32 v5, v5, v4
	v_lshlrev_b32_e32 v24, 2, v24
	s_waitcnt lgkmcnt(1)
	v_add_f32_e32 v2, v2, v23
	s_waitcnt lgkmcnt(0)
	v_add_f32_e32 v4, v4, v5
	ds_bpermute_b32 v5, v24, v2
	ds_bpermute_b32 v23, v24, v4
	v_xor_b32_e32 v24, 4, v3
	v_cmp_gt_i32_e64 s4, 32, v24
	v_cndmask_b32_e64 v24, v3, v24, s4
	v_lshlrev_b32_e32 v24, 2, v24
	s_waitcnt lgkmcnt(1)
	v_add_f32_e32 v2, v2, v5
	s_waitcnt lgkmcnt(0)
	v_add_f32_e32 v4, v4, v23
	ds_bpermute_b32 v5, v24, v2
	ds_bpermute_b32 v23, v24, v4
	v_xor_b32_e32 v24, 2, v3
	v_cmp_gt_i32_e64 s4, 32, v24
	v_cndmask_b32_e64 v24, v3, v24, s4
	v_lshlrev_b32_e32 v24, 2, v24
	s_waitcnt lgkmcnt(1)
	v_add_f32_e32 v2, v2, v5
	s_waitcnt lgkmcnt(0)
	v_add_f32_e32 v5, v4, v23
	ds_bpermute_b32 v4, v24, v2
	ds_bpermute_b32 v23, v24, v5
	v_xor_b32_e32 v24, 1, v3
	v_cmp_gt_i32_e64 s4, 32, v24
	v_cndmask_b32_e64 v3, v3, v24, s4
	v_lshlrev_b32_e32 v3, 2, v3
	s_waitcnt lgkmcnt(1)
	v_add_f32_e32 v4, v2, v4
	s_waitcnt lgkmcnt(0)
	v_add_f32_e32 v2, v5, v23
	ds_bpermute_b32 v5, v3, v4
	ds_bpermute_b32 v3, v3, v2
	s_and_saveexec_b32 s4, vcc_lo
	s_cbranch_execz .LBB657_22
; %bb.17:
	v_lshlrev_b64 v[0:1], 1, v[0:1]
	s_waitcnt lgkmcnt(1)
	v_add_f32_e32 v4, v4, v5
	v_add_co_u32 v0, vcc_lo, s12, v0
	v_add_co_ci_u32_e64 v1, null, s13, v1, vcc_lo
	s_and_saveexec_b32 s4, s3
	s_cbranch_execnz .LBB657_23
; %bb.18:
	s_or_b32 exec_lo, exec_lo, s4
	s_and_saveexec_b32 s4, s2
	s_cbranch_execnz .LBB657_24
.LBB657_19:
	s_or_b32 exec_lo, exec_lo, s4
	s_and_saveexec_b32 s4, s1
	s_cbranch_execnz .LBB657_25
.LBB657_20:
	s_or_b32 exec_lo, exec_lo, s4
	s_and_saveexec_b32 s4, s0
	s_cbranch_execnz .LBB657_26
.LBB657_21:
	s_or_b32 exec_lo, exec_lo, s4
	v_cmp_ne_u32_e32 vcc_lo, 1, v7
	s_and_b32 exec_lo, exec_lo, vcc_lo
	s_cbranch_execnz .LBB657_27
.LBB657_22:
	s_endpgm
.LBB657_23:
	s_waitcnt vmcnt(0)
	v_fma_f32 v5, -v4, v12, v11
	v_bfe_u32 v11, v5, 16, 1
	v_cmp_o_f32_e32 vcc_lo, v5, v5
	v_add3_u32 v5, v5, v11, 0x7fff
	v_mov_b32_e32 v11, 0x7fc0
	v_cndmask_b32_sdwa v5, v11, v5, vcc_lo dst_sel:DWORD dst_unused:UNUSED_PAD src0_sel:DWORD src1_sel:WORD_1
	global_store_short v[0:1], v5, off
	s_or_b32 exec_lo, exec_lo, s4
	s_and_saveexec_b32 s4, s2
	s_cbranch_execz .LBB657_19
.LBB657_24:
	s_waitcnt vmcnt(0)
	v_fma_f32 v5, -v4, v13, v8
	v_bfe_u32 v8, v5, 16, 1
	v_cmp_o_f32_e32 vcc_lo, v5, v5
	v_add3_u32 v5, v5, v8, 0x7fff
	v_mov_b32_e32 v8, 0x7fc0
	v_cndmask_b32_sdwa v5, v8, v5, vcc_lo dst_sel:DWORD dst_unused:UNUSED_PAD src0_sel:DWORD src1_sel:WORD_1
	global_store_short v[0:1], v5, off offset:64
	s_or_b32 exec_lo, exec_lo, s4
	s_and_saveexec_b32 s4, s1
	s_cbranch_execz .LBB657_20
.LBB657_25:
	s_waitcnt vmcnt(0)
	v_fma_f32 v5, -v4, v15, v14
	v_bfe_u32 v8, v5, 16, 1
	v_cmp_o_f32_e32 vcc_lo, v5, v5
	v_add3_u32 v5, v5, v8, 0x7fff
	v_mov_b32_e32 v8, 0x7fc0
	v_cndmask_b32_sdwa v5, v8, v5, vcc_lo dst_sel:DWORD dst_unused:UNUSED_PAD src0_sel:DWORD src1_sel:WORD_1
	global_store_short v[0:1], v5, off offset:128
	s_or_b32 exec_lo, exec_lo, s4
	s_and_saveexec_b32 s4, s0
	s_cbranch_execz .LBB657_21
.LBB657_26:
	s_waitcnt vmcnt(0)
	v_fma_f32 v4, -v4, v16, v9
	v_bfe_u32 v5, v4, 16, 1
	v_cmp_o_f32_e32 vcc_lo, v4, v4
	v_add3_u32 v4, v4, v5, 0x7fff
	v_mov_b32_e32 v5, 0x7fc0
	v_cndmask_b32_sdwa v4, v5, v4, vcc_lo dst_sel:DWORD dst_unused:UNUSED_PAD src0_sel:DWORD src1_sel:WORD_1
	global_store_short v[0:1], v4, off offset:192
	s_or_b32 exec_lo, exec_lo, s4
	v_cmp_ne_u32_e32 vcc_lo, 1, v7
	s_and_b32 exec_lo, exec_lo, vcc_lo
	s_cbranch_execz .LBB657_22
.LBB657_27:
	s_waitcnt lgkmcnt(0)
	v_add_f32_e32 v2, v2, v3
	s_and_saveexec_b32 s4, s3
	s_cbranch_execnz .LBB657_31
; %bb.28:
	s_or_b32 exec_lo, exec_lo, s4
	s_and_saveexec_b32 s3, s2
	s_cbranch_execnz .LBB657_32
.LBB657_29:
	s_or_b32 exec_lo, exec_lo, s3
	s_and_saveexec_b32 s2, s1
	s_cbranch_execnz .LBB657_33
.LBB657_30:
	s_or_b32 exec_lo, exec_lo, s2
	s_and_b32 exec_lo, exec_lo, s0
	s_cbranch_execz .LBB657_22
	s_branch .LBB657_34
.LBB657_31:
	s_waitcnt vmcnt(0)
	v_fma_f32 v3, -v2, v18, v17
	v_mov_b32_e32 v5, 0x7fc0
	s_mov_b32 s11, 0
	s_lshl_b64 s[6:7], s[10:11], 1
	v_bfe_u32 v4, v3, 16, 1
	v_cmp_o_f32_e32 vcc_lo, v3, v3
	v_add3_u32 v3, v3, v4, 0x7fff
	v_cndmask_b32_sdwa v5, v5, v3, vcc_lo dst_sel:DWORD dst_unused:UNUSED_PAD src0_sel:DWORD src1_sel:WORD_1
	v_add_co_u32 v3, vcc_lo, v0, s6
	v_add_co_ci_u32_e64 v4, null, s7, v1, vcc_lo
	global_store_short v[3:4], v5, off
	s_or_b32 exec_lo, exec_lo, s4
	s_and_saveexec_b32 s3, s2
	s_cbranch_execz .LBB657_29
.LBB657_32:
	s_waitcnt vmcnt(0)
	v_fma_f32 v3, -v2, v19, v6
	v_mov_b32_e32 v5, 0x7fc0
	s_mov_b32 s11, 0
	s_lshl_b64 s[4:5], s[10:11], 1
	v_bfe_u32 v4, v3, 16, 1
	v_cmp_o_f32_e32 vcc_lo, v3, v3
	v_add3_u32 v3, v3, v4, 0x7fff
	v_cndmask_b32_sdwa v5, v5, v3, vcc_lo dst_sel:DWORD dst_unused:UNUSED_PAD src0_sel:DWORD src1_sel:WORD_1
	v_add_co_u32 v3, vcc_lo, v0, s4
	v_add_co_ci_u32_e64 v4, null, s5, v1, vcc_lo
	global_store_short v[3:4], v5, off offset:64
	s_or_b32 exec_lo, exec_lo, s3
	s_and_saveexec_b32 s2, s1
	s_cbranch_execz .LBB657_30
.LBB657_33:
	s_waitcnt vmcnt(0)
	v_fma_f32 v3, -v2, v21, v20
	v_mov_b32_e32 v5, 0x7fc0
	s_mov_b32 s11, 0
	s_lshl_b64 s[4:5], s[10:11], 1
	v_bfe_u32 v4, v3, 16, 1
	v_cmp_o_f32_e32 vcc_lo, v3, v3
	v_add3_u32 v3, v3, v4, 0x7fff
	v_cndmask_b32_sdwa v5, v5, v3, vcc_lo dst_sel:DWORD dst_unused:UNUSED_PAD src0_sel:DWORD src1_sel:WORD_1
	v_add_co_u32 v3, vcc_lo, v0, s4
	v_add_co_ci_u32_e64 v4, null, s5, v1, vcc_lo
	global_store_short v[3:4], v5, off offset:128
	s_or_b32 exec_lo, exec_lo, s2
	s_and_b32 exec_lo, exec_lo, s0
	s_cbranch_execz .LBB657_22
.LBB657_34:
	s_waitcnt vmcnt(0)
	v_fma_f32 v2, -v2, v22, v10
	v_mov_b32_e32 v4, 0x7fc0
	s_mov_b32 s11, 0
	s_lshl_b64 s[0:1], s[10:11], 1
	v_bfe_u32 v3, v2, 16, 1
	v_cmp_o_f32_e32 vcc_lo, v2, v2
	v_add3_u32 v2, v2, v3, 0x7fff
	v_cndmask_b32_sdwa v2, v4, v2, vcc_lo dst_sel:DWORD dst_unused:UNUSED_PAD src0_sel:DWORD src1_sel:WORD_1
	v_add_co_u32 v0, vcc_lo, v0, s0
	v_add_co_ci_u32_e64 v1, null, s1, v1, vcc_lo
	global_store_short v[0:1], v2, off offset:192
	s_endpgm
	.section	.rodata,"a",@progbits
	.p2align	6, 0x0
	.amdhsa_kernel _ZN12_GLOBAL__N_121softmax_warp_backwardIfN3c108BFloat16EfLi7ELb0ELb0ELi32EEEvPT0_PKT_S7_iiiPKb
		.amdhsa_group_segment_fixed_size 0
		.amdhsa_private_segment_fixed_size 0
		.amdhsa_kernarg_size 304
		.amdhsa_user_sgpr_count 6
		.amdhsa_user_sgpr_private_segment_buffer 1
		.amdhsa_user_sgpr_dispatch_ptr 0
		.amdhsa_user_sgpr_queue_ptr 0
		.amdhsa_user_sgpr_kernarg_segment_ptr 1
		.amdhsa_user_sgpr_dispatch_id 0
		.amdhsa_user_sgpr_flat_scratch_init 0
		.amdhsa_user_sgpr_private_segment_size 0
		.amdhsa_wavefront_size32 1
		.amdhsa_uses_dynamic_stack 0
		.amdhsa_system_sgpr_private_segment_wavefront_offset 0
		.amdhsa_system_sgpr_workgroup_id_x 1
		.amdhsa_system_sgpr_workgroup_id_y 0
		.amdhsa_system_sgpr_workgroup_id_z 0
		.amdhsa_system_sgpr_workgroup_info 0
		.amdhsa_system_vgpr_workitem_id 1
		.amdhsa_next_free_vgpr 25
		.amdhsa_next_free_sgpr 16
		.amdhsa_reserve_vcc 1
		.amdhsa_reserve_flat_scratch 0
		.amdhsa_float_round_mode_32 0
		.amdhsa_float_round_mode_16_64 0
		.amdhsa_float_denorm_mode_32 3
		.amdhsa_float_denorm_mode_16_64 3
		.amdhsa_dx10_clamp 1
		.amdhsa_ieee_mode 1
		.amdhsa_fp16_overflow 0
		.amdhsa_workgroup_processor_mode 1
		.amdhsa_memory_ordered 1
		.amdhsa_forward_progress 1
		.amdhsa_shared_vgpr_count 0
		.amdhsa_exception_fp_ieee_invalid_op 0
		.amdhsa_exception_fp_denorm_src 0
		.amdhsa_exception_fp_ieee_div_zero 0
		.amdhsa_exception_fp_ieee_overflow 0
		.amdhsa_exception_fp_ieee_underflow 0
		.amdhsa_exception_fp_ieee_inexact 0
		.amdhsa_exception_int_div_zero 0
	.end_amdhsa_kernel
	.section	.text._ZN12_GLOBAL__N_121softmax_warp_backwardIfN3c108BFloat16EfLi7ELb0ELb0ELi32EEEvPT0_PKT_S7_iiiPKb,"axG",@progbits,_ZN12_GLOBAL__N_121softmax_warp_backwardIfN3c108BFloat16EfLi7ELb0ELb0ELi32EEEvPT0_PKT_S7_iiiPKb,comdat
.Lfunc_end657:
	.size	_ZN12_GLOBAL__N_121softmax_warp_backwardIfN3c108BFloat16EfLi7ELb0ELb0ELi32EEEvPT0_PKT_S7_iiiPKb, .Lfunc_end657-_ZN12_GLOBAL__N_121softmax_warp_backwardIfN3c108BFloat16EfLi7ELb0ELb0ELi32EEEvPT0_PKT_S7_iiiPKb
                                        ; -- End function
	.set _ZN12_GLOBAL__N_121softmax_warp_backwardIfN3c108BFloat16EfLi7ELb0ELb0ELi32EEEvPT0_PKT_S7_iiiPKb.num_vgpr, 25
	.set _ZN12_GLOBAL__N_121softmax_warp_backwardIfN3c108BFloat16EfLi7ELb0ELb0ELi32EEEvPT0_PKT_S7_iiiPKb.num_agpr, 0
	.set _ZN12_GLOBAL__N_121softmax_warp_backwardIfN3c108BFloat16EfLi7ELb0ELb0ELi32EEEvPT0_PKT_S7_iiiPKb.numbered_sgpr, 16
	.set _ZN12_GLOBAL__N_121softmax_warp_backwardIfN3c108BFloat16EfLi7ELb0ELb0ELi32EEEvPT0_PKT_S7_iiiPKb.num_named_barrier, 0
	.set _ZN12_GLOBAL__N_121softmax_warp_backwardIfN3c108BFloat16EfLi7ELb0ELb0ELi32EEEvPT0_PKT_S7_iiiPKb.private_seg_size, 0
	.set _ZN12_GLOBAL__N_121softmax_warp_backwardIfN3c108BFloat16EfLi7ELb0ELb0ELi32EEEvPT0_PKT_S7_iiiPKb.uses_vcc, 1
	.set _ZN12_GLOBAL__N_121softmax_warp_backwardIfN3c108BFloat16EfLi7ELb0ELb0ELi32EEEvPT0_PKT_S7_iiiPKb.uses_flat_scratch, 0
	.set _ZN12_GLOBAL__N_121softmax_warp_backwardIfN3c108BFloat16EfLi7ELb0ELb0ELi32EEEvPT0_PKT_S7_iiiPKb.has_dyn_sized_stack, 0
	.set _ZN12_GLOBAL__N_121softmax_warp_backwardIfN3c108BFloat16EfLi7ELb0ELb0ELi32EEEvPT0_PKT_S7_iiiPKb.has_recursion, 0
	.set _ZN12_GLOBAL__N_121softmax_warp_backwardIfN3c108BFloat16EfLi7ELb0ELb0ELi32EEEvPT0_PKT_S7_iiiPKb.has_indirect_call, 0
	.section	.AMDGPU.csdata,"",@progbits
; Kernel info:
; codeLenInByte = 1804
; TotalNumSgprs: 18
; NumVgprs: 25
; ScratchSize: 0
; MemoryBound: 0
; FloatMode: 240
; IeeeMode: 1
; LDSByteSize: 0 bytes/workgroup (compile time only)
; SGPRBlocks: 0
; VGPRBlocks: 3
; NumSGPRsForWavesPerEU: 18
; NumVGPRsForWavesPerEU: 25
; Occupancy: 16
; WaveLimiterHint : 0
; COMPUTE_PGM_RSRC2:SCRATCH_EN: 0
; COMPUTE_PGM_RSRC2:USER_SGPR: 6
; COMPUTE_PGM_RSRC2:TRAP_HANDLER: 0
; COMPUTE_PGM_RSRC2:TGID_X_EN: 1
; COMPUTE_PGM_RSRC2:TGID_Y_EN: 0
; COMPUTE_PGM_RSRC2:TGID_Z_EN: 0
; COMPUTE_PGM_RSRC2:TIDIG_COMP_CNT: 1
	.section	.text._ZN12_GLOBAL__N_121softmax_warp_backwardIfN3c108BFloat16EfLi8ELb0ELb0ELi64EEEvPT0_PKT_S7_iiiPKb,"axG",@progbits,_ZN12_GLOBAL__N_121softmax_warp_backwardIfN3c108BFloat16EfLi8ELb0ELb0ELi64EEEvPT0_PKT_S7_iiiPKb,comdat
	.globl	_ZN12_GLOBAL__N_121softmax_warp_backwardIfN3c108BFloat16EfLi8ELb0ELb0ELi64EEEvPT0_PKT_S7_iiiPKb ; -- Begin function _ZN12_GLOBAL__N_121softmax_warp_backwardIfN3c108BFloat16EfLi8ELb0ELb0ELi64EEEvPT0_PKT_S7_iiiPKb
	.p2align	8
	.type	_ZN12_GLOBAL__N_121softmax_warp_backwardIfN3c108BFloat16EfLi8ELb0ELb0ELi64EEEvPT0_PKT_S7_iiiPKb,@function
_ZN12_GLOBAL__N_121softmax_warp_backwardIfN3c108BFloat16EfLi8ELb0ELb0ELi64EEEvPT0_PKT_S7_iiiPKb: ; @_ZN12_GLOBAL__N_121softmax_warp_backwardIfN3c108BFloat16EfLi8ELb0ELb0ELi64EEEvPT0_PKT_S7_iiiPKb
; %bb.0:
	s_clause 0x1
	s_load_dword s7, s[4:5], 0x3c
	s_load_dwordx4 s[0:3], s[4:5], 0x18
	v_and_b32_e32 v6, 63, v0
	s_clause 0x1
	s_load_dwordx4 s[8:11], s[4:5], 0x0
	s_load_dwordx2 s[4:5], s[4:5], 0x10
	v_mov_b32_e32 v8, 0
	v_mov_b32_e32 v11, 0
	s_waitcnt lgkmcnt(0)
	s_lshr_b32 s3, s7, 16
	v_cmp_gt_i32_e32 vcc_lo, s2, v6
	v_mad_u64_u32 v[2:3], null, s6, s3, v[1:2]
	v_mad_u64_u32 v[0:1], null, v2, s1, v[6:7]
	v_sub_nc_u32_e32 v9, s0, v2
	v_cmp_lt_i32_e64 s3, 0, v9
	v_ashrrev_i32_e32 v1, 31, v0
	s_and_b32 s1, s3, vcc_lo
	v_lshlrev_b64 v[4:5], 2, v[0:1]
	v_add_co_u32 v2, s0, s10, v4
	v_add_co_ci_u32_e64 v3, null, s11, v5, s0
	v_add_co_u32 v4, s0, s4, v4
	v_add_co_ci_u32_e64 v5, null, s5, v5, s0
	s_and_saveexec_b32 s0, s1
	s_cbranch_execz .LBB658_2
; %bb.1:
	global_load_dword v11, v[2:3], off
	global_load_dword v8, v[4:5], off
.LBB658_2:
	s_or_b32 exec_lo, exec_lo, s0
	v_or_b32_e32 v7, 64, v6
	v_cmp_gt_i32_e64 s0, s2, v7
	s_and_b32 s1, s3, s0
	s_xor_b32 s1, s1, -1
	s_and_saveexec_b32 s4, s1
	s_xor_b32 s1, exec_lo, s4
                                        ; implicit-def: $vgpr10
                                        ; implicit-def: $vgpr12
                                        ; implicit-def: $vgpr7
; %bb.3:
	s_mov_b32 s4, 0
                                        ; implicit-def: $vgpr10
                                        ; implicit-def: $vgpr7
	v_mov_b32_e32 v12, s4
; %bb.4:
	s_or_saveexec_b32 s1, s1
	v_mov_b32_e32 v13, 0
	s_xor_b32 exec_lo, exec_lo, s1
	s_cbranch_execz .LBB658_6
; %bb.5:
	global_load_dword v12, v[2:3], off offset:256
	global_load_dword v13, v[4:5], off offset:256
.LBB658_6:
	s_or_b32 exec_lo, exec_lo, s1
	v_or_b32_e32 v14, 0x80, v6
	v_cmp_gt_i32_e64 s1, s2, v14
	s_and_b32 s4, s3, s1
	s_xor_b32 s4, s4, -1
	s_and_saveexec_b32 s5, s4
	s_xor_b32 s4, exec_lo, s5
; %bb.7:
	s_mov_b32 s5, 0
	v_mov_b32_e32 v10, s5
; %bb.8:
	s_or_saveexec_b32 s4, s4
	v_mov_b32_e32 v14, 0
	s_xor_b32 exec_lo, exec_lo, s4
	s_cbranch_execz .LBB658_10
; %bb.9:
	global_load_dword v10, v[2:3], off offset:512
	global_load_dword v14, v[4:5], off offset:512
.LBB658_10:
	s_or_b32 exec_lo, exec_lo, s4
	v_or_b32_e32 v6, 0xc0, v6
	v_cmp_gt_i32_e64 s2, s2, v6
	s_and_b32 s3, s3, s2
	s_xor_b32 s3, s3, -1
	s_and_saveexec_b32 s4, s3
	s_xor_b32 s3, exec_lo, s4
; %bb.11:
	s_mov_b32 s4, 0
                                        ; implicit-def: $vgpr2_vgpr3
                                        ; implicit-def: $vgpr4_vgpr5
	v_mov_b32_e32 v7, s4
; %bb.12:
	s_or_saveexec_b32 s3, s3
	v_mov_b32_e32 v6, 0
	s_xor_b32 exec_lo, exec_lo, s3
	s_cbranch_execz .LBB658_14
; %bb.13:
	global_load_dword v7, v[2:3], off offset:768
	global_load_dword v6, v[4:5], off offset:768
.LBB658_14:
	s_or_b32 exec_lo, exec_lo, s3
	v_mbcnt_lo_u32_b32 v3, -1, 0
	s_waitcnt vmcnt(1)
	v_add_f32_e32 v2, 0, v11
	s_mov_b32 s4, exec_lo
	v_or_b32_e32 v4, 32, v3
	v_add_f32_e32 v2, v2, v12
	v_xor_b32_e32 v5, 16, v3
	v_cmp_gt_i32_e64 s3, 64, v4
	v_add_f32_e32 v2, v2, v10
	v_cndmask_b32_e64 v4, v3, v4, s3
	v_add_f32_e32 v2, v2, v7
	v_cmp_gt_i32_e64 s3, 64, v5
	v_lshlrev_b32_e32 v4, 2, v4
	v_cndmask_b32_e64 v5, v3, v5, s3
	ds_bpermute_b32 v4, v4, v2
	v_lshlrev_b32_e32 v5, 2, v5
	s_waitcnt lgkmcnt(0)
	v_add_f32_e32 v2, v2, v4
	ds_bpermute_b32 v4, v5, v2
	v_xor_b32_e32 v5, 8, v3
	v_cmp_gt_i32_e64 s3, 64, v5
	v_cndmask_b32_e64 v5, v3, v5, s3
	v_lshlrev_b32_e32 v5, 2, v5
	s_waitcnt lgkmcnt(0)
	v_add_f32_e32 v2, v2, v4
	ds_bpermute_b32 v4, v5, v2
	v_xor_b32_e32 v5, 4, v3
	v_cmp_gt_i32_e64 s3, 64, v5
	v_cndmask_b32_e64 v5, v3, v5, s3
	;; [unrolled: 7-line block ×4, first 2 shown]
	v_lshlrev_b32_e32 v3, 2, v3
	s_waitcnt lgkmcnt(0)
	v_add_f32_e32 v2, v2, v4
	ds_bpermute_b32 v3, v3, v2
	v_cmpx_lt_i32_e32 0, v9
	s_cbranch_execz .LBB658_20
; %bb.15:
	v_lshlrev_b64 v[0:1], 1, v[0:1]
	s_waitcnt lgkmcnt(0)
	v_add_f32_e32 v2, v2, v3
	v_add_co_u32 v0, s3, s8, v0
	v_add_co_ci_u32_e64 v1, null, s9, v1, s3
	s_and_saveexec_b32 s3, vcc_lo
	s_cbranch_execnz .LBB658_21
; %bb.16:
	s_or_b32 exec_lo, exec_lo, s3
	s_and_saveexec_b32 s3, s0
	s_cbranch_execnz .LBB658_22
.LBB658_17:
	s_or_b32 exec_lo, exec_lo, s3
	s_and_saveexec_b32 s0, s1
	s_cbranch_execnz .LBB658_23
.LBB658_18:
	s_or_b32 exec_lo, exec_lo, s0
	s_and_b32 exec_lo, exec_lo, s2
	s_cbranch_execz .LBB658_20
.LBB658_19:
	s_waitcnt vmcnt(0)
	v_fma_f32 v2, -v2, v6, v7
	v_bfe_u32 v3, v2, 16, 1
	v_cmp_o_f32_e32 vcc_lo, v2, v2
	v_add3_u32 v2, v2, v3, 0x7fff
	v_mov_b32_e32 v3, 0x7fc0
	v_cndmask_b32_sdwa v2, v3, v2, vcc_lo dst_sel:DWORD dst_unused:UNUSED_PAD src0_sel:DWORD src1_sel:WORD_1
	global_store_short v[0:1], v2, off offset:384
.LBB658_20:
	s_endpgm
.LBB658_21:
	s_waitcnt vmcnt(0)
	v_fma_f32 v3, -v2, v8, v11
	v_bfe_u32 v4, v3, 16, 1
	v_cmp_o_f32_e32 vcc_lo, v3, v3
	v_add3_u32 v3, v3, v4, 0x7fff
	v_mov_b32_e32 v4, 0x7fc0
	v_cndmask_b32_sdwa v3, v4, v3, vcc_lo dst_sel:DWORD dst_unused:UNUSED_PAD src0_sel:DWORD src1_sel:WORD_1
	global_store_short v[0:1], v3, off
	s_or_b32 exec_lo, exec_lo, s3
	s_and_saveexec_b32 s3, s0
	s_cbranch_execz .LBB658_17
.LBB658_22:
	s_waitcnt vmcnt(0)
	v_fma_f32 v3, -v2, v13, v12
	v_bfe_u32 v4, v3, 16, 1
	v_cmp_o_f32_e32 vcc_lo, v3, v3
	v_add3_u32 v3, v3, v4, 0x7fff
	v_mov_b32_e32 v4, 0x7fc0
	v_cndmask_b32_sdwa v3, v4, v3, vcc_lo dst_sel:DWORD dst_unused:UNUSED_PAD src0_sel:DWORD src1_sel:WORD_1
	global_store_short v[0:1], v3, off offset:128
	s_or_b32 exec_lo, exec_lo, s3
	s_and_saveexec_b32 s0, s1
	s_cbranch_execz .LBB658_18
.LBB658_23:
	s_waitcnt vmcnt(0)
	v_fma_f32 v3, -v2, v14, v10
	v_bfe_u32 v4, v3, 16, 1
	v_cmp_o_f32_e32 vcc_lo, v3, v3
	v_add3_u32 v3, v3, v4, 0x7fff
	v_mov_b32_e32 v4, 0x7fc0
	v_cndmask_b32_sdwa v3, v4, v3, vcc_lo dst_sel:DWORD dst_unused:UNUSED_PAD src0_sel:DWORD src1_sel:WORD_1
	global_store_short v[0:1], v3, off offset:256
	s_or_b32 exec_lo, exec_lo, s0
	s_and_b32 exec_lo, exec_lo, s2
	s_cbranch_execnz .LBB658_19
	s_branch .LBB658_20
	.section	.rodata,"a",@progbits
	.p2align	6, 0x0
	.amdhsa_kernel _ZN12_GLOBAL__N_121softmax_warp_backwardIfN3c108BFloat16EfLi8ELb0ELb0ELi64EEEvPT0_PKT_S7_iiiPKb
		.amdhsa_group_segment_fixed_size 0
		.amdhsa_private_segment_fixed_size 0
		.amdhsa_kernarg_size 304
		.amdhsa_user_sgpr_count 6
		.amdhsa_user_sgpr_private_segment_buffer 1
		.amdhsa_user_sgpr_dispatch_ptr 0
		.amdhsa_user_sgpr_queue_ptr 0
		.amdhsa_user_sgpr_kernarg_segment_ptr 1
		.amdhsa_user_sgpr_dispatch_id 0
		.amdhsa_user_sgpr_flat_scratch_init 0
		.amdhsa_user_sgpr_private_segment_size 0
		.amdhsa_wavefront_size32 1
		.amdhsa_uses_dynamic_stack 0
		.amdhsa_system_sgpr_private_segment_wavefront_offset 0
		.amdhsa_system_sgpr_workgroup_id_x 1
		.amdhsa_system_sgpr_workgroup_id_y 0
		.amdhsa_system_sgpr_workgroup_id_z 0
		.amdhsa_system_sgpr_workgroup_info 0
		.amdhsa_system_vgpr_workitem_id 1
		.amdhsa_next_free_vgpr 15
		.amdhsa_next_free_sgpr 12
		.amdhsa_reserve_vcc 1
		.amdhsa_reserve_flat_scratch 0
		.amdhsa_float_round_mode_32 0
		.amdhsa_float_round_mode_16_64 0
		.amdhsa_float_denorm_mode_32 3
		.amdhsa_float_denorm_mode_16_64 3
		.amdhsa_dx10_clamp 1
		.amdhsa_ieee_mode 1
		.amdhsa_fp16_overflow 0
		.amdhsa_workgroup_processor_mode 1
		.amdhsa_memory_ordered 1
		.amdhsa_forward_progress 1
		.amdhsa_shared_vgpr_count 0
		.amdhsa_exception_fp_ieee_invalid_op 0
		.amdhsa_exception_fp_denorm_src 0
		.amdhsa_exception_fp_ieee_div_zero 0
		.amdhsa_exception_fp_ieee_overflow 0
		.amdhsa_exception_fp_ieee_underflow 0
		.amdhsa_exception_fp_ieee_inexact 0
		.amdhsa_exception_int_div_zero 0
	.end_amdhsa_kernel
	.section	.text._ZN12_GLOBAL__N_121softmax_warp_backwardIfN3c108BFloat16EfLi8ELb0ELb0ELi64EEEvPT0_PKT_S7_iiiPKb,"axG",@progbits,_ZN12_GLOBAL__N_121softmax_warp_backwardIfN3c108BFloat16EfLi8ELb0ELb0ELi64EEEvPT0_PKT_S7_iiiPKb,comdat
.Lfunc_end658:
	.size	_ZN12_GLOBAL__N_121softmax_warp_backwardIfN3c108BFloat16EfLi8ELb0ELb0ELi64EEEvPT0_PKT_S7_iiiPKb, .Lfunc_end658-_ZN12_GLOBAL__N_121softmax_warp_backwardIfN3c108BFloat16EfLi8ELb0ELb0ELi64EEEvPT0_PKT_S7_iiiPKb
                                        ; -- End function
	.set _ZN12_GLOBAL__N_121softmax_warp_backwardIfN3c108BFloat16EfLi8ELb0ELb0ELi64EEEvPT0_PKT_S7_iiiPKb.num_vgpr, 15
	.set _ZN12_GLOBAL__N_121softmax_warp_backwardIfN3c108BFloat16EfLi8ELb0ELb0ELi64EEEvPT0_PKT_S7_iiiPKb.num_agpr, 0
	.set _ZN12_GLOBAL__N_121softmax_warp_backwardIfN3c108BFloat16EfLi8ELb0ELb0ELi64EEEvPT0_PKT_S7_iiiPKb.numbered_sgpr, 12
	.set _ZN12_GLOBAL__N_121softmax_warp_backwardIfN3c108BFloat16EfLi8ELb0ELb0ELi64EEEvPT0_PKT_S7_iiiPKb.num_named_barrier, 0
	.set _ZN12_GLOBAL__N_121softmax_warp_backwardIfN3c108BFloat16EfLi8ELb0ELb0ELi64EEEvPT0_PKT_S7_iiiPKb.private_seg_size, 0
	.set _ZN12_GLOBAL__N_121softmax_warp_backwardIfN3c108BFloat16EfLi8ELb0ELb0ELi64EEEvPT0_PKT_S7_iiiPKb.uses_vcc, 1
	.set _ZN12_GLOBAL__N_121softmax_warp_backwardIfN3c108BFloat16EfLi8ELb0ELb0ELi64EEEvPT0_PKT_S7_iiiPKb.uses_flat_scratch, 0
	.set _ZN12_GLOBAL__N_121softmax_warp_backwardIfN3c108BFloat16EfLi8ELb0ELb0ELi64EEEvPT0_PKT_S7_iiiPKb.has_dyn_sized_stack, 0
	.set _ZN12_GLOBAL__N_121softmax_warp_backwardIfN3c108BFloat16EfLi8ELb0ELb0ELi64EEEvPT0_PKT_S7_iiiPKb.has_recursion, 0
	.set _ZN12_GLOBAL__N_121softmax_warp_backwardIfN3c108BFloat16EfLi8ELb0ELb0ELi64EEEvPT0_PKT_S7_iiiPKb.has_indirect_call, 0
	.section	.AMDGPU.csdata,"",@progbits
; Kernel info:
; codeLenInByte = 1024
; TotalNumSgprs: 14
; NumVgprs: 15
; ScratchSize: 0
; MemoryBound: 0
; FloatMode: 240
; IeeeMode: 1
; LDSByteSize: 0 bytes/workgroup (compile time only)
; SGPRBlocks: 0
; VGPRBlocks: 1
; NumSGPRsForWavesPerEU: 14
; NumVGPRsForWavesPerEU: 15
; Occupancy: 16
; WaveLimiterHint : 0
; COMPUTE_PGM_RSRC2:SCRATCH_EN: 0
; COMPUTE_PGM_RSRC2:USER_SGPR: 6
; COMPUTE_PGM_RSRC2:TRAP_HANDLER: 0
; COMPUTE_PGM_RSRC2:TGID_X_EN: 1
; COMPUTE_PGM_RSRC2:TGID_Y_EN: 0
; COMPUTE_PGM_RSRC2:TGID_Z_EN: 0
; COMPUTE_PGM_RSRC2:TIDIG_COMP_CNT: 1
	.section	.text._ZN12_GLOBAL__N_121softmax_warp_backwardIfN3c108BFloat16EfLi8ELb0ELb0ELi32EEEvPT0_PKT_S7_iiiPKb,"axG",@progbits,_ZN12_GLOBAL__N_121softmax_warp_backwardIfN3c108BFloat16EfLi8ELb0ELb0ELi32EEEvPT0_PKT_S7_iiiPKb,comdat
	.globl	_ZN12_GLOBAL__N_121softmax_warp_backwardIfN3c108BFloat16EfLi8ELb0ELb0ELi32EEEvPT0_PKT_S7_iiiPKb ; -- Begin function _ZN12_GLOBAL__N_121softmax_warp_backwardIfN3c108BFloat16EfLi8ELb0ELb0ELi32EEEvPT0_PKT_S7_iiiPKb
	.p2align	8
	.type	_ZN12_GLOBAL__N_121softmax_warp_backwardIfN3c108BFloat16EfLi8ELb0ELb0ELi32EEEvPT0_PKT_S7_iiiPKb,@function
_ZN12_GLOBAL__N_121softmax_warp_backwardIfN3c108BFloat16EfLi8ELb0ELb0ELi32EEEvPT0_PKT_S7_iiiPKb: ; @_ZN12_GLOBAL__N_121softmax_warp_backwardIfN3c108BFloat16EfLi8ELb0ELb0ELi32EEEvPT0_PKT_S7_iiiPKb
; %bb.0:
	s_clause 0x1
	s_load_dword s0, s[4:5], 0x3c
	s_load_dwordx4 s[12:15], s[4:5], 0x18
	v_and_b32_e32 v6, 31, v0
	s_clause 0x1
	s_load_dwordx4 s[8:11], s[4:5], 0x0
	s_load_dwordx2 s[2:3], s[4:5], 0x10
	v_mov_b32_e32 v12, 0
	v_mov_b32_e32 v14, 0
	s_waitcnt lgkmcnt(0)
	s_lshr_b32 s0, s0, 16
	v_cmp_gt_i32_e32 vcc_lo, s14, v6
	v_mad_u64_u32 v[2:3], null, s6, s0, v[1:2]
	v_mad_u64_u32 v[0:1], null, v2, s13, v[6:7]
	v_sub_nc_u32_e32 v13, s12, v2
	v_cmp_lt_i32_e64 s4, 0, v13
	v_ashrrev_i32_e32 v1, 31, v0
	s_and_b32 s1, s4, vcc_lo
	v_lshlrev_b64 v[4:5], 2, v[0:1]
	v_add_co_u32 v2, s0, s10, v4
	v_add_co_ci_u32_e64 v3, null, s11, v5, s0
	v_add_co_u32 v4, s0, s2, v4
	v_add_co_ci_u32_e64 v5, null, s3, v5, s0
	s_and_saveexec_b32 s0, s1
	s_cbranch_execz .LBB659_2
; %bb.1:
	global_load_dword v14, v[2:3], off
	global_load_dword v12, v[4:5], off
.LBB659_2:
	s_or_b32 exec_lo, exec_lo, s0
	v_or_b32_e32 v7, 32, v6
	v_cmp_gt_i32_e64 s0, s14, v7
	s_and_b32 s1, s4, s0
	s_xor_b32 s1, s1, -1
	s_and_saveexec_b32 s2, s1
	s_xor_b32 s1, exec_lo, s2
                                        ; implicit-def: $vgpr8
                                        ; implicit-def: $vgpr9
                                        ; implicit-def: $vgpr10
                                        ; implicit-def: $vgpr11
                                        ; implicit-def: $vgpr15
                                        ; implicit-def: $vgpr16
                                        ; implicit-def: $vgpr7
; %bb.3:
	s_mov_b32 s2, 0
                                        ; implicit-def: $vgpr8
                                        ; implicit-def: $vgpr9
                                        ; implicit-def: $vgpr10
                                        ; implicit-def: $vgpr11
                                        ; implicit-def: $vgpr15
                                        ; implicit-def: $vgpr7
	v_mov_b32_e32 v16, s2
; %bb.4:
	s_or_saveexec_b32 s1, s1
	v_mov_b32_e32 v17, 0
	s_xor_b32 exec_lo, exec_lo, s1
	s_cbranch_execz .LBB659_6
; %bb.5:
	global_load_dword v16, v[2:3], off offset:128
	global_load_dword v17, v[4:5], off offset:128
.LBB659_6:
	s_or_b32 exec_lo, exec_lo, s1
	v_or_b32_e32 v18, 64, v6
	v_cmp_gt_i32_e64 s1, s14, v18
	s_and_b32 s2, s4, s1
	s_xor_b32 s2, s2, -1
	s_and_saveexec_b32 s3, s2
	s_xor_b32 s2, exec_lo, s3
; %bb.7:
	s_mov_b32 s3, 0
	v_mov_b32_e32 v15, s3
; %bb.8:
	s_or_saveexec_b32 s2, s2
	v_mov_b32_e32 v18, 0
	s_xor_b32 exec_lo, exec_lo, s2
	s_cbranch_execz .LBB659_10
; %bb.9:
	global_load_dword v15, v[2:3], off offset:256
	global_load_dword v18, v[4:5], off offset:256
.LBB659_10:
	s_or_b32 exec_lo, exec_lo, s2
	v_or_b32_e32 v19, 0x60, v6
	v_cmp_gt_i32_e64 s2, s14, v19
	s_and_b32 s3, s4, s2
	s_xor_b32 s3, s3, -1
	s_and_saveexec_b32 s5, s3
	s_xor_b32 s3, exec_lo, s5
; %bb.11:
	s_mov_b32 s5, 0
	;; [unrolled: 19-line block ×6, first 2 shown]
                                        ; implicit-def: $vgpr2_vgpr3
                                        ; implicit-def: $vgpr4_vgpr5
	v_mov_b32_e32 v7, s10
; %bb.28:
	s_or_saveexec_b32 s4, s4
	v_mov_b32_e32 v6, 0
	s_xor_b32 exec_lo, exec_lo, s4
	s_cbranch_execz .LBB659_30
; %bb.29:
	global_load_dword v7, v[2:3], off offset:896
	global_load_dword v6, v[4:5], off offset:896
.LBB659_30:
	s_or_b32 exec_lo, exec_lo, s4
	s_waitcnt vmcnt(1)
	v_add_f32_e32 v2, 0, v14
	v_mbcnt_lo_u32_b32 v3, -1, 0
	s_mov_b32 s10, exec_lo
	v_add_f32_e32 v2, v2, v16
	v_xor_b32_e32 v4, 16, v3
	v_xor_b32_e32 v5, 8, v3
	v_add_f32_e32 v2, v2, v15
	v_cmp_gt_i32_e64 s4, 32, v4
	v_add_f32_e32 v2, v2, v11
	v_cndmask_b32_e64 v4, v3, v4, s4
	v_cmp_gt_i32_e64 s4, 32, v5
	v_add_f32_e32 v2, v2, v10
	v_lshlrev_b32_e32 v4, 2, v4
	v_cndmask_b32_e64 v5, v3, v5, s4
	v_add_f32_e32 v2, v2, v9
	v_lshlrev_b32_e32 v5, 2, v5
	v_add_f32_e32 v2, v2, v8
	v_add_f32_e32 v2, v2, v7
	ds_bpermute_b32 v4, v4, v2
	s_waitcnt lgkmcnt(0)
	v_add_f32_e32 v2, v2, v4
	ds_bpermute_b32 v4, v5, v2
	v_xor_b32_e32 v5, 4, v3
	v_cmp_gt_i32_e64 s4, 32, v5
	v_cndmask_b32_e64 v5, v3, v5, s4
	v_lshlrev_b32_e32 v5, 2, v5
	s_waitcnt lgkmcnt(0)
	v_add_f32_e32 v2, v2, v4
	ds_bpermute_b32 v4, v5, v2
	v_xor_b32_e32 v5, 2, v3
	v_cmp_gt_i32_e64 s4, 32, v5
	v_cndmask_b32_e64 v5, v3, v5, s4
	v_lshlrev_b32_e32 v5, 2, v5
	;; [unrolled: 7-line block ×3, first 2 shown]
	s_waitcnt lgkmcnt(0)
	v_add_f32_e32 v2, v2, v4
	ds_bpermute_b32 v3, v3, v2
	v_cmpx_lt_i32_e32 0, v13
	s_cbranch_execz .LBB659_40
; %bb.31:
	v_lshlrev_b64 v[0:1], 1, v[0:1]
	s_waitcnt lgkmcnt(0)
	v_add_f32_e32 v2, v2, v3
	v_add_co_u32 v0, s4, s8, v0
	v_add_co_ci_u32_e64 v1, null, s9, v1, s4
	s_and_saveexec_b32 s4, vcc_lo
	s_cbranch_execnz .LBB659_41
; %bb.32:
	s_or_b32 exec_lo, exec_lo, s4
	s_and_saveexec_b32 s4, s0
	s_cbranch_execnz .LBB659_42
.LBB659_33:
	s_or_b32 exec_lo, exec_lo, s4
	s_and_saveexec_b32 s0, s1
	s_cbranch_execnz .LBB659_43
.LBB659_34:
	s_or_b32 exec_lo, exec_lo, s0
	s_and_saveexec_b32 s0, s2
	s_cbranch_execnz .LBB659_44
.LBB659_35:
	s_or_b32 exec_lo, exec_lo, s0
	s_and_saveexec_b32 s0, s3
	s_cbranch_execnz .LBB659_45
.LBB659_36:
	s_or_b32 exec_lo, exec_lo, s0
	s_and_saveexec_b32 s0, s5
	s_cbranch_execnz .LBB659_46
.LBB659_37:
	s_or_b32 exec_lo, exec_lo, s0
	s_and_saveexec_b32 s0, s6
	s_cbranch_execnz .LBB659_47
.LBB659_38:
	s_or_b32 exec_lo, exec_lo, s0
	s_and_b32 exec_lo, exec_lo, s7
	s_cbranch_execz .LBB659_40
.LBB659_39:
	s_waitcnt vmcnt(0)
	v_fma_f32 v2, -v2, v6, v7
	v_bfe_u32 v3, v2, 16, 1
	v_cmp_o_f32_e32 vcc_lo, v2, v2
	v_add3_u32 v2, v2, v3, 0x7fff
	v_mov_b32_e32 v3, 0x7fc0
	v_cndmask_b32_sdwa v2, v3, v2, vcc_lo dst_sel:DWORD dst_unused:UNUSED_PAD src0_sel:DWORD src1_sel:WORD_1
	global_store_short v[0:1], v2, off offset:448
.LBB659_40:
	s_endpgm
.LBB659_41:
	s_waitcnt vmcnt(0)
	v_fma_f32 v3, -v2, v12, v14
	v_bfe_u32 v4, v3, 16, 1
	v_cmp_o_f32_e32 vcc_lo, v3, v3
	v_add3_u32 v3, v3, v4, 0x7fff
	v_mov_b32_e32 v4, 0x7fc0
	v_cndmask_b32_sdwa v3, v4, v3, vcc_lo dst_sel:DWORD dst_unused:UNUSED_PAD src0_sel:DWORD src1_sel:WORD_1
	global_store_short v[0:1], v3, off
	s_or_b32 exec_lo, exec_lo, s4
	s_and_saveexec_b32 s4, s0
	s_cbranch_execz .LBB659_33
.LBB659_42:
	s_waitcnt vmcnt(0)
	v_fma_f32 v3, -v2, v17, v16
	v_bfe_u32 v4, v3, 16, 1
	v_cmp_o_f32_e32 vcc_lo, v3, v3
	v_add3_u32 v3, v3, v4, 0x7fff
	v_mov_b32_e32 v4, 0x7fc0
	v_cndmask_b32_sdwa v3, v4, v3, vcc_lo dst_sel:DWORD dst_unused:UNUSED_PAD src0_sel:DWORD src1_sel:WORD_1
	global_store_short v[0:1], v3, off offset:64
	s_or_b32 exec_lo, exec_lo, s4
	s_and_saveexec_b32 s0, s1
	s_cbranch_execz .LBB659_34
.LBB659_43:
	s_waitcnt vmcnt(0)
	v_fma_f32 v3, -v2, v18, v15
	v_bfe_u32 v4, v3, 16, 1
	v_cmp_o_f32_e32 vcc_lo, v3, v3
	v_add3_u32 v3, v3, v4, 0x7fff
	v_mov_b32_e32 v4, 0x7fc0
	v_cndmask_b32_sdwa v3, v4, v3, vcc_lo dst_sel:DWORD dst_unused:UNUSED_PAD src0_sel:DWORD src1_sel:WORD_1
	global_store_short v[0:1], v3, off offset:128
	s_or_b32 exec_lo, exec_lo, s0
	s_and_saveexec_b32 s0, s2
	s_cbranch_execz .LBB659_35
.LBB659_44:
	s_waitcnt vmcnt(0)
	v_fma_f32 v3, -v2, v19, v11
	v_bfe_u32 v4, v3, 16, 1
	v_cmp_o_f32_e32 vcc_lo, v3, v3
	v_add3_u32 v3, v3, v4, 0x7fff
	v_mov_b32_e32 v4, 0x7fc0
	v_cndmask_b32_sdwa v3, v4, v3, vcc_lo dst_sel:DWORD dst_unused:UNUSED_PAD src0_sel:DWORD src1_sel:WORD_1
	global_store_short v[0:1], v3, off offset:192
	s_or_b32 exec_lo, exec_lo, s0
	s_and_saveexec_b32 s0, s3
	s_cbranch_execz .LBB659_36
.LBB659_45:
	s_waitcnt vmcnt(0)
	v_fma_f32 v3, -v2, v20, v10
	v_bfe_u32 v4, v3, 16, 1
	v_cmp_o_f32_e32 vcc_lo, v3, v3
	v_add3_u32 v3, v3, v4, 0x7fff
	v_mov_b32_e32 v4, 0x7fc0
	v_cndmask_b32_sdwa v3, v4, v3, vcc_lo dst_sel:DWORD dst_unused:UNUSED_PAD src0_sel:DWORD src1_sel:WORD_1
	global_store_short v[0:1], v3, off offset:256
	s_or_b32 exec_lo, exec_lo, s0
	s_and_saveexec_b32 s0, s5
	s_cbranch_execz .LBB659_37
.LBB659_46:
	s_waitcnt vmcnt(0)
	v_fma_f32 v3, -v2, v21, v9
	v_bfe_u32 v4, v3, 16, 1
	v_cmp_o_f32_e32 vcc_lo, v3, v3
	v_add3_u32 v3, v3, v4, 0x7fff
	v_mov_b32_e32 v4, 0x7fc0
	v_cndmask_b32_sdwa v3, v4, v3, vcc_lo dst_sel:DWORD dst_unused:UNUSED_PAD src0_sel:DWORD src1_sel:WORD_1
	global_store_short v[0:1], v3, off offset:320
	s_or_b32 exec_lo, exec_lo, s0
	s_and_saveexec_b32 s0, s6
	s_cbranch_execz .LBB659_38
.LBB659_47:
	s_waitcnt vmcnt(0)
	v_fma_f32 v3, -v2, v22, v8
	v_bfe_u32 v4, v3, 16, 1
	v_cmp_o_f32_e32 vcc_lo, v3, v3
	v_add3_u32 v3, v3, v4, 0x7fff
	v_mov_b32_e32 v4, 0x7fc0
	v_cndmask_b32_sdwa v3, v4, v3, vcc_lo dst_sel:DWORD dst_unused:UNUSED_PAD src0_sel:DWORD src1_sel:WORD_1
	global_store_short v[0:1], v3, off offset:384
	s_or_b32 exec_lo, exec_lo, s0
	s_and_b32 exec_lo, exec_lo, s7
	s_cbranch_execnz .LBB659_39
	s_branch .LBB659_40
	.section	.rodata,"a",@progbits
	.p2align	6, 0x0
	.amdhsa_kernel _ZN12_GLOBAL__N_121softmax_warp_backwardIfN3c108BFloat16EfLi8ELb0ELb0ELi32EEEvPT0_PKT_S7_iiiPKb
		.amdhsa_group_segment_fixed_size 0
		.amdhsa_private_segment_fixed_size 0
		.amdhsa_kernarg_size 304
		.amdhsa_user_sgpr_count 6
		.amdhsa_user_sgpr_private_segment_buffer 1
		.amdhsa_user_sgpr_dispatch_ptr 0
		.amdhsa_user_sgpr_queue_ptr 0
		.amdhsa_user_sgpr_kernarg_segment_ptr 1
		.amdhsa_user_sgpr_dispatch_id 0
		.amdhsa_user_sgpr_flat_scratch_init 0
		.amdhsa_user_sgpr_private_segment_size 0
		.amdhsa_wavefront_size32 1
		.amdhsa_uses_dynamic_stack 0
		.amdhsa_system_sgpr_private_segment_wavefront_offset 0
		.amdhsa_system_sgpr_workgroup_id_x 1
		.amdhsa_system_sgpr_workgroup_id_y 0
		.amdhsa_system_sgpr_workgroup_id_z 0
		.amdhsa_system_sgpr_workgroup_info 0
		.amdhsa_system_vgpr_workitem_id 1
		.amdhsa_next_free_vgpr 23
		.amdhsa_next_free_sgpr 16
		.amdhsa_reserve_vcc 1
		.amdhsa_reserve_flat_scratch 0
		.amdhsa_float_round_mode_32 0
		.amdhsa_float_round_mode_16_64 0
		.amdhsa_float_denorm_mode_32 3
		.amdhsa_float_denorm_mode_16_64 3
		.amdhsa_dx10_clamp 1
		.amdhsa_ieee_mode 1
		.amdhsa_fp16_overflow 0
		.amdhsa_workgroup_processor_mode 1
		.amdhsa_memory_ordered 1
		.amdhsa_forward_progress 1
		.amdhsa_shared_vgpr_count 0
		.amdhsa_exception_fp_ieee_invalid_op 0
		.amdhsa_exception_fp_denorm_src 0
		.amdhsa_exception_fp_ieee_div_zero 0
		.amdhsa_exception_fp_ieee_overflow 0
		.amdhsa_exception_fp_ieee_underflow 0
		.amdhsa_exception_fp_ieee_inexact 0
		.amdhsa_exception_int_div_zero 0
	.end_amdhsa_kernel
	.section	.text._ZN12_GLOBAL__N_121softmax_warp_backwardIfN3c108BFloat16EfLi8ELb0ELb0ELi32EEEvPT0_PKT_S7_iiiPKb,"axG",@progbits,_ZN12_GLOBAL__N_121softmax_warp_backwardIfN3c108BFloat16EfLi8ELb0ELb0ELi32EEEvPT0_PKT_S7_iiiPKb,comdat
.Lfunc_end659:
	.size	_ZN12_GLOBAL__N_121softmax_warp_backwardIfN3c108BFloat16EfLi8ELb0ELb0ELi32EEEvPT0_PKT_S7_iiiPKb, .Lfunc_end659-_ZN12_GLOBAL__N_121softmax_warp_backwardIfN3c108BFloat16EfLi8ELb0ELb0ELi32EEEvPT0_PKT_S7_iiiPKb
                                        ; -- End function
	.set _ZN12_GLOBAL__N_121softmax_warp_backwardIfN3c108BFloat16EfLi8ELb0ELb0ELi32EEEvPT0_PKT_S7_iiiPKb.num_vgpr, 23
	.set _ZN12_GLOBAL__N_121softmax_warp_backwardIfN3c108BFloat16EfLi8ELb0ELb0ELi32EEEvPT0_PKT_S7_iiiPKb.num_agpr, 0
	.set _ZN12_GLOBAL__N_121softmax_warp_backwardIfN3c108BFloat16EfLi8ELb0ELb0ELi32EEEvPT0_PKT_S7_iiiPKb.numbered_sgpr, 16
	.set _ZN12_GLOBAL__N_121softmax_warp_backwardIfN3c108BFloat16EfLi8ELb0ELb0ELi32EEEvPT0_PKT_S7_iiiPKb.num_named_barrier, 0
	.set _ZN12_GLOBAL__N_121softmax_warp_backwardIfN3c108BFloat16EfLi8ELb0ELb0ELi32EEEvPT0_PKT_S7_iiiPKb.private_seg_size, 0
	.set _ZN12_GLOBAL__N_121softmax_warp_backwardIfN3c108BFloat16EfLi8ELb0ELb0ELi32EEEvPT0_PKT_S7_iiiPKb.uses_vcc, 1
	.set _ZN12_GLOBAL__N_121softmax_warp_backwardIfN3c108BFloat16EfLi8ELb0ELb0ELi32EEEvPT0_PKT_S7_iiiPKb.uses_flat_scratch, 0
	.set _ZN12_GLOBAL__N_121softmax_warp_backwardIfN3c108BFloat16EfLi8ELb0ELb0ELi32EEEvPT0_PKT_S7_iiiPKb.has_dyn_sized_stack, 0
	.set _ZN12_GLOBAL__N_121softmax_warp_backwardIfN3c108BFloat16EfLi8ELb0ELb0ELi32EEEvPT0_PKT_S7_iiiPKb.has_recursion, 0
	.set _ZN12_GLOBAL__N_121softmax_warp_backwardIfN3c108BFloat16EfLi8ELb0ELb0ELi32EEEvPT0_PKT_S7_iiiPKb.has_indirect_call, 0
	.section	.AMDGPU.csdata,"",@progbits
; Kernel info:
; codeLenInByte = 1636
; TotalNumSgprs: 18
; NumVgprs: 23
; ScratchSize: 0
; MemoryBound: 0
; FloatMode: 240
; IeeeMode: 1
; LDSByteSize: 0 bytes/workgroup (compile time only)
; SGPRBlocks: 0
; VGPRBlocks: 2
; NumSGPRsForWavesPerEU: 18
; NumVGPRsForWavesPerEU: 23
; Occupancy: 16
; WaveLimiterHint : 0
; COMPUTE_PGM_RSRC2:SCRATCH_EN: 0
; COMPUTE_PGM_RSRC2:USER_SGPR: 6
; COMPUTE_PGM_RSRC2:TRAP_HANDLER: 0
; COMPUTE_PGM_RSRC2:TGID_X_EN: 1
; COMPUTE_PGM_RSRC2:TGID_Y_EN: 0
; COMPUTE_PGM_RSRC2:TGID_Z_EN: 0
; COMPUTE_PGM_RSRC2:TIDIG_COMP_CNT: 1
	.section	.text._ZN12_GLOBAL__N_121softmax_warp_backwardIfN3c108BFloat16EfLi9ELb0ELb0ELi64EEEvPT0_PKT_S7_iiiPKb,"axG",@progbits,_ZN12_GLOBAL__N_121softmax_warp_backwardIfN3c108BFloat16EfLi9ELb0ELb0ELi64EEEvPT0_PKT_S7_iiiPKb,comdat
	.globl	_ZN12_GLOBAL__N_121softmax_warp_backwardIfN3c108BFloat16EfLi9ELb0ELb0ELi64EEEvPT0_PKT_S7_iiiPKb ; -- Begin function _ZN12_GLOBAL__N_121softmax_warp_backwardIfN3c108BFloat16EfLi9ELb0ELb0ELi64EEEvPT0_PKT_S7_iiiPKb
	.p2align	8
	.type	_ZN12_GLOBAL__N_121softmax_warp_backwardIfN3c108BFloat16EfLi9ELb0ELb0ELi64EEEvPT0_PKT_S7_iiiPKb,@function
_ZN12_GLOBAL__N_121softmax_warp_backwardIfN3c108BFloat16EfLi9ELb0ELb0ELi64EEEvPT0_PKT_S7_iiiPKb: ; @_ZN12_GLOBAL__N_121softmax_warp_backwardIfN3c108BFloat16EfLi9ELb0ELb0ELi64EEEvPT0_PKT_S7_iiiPKb
; %bb.0:
	s_clause 0x1
	s_load_dword s0, s[4:5], 0x3c
	s_load_dwordx4 s[12:15], s[4:5], 0x18
	v_and_b32_e32 v6, 63, v0
	s_clause 0x1
	s_load_dwordx4 s[8:11], s[4:5], 0x0
	s_load_dwordx2 s[2:3], s[4:5], 0x10
	v_mov_b32_e32 v12, 0
	v_mov_b32_e32 v14, 0
	s_waitcnt lgkmcnt(0)
	s_lshr_b32 s0, s0, 16
	v_cmp_gt_i32_e32 vcc_lo, s14, v6
	v_mad_u64_u32 v[2:3], null, s6, s0, v[1:2]
	v_mad_u64_u32 v[0:1], null, v2, s13, v[6:7]
	v_sub_nc_u32_e32 v13, s12, v2
	v_cmp_lt_i32_e64 s5, 0, v13
	v_ashrrev_i32_e32 v1, 31, v0
	s_and_b32 s1, s5, vcc_lo
	v_lshlrev_b64 v[4:5], 2, v[0:1]
	v_add_co_u32 v2, s0, s10, v4
	v_add_co_ci_u32_e64 v3, null, s11, v5, s0
	v_add_co_u32 v4, s0, s2, v4
	v_add_co_ci_u32_e64 v5, null, s3, v5, s0
	s_and_saveexec_b32 s0, s1
	s_cbranch_execz .LBB660_2
; %bb.1:
	global_load_dword v14, v[2:3], off
	global_load_dword v12, v[4:5], off
.LBB660_2:
	s_or_b32 exec_lo, exec_lo, s0
	v_or_b32_e32 v7, 64, v6
	v_cmp_gt_i32_e64 s0, s14, v7
	s_and_b32 s1, s5, s0
	s_xor_b32 s1, s1, -1
	s_and_saveexec_b32 s2, s1
	s_xor_b32 s1, exec_lo, s2
                                        ; implicit-def: $vgpr8
                                        ; implicit-def: $vgpr9
                                        ; implicit-def: $vgpr10
                                        ; implicit-def: $vgpr11
                                        ; implicit-def: $vgpr15
                                        ; implicit-def: $vgpr16
                                        ; implicit-def: $vgpr7
; %bb.3:
	s_mov_b32 s2, 0
                                        ; implicit-def: $vgpr8
                                        ; implicit-def: $vgpr9
                                        ; implicit-def: $vgpr10
                                        ; implicit-def: $vgpr11
                                        ; implicit-def: $vgpr15
                                        ; implicit-def: $vgpr7
	v_mov_b32_e32 v16, s2
; %bb.4:
	s_or_saveexec_b32 s1, s1
	v_mov_b32_e32 v17, 0
	s_xor_b32 exec_lo, exec_lo, s1
	s_cbranch_execz .LBB660_6
; %bb.5:
	global_load_dword v16, v[2:3], off offset:256
	global_load_dword v17, v[4:5], off offset:256
.LBB660_6:
	s_or_b32 exec_lo, exec_lo, s1
	v_or_b32_e32 v18, 0x80, v6
	v_cmp_gt_i32_e64 s1, s14, v18
	s_and_b32 s2, s5, s1
	s_xor_b32 s2, s2, -1
	s_and_saveexec_b32 s3, s2
	s_xor_b32 s2, exec_lo, s3
; %bb.7:
	s_mov_b32 s3, 0
	v_mov_b32_e32 v15, s3
; %bb.8:
	s_or_saveexec_b32 s2, s2
	v_mov_b32_e32 v18, 0
	s_xor_b32 exec_lo, exec_lo, s2
	s_cbranch_execz .LBB660_10
; %bb.9:
	global_load_dword v15, v[2:3], off offset:512
	global_load_dword v18, v[4:5], off offset:512
.LBB660_10:
	s_or_b32 exec_lo, exec_lo, s2
	v_or_b32_e32 v19, 0xc0, v6
	v_cmp_gt_i32_e64 s2, s14, v19
	s_and_b32 s3, s5, s2
	s_xor_b32 s3, s3, -1
	s_and_saveexec_b32 s4, s3
	s_xor_b32 s3, exec_lo, s4
; %bb.11:
	s_mov_b32 s4, 0
	;; [unrolled: 19-line block ×6, first 2 shown]
                                        ; implicit-def: $vgpr2_vgpr3
                                        ; implicit-def: $vgpr4_vgpr5
	v_mov_b32_e32 v7, s10
; %bb.28:
	s_or_saveexec_b32 s5, s5
	v_mov_b32_e32 v6, 0
	s_xor_b32 exec_lo, exec_lo, s5
	s_cbranch_execz .LBB660_30
; %bb.29:
	global_load_dword v7, v[2:3], off offset:1792
	global_load_dword v6, v[4:5], off offset:1792
.LBB660_30:
	s_or_b32 exec_lo, exec_lo, s5
	s_waitcnt vmcnt(1)
	v_add_f32_e32 v2, 0, v14
	v_mbcnt_lo_u32_b32 v3, -1, 0
	s_mov_b32 s10, exec_lo
	v_add_f32_e32 v2, v2, v16
	v_or_b32_e32 v4, 32, v3
	v_xor_b32_e32 v5, 16, v3
	v_add_f32_e32 v2, v2, v15
	v_cmp_gt_i32_e64 s5, 64, v4
	v_add_f32_e32 v2, v2, v11
	v_cndmask_b32_e64 v4, v3, v4, s5
	v_cmp_gt_i32_e64 s5, 64, v5
	v_add_f32_e32 v2, v2, v10
	v_lshlrev_b32_e32 v4, 2, v4
	v_cndmask_b32_e64 v5, v3, v5, s5
	v_add_f32_e32 v2, v2, v9
	v_lshlrev_b32_e32 v5, 2, v5
	v_add_f32_e32 v2, v2, v8
	v_add_f32_e32 v2, v2, v7
	ds_bpermute_b32 v4, v4, v2
	s_waitcnt lgkmcnt(0)
	v_add_f32_e32 v2, v2, v4
	ds_bpermute_b32 v4, v5, v2
	v_xor_b32_e32 v5, 8, v3
	v_cmp_gt_i32_e64 s5, 64, v5
	v_cndmask_b32_e64 v5, v3, v5, s5
	v_lshlrev_b32_e32 v5, 2, v5
	s_waitcnt lgkmcnt(0)
	v_add_f32_e32 v2, v2, v4
	ds_bpermute_b32 v4, v5, v2
	v_xor_b32_e32 v5, 4, v3
	v_cmp_gt_i32_e64 s5, 64, v5
	v_cndmask_b32_e64 v5, v3, v5, s5
	v_lshlrev_b32_e32 v5, 2, v5
	;; [unrolled: 7-line block ×4, first 2 shown]
	s_waitcnt lgkmcnt(0)
	v_add_f32_e32 v2, v2, v4
	ds_bpermute_b32 v3, v3, v2
	v_cmpx_lt_i32_e32 0, v13
	s_cbranch_execz .LBB660_40
; %bb.31:
	v_lshlrev_b64 v[0:1], 1, v[0:1]
	s_waitcnt lgkmcnt(0)
	v_add_f32_e32 v2, v2, v3
	v_add_co_u32 v0, s5, s8, v0
	v_add_co_ci_u32_e64 v1, null, s9, v1, s5
	s_and_saveexec_b32 s5, vcc_lo
	s_cbranch_execnz .LBB660_41
; %bb.32:
	s_or_b32 exec_lo, exec_lo, s5
	s_and_saveexec_b32 s5, s0
	s_cbranch_execnz .LBB660_42
.LBB660_33:
	s_or_b32 exec_lo, exec_lo, s5
	s_and_saveexec_b32 s0, s1
	s_cbranch_execnz .LBB660_43
.LBB660_34:
	s_or_b32 exec_lo, exec_lo, s0
	s_and_saveexec_b32 s0, s2
	s_cbranch_execnz .LBB660_44
.LBB660_35:
	s_or_b32 exec_lo, exec_lo, s0
	s_and_saveexec_b32 s0, s3
	s_cbranch_execnz .LBB660_45
.LBB660_36:
	s_or_b32 exec_lo, exec_lo, s0
	s_and_saveexec_b32 s0, s4
	s_cbranch_execnz .LBB660_46
.LBB660_37:
	s_or_b32 exec_lo, exec_lo, s0
	s_and_saveexec_b32 s0, s6
	s_cbranch_execnz .LBB660_47
.LBB660_38:
	s_or_b32 exec_lo, exec_lo, s0
	s_and_b32 exec_lo, exec_lo, s7
	s_cbranch_execz .LBB660_40
.LBB660_39:
	s_waitcnt vmcnt(0)
	v_fma_f32 v2, -v2, v6, v7
	v_bfe_u32 v3, v2, 16, 1
	v_cmp_o_f32_e32 vcc_lo, v2, v2
	v_add3_u32 v2, v2, v3, 0x7fff
	v_mov_b32_e32 v3, 0x7fc0
	v_cndmask_b32_sdwa v2, v3, v2, vcc_lo dst_sel:DWORD dst_unused:UNUSED_PAD src0_sel:DWORD src1_sel:WORD_1
	global_store_short v[0:1], v2, off offset:896
.LBB660_40:
	s_endpgm
.LBB660_41:
	s_waitcnt vmcnt(0)
	v_fma_f32 v3, -v2, v12, v14
	v_bfe_u32 v4, v3, 16, 1
	v_cmp_o_f32_e32 vcc_lo, v3, v3
	v_add3_u32 v3, v3, v4, 0x7fff
	v_mov_b32_e32 v4, 0x7fc0
	v_cndmask_b32_sdwa v3, v4, v3, vcc_lo dst_sel:DWORD dst_unused:UNUSED_PAD src0_sel:DWORD src1_sel:WORD_1
	global_store_short v[0:1], v3, off
	s_or_b32 exec_lo, exec_lo, s5
	s_and_saveexec_b32 s5, s0
	s_cbranch_execz .LBB660_33
.LBB660_42:
	s_waitcnt vmcnt(0)
	v_fma_f32 v3, -v2, v17, v16
	v_bfe_u32 v4, v3, 16, 1
	v_cmp_o_f32_e32 vcc_lo, v3, v3
	v_add3_u32 v3, v3, v4, 0x7fff
	v_mov_b32_e32 v4, 0x7fc0
	v_cndmask_b32_sdwa v3, v4, v3, vcc_lo dst_sel:DWORD dst_unused:UNUSED_PAD src0_sel:DWORD src1_sel:WORD_1
	global_store_short v[0:1], v3, off offset:128
	s_or_b32 exec_lo, exec_lo, s5
	s_and_saveexec_b32 s0, s1
	s_cbranch_execz .LBB660_34
.LBB660_43:
	s_waitcnt vmcnt(0)
	v_fma_f32 v3, -v2, v18, v15
	v_bfe_u32 v4, v3, 16, 1
	v_cmp_o_f32_e32 vcc_lo, v3, v3
	v_add3_u32 v3, v3, v4, 0x7fff
	v_mov_b32_e32 v4, 0x7fc0
	v_cndmask_b32_sdwa v3, v4, v3, vcc_lo dst_sel:DWORD dst_unused:UNUSED_PAD src0_sel:DWORD src1_sel:WORD_1
	global_store_short v[0:1], v3, off offset:256
	s_or_b32 exec_lo, exec_lo, s0
	s_and_saveexec_b32 s0, s2
	s_cbranch_execz .LBB660_35
.LBB660_44:
	s_waitcnt vmcnt(0)
	v_fma_f32 v3, -v2, v19, v11
	v_bfe_u32 v4, v3, 16, 1
	v_cmp_o_f32_e32 vcc_lo, v3, v3
	v_add3_u32 v3, v3, v4, 0x7fff
	v_mov_b32_e32 v4, 0x7fc0
	v_cndmask_b32_sdwa v3, v4, v3, vcc_lo dst_sel:DWORD dst_unused:UNUSED_PAD src0_sel:DWORD src1_sel:WORD_1
	global_store_short v[0:1], v3, off offset:384
	s_or_b32 exec_lo, exec_lo, s0
	s_and_saveexec_b32 s0, s3
	s_cbranch_execz .LBB660_36
.LBB660_45:
	s_waitcnt vmcnt(0)
	v_fma_f32 v3, -v2, v20, v10
	v_bfe_u32 v4, v3, 16, 1
	v_cmp_o_f32_e32 vcc_lo, v3, v3
	v_add3_u32 v3, v3, v4, 0x7fff
	v_mov_b32_e32 v4, 0x7fc0
	v_cndmask_b32_sdwa v3, v4, v3, vcc_lo dst_sel:DWORD dst_unused:UNUSED_PAD src0_sel:DWORD src1_sel:WORD_1
	global_store_short v[0:1], v3, off offset:512
	s_or_b32 exec_lo, exec_lo, s0
	s_and_saveexec_b32 s0, s4
	s_cbranch_execz .LBB660_37
.LBB660_46:
	s_waitcnt vmcnt(0)
	v_fma_f32 v3, -v2, v21, v9
	v_bfe_u32 v4, v3, 16, 1
	v_cmp_o_f32_e32 vcc_lo, v3, v3
	v_add3_u32 v3, v3, v4, 0x7fff
	v_mov_b32_e32 v4, 0x7fc0
	v_cndmask_b32_sdwa v3, v4, v3, vcc_lo dst_sel:DWORD dst_unused:UNUSED_PAD src0_sel:DWORD src1_sel:WORD_1
	global_store_short v[0:1], v3, off offset:640
	s_or_b32 exec_lo, exec_lo, s0
	s_and_saveexec_b32 s0, s6
	s_cbranch_execz .LBB660_38
.LBB660_47:
	s_waitcnt vmcnt(0)
	v_fma_f32 v3, -v2, v22, v8
	v_bfe_u32 v4, v3, 16, 1
	v_cmp_o_f32_e32 vcc_lo, v3, v3
	v_add3_u32 v3, v3, v4, 0x7fff
	v_mov_b32_e32 v4, 0x7fc0
	v_cndmask_b32_sdwa v3, v4, v3, vcc_lo dst_sel:DWORD dst_unused:UNUSED_PAD src0_sel:DWORD src1_sel:WORD_1
	global_store_short v[0:1], v3, off offset:768
	s_or_b32 exec_lo, exec_lo, s0
	s_and_b32 exec_lo, exec_lo, s7
	s_cbranch_execnz .LBB660_39
	s_branch .LBB660_40
	.section	.rodata,"a",@progbits
	.p2align	6, 0x0
	.amdhsa_kernel _ZN12_GLOBAL__N_121softmax_warp_backwardIfN3c108BFloat16EfLi9ELb0ELb0ELi64EEEvPT0_PKT_S7_iiiPKb
		.amdhsa_group_segment_fixed_size 0
		.amdhsa_private_segment_fixed_size 0
		.amdhsa_kernarg_size 304
		.amdhsa_user_sgpr_count 6
		.amdhsa_user_sgpr_private_segment_buffer 1
		.amdhsa_user_sgpr_dispatch_ptr 0
		.amdhsa_user_sgpr_queue_ptr 0
		.amdhsa_user_sgpr_kernarg_segment_ptr 1
		.amdhsa_user_sgpr_dispatch_id 0
		.amdhsa_user_sgpr_flat_scratch_init 0
		.amdhsa_user_sgpr_private_segment_size 0
		.amdhsa_wavefront_size32 1
		.amdhsa_uses_dynamic_stack 0
		.amdhsa_system_sgpr_private_segment_wavefront_offset 0
		.amdhsa_system_sgpr_workgroup_id_x 1
		.amdhsa_system_sgpr_workgroup_id_y 0
		.amdhsa_system_sgpr_workgroup_id_z 0
		.amdhsa_system_sgpr_workgroup_info 0
		.amdhsa_system_vgpr_workitem_id 1
		.amdhsa_next_free_vgpr 23
		.amdhsa_next_free_sgpr 16
		.amdhsa_reserve_vcc 1
		.amdhsa_reserve_flat_scratch 0
		.amdhsa_float_round_mode_32 0
		.amdhsa_float_round_mode_16_64 0
		.amdhsa_float_denorm_mode_32 3
		.amdhsa_float_denorm_mode_16_64 3
		.amdhsa_dx10_clamp 1
		.amdhsa_ieee_mode 1
		.amdhsa_fp16_overflow 0
		.amdhsa_workgroup_processor_mode 1
		.amdhsa_memory_ordered 1
		.amdhsa_forward_progress 1
		.amdhsa_shared_vgpr_count 0
		.amdhsa_exception_fp_ieee_invalid_op 0
		.amdhsa_exception_fp_denorm_src 0
		.amdhsa_exception_fp_ieee_div_zero 0
		.amdhsa_exception_fp_ieee_overflow 0
		.amdhsa_exception_fp_ieee_underflow 0
		.amdhsa_exception_fp_ieee_inexact 0
		.amdhsa_exception_int_div_zero 0
	.end_amdhsa_kernel
	.section	.text._ZN12_GLOBAL__N_121softmax_warp_backwardIfN3c108BFloat16EfLi9ELb0ELb0ELi64EEEvPT0_PKT_S7_iiiPKb,"axG",@progbits,_ZN12_GLOBAL__N_121softmax_warp_backwardIfN3c108BFloat16EfLi9ELb0ELb0ELi64EEEvPT0_PKT_S7_iiiPKb,comdat
.Lfunc_end660:
	.size	_ZN12_GLOBAL__N_121softmax_warp_backwardIfN3c108BFloat16EfLi9ELb0ELb0ELi64EEEvPT0_PKT_S7_iiiPKb, .Lfunc_end660-_ZN12_GLOBAL__N_121softmax_warp_backwardIfN3c108BFloat16EfLi9ELb0ELb0ELi64EEEvPT0_PKT_S7_iiiPKb
                                        ; -- End function
	.set _ZN12_GLOBAL__N_121softmax_warp_backwardIfN3c108BFloat16EfLi9ELb0ELb0ELi64EEEvPT0_PKT_S7_iiiPKb.num_vgpr, 23
	.set _ZN12_GLOBAL__N_121softmax_warp_backwardIfN3c108BFloat16EfLi9ELb0ELb0ELi64EEEvPT0_PKT_S7_iiiPKb.num_agpr, 0
	.set _ZN12_GLOBAL__N_121softmax_warp_backwardIfN3c108BFloat16EfLi9ELb0ELb0ELi64EEEvPT0_PKT_S7_iiiPKb.numbered_sgpr, 16
	.set _ZN12_GLOBAL__N_121softmax_warp_backwardIfN3c108BFloat16EfLi9ELb0ELb0ELi64EEEvPT0_PKT_S7_iiiPKb.num_named_barrier, 0
	.set _ZN12_GLOBAL__N_121softmax_warp_backwardIfN3c108BFloat16EfLi9ELb0ELb0ELi64EEEvPT0_PKT_S7_iiiPKb.private_seg_size, 0
	.set _ZN12_GLOBAL__N_121softmax_warp_backwardIfN3c108BFloat16EfLi9ELb0ELb0ELi64EEEvPT0_PKT_S7_iiiPKb.uses_vcc, 1
	.set _ZN12_GLOBAL__N_121softmax_warp_backwardIfN3c108BFloat16EfLi9ELb0ELb0ELi64EEEvPT0_PKT_S7_iiiPKb.uses_flat_scratch, 0
	.set _ZN12_GLOBAL__N_121softmax_warp_backwardIfN3c108BFloat16EfLi9ELb0ELb0ELi64EEEvPT0_PKT_S7_iiiPKb.has_dyn_sized_stack, 0
	.set _ZN12_GLOBAL__N_121softmax_warp_backwardIfN3c108BFloat16EfLi9ELb0ELb0ELi64EEEvPT0_PKT_S7_iiiPKb.has_recursion, 0
	.set _ZN12_GLOBAL__N_121softmax_warp_backwardIfN3c108BFloat16EfLi9ELb0ELb0ELi64EEEvPT0_PKT_S7_iiiPKb.has_indirect_call, 0
	.section	.AMDGPU.csdata,"",@progbits
; Kernel info:
; codeLenInByte = 1680
; TotalNumSgprs: 18
; NumVgprs: 23
; ScratchSize: 0
; MemoryBound: 0
; FloatMode: 240
; IeeeMode: 1
; LDSByteSize: 0 bytes/workgroup (compile time only)
; SGPRBlocks: 0
; VGPRBlocks: 2
; NumSGPRsForWavesPerEU: 18
; NumVGPRsForWavesPerEU: 23
; Occupancy: 16
; WaveLimiterHint : 0
; COMPUTE_PGM_RSRC2:SCRATCH_EN: 0
; COMPUTE_PGM_RSRC2:USER_SGPR: 6
; COMPUTE_PGM_RSRC2:TRAP_HANDLER: 0
; COMPUTE_PGM_RSRC2:TGID_X_EN: 1
; COMPUTE_PGM_RSRC2:TGID_Y_EN: 0
; COMPUTE_PGM_RSRC2:TGID_Z_EN: 0
; COMPUTE_PGM_RSRC2:TIDIG_COMP_CNT: 1
	.section	.text._ZN12_GLOBAL__N_121softmax_warp_backwardIfN3c108BFloat16EfLi9ELb0ELb0ELi32EEEvPT0_PKT_S7_iiiPKb,"axG",@progbits,_ZN12_GLOBAL__N_121softmax_warp_backwardIfN3c108BFloat16EfLi9ELb0ELb0ELi32EEEvPT0_PKT_S7_iiiPKb,comdat
	.globl	_ZN12_GLOBAL__N_121softmax_warp_backwardIfN3c108BFloat16EfLi9ELb0ELb0ELi32EEEvPT0_PKT_S7_iiiPKb ; -- Begin function _ZN12_GLOBAL__N_121softmax_warp_backwardIfN3c108BFloat16EfLi9ELb0ELb0ELi32EEEvPT0_PKT_S7_iiiPKb
	.p2align	8
	.type	_ZN12_GLOBAL__N_121softmax_warp_backwardIfN3c108BFloat16EfLi9ELb0ELb0ELi32EEEvPT0_PKT_S7_iiiPKb,@function
_ZN12_GLOBAL__N_121softmax_warp_backwardIfN3c108BFloat16EfLi9ELb0ELb0ELi32EEEvPT0_PKT_S7_iiiPKb: ; @_ZN12_GLOBAL__N_121softmax_warp_backwardIfN3c108BFloat16EfLi9ELb0ELb0ELi32EEEvPT0_PKT_S7_iiiPKb
; %bb.0:
	s_clause 0x1
	s_load_dword s0, s[4:5], 0x3c
	s_load_dwordx4 s[20:23], s[4:5], 0x18
	v_and_b32_e32 v6, 31, v0
	s_clause 0x1
	s_load_dwordx4 s[16:19], s[4:5], 0x0
	s_load_dwordx2 s[2:3], s[4:5], 0x10
	v_mov_b32_e32 v19, 0
	v_mov_b32_e32 v21, 0
	s_waitcnt lgkmcnt(0)
	s_lshr_b32 s0, s0, 16
	v_cmp_gt_i32_e32 vcc_lo, s22, v6
	v_mad_u64_u32 v[2:3], null, s6, s0, v[1:2]
	v_mad_u64_u32 v[0:1], null, v2, s21, v[6:7]
	v_sub_nc_u32_e32 v20, s20, v2
	v_cmp_lt_i32_e64 s4, 0, v20
	v_ashrrev_i32_e32 v1, 31, v0
	s_and_b32 s1, s4, vcc_lo
	v_lshlrev_b64 v[4:5], 2, v[0:1]
	v_add_co_u32 v2, s0, s18, v4
	v_add_co_ci_u32_e64 v3, null, s19, v5, s0
	v_add_co_u32 v4, s0, s2, v4
	v_add_co_ci_u32_e64 v5, null, s3, v5, s0
	s_and_saveexec_b32 s0, s1
	s_cbranch_execz .LBB661_2
; %bb.1:
	global_load_dword v21, v[2:3], off
	global_load_dword v19, v[4:5], off
.LBB661_2:
	s_or_b32 exec_lo, exec_lo, s0
	v_or_b32_e32 v7, 32, v6
	v_cmp_gt_i32_e64 s0, s22, v7
	s_and_b32 s1, s4, s0
	s_xor_b32 s1, s1, -1
	s_and_saveexec_b32 s2, s1
	s_xor_b32 s1, exec_lo, s2
                                        ; implicit-def: $vgpr7
                                        ; implicit-def: $vgpr9
                                        ; implicit-def: $vgpr10
                                        ; implicit-def: $vgpr11
                                        ; implicit-def: $vgpr12
                                        ; implicit-def: $vgpr13
                                        ; implicit-def: $vgpr14
                                        ; implicit-def: $vgpr15
                                        ; implicit-def: $vgpr16
                                        ; implicit-def: $vgpr17
                                        ; implicit-def: $vgpr18
                                        ; implicit-def: $vgpr22
                                        ; implicit-def: $vgpr23
                                        ; implicit-def: $vgpr24
                                        ; implicit-def: $vgpr8
; %bb.3:
	s_mov_b32 s2, 0
                                        ; implicit-def: $vgpr7
                                        ; implicit-def: $vgpr9
                                        ; implicit-def: $vgpr10
                                        ; implicit-def: $vgpr11
                                        ; implicit-def: $vgpr12
                                        ; implicit-def: $vgpr13
                                        ; implicit-def: $vgpr14
                                        ; implicit-def: $vgpr15
                                        ; implicit-def: $vgpr16
                                        ; implicit-def: $vgpr17
                                        ; implicit-def: $vgpr18
                                        ; implicit-def: $vgpr22
                                        ; implicit-def: $vgpr23
                                        ; implicit-def: $vgpr8
	v_mov_b32_e32 v24, s2
; %bb.4:
	s_or_saveexec_b32 s1, s1
	v_mov_b32_e32 v25, 0
	s_xor_b32 exec_lo, exec_lo, s1
	s_cbranch_execz .LBB661_6
; %bb.5:
	global_load_dword v24, v[2:3], off offset:128
	global_load_dword v25, v[4:5], off offset:128
.LBB661_6:
	s_or_b32 exec_lo, exec_lo, s1
	v_or_b32_e32 v26, 64, v6
	v_cmp_gt_i32_e64 s1, s22, v26
	s_and_b32 s2, s4, s1
	s_xor_b32 s2, s2, -1
	s_and_saveexec_b32 s3, s2
	s_xor_b32 s2, exec_lo, s3
; %bb.7:
	s_mov_b32 s3, 0
	v_mov_b32_e32 v23, s3
; %bb.8:
	s_or_saveexec_b32 s2, s2
	v_mov_b32_e32 v26, 0
	s_xor_b32 exec_lo, exec_lo, s2
	s_cbranch_execz .LBB661_10
; %bb.9:
	global_load_dword v23, v[2:3], off offset:256
	global_load_dword v26, v[4:5], off offset:256
.LBB661_10:
	s_or_b32 exec_lo, exec_lo, s2
	v_or_b32_e32 v27, 0x60, v6
	v_cmp_gt_i32_e64 s2, s22, v27
	s_and_b32 s3, s4, s2
	s_xor_b32 s3, s3, -1
	s_and_saveexec_b32 s5, s3
	s_xor_b32 s3, exec_lo, s5
; %bb.11:
	s_mov_b32 s5, 0
	;; [unrolled: 19-line block ×14, first 2 shown]
                                        ; implicit-def: $vgpr2_vgpr3
                                        ; implicit-def: $vgpr4_vgpr5
	v_mov_b32_e32 v8, s18
; %bb.60:
	s_or_saveexec_b32 s4, s4
	v_mov_b32_e32 v6, 0
	s_xor_b32 exec_lo, exec_lo, s4
	s_cbranch_execz .LBB661_62
; %bb.61:
	global_load_dword v8, v[2:3], off offset:1920
	global_load_dword v6, v[4:5], off offset:1920
.LBB661_62:
	s_or_b32 exec_lo, exec_lo, s4
	s_waitcnt vmcnt(1)
	v_add_f32_e32 v2, 0, v21
	v_mbcnt_lo_u32_b32 v3, -1, 0
	s_mov_b32 s18, exec_lo
	v_add_f32_e32 v2, v2, v24
	v_xor_b32_e32 v4, 16, v3
	v_xor_b32_e32 v5, 8, v3
	v_add_f32_e32 v2, v2, v23
	v_cmp_gt_i32_e64 s4, 32, v4
	v_add_f32_e32 v2, v2, v22
	v_cndmask_b32_e64 v4, v3, v4, s4
	v_cmp_gt_i32_e64 s4, 32, v5
	v_add_f32_e32 v2, v2, v18
	v_lshlrev_b32_e32 v4, 2, v4
	v_cndmask_b32_e64 v5, v3, v5, s4
	v_add_f32_e32 v2, v2, v17
	v_lshlrev_b32_e32 v5, 2, v5
	v_add_f32_e32 v2, v2, v16
	v_add_f32_e32 v2, v2, v15
	;; [unrolled: 1-line block ×10, first 2 shown]
	ds_bpermute_b32 v4, v4, v2
	s_waitcnt lgkmcnt(0)
	v_add_f32_e32 v2, v2, v4
	ds_bpermute_b32 v4, v5, v2
	v_xor_b32_e32 v5, 4, v3
	v_cmp_gt_i32_e64 s4, 32, v5
	v_cndmask_b32_e64 v5, v3, v5, s4
	v_lshlrev_b32_e32 v5, 2, v5
	s_waitcnt lgkmcnt(0)
	v_add_f32_e32 v2, v2, v4
	ds_bpermute_b32 v4, v5, v2
	v_xor_b32_e32 v5, 2, v3
	v_cmp_gt_i32_e64 s4, 32, v5
	v_cndmask_b32_e64 v5, v3, v5, s4
	v_lshlrev_b32_e32 v5, 2, v5
	;; [unrolled: 7-line block ×3, first 2 shown]
	s_waitcnt lgkmcnt(0)
	v_add_f32_e32 v2, v2, v4
	ds_bpermute_b32 v3, v3, v2
	v_cmpx_lt_i32_e32 0, v20
	s_cbranch_execz .LBB661_80
; %bb.63:
	v_lshlrev_b64 v[0:1], 1, v[0:1]
	s_waitcnt lgkmcnt(0)
	v_add_f32_e32 v2, v2, v3
	v_add_co_u32 v0, s4, s16, v0
	v_add_co_ci_u32_e64 v1, null, s17, v1, s4
	s_and_saveexec_b32 s4, vcc_lo
	s_cbranch_execnz .LBB661_81
; %bb.64:
	s_or_b32 exec_lo, exec_lo, s4
	s_and_saveexec_b32 s4, s0
	s_cbranch_execnz .LBB661_82
.LBB661_65:
	s_or_b32 exec_lo, exec_lo, s4
	s_and_saveexec_b32 s0, s1
	s_cbranch_execnz .LBB661_83
.LBB661_66:
	s_or_b32 exec_lo, exec_lo, s0
	s_and_saveexec_b32 s0, s2
	s_cbranch_execnz .LBB661_84
.LBB661_67:
	s_or_b32 exec_lo, exec_lo, s0
	s_and_saveexec_b32 s0, s3
	s_cbranch_execnz .LBB661_85
.LBB661_68:
	s_or_b32 exec_lo, exec_lo, s0
	s_and_saveexec_b32 s0, s5
	s_cbranch_execnz .LBB661_86
.LBB661_69:
	s_or_b32 exec_lo, exec_lo, s0
	s_and_saveexec_b32 s0, s6
	s_cbranch_execnz .LBB661_87
.LBB661_70:
	s_or_b32 exec_lo, exec_lo, s0
	s_and_saveexec_b32 s0, s7
	s_cbranch_execnz .LBB661_88
.LBB661_71:
	s_or_b32 exec_lo, exec_lo, s0
	s_and_saveexec_b32 s0, s8
	s_cbranch_execnz .LBB661_89
.LBB661_72:
	s_or_b32 exec_lo, exec_lo, s0
	s_and_saveexec_b32 s0, s9
	s_cbranch_execnz .LBB661_90
.LBB661_73:
	s_or_b32 exec_lo, exec_lo, s0
	s_and_saveexec_b32 s0, s10
	s_cbranch_execnz .LBB661_91
.LBB661_74:
	s_or_b32 exec_lo, exec_lo, s0
	s_and_saveexec_b32 s0, s11
	s_cbranch_execnz .LBB661_92
.LBB661_75:
	s_or_b32 exec_lo, exec_lo, s0
	s_and_saveexec_b32 s0, s12
	s_cbranch_execnz .LBB661_93
.LBB661_76:
	s_or_b32 exec_lo, exec_lo, s0
	s_and_saveexec_b32 s0, s13
	s_cbranch_execnz .LBB661_94
.LBB661_77:
	s_or_b32 exec_lo, exec_lo, s0
	s_and_saveexec_b32 s0, s14
	s_cbranch_execnz .LBB661_95
.LBB661_78:
	s_or_b32 exec_lo, exec_lo, s0
	s_and_b32 exec_lo, exec_lo, s15
	s_cbranch_execz .LBB661_80
.LBB661_79:
	s_waitcnt vmcnt(0)
	v_fma_f32 v2, -v2, v6, v8
	v_bfe_u32 v3, v2, 16, 1
	v_cmp_o_f32_e32 vcc_lo, v2, v2
	v_add3_u32 v2, v2, v3, 0x7fff
	v_mov_b32_e32 v3, 0x7fc0
	v_cndmask_b32_sdwa v2, v3, v2, vcc_lo dst_sel:DWORD dst_unused:UNUSED_PAD src0_sel:DWORD src1_sel:WORD_1
	global_store_short v[0:1], v2, off offset:960
.LBB661_80:
	s_endpgm
.LBB661_81:
	s_waitcnt vmcnt(0)
	v_fma_f32 v3, -v2, v19, v21
	v_bfe_u32 v4, v3, 16, 1
	v_cmp_o_f32_e32 vcc_lo, v3, v3
	v_add3_u32 v3, v3, v4, 0x7fff
	v_mov_b32_e32 v4, 0x7fc0
	v_cndmask_b32_sdwa v3, v4, v3, vcc_lo dst_sel:DWORD dst_unused:UNUSED_PAD src0_sel:DWORD src1_sel:WORD_1
	global_store_short v[0:1], v3, off
	s_or_b32 exec_lo, exec_lo, s4
	s_and_saveexec_b32 s4, s0
	s_cbranch_execz .LBB661_65
.LBB661_82:
	s_waitcnt vmcnt(0)
	v_fma_f32 v3, -v2, v25, v24
	v_bfe_u32 v4, v3, 16, 1
	v_cmp_o_f32_e32 vcc_lo, v3, v3
	v_add3_u32 v3, v3, v4, 0x7fff
	v_mov_b32_e32 v4, 0x7fc0
	v_cndmask_b32_sdwa v3, v4, v3, vcc_lo dst_sel:DWORD dst_unused:UNUSED_PAD src0_sel:DWORD src1_sel:WORD_1
	global_store_short v[0:1], v3, off offset:64
	s_or_b32 exec_lo, exec_lo, s4
	s_and_saveexec_b32 s0, s1
	s_cbranch_execz .LBB661_66
.LBB661_83:
	s_waitcnt vmcnt(0)
	v_fma_f32 v3, -v2, v26, v23
	v_bfe_u32 v4, v3, 16, 1
	v_cmp_o_f32_e32 vcc_lo, v3, v3
	v_add3_u32 v3, v3, v4, 0x7fff
	v_mov_b32_e32 v4, 0x7fc0
	v_cndmask_b32_sdwa v3, v4, v3, vcc_lo dst_sel:DWORD dst_unused:UNUSED_PAD src0_sel:DWORD src1_sel:WORD_1
	global_store_short v[0:1], v3, off offset:128
	s_or_b32 exec_lo, exec_lo, s0
	s_and_saveexec_b32 s0, s2
	s_cbranch_execz .LBB661_67
.LBB661_84:
	s_waitcnt vmcnt(0)
	v_fma_f32 v3, -v2, v27, v22
	v_bfe_u32 v4, v3, 16, 1
	v_cmp_o_f32_e32 vcc_lo, v3, v3
	v_add3_u32 v3, v3, v4, 0x7fff
	v_mov_b32_e32 v4, 0x7fc0
	v_cndmask_b32_sdwa v3, v4, v3, vcc_lo dst_sel:DWORD dst_unused:UNUSED_PAD src0_sel:DWORD src1_sel:WORD_1
	global_store_short v[0:1], v3, off offset:192
	s_or_b32 exec_lo, exec_lo, s0
	s_and_saveexec_b32 s0, s3
	s_cbranch_execz .LBB661_68
.LBB661_85:
	s_waitcnt vmcnt(0)
	v_fma_f32 v3, -v2, v28, v18
	v_bfe_u32 v4, v3, 16, 1
	v_cmp_o_f32_e32 vcc_lo, v3, v3
	v_add3_u32 v3, v3, v4, 0x7fff
	v_mov_b32_e32 v4, 0x7fc0
	v_cndmask_b32_sdwa v3, v4, v3, vcc_lo dst_sel:DWORD dst_unused:UNUSED_PAD src0_sel:DWORD src1_sel:WORD_1
	global_store_short v[0:1], v3, off offset:256
	s_or_b32 exec_lo, exec_lo, s0
	s_and_saveexec_b32 s0, s5
	s_cbranch_execz .LBB661_69
.LBB661_86:
	s_waitcnt vmcnt(0)
	v_fma_f32 v3, -v2, v29, v17
	v_bfe_u32 v4, v3, 16, 1
	v_cmp_o_f32_e32 vcc_lo, v3, v3
	v_add3_u32 v3, v3, v4, 0x7fff
	v_mov_b32_e32 v4, 0x7fc0
	v_cndmask_b32_sdwa v3, v4, v3, vcc_lo dst_sel:DWORD dst_unused:UNUSED_PAD src0_sel:DWORD src1_sel:WORD_1
	global_store_short v[0:1], v3, off offset:320
	s_or_b32 exec_lo, exec_lo, s0
	s_and_saveexec_b32 s0, s6
	s_cbranch_execz .LBB661_70
.LBB661_87:
	s_waitcnt vmcnt(0)
	v_fma_f32 v3, -v2, v30, v16
	v_bfe_u32 v4, v3, 16, 1
	v_cmp_o_f32_e32 vcc_lo, v3, v3
	v_add3_u32 v3, v3, v4, 0x7fff
	v_mov_b32_e32 v4, 0x7fc0
	v_cndmask_b32_sdwa v3, v4, v3, vcc_lo dst_sel:DWORD dst_unused:UNUSED_PAD src0_sel:DWORD src1_sel:WORD_1
	global_store_short v[0:1], v3, off offset:384
	s_or_b32 exec_lo, exec_lo, s0
	s_and_saveexec_b32 s0, s7
	s_cbranch_execz .LBB661_71
.LBB661_88:
	s_waitcnt vmcnt(0)
	v_fma_f32 v3, -v2, v31, v15
	v_bfe_u32 v4, v3, 16, 1
	v_cmp_o_f32_e32 vcc_lo, v3, v3
	v_add3_u32 v3, v3, v4, 0x7fff
	v_mov_b32_e32 v4, 0x7fc0
	v_cndmask_b32_sdwa v3, v4, v3, vcc_lo dst_sel:DWORD dst_unused:UNUSED_PAD src0_sel:DWORD src1_sel:WORD_1
	global_store_short v[0:1], v3, off offset:448
	s_or_b32 exec_lo, exec_lo, s0
	s_and_saveexec_b32 s0, s8
	s_cbranch_execz .LBB661_72
.LBB661_89:
	s_waitcnt vmcnt(0)
	v_fma_f32 v3, -v2, v32, v14
	v_bfe_u32 v4, v3, 16, 1
	v_cmp_o_f32_e32 vcc_lo, v3, v3
	v_add3_u32 v3, v3, v4, 0x7fff
	v_mov_b32_e32 v4, 0x7fc0
	v_cndmask_b32_sdwa v3, v4, v3, vcc_lo dst_sel:DWORD dst_unused:UNUSED_PAD src0_sel:DWORD src1_sel:WORD_1
	global_store_short v[0:1], v3, off offset:512
	s_or_b32 exec_lo, exec_lo, s0
	s_and_saveexec_b32 s0, s9
	s_cbranch_execz .LBB661_73
.LBB661_90:
	s_waitcnt vmcnt(0)
	v_fma_f32 v3, -v2, v33, v13
	v_bfe_u32 v4, v3, 16, 1
	v_cmp_o_f32_e32 vcc_lo, v3, v3
	v_add3_u32 v3, v3, v4, 0x7fff
	v_mov_b32_e32 v4, 0x7fc0
	v_cndmask_b32_sdwa v3, v4, v3, vcc_lo dst_sel:DWORD dst_unused:UNUSED_PAD src0_sel:DWORD src1_sel:WORD_1
	global_store_short v[0:1], v3, off offset:576
	s_or_b32 exec_lo, exec_lo, s0
	s_and_saveexec_b32 s0, s10
	s_cbranch_execz .LBB661_74
.LBB661_91:
	s_waitcnt vmcnt(0)
	v_fma_f32 v3, -v2, v34, v12
	v_bfe_u32 v4, v3, 16, 1
	v_cmp_o_f32_e32 vcc_lo, v3, v3
	v_add3_u32 v3, v3, v4, 0x7fff
	v_mov_b32_e32 v4, 0x7fc0
	v_cndmask_b32_sdwa v3, v4, v3, vcc_lo dst_sel:DWORD dst_unused:UNUSED_PAD src0_sel:DWORD src1_sel:WORD_1
	global_store_short v[0:1], v3, off offset:640
	s_or_b32 exec_lo, exec_lo, s0
	s_and_saveexec_b32 s0, s11
	s_cbranch_execz .LBB661_75
.LBB661_92:
	s_waitcnt vmcnt(0)
	v_fma_f32 v3, -v2, v35, v11
	v_bfe_u32 v4, v3, 16, 1
	v_cmp_o_f32_e32 vcc_lo, v3, v3
	v_add3_u32 v3, v3, v4, 0x7fff
	v_mov_b32_e32 v4, 0x7fc0
	v_cndmask_b32_sdwa v3, v4, v3, vcc_lo dst_sel:DWORD dst_unused:UNUSED_PAD src0_sel:DWORD src1_sel:WORD_1
	global_store_short v[0:1], v3, off offset:704
	s_or_b32 exec_lo, exec_lo, s0
	s_and_saveexec_b32 s0, s12
	s_cbranch_execz .LBB661_76
.LBB661_93:
	s_waitcnt vmcnt(0)
	v_fma_f32 v3, -v2, v36, v10
	v_bfe_u32 v4, v3, 16, 1
	v_cmp_o_f32_e32 vcc_lo, v3, v3
	v_add3_u32 v3, v3, v4, 0x7fff
	v_mov_b32_e32 v4, 0x7fc0
	v_cndmask_b32_sdwa v3, v4, v3, vcc_lo dst_sel:DWORD dst_unused:UNUSED_PAD src0_sel:DWORD src1_sel:WORD_1
	global_store_short v[0:1], v3, off offset:768
	s_or_b32 exec_lo, exec_lo, s0
	s_and_saveexec_b32 s0, s13
	s_cbranch_execz .LBB661_77
.LBB661_94:
	s_waitcnt vmcnt(0)
	v_fma_f32 v3, -v2, v37, v9
	v_bfe_u32 v4, v3, 16, 1
	v_cmp_o_f32_e32 vcc_lo, v3, v3
	v_add3_u32 v3, v3, v4, 0x7fff
	v_mov_b32_e32 v4, 0x7fc0
	v_cndmask_b32_sdwa v3, v4, v3, vcc_lo dst_sel:DWORD dst_unused:UNUSED_PAD src0_sel:DWORD src1_sel:WORD_1
	global_store_short v[0:1], v3, off offset:832
	s_or_b32 exec_lo, exec_lo, s0
	s_and_saveexec_b32 s0, s14
	s_cbranch_execz .LBB661_78
.LBB661_95:
	s_waitcnt vmcnt(0)
	v_fma_f32 v3, -v2, v38, v7
	v_bfe_u32 v4, v3, 16, 1
	v_cmp_o_f32_e32 vcc_lo, v3, v3
	v_add3_u32 v3, v3, v4, 0x7fff
	v_mov_b32_e32 v4, 0x7fc0
	v_cndmask_b32_sdwa v3, v4, v3, vcc_lo dst_sel:DWORD dst_unused:UNUSED_PAD src0_sel:DWORD src1_sel:WORD_1
	global_store_short v[0:1], v3, off offset:896
	s_or_b32 exec_lo, exec_lo, s0
	s_and_b32 exec_lo, exec_lo, s15
	s_cbranch_execnz .LBB661_79
	s_branch .LBB661_80
	.section	.rodata,"a",@progbits
	.p2align	6, 0x0
	.amdhsa_kernel _ZN12_GLOBAL__N_121softmax_warp_backwardIfN3c108BFloat16EfLi9ELb0ELb0ELi32EEEvPT0_PKT_S7_iiiPKb
		.amdhsa_group_segment_fixed_size 0
		.amdhsa_private_segment_fixed_size 0
		.amdhsa_kernarg_size 304
		.amdhsa_user_sgpr_count 6
		.amdhsa_user_sgpr_private_segment_buffer 1
		.amdhsa_user_sgpr_dispatch_ptr 0
		.amdhsa_user_sgpr_queue_ptr 0
		.amdhsa_user_sgpr_kernarg_segment_ptr 1
		.amdhsa_user_sgpr_dispatch_id 0
		.amdhsa_user_sgpr_flat_scratch_init 0
		.amdhsa_user_sgpr_private_segment_size 0
		.amdhsa_wavefront_size32 1
		.amdhsa_uses_dynamic_stack 0
		.amdhsa_system_sgpr_private_segment_wavefront_offset 0
		.amdhsa_system_sgpr_workgroup_id_x 1
		.amdhsa_system_sgpr_workgroup_id_y 0
		.amdhsa_system_sgpr_workgroup_id_z 0
		.amdhsa_system_sgpr_workgroup_info 0
		.amdhsa_system_vgpr_workitem_id 1
		.amdhsa_next_free_vgpr 39
		.amdhsa_next_free_sgpr 24
		.amdhsa_reserve_vcc 1
		.amdhsa_reserve_flat_scratch 0
		.amdhsa_float_round_mode_32 0
		.amdhsa_float_round_mode_16_64 0
		.amdhsa_float_denorm_mode_32 3
		.amdhsa_float_denorm_mode_16_64 3
		.amdhsa_dx10_clamp 1
		.amdhsa_ieee_mode 1
		.amdhsa_fp16_overflow 0
		.amdhsa_workgroup_processor_mode 1
		.amdhsa_memory_ordered 1
		.amdhsa_forward_progress 1
		.amdhsa_shared_vgpr_count 0
		.amdhsa_exception_fp_ieee_invalid_op 0
		.amdhsa_exception_fp_denorm_src 0
		.amdhsa_exception_fp_ieee_div_zero 0
		.amdhsa_exception_fp_ieee_overflow 0
		.amdhsa_exception_fp_ieee_underflow 0
		.amdhsa_exception_fp_ieee_inexact 0
		.amdhsa_exception_int_div_zero 0
	.end_amdhsa_kernel
	.section	.text._ZN12_GLOBAL__N_121softmax_warp_backwardIfN3c108BFloat16EfLi9ELb0ELb0ELi32EEEvPT0_PKT_S7_iiiPKb,"axG",@progbits,_ZN12_GLOBAL__N_121softmax_warp_backwardIfN3c108BFloat16EfLi9ELb0ELb0ELi32EEEvPT0_PKT_S7_iiiPKb,comdat
.Lfunc_end661:
	.size	_ZN12_GLOBAL__N_121softmax_warp_backwardIfN3c108BFloat16EfLi9ELb0ELb0ELi32EEEvPT0_PKT_S7_iiiPKb, .Lfunc_end661-_ZN12_GLOBAL__N_121softmax_warp_backwardIfN3c108BFloat16EfLi9ELb0ELb0ELi32EEEvPT0_PKT_S7_iiiPKb
                                        ; -- End function
	.set _ZN12_GLOBAL__N_121softmax_warp_backwardIfN3c108BFloat16EfLi9ELb0ELb0ELi32EEEvPT0_PKT_S7_iiiPKb.num_vgpr, 39
	.set _ZN12_GLOBAL__N_121softmax_warp_backwardIfN3c108BFloat16EfLi9ELb0ELb0ELi32EEEvPT0_PKT_S7_iiiPKb.num_agpr, 0
	.set _ZN12_GLOBAL__N_121softmax_warp_backwardIfN3c108BFloat16EfLi9ELb0ELb0ELi32EEEvPT0_PKT_S7_iiiPKb.numbered_sgpr, 24
	.set _ZN12_GLOBAL__N_121softmax_warp_backwardIfN3c108BFloat16EfLi9ELb0ELb0ELi32EEEvPT0_PKT_S7_iiiPKb.num_named_barrier, 0
	.set _ZN12_GLOBAL__N_121softmax_warp_backwardIfN3c108BFloat16EfLi9ELb0ELb0ELi32EEEvPT0_PKT_S7_iiiPKb.private_seg_size, 0
	.set _ZN12_GLOBAL__N_121softmax_warp_backwardIfN3c108BFloat16EfLi9ELb0ELb0ELi32EEEvPT0_PKT_S7_iiiPKb.uses_vcc, 1
	.set _ZN12_GLOBAL__N_121softmax_warp_backwardIfN3c108BFloat16EfLi9ELb0ELb0ELi32EEEvPT0_PKT_S7_iiiPKb.uses_flat_scratch, 0
	.set _ZN12_GLOBAL__N_121softmax_warp_backwardIfN3c108BFloat16EfLi9ELb0ELb0ELi32EEEvPT0_PKT_S7_iiiPKb.has_dyn_sized_stack, 0
	.set _ZN12_GLOBAL__N_121softmax_warp_backwardIfN3c108BFloat16EfLi9ELb0ELb0ELi32EEEvPT0_PKT_S7_iiiPKb.has_recursion, 0
	.set _ZN12_GLOBAL__N_121softmax_warp_backwardIfN3c108BFloat16EfLi9ELb0ELb0ELi32EEEvPT0_PKT_S7_iiiPKb.has_indirect_call, 0
	.section	.AMDGPU.csdata,"",@progbits
; Kernel info:
; codeLenInByte = 2948
; TotalNumSgprs: 26
; NumVgprs: 39
; ScratchSize: 0
; MemoryBound: 0
; FloatMode: 240
; IeeeMode: 1
; LDSByteSize: 0 bytes/workgroup (compile time only)
; SGPRBlocks: 0
; VGPRBlocks: 4
; NumSGPRsForWavesPerEU: 26
; NumVGPRsForWavesPerEU: 39
; Occupancy: 16
; WaveLimiterHint : 0
; COMPUTE_PGM_RSRC2:SCRATCH_EN: 0
; COMPUTE_PGM_RSRC2:USER_SGPR: 6
; COMPUTE_PGM_RSRC2:TRAP_HANDLER: 0
; COMPUTE_PGM_RSRC2:TGID_X_EN: 1
; COMPUTE_PGM_RSRC2:TGID_Y_EN: 0
; COMPUTE_PGM_RSRC2:TGID_Z_EN: 0
; COMPUTE_PGM_RSRC2:TIDIG_COMP_CNT: 1
	.section	.text._ZN12_GLOBAL__N_121softmax_warp_backwardIfN3c108BFloat16EfLi10ELb0ELb0ELi64EEEvPT0_PKT_S7_iiiPKb,"axG",@progbits,_ZN12_GLOBAL__N_121softmax_warp_backwardIfN3c108BFloat16EfLi10ELb0ELb0ELi64EEEvPT0_PKT_S7_iiiPKb,comdat
	.globl	_ZN12_GLOBAL__N_121softmax_warp_backwardIfN3c108BFloat16EfLi10ELb0ELb0ELi64EEEvPT0_PKT_S7_iiiPKb ; -- Begin function _ZN12_GLOBAL__N_121softmax_warp_backwardIfN3c108BFloat16EfLi10ELb0ELb0ELi64EEEvPT0_PKT_S7_iiiPKb
	.p2align	8
	.type	_ZN12_GLOBAL__N_121softmax_warp_backwardIfN3c108BFloat16EfLi10ELb0ELb0ELi64EEEvPT0_PKT_S7_iiiPKb,@function
_ZN12_GLOBAL__N_121softmax_warp_backwardIfN3c108BFloat16EfLi10ELb0ELb0ELi64EEEvPT0_PKT_S7_iiiPKb: ; @_ZN12_GLOBAL__N_121softmax_warp_backwardIfN3c108BFloat16EfLi10ELb0ELb0ELi64EEEvPT0_PKT_S7_iiiPKb
; %bb.0:
	s_clause 0x1
	s_load_dword s0, s[4:5], 0x3c
	s_load_dwordx4 s[20:23], s[4:5], 0x18
	v_and_b32_e32 v7, 63, v0
	s_clause 0x1
	s_load_dwordx4 s[16:19], s[4:5], 0x0
	s_load_dwordx2 s[2:3], s[4:5], 0x10
	v_mov_b32_e32 v20, 0
	v_mov_b32_e32 v22, 0
	s_waitcnt lgkmcnt(0)
	s_lshr_b32 s0, s0, 16
	v_cmp_gt_i32_e32 vcc_lo, s22, v7
	v_mad_u64_u32 v[3:4], null, s6, s0, v[1:2]
	v_mad_u64_u32 v[1:2], null, v3, s21, v[7:8]
	v_sub_nc_u32_e32 v21, s20, v3
	v_cmp_lt_i32_e64 s5, 0, v21
	v_ashrrev_i32_e32 v2, 31, v1
	s_and_b32 s1, s5, vcc_lo
	v_lshlrev_b64 v[3:4], 2, v[1:2]
	v_add_co_u32 v5, s0, s18, v3
	v_add_co_ci_u32_e64 v6, null, s19, v4, s0
	v_add_co_u32 v3, s0, s2, v3
	v_add_co_ci_u32_e64 v4, null, s3, v4, s0
	s_and_saveexec_b32 s0, s1
	s_cbranch_execz .LBB662_2
; %bb.1:
	global_load_dword v22, v[5:6], off
	global_load_dword v20, v[3:4], off
.LBB662_2:
	s_or_b32 exec_lo, exec_lo, s0
	v_or_b32_e32 v8, 64, v7
	v_cmp_gt_i32_e64 s0, s22, v8
	s_and_b32 s1, s5, s0
	s_xor_b32 s1, s1, -1
	s_and_saveexec_b32 s2, s1
	s_xor_b32 s1, exec_lo, s2
                                        ; implicit-def: $vgpr8
                                        ; implicit-def: $vgpr10
                                        ; implicit-def: $vgpr11
                                        ; implicit-def: $vgpr12
                                        ; implicit-def: $vgpr13
                                        ; implicit-def: $vgpr14
                                        ; implicit-def: $vgpr15
                                        ; implicit-def: $vgpr16
                                        ; implicit-def: $vgpr17
                                        ; implicit-def: $vgpr18
                                        ; implicit-def: $vgpr19
                                        ; implicit-def: $vgpr23
                                        ; implicit-def: $vgpr24
                                        ; implicit-def: $vgpr25
                                        ; implicit-def: $vgpr9
; %bb.3:
	s_mov_b32 s2, 0
                                        ; implicit-def: $vgpr8
                                        ; implicit-def: $vgpr10
                                        ; implicit-def: $vgpr11
                                        ; implicit-def: $vgpr12
                                        ; implicit-def: $vgpr13
                                        ; implicit-def: $vgpr14
                                        ; implicit-def: $vgpr15
                                        ; implicit-def: $vgpr16
                                        ; implicit-def: $vgpr17
                                        ; implicit-def: $vgpr18
                                        ; implicit-def: $vgpr19
                                        ; implicit-def: $vgpr23
                                        ; implicit-def: $vgpr24
                                        ; implicit-def: $vgpr9
	v_mov_b32_e32 v25, s2
; %bb.4:
	s_or_saveexec_b32 s1, s1
	v_mov_b32_e32 v26, 0
	s_xor_b32 exec_lo, exec_lo, s1
	s_cbranch_execz .LBB662_6
; %bb.5:
	global_load_dword v25, v[5:6], off offset:256
	global_load_dword v26, v[3:4], off offset:256
.LBB662_6:
	s_or_b32 exec_lo, exec_lo, s1
	v_or_b32_e32 v27, 0x80, v7
	v_cmp_gt_i32_e64 s1, s22, v27
	s_and_b32 s2, s5, s1
	s_xor_b32 s2, s2, -1
	s_and_saveexec_b32 s3, s2
	s_xor_b32 s2, exec_lo, s3
; %bb.7:
	s_mov_b32 s3, 0
	v_mov_b32_e32 v24, s3
; %bb.8:
	s_or_saveexec_b32 s2, s2
	v_mov_b32_e32 v27, 0
	s_xor_b32 exec_lo, exec_lo, s2
	s_cbranch_execz .LBB662_10
; %bb.9:
	global_load_dword v24, v[5:6], off offset:512
	global_load_dword v27, v[3:4], off offset:512
.LBB662_10:
	s_or_b32 exec_lo, exec_lo, s2
	v_or_b32_e32 v28, 0xc0, v7
	v_cmp_gt_i32_e64 s2, s22, v28
	s_and_b32 s3, s5, s2
	s_xor_b32 s3, s3, -1
	s_and_saveexec_b32 s4, s3
	s_xor_b32 s3, exec_lo, s4
; %bb.11:
	s_mov_b32 s4, 0
	;; [unrolled: 19-line block ×7, first 2 shown]
	v_mov_b32_e32 v15, s10
; %bb.32:
	s_or_saveexec_b32 s10, s9
	v_mov_b32_e32 v33, 0
	s_xor_b32 exec_lo, exec_lo, s10
	s_cbranch_execz .LBB662_34
; %bb.33:
	v_add_co_u32 v33, s9, 0x800, v5
	v_add_co_ci_u32_e64 v34, null, 0, v6, s9
	v_add_co_u32 v35, s9, 0x800, v3
	v_add_co_ci_u32_e64 v36, null, 0, v4, s9
	global_load_dword v15, v[33:34], off
	global_load_dword v33, v[35:36], off
.LBB662_34:
	s_or_b32 exec_lo, exec_lo, s10
	v_or_b32_e32 v34, 0x240, v7
	v_cmp_gt_i32_e64 s9, s22, v34
	s_and_b32 s10, s5, s9
	s_xor_b32 s10, s10, -1
	s_and_saveexec_b32 s11, s10
	s_xor_b32 s10, exec_lo, s11
; %bb.35:
	s_mov_b32 s11, 0
	v_mov_b32_e32 v14, s11
; %bb.36:
	s_or_saveexec_b32 s11, s10
	v_mov_b32_e32 v34, 0
	s_xor_b32 exec_lo, exec_lo, s11
	s_cbranch_execz .LBB662_38
; %bb.37:
	v_add_co_u32 v34, s10, 0x800, v5
	v_add_co_ci_u32_e64 v35, null, 0, v6, s10
	v_add_co_u32 v36, s10, 0x800, v3
	v_add_co_ci_u32_e64 v37, null, 0, v4, s10
	global_load_dword v14, v[34:35], off offset:256
	global_load_dword v34, v[36:37], off offset:256
.LBB662_38:
	s_or_b32 exec_lo, exec_lo, s11
	v_or_b32_e32 v35, 0x280, v7
	v_cmp_gt_i32_e64 s10, s22, v35
	s_and_b32 s11, s5, s10
	s_xor_b32 s11, s11, -1
	s_and_saveexec_b32 s12, s11
	s_xor_b32 s11, exec_lo, s12
; %bb.39:
	s_mov_b32 s12, 0
	v_mov_b32_e32 v13, s12
; %bb.40:
	s_or_saveexec_b32 s12, s11
	v_mov_b32_e32 v35, 0
	s_xor_b32 exec_lo, exec_lo, s12
	s_cbranch_execz .LBB662_42
; %bb.41:
	v_add_co_u32 v35, s11, 0x800, v5
	v_add_co_ci_u32_e64 v36, null, 0, v6, s11
	v_add_co_u32 v37, s11, 0x800, v3
	v_add_co_ci_u32_e64 v38, null, 0, v4, s11
	global_load_dword v13, v[35:36], off offset:512
	global_load_dword v35, v[37:38], off offset:512
.LBB662_42:
	;; [unrolled: 23-line block ×6, first 2 shown]
	s_or_b32 exec_lo, exec_lo, s18
	v_or_b32_e32 v0, 0x3c0, v0
	v_cmp_gt_i32_e64 s15, s22, v0
	s_and_b32 s5, s5, s15
	s_xor_b32 s5, s5, -1
	s_and_saveexec_b32 s18, s5
	s_xor_b32 s5, exec_lo, s18
; %bb.59:
	s_mov_b32 s18, 0
                                        ; implicit-def: $vgpr5
                                        ; implicit-def: $vgpr3
	v_mov_b32_e32 v9, s18
; %bb.60:
	s_or_saveexec_b32 s18, s5
	v_mov_b32_e32 v39, 0
	s_xor_b32 exec_lo, exec_lo, s18
	s_cbranch_execz .LBB662_62
; %bb.61:
	v_add_co_u32 v5, s5, 0x800, v5
	v_add_co_ci_u32_e64 v6, null, 0, v6, s5
	v_add_co_u32 v3, s5, 0x800, v3
	v_add_co_ci_u32_e64 v4, null, 0, v4, s5
	global_load_dword v9, v[5:6], off offset:1792
	global_load_dword v39, v[3:4], off offset:1792
.LBB662_62:
	s_or_b32 exec_lo, exec_lo, s18
	s_waitcnt vmcnt(1)
	v_add_f32_e32 v0, 0, v22
	v_mbcnt_lo_u32_b32 v3, -1, 0
	s_mov_b32 s18, exec_lo
	v_add_f32_e32 v0, v0, v25
	v_or_b32_e32 v4, 32, v3
	v_xor_b32_e32 v5, 16, v3
	v_add_f32_e32 v0, v0, v24
	v_cmp_gt_i32_e64 s5, 64, v4
	v_add_f32_e32 v0, v0, v23
	v_cndmask_b32_e64 v4, v3, v4, s5
	v_cmp_gt_i32_e64 s5, 64, v5
	v_add_f32_e32 v0, v0, v19
	v_lshlrev_b32_e32 v4, 2, v4
	v_cndmask_b32_e64 v5, v3, v5, s5
	v_add_f32_e32 v0, v0, v18
	v_lshlrev_b32_e32 v5, 2, v5
	v_add_f32_e32 v0, v0, v17
	v_add_f32_e32 v0, v0, v16
	;; [unrolled: 1-line block ×10, first 2 shown]
	ds_bpermute_b32 v4, v4, v0
	s_waitcnt lgkmcnt(0)
	v_add_f32_e32 v0, v0, v4
	ds_bpermute_b32 v4, v5, v0
	v_xor_b32_e32 v5, 8, v3
	v_cmp_gt_i32_e64 s5, 64, v5
	v_cndmask_b32_e64 v5, v3, v5, s5
	v_lshlrev_b32_e32 v5, 2, v5
	s_waitcnt lgkmcnt(0)
	v_add_f32_e32 v0, v0, v4
	ds_bpermute_b32 v4, v5, v0
	v_xor_b32_e32 v5, 4, v3
	v_cmp_gt_i32_e64 s5, 64, v5
	v_cndmask_b32_e64 v5, v3, v5, s5
	v_lshlrev_b32_e32 v5, 2, v5
	;; [unrolled: 7-line block ×3, first 2 shown]
	s_waitcnt lgkmcnt(0)
	v_add_f32_e32 v0, v0, v4
	ds_bpermute_b32 v4, v5, v0
	v_xor_b32_e32 v5, 1, v3
	v_cmp_gt_i32_e64 s5, 64, v5
	v_cndmask_b32_e64 v5, v3, v5, s5
	s_waitcnt lgkmcnt(0)
	v_add_f32_e32 v3, v0, v4
	v_lshlrev_b32_e32 v0, 2, v5
	ds_bpermute_b32 v4, v0, v3
	v_cmpx_lt_i32_e32 0, v21
	s_cbranch_execz .LBB662_80
; %bb.63:
	v_lshlrev_b64 v[0:1], 1, v[1:2]
	s_waitcnt lgkmcnt(0)
	v_add_f32_e32 v2, v3, v4
	v_add_co_u32 v0, s5, s16, v0
	v_add_co_ci_u32_e64 v1, null, s17, v1, s5
	s_and_saveexec_b32 s5, vcc_lo
	s_cbranch_execnz .LBB662_81
; %bb.64:
	s_or_b32 exec_lo, exec_lo, s5
	s_and_saveexec_b32 s5, s0
	s_cbranch_execnz .LBB662_82
.LBB662_65:
	s_or_b32 exec_lo, exec_lo, s5
	s_and_saveexec_b32 s0, s1
	s_cbranch_execnz .LBB662_83
.LBB662_66:
	s_or_b32 exec_lo, exec_lo, s0
	s_and_saveexec_b32 s0, s2
	s_cbranch_execnz .LBB662_84
.LBB662_67:
	s_or_b32 exec_lo, exec_lo, s0
	s_and_saveexec_b32 s0, s3
	s_cbranch_execnz .LBB662_85
.LBB662_68:
	s_or_b32 exec_lo, exec_lo, s0
	s_and_saveexec_b32 s0, s4
	s_cbranch_execnz .LBB662_86
.LBB662_69:
	s_or_b32 exec_lo, exec_lo, s0
	s_and_saveexec_b32 s0, s6
	s_cbranch_execnz .LBB662_87
.LBB662_70:
	s_or_b32 exec_lo, exec_lo, s0
	s_and_saveexec_b32 s0, s7
	s_cbranch_execnz .LBB662_88
.LBB662_71:
	s_or_b32 exec_lo, exec_lo, s0
	s_and_saveexec_b32 s0, s8
	s_cbranch_execnz .LBB662_89
.LBB662_72:
	s_or_b32 exec_lo, exec_lo, s0
	s_and_saveexec_b32 s0, s9
	s_cbranch_execnz .LBB662_90
.LBB662_73:
	s_or_b32 exec_lo, exec_lo, s0
	s_and_saveexec_b32 s0, s10
	s_cbranch_execnz .LBB662_91
.LBB662_74:
	s_or_b32 exec_lo, exec_lo, s0
	s_and_saveexec_b32 s0, s11
	s_cbranch_execnz .LBB662_92
.LBB662_75:
	s_or_b32 exec_lo, exec_lo, s0
	s_and_saveexec_b32 s0, s12
	s_cbranch_execnz .LBB662_93
.LBB662_76:
	s_or_b32 exec_lo, exec_lo, s0
	s_and_saveexec_b32 s0, s13
	s_cbranch_execnz .LBB662_94
.LBB662_77:
	s_or_b32 exec_lo, exec_lo, s0
	s_and_saveexec_b32 s0, s14
	s_cbranch_execnz .LBB662_95
.LBB662_78:
	s_or_b32 exec_lo, exec_lo, s0
	s_and_b32 exec_lo, exec_lo, s15
	s_cbranch_execz .LBB662_80
.LBB662_79:
	s_waitcnt vmcnt(0)
	v_fma_f32 v2, -v2, v39, v9
	v_bfe_u32 v3, v2, 16, 1
	v_cmp_o_f32_e32 vcc_lo, v2, v2
	v_add3_u32 v2, v2, v3, 0x7fff
	v_mov_b32_e32 v3, 0x7fc0
	v_cndmask_b32_sdwa v2, v3, v2, vcc_lo dst_sel:DWORD dst_unused:UNUSED_PAD src0_sel:DWORD src1_sel:WORD_1
	global_store_short v[0:1], v2, off offset:1920
.LBB662_80:
	s_endpgm
.LBB662_81:
	s_waitcnt vmcnt(0)
	v_fma_f32 v3, -v2, v20, v22
	v_bfe_u32 v4, v3, 16, 1
	v_cmp_o_f32_e32 vcc_lo, v3, v3
	v_add3_u32 v3, v3, v4, 0x7fff
	v_mov_b32_e32 v4, 0x7fc0
	v_cndmask_b32_sdwa v3, v4, v3, vcc_lo dst_sel:DWORD dst_unused:UNUSED_PAD src0_sel:DWORD src1_sel:WORD_1
	global_store_short v[0:1], v3, off
	s_or_b32 exec_lo, exec_lo, s5
	s_and_saveexec_b32 s5, s0
	s_cbranch_execz .LBB662_65
.LBB662_82:
	s_waitcnt vmcnt(0)
	v_fma_f32 v3, -v2, v26, v25
	v_bfe_u32 v4, v3, 16, 1
	v_cmp_o_f32_e32 vcc_lo, v3, v3
	v_add3_u32 v3, v3, v4, 0x7fff
	v_mov_b32_e32 v4, 0x7fc0
	v_cndmask_b32_sdwa v3, v4, v3, vcc_lo dst_sel:DWORD dst_unused:UNUSED_PAD src0_sel:DWORD src1_sel:WORD_1
	global_store_short v[0:1], v3, off offset:128
	s_or_b32 exec_lo, exec_lo, s5
	s_and_saveexec_b32 s0, s1
	s_cbranch_execz .LBB662_66
.LBB662_83:
	s_waitcnt vmcnt(0)
	v_fma_f32 v3, -v2, v27, v24
	v_bfe_u32 v4, v3, 16, 1
	v_cmp_o_f32_e32 vcc_lo, v3, v3
	v_add3_u32 v3, v3, v4, 0x7fff
	v_mov_b32_e32 v4, 0x7fc0
	v_cndmask_b32_sdwa v3, v4, v3, vcc_lo dst_sel:DWORD dst_unused:UNUSED_PAD src0_sel:DWORD src1_sel:WORD_1
	global_store_short v[0:1], v3, off offset:256
	s_or_b32 exec_lo, exec_lo, s0
	s_and_saveexec_b32 s0, s2
	s_cbranch_execz .LBB662_67
.LBB662_84:
	s_waitcnt vmcnt(0)
	v_fma_f32 v3, -v2, v28, v23
	v_bfe_u32 v4, v3, 16, 1
	v_cmp_o_f32_e32 vcc_lo, v3, v3
	v_add3_u32 v3, v3, v4, 0x7fff
	v_mov_b32_e32 v4, 0x7fc0
	v_cndmask_b32_sdwa v3, v4, v3, vcc_lo dst_sel:DWORD dst_unused:UNUSED_PAD src0_sel:DWORD src1_sel:WORD_1
	global_store_short v[0:1], v3, off offset:384
	s_or_b32 exec_lo, exec_lo, s0
	s_and_saveexec_b32 s0, s3
	s_cbranch_execz .LBB662_68
.LBB662_85:
	s_waitcnt vmcnt(0)
	v_fma_f32 v3, -v2, v29, v19
	v_bfe_u32 v4, v3, 16, 1
	v_cmp_o_f32_e32 vcc_lo, v3, v3
	v_add3_u32 v3, v3, v4, 0x7fff
	v_mov_b32_e32 v4, 0x7fc0
	v_cndmask_b32_sdwa v3, v4, v3, vcc_lo dst_sel:DWORD dst_unused:UNUSED_PAD src0_sel:DWORD src1_sel:WORD_1
	global_store_short v[0:1], v3, off offset:512
	s_or_b32 exec_lo, exec_lo, s0
	s_and_saveexec_b32 s0, s4
	s_cbranch_execz .LBB662_69
.LBB662_86:
	s_waitcnt vmcnt(0)
	v_fma_f32 v3, -v2, v30, v18
	v_bfe_u32 v4, v3, 16, 1
	v_cmp_o_f32_e32 vcc_lo, v3, v3
	v_add3_u32 v3, v3, v4, 0x7fff
	v_mov_b32_e32 v4, 0x7fc0
	v_cndmask_b32_sdwa v3, v4, v3, vcc_lo dst_sel:DWORD dst_unused:UNUSED_PAD src0_sel:DWORD src1_sel:WORD_1
	global_store_short v[0:1], v3, off offset:640
	s_or_b32 exec_lo, exec_lo, s0
	s_and_saveexec_b32 s0, s6
	s_cbranch_execz .LBB662_70
.LBB662_87:
	s_waitcnt vmcnt(0)
	v_fma_f32 v3, -v2, v31, v17
	v_bfe_u32 v4, v3, 16, 1
	v_cmp_o_f32_e32 vcc_lo, v3, v3
	v_add3_u32 v3, v3, v4, 0x7fff
	v_mov_b32_e32 v4, 0x7fc0
	v_cndmask_b32_sdwa v3, v4, v3, vcc_lo dst_sel:DWORD dst_unused:UNUSED_PAD src0_sel:DWORD src1_sel:WORD_1
	global_store_short v[0:1], v3, off offset:768
	s_or_b32 exec_lo, exec_lo, s0
	s_and_saveexec_b32 s0, s7
	s_cbranch_execz .LBB662_71
.LBB662_88:
	s_waitcnt vmcnt(0)
	v_fma_f32 v3, -v2, v32, v16
	v_bfe_u32 v4, v3, 16, 1
	v_cmp_o_f32_e32 vcc_lo, v3, v3
	v_add3_u32 v3, v3, v4, 0x7fff
	v_mov_b32_e32 v4, 0x7fc0
	v_cndmask_b32_sdwa v3, v4, v3, vcc_lo dst_sel:DWORD dst_unused:UNUSED_PAD src0_sel:DWORD src1_sel:WORD_1
	global_store_short v[0:1], v3, off offset:896
	s_or_b32 exec_lo, exec_lo, s0
	s_and_saveexec_b32 s0, s8
	s_cbranch_execz .LBB662_72
.LBB662_89:
	s_waitcnt vmcnt(0)
	v_fma_f32 v3, -v2, v33, v15
	v_bfe_u32 v4, v3, 16, 1
	v_cmp_o_f32_e32 vcc_lo, v3, v3
	v_add3_u32 v3, v3, v4, 0x7fff
	v_mov_b32_e32 v4, 0x7fc0
	v_cndmask_b32_sdwa v3, v4, v3, vcc_lo dst_sel:DWORD dst_unused:UNUSED_PAD src0_sel:DWORD src1_sel:WORD_1
	global_store_short v[0:1], v3, off offset:1024
	s_or_b32 exec_lo, exec_lo, s0
	s_and_saveexec_b32 s0, s9
	s_cbranch_execz .LBB662_73
.LBB662_90:
	s_waitcnt vmcnt(0)
	v_fma_f32 v3, -v2, v34, v14
	v_bfe_u32 v4, v3, 16, 1
	v_cmp_o_f32_e32 vcc_lo, v3, v3
	v_add3_u32 v3, v3, v4, 0x7fff
	v_mov_b32_e32 v4, 0x7fc0
	v_cndmask_b32_sdwa v3, v4, v3, vcc_lo dst_sel:DWORD dst_unused:UNUSED_PAD src0_sel:DWORD src1_sel:WORD_1
	global_store_short v[0:1], v3, off offset:1152
	s_or_b32 exec_lo, exec_lo, s0
	s_and_saveexec_b32 s0, s10
	s_cbranch_execz .LBB662_74
.LBB662_91:
	s_waitcnt vmcnt(0)
	v_fma_f32 v3, -v2, v35, v13
	v_bfe_u32 v4, v3, 16, 1
	v_cmp_o_f32_e32 vcc_lo, v3, v3
	v_add3_u32 v3, v3, v4, 0x7fff
	v_mov_b32_e32 v4, 0x7fc0
	v_cndmask_b32_sdwa v3, v4, v3, vcc_lo dst_sel:DWORD dst_unused:UNUSED_PAD src0_sel:DWORD src1_sel:WORD_1
	global_store_short v[0:1], v3, off offset:1280
	s_or_b32 exec_lo, exec_lo, s0
	s_and_saveexec_b32 s0, s11
	s_cbranch_execz .LBB662_75
.LBB662_92:
	s_waitcnt vmcnt(0)
	v_fma_f32 v3, -v2, v36, v12
	v_bfe_u32 v4, v3, 16, 1
	v_cmp_o_f32_e32 vcc_lo, v3, v3
	v_add3_u32 v3, v3, v4, 0x7fff
	v_mov_b32_e32 v4, 0x7fc0
	v_cndmask_b32_sdwa v3, v4, v3, vcc_lo dst_sel:DWORD dst_unused:UNUSED_PAD src0_sel:DWORD src1_sel:WORD_1
	global_store_short v[0:1], v3, off offset:1408
	s_or_b32 exec_lo, exec_lo, s0
	s_and_saveexec_b32 s0, s12
	s_cbranch_execz .LBB662_76
.LBB662_93:
	s_waitcnt vmcnt(0)
	v_fma_f32 v3, -v2, v37, v11
	v_bfe_u32 v4, v3, 16, 1
	v_cmp_o_f32_e32 vcc_lo, v3, v3
	v_add3_u32 v3, v3, v4, 0x7fff
	v_mov_b32_e32 v4, 0x7fc0
	v_cndmask_b32_sdwa v3, v4, v3, vcc_lo dst_sel:DWORD dst_unused:UNUSED_PAD src0_sel:DWORD src1_sel:WORD_1
	global_store_short v[0:1], v3, off offset:1536
	s_or_b32 exec_lo, exec_lo, s0
	s_and_saveexec_b32 s0, s13
	s_cbranch_execz .LBB662_77
.LBB662_94:
	s_waitcnt vmcnt(0)
	v_fma_f32 v3, -v2, v38, v10
	v_bfe_u32 v4, v3, 16, 1
	v_cmp_o_f32_e32 vcc_lo, v3, v3
	v_add3_u32 v3, v3, v4, 0x7fff
	v_mov_b32_e32 v4, 0x7fc0
	v_cndmask_b32_sdwa v3, v4, v3, vcc_lo dst_sel:DWORD dst_unused:UNUSED_PAD src0_sel:DWORD src1_sel:WORD_1
	global_store_short v[0:1], v3, off offset:1664
	s_or_b32 exec_lo, exec_lo, s0
	s_and_saveexec_b32 s0, s14
	s_cbranch_execz .LBB662_78
.LBB662_95:
	s_waitcnt vmcnt(0)
	v_fma_f32 v3, -v2, v7, v8
	v_bfe_u32 v4, v3, 16, 1
	v_cmp_o_f32_e32 vcc_lo, v3, v3
	v_add3_u32 v3, v3, v4, 0x7fff
	v_mov_b32_e32 v4, 0x7fc0
	v_cndmask_b32_sdwa v3, v4, v3, vcc_lo dst_sel:DWORD dst_unused:UNUSED_PAD src0_sel:DWORD src1_sel:WORD_1
	global_store_short v[0:1], v3, off offset:1792
	s_or_b32 exec_lo, exec_lo, s0
	s_and_b32 exec_lo, exec_lo, s15
	s_cbranch_execnz .LBB662_79
	s_branch .LBB662_80
	.section	.rodata,"a",@progbits
	.p2align	6, 0x0
	.amdhsa_kernel _ZN12_GLOBAL__N_121softmax_warp_backwardIfN3c108BFloat16EfLi10ELb0ELb0ELi64EEEvPT0_PKT_S7_iiiPKb
		.amdhsa_group_segment_fixed_size 0
		.amdhsa_private_segment_fixed_size 0
		.amdhsa_kernarg_size 304
		.amdhsa_user_sgpr_count 6
		.amdhsa_user_sgpr_private_segment_buffer 1
		.amdhsa_user_sgpr_dispatch_ptr 0
		.amdhsa_user_sgpr_queue_ptr 0
		.amdhsa_user_sgpr_kernarg_segment_ptr 1
		.amdhsa_user_sgpr_dispatch_id 0
		.amdhsa_user_sgpr_flat_scratch_init 0
		.amdhsa_user_sgpr_private_segment_size 0
		.amdhsa_wavefront_size32 1
		.amdhsa_uses_dynamic_stack 0
		.amdhsa_system_sgpr_private_segment_wavefront_offset 0
		.amdhsa_system_sgpr_workgroup_id_x 1
		.amdhsa_system_sgpr_workgroup_id_y 0
		.amdhsa_system_sgpr_workgroup_id_z 0
		.amdhsa_system_sgpr_workgroup_info 0
		.amdhsa_system_vgpr_workitem_id 1
		.amdhsa_next_free_vgpr 42
		.amdhsa_next_free_sgpr 24
		.amdhsa_reserve_vcc 1
		.amdhsa_reserve_flat_scratch 0
		.amdhsa_float_round_mode_32 0
		.amdhsa_float_round_mode_16_64 0
		.amdhsa_float_denorm_mode_32 3
		.amdhsa_float_denorm_mode_16_64 3
		.amdhsa_dx10_clamp 1
		.amdhsa_ieee_mode 1
		.amdhsa_fp16_overflow 0
		.amdhsa_workgroup_processor_mode 1
		.amdhsa_memory_ordered 1
		.amdhsa_forward_progress 1
		.amdhsa_shared_vgpr_count 0
		.amdhsa_exception_fp_ieee_invalid_op 0
		.amdhsa_exception_fp_denorm_src 0
		.amdhsa_exception_fp_ieee_div_zero 0
		.amdhsa_exception_fp_ieee_overflow 0
		.amdhsa_exception_fp_ieee_underflow 0
		.amdhsa_exception_fp_ieee_inexact 0
		.amdhsa_exception_int_div_zero 0
	.end_amdhsa_kernel
	.section	.text._ZN12_GLOBAL__N_121softmax_warp_backwardIfN3c108BFloat16EfLi10ELb0ELb0ELi64EEEvPT0_PKT_S7_iiiPKb,"axG",@progbits,_ZN12_GLOBAL__N_121softmax_warp_backwardIfN3c108BFloat16EfLi10ELb0ELb0ELi64EEEvPT0_PKT_S7_iiiPKb,comdat
.Lfunc_end662:
	.size	_ZN12_GLOBAL__N_121softmax_warp_backwardIfN3c108BFloat16EfLi10ELb0ELb0ELi64EEEvPT0_PKT_S7_iiiPKb, .Lfunc_end662-_ZN12_GLOBAL__N_121softmax_warp_backwardIfN3c108BFloat16EfLi10ELb0ELb0ELi64EEEvPT0_PKT_S7_iiiPKb
                                        ; -- End function
	.set _ZN12_GLOBAL__N_121softmax_warp_backwardIfN3c108BFloat16EfLi10ELb0ELb0ELi64EEEvPT0_PKT_S7_iiiPKb.num_vgpr, 42
	.set _ZN12_GLOBAL__N_121softmax_warp_backwardIfN3c108BFloat16EfLi10ELb0ELb0ELi64EEEvPT0_PKT_S7_iiiPKb.num_agpr, 0
	.set _ZN12_GLOBAL__N_121softmax_warp_backwardIfN3c108BFloat16EfLi10ELb0ELb0ELi64EEEvPT0_PKT_S7_iiiPKb.numbered_sgpr, 24
	.set _ZN12_GLOBAL__N_121softmax_warp_backwardIfN3c108BFloat16EfLi10ELb0ELb0ELi64EEEvPT0_PKT_S7_iiiPKb.num_named_barrier, 0
	.set _ZN12_GLOBAL__N_121softmax_warp_backwardIfN3c108BFloat16EfLi10ELb0ELb0ELi64EEEvPT0_PKT_S7_iiiPKb.private_seg_size, 0
	.set _ZN12_GLOBAL__N_121softmax_warp_backwardIfN3c108BFloat16EfLi10ELb0ELb0ELi64EEEvPT0_PKT_S7_iiiPKb.uses_vcc, 1
	.set _ZN12_GLOBAL__N_121softmax_warp_backwardIfN3c108BFloat16EfLi10ELb0ELb0ELi64EEEvPT0_PKT_S7_iiiPKb.uses_flat_scratch, 0
	.set _ZN12_GLOBAL__N_121softmax_warp_backwardIfN3c108BFloat16EfLi10ELb0ELb0ELi64EEEvPT0_PKT_S7_iiiPKb.has_dyn_sized_stack, 0
	.set _ZN12_GLOBAL__N_121softmax_warp_backwardIfN3c108BFloat16EfLi10ELb0ELb0ELi64EEEvPT0_PKT_S7_iiiPKb.has_recursion, 0
	.set _ZN12_GLOBAL__N_121softmax_warp_backwardIfN3c108BFloat16EfLi10ELb0ELb0ELi64EEEvPT0_PKT_S7_iiiPKb.has_indirect_call, 0
	.section	.AMDGPU.csdata,"",@progbits
; Kernel info:
; codeLenInByte = 3312
; TotalNumSgprs: 26
; NumVgprs: 42
; ScratchSize: 0
; MemoryBound: 0
; FloatMode: 240
; IeeeMode: 1
; LDSByteSize: 0 bytes/workgroup (compile time only)
; SGPRBlocks: 0
; VGPRBlocks: 5
; NumSGPRsForWavesPerEU: 26
; NumVGPRsForWavesPerEU: 42
; Occupancy: 16
; WaveLimiterHint : 0
; COMPUTE_PGM_RSRC2:SCRATCH_EN: 0
; COMPUTE_PGM_RSRC2:USER_SGPR: 6
; COMPUTE_PGM_RSRC2:TRAP_HANDLER: 0
; COMPUTE_PGM_RSRC2:TGID_X_EN: 1
; COMPUTE_PGM_RSRC2:TGID_Y_EN: 0
; COMPUTE_PGM_RSRC2:TGID_Z_EN: 0
; COMPUTE_PGM_RSRC2:TIDIG_COMP_CNT: 1
	.section	.text._ZN12_GLOBAL__N_121softmax_warp_backwardIfN3c108BFloat16EfLi10ELb0ELb0ELi32EEEvPT0_PKT_S7_iiiPKb,"axG",@progbits,_ZN12_GLOBAL__N_121softmax_warp_backwardIfN3c108BFloat16EfLi10ELb0ELb0ELi32EEEvPT0_PKT_S7_iiiPKb,comdat
	.globl	_ZN12_GLOBAL__N_121softmax_warp_backwardIfN3c108BFloat16EfLi10ELb0ELb0ELi32EEEvPT0_PKT_S7_iiiPKb ; -- Begin function _ZN12_GLOBAL__N_121softmax_warp_backwardIfN3c108BFloat16EfLi10ELb0ELb0ELi32EEEvPT0_PKT_S7_iiiPKb
	.p2align	8
	.type	_ZN12_GLOBAL__N_121softmax_warp_backwardIfN3c108BFloat16EfLi10ELb0ELb0ELi32EEEvPT0_PKT_S7_iiiPKb,@function
_ZN12_GLOBAL__N_121softmax_warp_backwardIfN3c108BFloat16EfLi10ELb0ELb0ELi32EEEvPT0_PKT_S7_iiiPKb: ; @_ZN12_GLOBAL__N_121softmax_warp_backwardIfN3c108BFloat16EfLi10ELb0ELb0ELi32EEEvPT0_PKT_S7_iiiPKb
; %bb.0:
	s_clause 0x1
	s_load_dword s0, s[4:5], 0x3c
	s_load_dwordx4 s[40:43], s[4:5], 0x18
	v_and_b32_e32 v7, 31, v0
	s_clause 0x1
	s_load_dwordx4 s[36:39], s[4:5], 0x0
	s_load_dwordx2 s[2:3], s[4:5], 0x10
	v_mov_b32_e32 v35, 0
	v_mov_b32_e32 v37, 0
	s_waitcnt lgkmcnt(0)
	s_lshr_b32 s0, s0, 16
	v_cmp_gt_i32_e32 vcc_lo, s42, v7
	v_mad_u64_u32 v[3:4], null, s6, s0, v[1:2]
	v_mad_u64_u32 v[1:2], null, v3, s41, v[7:8]
	v_sub_nc_u32_e32 v36, s40, v3
	v_cmp_lt_i32_e64 s4, 0, v36
	v_ashrrev_i32_e32 v2, 31, v1
	s_and_b32 s1, s4, vcc_lo
	v_lshlrev_b64 v[3:4], 2, v[1:2]
	v_add_co_u32 v5, s0, s38, v3
	v_add_co_ci_u32_e64 v6, null, s39, v4, s0
	v_add_co_u32 v3, s0, s2, v3
	v_add_co_ci_u32_e64 v4, null, s3, v4, s0
	s_and_saveexec_b32 s0, s1
	s_cbranch_execz .LBB663_2
; %bb.1:
	global_load_dword v37, v[5:6], off
	global_load_dword v35, v[3:4], off
.LBB663_2:
	s_or_b32 exec_lo, exec_lo, s0
	v_or_b32_e32 v8, 32, v7
	v_cmp_gt_i32_e64 s0, s42, v8
	s_and_b32 s1, s4, s0
	s_xor_b32 s1, s1, -1
	s_mov_b32 s2, exec_lo
	s_and_b32 s3, s2, s1
                                        ; implicit-def: $vgpr8
                                        ; implicit-def: $vgpr9
                                        ; implicit-def: $vgpr10
                                        ; implicit-def: $vgpr12
                                        ; implicit-def: $vgpr13
                                        ; implicit-def: $vgpr14
                                        ; implicit-def: $vgpr15
                                        ; implicit-def: $vgpr16
                                        ; implicit-def: $vgpr17
                                        ; implicit-def: $vgpr18
                                        ; implicit-def: $vgpr19
                                        ; implicit-def: $vgpr20
                                        ; implicit-def: $vgpr21
                                        ; implicit-def: $vgpr22
                                        ; implicit-def: $vgpr23
                                        ; implicit-def: $vgpr24
                                        ; implicit-def: $vgpr25
                                        ; implicit-def: $vgpr26
                                        ; implicit-def: $vgpr27
                                        ; implicit-def: $vgpr28
                                        ; implicit-def: $vgpr29
                                        ; implicit-def: $vgpr30
                                        ; implicit-def: $vgpr31
                                        ; implicit-def: $vgpr32
                                        ; implicit-def: $vgpr33
                                        ; implicit-def: $vgpr34
                                        ; implicit-def: $vgpr38
                                        ; implicit-def: $vgpr39
                                        ; implicit-def: $vgpr41
                                        ; implicit-def: $vgpr40
                                        ; implicit-def: $vgpr11
	s_xor_b32 s1, s3, s2
	s_mov_b32 exec_lo, s3
; %bb.3:
	s_mov_b32 s2, 0
                                        ; implicit-def: $vgpr8
                                        ; implicit-def: $vgpr9
                                        ; implicit-def: $vgpr10
                                        ; implicit-def: $vgpr12
                                        ; implicit-def: $vgpr13
                                        ; implicit-def: $vgpr14
                                        ; implicit-def: $vgpr15
                                        ; implicit-def: $vgpr16
                                        ; implicit-def: $vgpr17
                                        ; implicit-def: $vgpr18
                                        ; implicit-def: $vgpr19
                                        ; implicit-def: $vgpr20
                                        ; implicit-def: $vgpr21
                                        ; implicit-def: $vgpr22
                                        ; implicit-def: $vgpr23
                                        ; implicit-def: $vgpr24
                                        ; implicit-def: $vgpr25
                                        ; implicit-def: $vgpr26
                                        ; implicit-def: $vgpr27
                                        ; implicit-def: $vgpr28
                                        ; implicit-def: $vgpr29
                                        ; implicit-def: $vgpr30
                                        ; implicit-def: $vgpr31
                                        ; implicit-def: $vgpr32
                                        ; implicit-def: $vgpr33
                                        ; implicit-def: $vgpr34
                                        ; implicit-def: $vgpr38
                                        ; implicit-def: $vgpr39
                                        ; implicit-def: $vgpr41
                                        ; implicit-def: $vgpr11
	v_mov_b32_e32 v40, s2
; %bb.4:
	s_or_saveexec_b32 s1, s1
	v_mov_b32_e32 v42, 0
	s_xor_b32 exec_lo, exec_lo, s1
	s_cbranch_execz .LBB663_6
; %bb.5:
	global_load_dword v40, v[5:6], off offset:128
	global_load_dword v42, v[3:4], off offset:128
.LBB663_6:
	s_or_b32 exec_lo, exec_lo, s1
	v_or_b32_e32 v43, 64, v7
	v_cmp_gt_i32_e64 s1, s42, v43
	s_and_b32 s2, s4, s1
	s_xor_b32 s2, s2, -1
	s_and_saveexec_b32 s3, s2
	s_xor_b32 s2, exec_lo, s3
; %bb.7:
	s_mov_b32 s3, 0
	v_mov_b32_e32 v41, s3
; %bb.8:
	s_or_saveexec_b32 s2, s2
	v_mov_b32_e32 v43, 0
	s_xor_b32 exec_lo, exec_lo, s2
	s_cbranch_execz .LBB663_10
; %bb.9:
	global_load_dword v41, v[5:6], off offset:256
	global_load_dword v43, v[3:4], off offset:256
.LBB663_10:
	s_or_b32 exec_lo, exec_lo, s2
	v_or_b32_e32 v44, 0x60, v7
	v_cmp_gt_i32_e64 s2, s42, v44
	s_and_b32 s3, s4, s2
	s_xor_b32 s3, s3, -1
	s_and_saveexec_b32 s5, s3
	s_xor_b32 s3, exec_lo, s5
; %bb.11:
	s_mov_b32 s5, 0
	;; [unrolled: 19-line block ×15, first 2 shown]
	v_mov_b32_e32 v23, s18
; %bb.64:
	s_or_saveexec_b32 s18, s17
	v_mov_b32_e32 v57, 0
	s_xor_b32 exec_lo, exec_lo, s18
	s_cbranch_execz .LBB663_66
; %bb.65:
	v_add_co_u32 v57, s17, 0x800, v5
	v_add_co_ci_u32_e64 v58, null, 0, v6, s17
	v_add_co_u32 v59, s17, 0x800, v3
	v_add_co_ci_u32_e64 v60, null, 0, v4, s17
	global_load_dword v23, v[57:58], off
	global_load_dword v57, v[59:60], off
.LBB663_66:
	s_or_b32 exec_lo, exec_lo, s18
	v_or_b32_e32 v58, 0x220, v7
	v_cmp_gt_i32_e64 s17, s42, v58
	s_and_b32 s18, s4, s17
	s_xor_b32 s18, s18, -1
	s_and_saveexec_b32 s19, s18
	s_xor_b32 s18, exec_lo, s19
; %bb.67:
	s_mov_b32 s19, 0
	v_mov_b32_e32 v22, s19
; %bb.68:
	s_or_saveexec_b32 s19, s18
	v_mov_b32_e32 v58, 0
	s_xor_b32 exec_lo, exec_lo, s19
	s_cbranch_execz .LBB663_70
; %bb.69:
	v_add_co_u32 v58, s18, 0x800, v5
	v_add_co_ci_u32_e64 v59, null, 0, v6, s18
	v_add_co_u32 v60, s18, 0x800, v3
	v_add_co_ci_u32_e64 v61, null, 0, v4, s18
	global_load_dword v22, v[58:59], off offset:128
	global_load_dword v58, v[60:61], off offset:128
.LBB663_70:
	s_or_b32 exec_lo, exec_lo, s19
	v_or_b32_e32 v59, 0x240, v7
	v_cmp_gt_i32_e64 s18, s42, v59
	s_and_b32 s19, s4, s18
	s_xor_b32 s19, s19, -1
	s_and_saveexec_b32 s20, s19
	s_xor_b32 s19, exec_lo, s20
; %bb.71:
	s_mov_b32 s20, 0
	v_mov_b32_e32 v21, s20
; %bb.72:
	s_or_saveexec_b32 s20, s19
	v_mov_b32_e32 v59, 0
	s_xor_b32 exec_lo, exec_lo, s20
	s_cbranch_execz .LBB663_74
; %bb.73:
	v_add_co_u32 v59, s19, 0x800, v5
	v_add_co_ci_u32_e64 v60, null, 0, v6, s19
	v_add_co_u32 v61, s19, 0x800, v3
	v_add_co_ci_u32_e64 v62, null, 0, v4, s19
	global_load_dword v21, v[59:60], off offset:256
	global_load_dword v59, v[61:62], off offset:256
.LBB663_74:
	;; [unrolled: 23-line block ×3, first 2 shown]
	s_or_b32 exec_lo, exec_lo, s21
	v_or_b32_e32 v61, 0x280, v7
	v_cmp_gt_i32_e64 s20, s42, v61
	s_and_b32 s21, s4, s20
	s_xor_b32 s21, s21, -1
	s_and_saveexec_b32 s22, s21
	s_xor_b32 s21, exec_lo, s22
; %bb.79:
	s_mov_b32 s22, 0
	v_mov_b32_e32 v19, s22
; %bb.80:
	s_or_saveexec_b32 s22, s21
	v_mov_b32_e32 v61, 0
	s_xor_b32 exec_lo, exec_lo, s22
	s_cbranch_execz .LBB663_82
; %bb.81:
	v_add_co_u32 v61, s21, 0x800, v5
	v_add_co_ci_u32_e64 v62, null, 0, v6, s21
	global_load_dword v19, v[61:62], off offset:512
	v_add_co_u32 v61, s21, 0x800, v3
	v_add_co_ci_u32_e64 v62, null, 0, v4, s21
	global_load_dword v61, v[61:62], off offset:512
.LBB663_82:
	s_or_b32 exec_lo, exec_lo, s22
	v_or_b32_e32 v62, 0x2a0, v7
	v_cmp_gt_i32_e64 s21, s42, v62
	s_and_b32 s22, s4, s21
	s_xor_b32 s22, s22, -1
	s_and_saveexec_b32 s23, s22
	s_xor_b32 s22, exec_lo, s23
; %bb.83:
	s_mov_b32 s23, 0
	v_mov_b32_e32 v18, s23
; %bb.84:
	s_or_saveexec_b32 s23, s22
	v_mov_b32_e32 v62, 0
	s_xor_b32 exec_lo, exec_lo, s23
	s_cbranch_execz .LBB663_86
; %bb.85:
	v_add_co_u32 v62, s22, 0x800, v5
	v_add_co_ci_u32_e64 v63, null, 0, v6, s22
	v_add_co_u32 v64, s22, 0x800, v3
	v_add_co_ci_u32_e64 v65, null, 0, v4, s22
	global_load_dword v18, v[62:63], off offset:640
	global_load_dword v62, v[64:65], off offset:640
.LBB663_86:
	s_or_b32 exec_lo, exec_lo, s23
	v_or_b32_e32 v63, 0x2c0, v7
	v_cmp_gt_i32_e64 s22, s42, v63
	s_and_b32 s23, s4, s22
	s_xor_b32 s23, s23, -1
	s_and_saveexec_b32 s24, s23
	s_xor_b32 s23, exec_lo, s24
; %bb.87:
	s_mov_b32 s24, 0
	v_mov_b32_e32 v17, s24
; %bb.88:
	s_or_saveexec_b32 s24, s23
	v_mov_b32_e32 v63, 0
	s_xor_b32 exec_lo, exec_lo, s24
	s_cbranch_execz .LBB663_90
; %bb.89:
	v_add_co_u32 v63, s23, 0x800, v5
	v_add_co_ci_u32_e64 v64, null, 0, v6, s23
	v_add_co_u32 v65, s23, 0x800, v3
	v_add_co_ci_u32_e64 v66, null, 0, v4, s23
	global_load_dword v17, v[63:64], off offset:768
	global_load_dword v63, v[65:66], off offset:768
.LBB663_90:
	;; [unrolled: 23-line block ×10, first 2 shown]
	s_or_b32 exec_lo, exec_lo, s33
	v_or_b32_e32 v0, 0x3e0, v0
	v_cmp_gt_i32_e64 s31, s42, v0
	s_and_b32 s4, s4, s31
	s_xor_b32 s4, s4, -1
	s_and_saveexec_b32 s33, s4
	s_xor_b32 s4, exec_lo, s33
; %bb.123:
	s_mov_b32 s33, 0
                                        ; implicit-def: $vgpr5
                                        ; implicit-def: $vgpr3
	v_mov_b32_e32 v11, s33
; %bb.124:
	s_or_saveexec_b32 s33, s4
	v_mov_b32_e32 v71, 0
	s_xor_b32 exec_lo, exec_lo, s33
	s_cbranch_execz .LBB663_126
; %bb.125:
	v_add_co_u32 v5, s4, 0x800, v5
	v_add_co_ci_u32_e64 v6, null, 0, v6, s4
	v_add_co_u32 v3, s4, 0x800, v3
	v_add_co_ci_u32_e64 v4, null, 0, v4, s4
	global_load_dword v11, v[5:6], off offset:1920
	global_load_dword v71, v[3:4], off offset:1920
.LBB663_126:
	s_or_b32 exec_lo, exec_lo, s33
	s_waitcnt vmcnt(1)
	v_add_f32_e32 v0, 0, v37
	v_mbcnt_lo_u32_b32 v3, -1, 0
	s_mov_b32 s33, exec_lo
	v_add_f32_e32 v0, v0, v40
	v_xor_b32_e32 v4, 16, v3
	v_xor_b32_e32 v5, 8, v3
	v_add_f32_e32 v0, v0, v41
	v_cmp_gt_i32_e64 s4, 32, v4
	v_add_f32_e32 v0, v0, v39
	v_cndmask_b32_e64 v4, v3, v4, s4
	v_cmp_gt_i32_e64 s4, 32, v5
	v_add_f32_e32 v0, v0, v38
	v_lshlrev_b32_e32 v4, 2, v4
	v_cndmask_b32_e64 v5, v3, v5, s4
	v_add_f32_e32 v0, v0, v34
	v_lshlrev_b32_e32 v5, 2, v5
	v_add_f32_e32 v0, v0, v33
	v_add_f32_e32 v0, v0, v32
	;; [unrolled: 1-line block ×26, first 2 shown]
	ds_bpermute_b32 v4, v4, v0
	s_waitcnt lgkmcnt(0)
	v_add_f32_e32 v0, v0, v4
	ds_bpermute_b32 v4, v5, v0
	v_xor_b32_e32 v5, 4, v3
	v_cmp_gt_i32_e64 s4, 32, v5
	v_cndmask_b32_e64 v5, v3, v5, s4
	v_lshlrev_b32_e32 v5, 2, v5
	s_waitcnt lgkmcnt(0)
	v_add_f32_e32 v0, v0, v4
	ds_bpermute_b32 v4, v5, v0
	v_xor_b32_e32 v5, 2, v3
	v_cmp_gt_i32_e64 s4, 32, v5
	v_cndmask_b32_e64 v5, v3, v5, s4
	v_lshlrev_b32_e32 v5, 2, v5
	s_waitcnt lgkmcnt(0)
	v_add_f32_e32 v0, v0, v4
	ds_bpermute_b32 v4, v5, v0
	v_xor_b32_e32 v5, 1, v3
	v_cmp_gt_i32_e64 s4, 32, v5
	v_cndmask_b32_e64 v5, v3, v5, s4
	s_waitcnt lgkmcnt(0)
	v_add_f32_e32 v3, v0, v4
	v_lshlrev_b32_e32 v0, 2, v5
	ds_bpermute_b32 v4, v0, v3
	v_cmpx_lt_i32_e32 0, v36
	s_cbranch_execz .LBB663_160
; %bb.127:
	v_lshlrev_b64 v[0:1], 1, v[1:2]
	s_waitcnt lgkmcnt(0)
	v_add_f32_e32 v2, v3, v4
	v_add_co_u32 v0, s4, s36, v0
	v_add_co_ci_u32_e64 v1, null, s37, v1, s4
	s_and_saveexec_b32 s4, vcc_lo
	s_cbranch_execnz .LBB663_161
; %bb.128:
	s_or_b32 exec_lo, exec_lo, s4
	s_and_saveexec_b32 s4, s0
	s_cbranch_execnz .LBB663_162
.LBB663_129:
	s_or_b32 exec_lo, exec_lo, s4
	s_and_saveexec_b32 s0, s1
	s_cbranch_execnz .LBB663_163
.LBB663_130:
	s_or_b32 exec_lo, exec_lo, s0
	s_and_saveexec_b32 s0, s2
	s_cbranch_execnz .LBB663_164
.LBB663_131:
	s_or_b32 exec_lo, exec_lo, s0
	s_and_saveexec_b32 s0, s3
	s_cbranch_execnz .LBB663_165
.LBB663_132:
	s_or_b32 exec_lo, exec_lo, s0
	s_and_saveexec_b32 s0, s5
	s_cbranch_execnz .LBB663_166
.LBB663_133:
	s_or_b32 exec_lo, exec_lo, s0
	s_and_saveexec_b32 s0, s6
	s_cbranch_execnz .LBB663_167
.LBB663_134:
	s_or_b32 exec_lo, exec_lo, s0
	s_and_saveexec_b32 s0, s7
	s_cbranch_execnz .LBB663_168
.LBB663_135:
	s_or_b32 exec_lo, exec_lo, s0
	s_and_saveexec_b32 s0, s8
	s_cbranch_execnz .LBB663_169
.LBB663_136:
	s_or_b32 exec_lo, exec_lo, s0
	s_and_saveexec_b32 s0, s9
	s_cbranch_execnz .LBB663_170
.LBB663_137:
	s_or_b32 exec_lo, exec_lo, s0
	s_and_saveexec_b32 s0, s10
	s_cbranch_execnz .LBB663_171
.LBB663_138:
	s_or_b32 exec_lo, exec_lo, s0
	s_and_saveexec_b32 s0, s11
	s_cbranch_execnz .LBB663_172
.LBB663_139:
	s_or_b32 exec_lo, exec_lo, s0
	s_and_saveexec_b32 s0, s12
	s_cbranch_execnz .LBB663_173
.LBB663_140:
	s_or_b32 exec_lo, exec_lo, s0
	s_and_saveexec_b32 s0, s13
	s_cbranch_execnz .LBB663_174
.LBB663_141:
	s_or_b32 exec_lo, exec_lo, s0
	s_and_saveexec_b32 s0, s14
	s_cbranch_execnz .LBB663_175
.LBB663_142:
	s_or_b32 exec_lo, exec_lo, s0
	s_and_saveexec_b32 s0, s15
	s_cbranch_execnz .LBB663_176
.LBB663_143:
	s_or_b32 exec_lo, exec_lo, s0
	s_and_saveexec_b32 s0, s16
	s_cbranch_execnz .LBB663_177
.LBB663_144:
	s_or_b32 exec_lo, exec_lo, s0
	s_and_saveexec_b32 s0, s17
	s_cbranch_execnz .LBB663_178
.LBB663_145:
	s_or_b32 exec_lo, exec_lo, s0
	s_and_saveexec_b32 s0, s18
	s_cbranch_execnz .LBB663_179
.LBB663_146:
	s_or_b32 exec_lo, exec_lo, s0
	s_and_saveexec_b32 s0, s19
	s_cbranch_execnz .LBB663_180
.LBB663_147:
	s_or_b32 exec_lo, exec_lo, s0
	s_and_saveexec_b32 s0, s20
	s_cbranch_execnz .LBB663_181
.LBB663_148:
	s_or_b32 exec_lo, exec_lo, s0
	s_and_saveexec_b32 s0, s21
	s_cbranch_execnz .LBB663_182
.LBB663_149:
	s_or_b32 exec_lo, exec_lo, s0
	s_and_saveexec_b32 s0, s22
	s_cbranch_execnz .LBB663_183
.LBB663_150:
	s_or_b32 exec_lo, exec_lo, s0
	s_and_saveexec_b32 s0, s23
	s_cbranch_execnz .LBB663_184
.LBB663_151:
	s_or_b32 exec_lo, exec_lo, s0
	s_and_saveexec_b32 s0, s24
	s_cbranch_execnz .LBB663_185
.LBB663_152:
	s_or_b32 exec_lo, exec_lo, s0
	s_and_saveexec_b32 s0, s25
	s_cbranch_execnz .LBB663_186
.LBB663_153:
	s_or_b32 exec_lo, exec_lo, s0
	s_and_saveexec_b32 s0, s26
	s_cbranch_execnz .LBB663_187
.LBB663_154:
	s_or_b32 exec_lo, exec_lo, s0
	s_and_saveexec_b32 s0, s27
	s_cbranch_execnz .LBB663_188
.LBB663_155:
	s_or_b32 exec_lo, exec_lo, s0
	s_and_saveexec_b32 s0, s28
	s_cbranch_execnz .LBB663_189
.LBB663_156:
	s_or_b32 exec_lo, exec_lo, s0
	s_and_saveexec_b32 s0, s29
	s_cbranch_execnz .LBB663_190
.LBB663_157:
	s_or_b32 exec_lo, exec_lo, s0
	s_and_saveexec_b32 s0, s30
	s_cbranch_execnz .LBB663_191
.LBB663_158:
	s_or_b32 exec_lo, exec_lo, s0
	s_and_b32 exec_lo, exec_lo, s31
	s_cbranch_execz .LBB663_160
.LBB663_159:
	s_waitcnt vmcnt(0)
	v_fma_f32 v2, -v2, v71, v11
	v_bfe_u32 v3, v2, 16, 1
	v_cmp_o_f32_e32 vcc_lo, v2, v2
	v_add3_u32 v2, v2, v3, 0x7fff
	v_mov_b32_e32 v3, 0x7fc0
	v_cndmask_b32_sdwa v2, v3, v2, vcc_lo dst_sel:DWORD dst_unused:UNUSED_PAD src0_sel:DWORD src1_sel:WORD_1
	global_store_short v[0:1], v2, off offset:1984
.LBB663_160:
	s_endpgm
.LBB663_161:
	s_waitcnt vmcnt(0)
	v_fma_f32 v3, -v2, v35, v37
	v_bfe_u32 v4, v3, 16, 1
	v_cmp_o_f32_e32 vcc_lo, v3, v3
	v_add3_u32 v3, v3, v4, 0x7fff
	v_mov_b32_e32 v4, 0x7fc0
	v_cndmask_b32_sdwa v3, v4, v3, vcc_lo dst_sel:DWORD dst_unused:UNUSED_PAD src0_sel:DWORD src1_sel:WORD_1
	global_store_short v[0:1], v3, off
	s_or_b32 exec_lo, exec_lo, s4
	s_and_saveexec_b32 s4, s0
	s_cbranch_execz .LBB663_129
.LBB663_162:
	s_waitcnt vmcnt(0)
	v_fma_f32 v3, -v2, v42, v40
	v_bfe_u32 v4, v3, 16, 1
	v_cmp_o_f32_e32 vcc_lo, v3, v3
	v_add3_u32 v3, v3, v4, 0x7fff
	v_mov_b32_e32 v4, 0x7fc0
	v_cndmask_b32_sdwa v3, v4, v3, vcc_lo dst_sel:DWORD dst_unused:UNUSED_PAD src0_sel:DWORD src1_sel:WORD_1
	global_store_short v[0:1], v3, off offset:64
	s_or_b32 exec_lo, exec_lo, s4
	s_and_saveexec_b32 s0, s1
	s_cbranch_execz .LBB663_130
.LBB663_163:
	s_waitcnt vmcnt(0)
	v_fma_f32 v3, -v2, v43, v41
	v_bfe_u32 v4, v3, 16, 1
	v_cmp_o_f32_e32 vcc_lo, v3, v3
	v_add3_u32 v3, v3, v4, 0x7fff
	v_mov_b32_e32 v4, 0x7fc0
	v_cndmask_b32_sdwa v3, v4, v3, vcc_lo dst_sel:DWORD dst_unused:UNUSED_PAD src0_sel:DWORD src1_sel:WORD_1
	global_store_short v[0:1], v3, off offset:128
	s_or_b32 exec_lo, exec_lo, s0
	s_and_saveexec_b32 s0, s2
	s_cbranch_execz .LBB663_131
.LBB663_164:
	s_waitcnt vmcnt(0)
	v_fma_f32 v3, -v2, v44, v39
	v_bfe_u32 v4, v3, 16, 1
	v_cmp_o_f32_e32 vcc_lo, v3, v3
	v_add3_u32 v3, v3, v4, 0x7fff
	v_mov_b32_e32 v4, 0x7fc0
	v_cndmask_b32_sdwa v3, v4, v3, vcc_lo dst_sel:DWORD dst_unused:UNUSED_PAD src0_sel:DWORD src1_sel:WORD_1
	global_store_short v[0:1], v3, off offset:192
	s_or_b32 exec_lo, exec_lo, s0
	s_and_saveexec_b32 s0, s3
	s_cbranch_execz .LBB663_132
.LBB663_165:
	s_waitcnt vmcnt(0)
	v_fma_f32 v3, -v2, v45, v38
	v_bfe_u32 v4, v3, 16, 1
	v_cmp_o_f32_e32 vcc_lo, v3, v3
	v_add3_u32 v3, v3, v4, 0x7fff
	v_mov_b32_e32 v4, 0x7fc0
	v_cndmask_b32_sdwa v3, v4, v3, vcc_lo dst_sel:DWORD dst_unused:UNUSED_PAD src0_sel:DWORD src1_sel:WORD_1
	global_store_short v[0:1], v3, off offset:256
	s_or_b32 exec_lo, exec_lo, s0
	s_and_saveexec_b32 s0, s5
	s_cbranch_execz .LBB663_133
.LBB663_166:
	s_waitcnt vmcnt(0)
	v_fma_f32 v3, -v2, v46, v34
	v_bfe_u32 v4, v3, 16, 1
	v_cmp_o_f32_e32 vcc_lo, v3, v3
	v_add3_u32 v3, v3, v4, 0x7fff
	v_mov_b32_e32 v4, 0x7fc0
	v_cndmask_b32_sdwa v3, v4, v3, vcc_lo dst_sel:DWORD dst_unused:UNUSED_PAD src0_sel:DWORD src1_sel:WORD_1
	global_store_short v[0:1], v3, off offset:320
	s_or_b32 exec_lo, exec_lo, s0
	s_and_saveexec_b32 s0, s6
	s_cbranch_execz .LBB663_134
.LBB663_167:
	s_waitcnt vmcnt(0)
	v_fma_f32 v3, -v2, v47, v33
	v_bfe_u32 v4, v3, 16, 1
	v_cmp_o_f32_e32 vcc_lo, v3, v3
	v_add3_u32 v3, v3, v4, 0x7fff
	v_mov_b32_e32 v4, 0x7fc0
	v_cndmask_b32_sdwa v3, v4, v3, vcc_lo dst_sel:DWORD dst_unused:UNUSED_PAD src0_sel:DWORD src1_sel:WORD_1
	global_store_short v[0:1], v3, off offset:384
	s_or_b32 exec_lo, exec_lo, s0
	s_and_saveexec_b32 s0, s7
	s_cbranch_execz .LBB663_135
.LBB663_168:
	s_waitcnt vmcnt(0)
	v_fma_f32 v3, -v2, v48, v32
	v_bfe_u32 v4, v3, 16, 1
	v_cmp_o_f32_e32 vcc_lo, v3, v3
	v_add3_u32 v3, v3, v4, 0x7fff
	v_mov_b32_e32 v4, 0x7fc0
	v_cndmask_b32_sdwa v3, v4, v3, vcc_lo dst_sel:DWORD dst_unused:UNUSED_PAD src0_sel:DWORD src1_sel:WORD_1
	global_store_short v[0:1], v3, off offset:448
	s_or_b32 exec_lo, exec_lo, s0
	s_and_saveexec_b32 s0, s8
	s_cbranch_execz .LBB663_136
.LBB663_169:
	s_waitcnt vmcnt(0)
	v_fma_f32 v3, -v2, v49, v31
	v_bfe_u32 v4, v3, 16, 1
	v_cmp_o_f32_e32 vcc_lo, v3, v3
	v_add3_u32 v3, v3, v4, 0x7fff
	v_mov_b32_e32 v4, 0x7fc0
	v_cndmask_b32_sdwa v3, v4, v3, vcc_lo dst_sel:DWORD dst_unused:UNUSED_PAD src0_sel:DWORD src1_sel:WORD_1
	global_store_short v[0:1], v3, off offset:512
	s_or_b32 exec_lo, exec_lo, s0
	s_and_saveexec_b32 s0, s9
	s_cbranch_execz .LBB663_137
.LBB663_170:
	s_waitcnt vmcnt(0)
	v_fma_f32 v3, -v2, v50, v30
	v_bfe_u32 v4, v3, 16, 1
	v_cmp_o_f32_e32 vcc_lo, v3, v3
	v_add3_u32 v3, v3, v4, 0x7fff
	v_mov_b32_e32 v4, 0x7fc0
	v_cndmask_b32_sdwa v3, v4, v3, vcc_lo dst_sel:DWORD dst_unused:UNUSED_PAD src0_sel:DWORD src1_sel:WORD_1
	global_store_short v[0:1], v3, off offset:576
	s_or_b32 exec_lo, exec_lo, s0
	s_and_saveexec_b32 s0, s10
	s_cbranch_execz .LBB663_138
.LBB663_171:
	s_waitcnt vmcnt(0)
	v_fma_f32 v3, -v2, v51, v29
	v_bfe_u32 v4, v3, 16, 1
	v_cmp_o_f32_e32 vcc_lo, v3, v3
	v_add3_u32 v3, v3, v4, 0x7fff
	v_mov_b32_e32 v4, 0x7fc0
	v_cndmask_b32_sdwa v3, v4, v3, vcc_lo dst_sel:DWORD dst_unused:UNUSED_PAD src0_sel:DWORD src1_sel:WORD_1
	global_store_short v[0:1], v3, off offset:640
	s_or_b32 exec_lo, exec_lo, s0
	s_and_saveexec_b32 s0, s11
	s_cbranch_execz .LBB663_139
.LBB663_172:
	s_waitcnt vmcnt(0)
	v_fma_f32 v3, -v2, v52, v28
	v_bfe_u32 v4, v3, 16, 1
	v_cmp_o_f32_e32 vcc_lo, v3, v3
	v_add3_u32 v3, v3, v4, 0x7fff
	v_mov_b32_e32 v4, 0x7fc0
	v_cndmask_b32_sdwa v3, v4, v3, vcc_lo dst_sel:DWORD dst_unused:UNUSED_PAD src0_sel:DWORD src1_sel:WORD_1
	global_store_short v[0:1], v3, off offset:704
	s_or_b32 exec_lo, exec_lo, s0
	s_and_saveexec_b32 s0, s12
	s_cbranch_execz .LBB663_140
.LBB663_173:
	s_waitcnt vmcnt(0)
	v_fma_f32 v3, -v2, v53, v27
	v_bfe_u32 v4, v3, 16, 1
	v_cmp_o_f32_e32 vcc_lo, v3, v3
	v_add3_u32 v3, v3, v4, 0x7fff
	v_mov_b32_e32 v4, 0x7fc0
	v_cndmask_b32_sdwa v3, v4, v3, vcc_lo dst_sel:DWORD dst_unused:UNUSED_PAD src0_sel:DWORD src1_sel:WORD_1
	global_store_short v[0:1], v3, off offset:768
	s_or_b32 exec_lo, exec_lo, s0
	s_and_saveexec_b32 s0, s13
	s_cbranch_execz .LBB663_141
.LBB663_174:
	s_waitcnt vmcnt(0)
	v_fma_f32 v3, -v2, v54, v26
	v_bfe_u32 v4, v3, 16, 1
	v_cmp_o_f32_e32 vcc_lo, v3, v3
	v_add3_u32 v3, v3, v4, 0x7fff
	v_mov_b32_e32 v4, 0x7fc0
	v_cndmask_b32_sdwa v3, v4, v3, vcc_lo dst_sel:DWORD dst_unused:UNUSED_PAD src0_sel:DWORD src1_sel:WORD_1
	global_store_short v[0:1], v3, off offset:832
	s_or_b32 exec_lo, exec_lo, s0
	s_and_saveexec_b32 s0, s14
	s_cbranch_execz .LBB663_142
.LBB663_175:
	s_waitcnt vmcnt(0)
	v_fma_f32 v3, -v2, v55, v25
	v_bfe_u32 v4, v3, 16, 1
	v_cmp_o_f32_e32 vcc_lo, v3, v3
	v_add3_u32 v3, v3, v4, 0x7fff
	v_mov_b32_e32 v4, 0x7fc0
	v_cndmask_b32_sdwa v3, v4, v3, vcc_lo dst_sel:DWORD dst_unused:UNUSED_PAD src0_sel:DWORD src1_sel:WORD_1
	global_store_short v[0:1], v3, off offset:896
	s_or_b32 exec_lo, exec_lo, s0
	s_and_saveexec_b32 s0, s15
	s_cbranch_execz .LBB663_143
.LBB663_176:
	s_waitcnt vmcnt(0)
	v_fma_f32 v3, -v2, v56, v24
	v_bfe_u32 v4, v3, 16, 1
	v_cmp_o_f32_e32 vcc_lo, v3, v3
	v_add3_u32 v3, v3, v4, 0x7fff
	v_mov_b32_e32 v4, 0x7fc0
	v_cndmask_b32_sdwa v3, v4, v3, vcc_lo dst_sel:DWORD dst_unused:UNUSED_PAD src0_sel:DWORD src1_sel:WORD_1
	global_store_short v[0:1], v3, off offset:960
	s_or_b32 exec_lo, exec_lo, s0
	s_and_saveexec_b32 s0, s16
	s_cbranch_execz .LBB663_144
.LBB663_177:
	s_waitcnt vmcnt(0)
	v_fma_f32 v3, -v2, v57, v23
	v_bfe_u32 v4, v3, 16, 1
	v_cmp_o_f32_e32 vcc_lo, v3, v3
	v_add3_u32 v3, v3, v4, 0x7fff
	v_mov_b32_e32 v4, 0x7fc0
	v_cndmask_b32_sdwa v3, v4, v3, vcc_lo dst_sel:DWORD dst_unused:UNUSED_PAD src0_sel:DWORD src1_sel:WORD_1
	global_store_short v[0:1], v3, off offset:1024
	s_or_b32 exec_lo, exec_lo, s0
	s_and_saveexec_b32 s0, s17
	s_cbranch_execz .LBB663_145
.LBB663_178:
	s_waitcnt vmcnt(0)
	v_fma_f32 v3, -v2, v58, v22
	v_bfe_u32 v4, v3, 16, 1
	v_cmp_o_f32_e32 vcc_lo, v3, v3
	v_add3_u32 v3, v3, v4, 0x7fff
	v_mov_b32_e32 v4, 0x7fc0
	v_cndmask_b32_sdwa v3, v4, v3, vcc_lo dst_sel:DWORD dst_unused:UNUSED_PAD src0_sel:DWORD src1_sel:WORD_1
	global_store_short v[0:1], v3, off offset:1088
	s_or_b32 exec_lo, exec_lo, s0
	s_and_saveexec_b32 s0, s18
	s_cbranch_execz .LBB663_146
.LBB663_179:
	s_waitcnt vmcnt(0)
	v_fma_f32 v3, -v2, v59, v21
	v_bfe_u32 v4, v3, 16, 1
	v_cmp_o_f32_e32 vcc_lo, v3, v3
	v_add3_u32 v3, v3, v4, 0x7fff
	v_mov_b32_e32 v4, 0x7fc0
	v_cndmask_b32_sdwa v3, v4, v3, vcc_lo dst_sel:DWORD dst_unused:UNUSED_PAD src0_sel:DWORD src1_sel:WORD_1
	global_store_short v[0:1], v3, off offset:1152
	s_or_b32 exec_lo, exec_lo, s0
	s_and_saveexec_b32 s0, s19
	s_cbranch_execz .LBB663_147
.LBB663_180:
	s_waitcnt vmcnt(0)
	v_fma_f32 v3, -v2, v60, v20
	v_bfe_u32 v4, v3, 16, 1
	v_cmp_o_f32_e32 vcc_lo, v3, v3
	v_add3_u32 v3, v3, v4, 0x7fff
	v_mov_b32_e32 v4, 0x7fc0
	v_cndmask_b32_sdwa v3, v4, v3, vcc_lo dst_sel:DWORD dst_unused:UNUSED_PAD src0_sel:DWORD src1_sel:WORD_1
	global_store_short v[0:1], v3, off offset:1216
	s_or_b32 exec_lo, exec_lo, s0
	s_and_saveexec_b32 s0, s20
	s_cbranch_execz .LBB663_148
.LBB663_181:
	s_waitcnt vmcnt(0)
	v_fma_f32 v3, -v2, v61, v19
	v_bfe_u32 v4, v3, 16, 1
	v_cmp_o_f32_e32 vcc_lo, v3, v3
	v_add3_u32 v3, v3, v4, 0x7fff
	v_mov_b32_e32 v4, 0x7fc0
	v_cndmask_b32_sdwa v3, v4, v3, vcc_lo dst_sel:DWORD dst_unused:UNUSED_PAD src0_sel:DWORD src1_sel:WORD_1
	global_store_short v[0:1], v3, off offset:1280
	s_or_b32 exec_lo, exec_lo, s0
	s_and_saveexec_b32 s0, s21
	s_cbranch_execz .LBB663_149
.LBB663_182:
	s_waitcnt vmcnt(0)
	v_fma_f32 v3, -v2, v62, v18
	v_bfe_u32 v4, v3, 16, 1
	v_cmp_o_f32_e32 vcc_lo, v3, v3
	v_add3_u32 v3, v3, v4, 0x7fff
	v_mov_b32_e32 v4, 0x7fc0
	v_cndmask_b32_sdwa v3, v4, v3, vcc_lo dst_sel:DWORD dst_unused:UNUSED_PAD src0_sel:DWORD src1_sel:WORD_1
	global_store_short v[0:1], v3, off offset:1344
	s_or_b32 exec_lo, exec_lo, s0
	s_and_saveexec_b32 s0, s22
	s_cbranch_execz .LBB663_150
.LBB663_183:
	s_waitcnt vmcnt(0)
	v_fma_f32 v3, -v2, v63, v17
	v_bfe_u32 v4, v3, 16, 1
	v_cmp_o_f32_e32 vcc_lo, v3, v3
	v_add3_u32 v3, v3, v4, 0x7fff
	v_mov_b32_e32 v4, 0x7fc0
	v_cndmask_b32_sdwa v3, v4, v3, vcc_lo dst_sel:DWORD dst_unused:UNUSED_PAD src0_sel:DWORD src1_sel:WORD_1
	global_store_short v[0:1], v3, off offset:1408
	s_or_b32 exec_lo, exec_lo, s0
	s_and_saveexec_b32 s0, s23
	s_cbranch_execz .LBB663_151
.LBB663_184:
	s_waitcnt vmcnt(0)
	v_fma_f32 v3, -v2, v64, v16
	v_bfe_u32 v4, v3, 16, 1
	v_cmp_o_f32_e32 vcc_lo, v3, v3
	v_add3_u32 v3, v3, v4, 0x7fff
	v_mov_b32_e32 v4, 0x7fc0
	v_cndmask_b32_sdwa v3, v4, v3, vcc_lo dst_sel:DWORD dst_unused:UNUSED_PAD src0_sel:DWORD src1_sel:WORD_1
	global_store_short v[0:1], v3, off offset:1472
	s_or_b32 exec_lo, exec_lo, s0
	s_and_saveexec_b32 s0, s24
	s_cbranch_execz .LBB663_152
.LBB663_185:
	s_waitcnt vmcnt(0)
	v_fma_f32 v3, -v2, v65, v15
	v_bfe_u32 v4, v3, 16, 1
	v_cmp_o_f32_e32 vcc_lo, v3, v3
	v_add3_u32 v3, v3, v4, 0x7fff
	v_mov_b32_e32 v4, 0x7fc0
	v_cndmask_b32_sdwa v3, v4, v3, vcc_lo dst_sel:DWORD dst_unused:UNUSED_PAD src0_sel:DWORD src1_sel:WORD_1
	global_store_short v[0:1], v3, off offset:1536
	s_or_b32 exec_lo, exec_lo, s0
	s_and_saveexec_b32 s0, s25
	s_cbranch_execz .LBB663_153
.LBB663_186:
	s_waitcnt vmcnt(0)
	v_fma_f32 v3, -v2, v66, v14
	v_bfe_u32 v4, v3, 16, 1
	v_cmp_o_f32_e32 vcc_lo, v3, v3
	v_add3_u32 v3, v3, v4, 0x7fff
	v_mov_b32_e32 v4, 0x7fc0
	v_cndmask_b32_sdwa v3, v4, v3, vcc_lo dst_sel:DWORD dst_unused:UNUSED_PAD src0_sel:DWORD src1_sel:WORD_1
	global_store_short v[0:1], v3, off offset:1600
	s_or_b32 exec_lo, exec_lo, s0
	s_and_saveexec_b32 s0, s26
	s_cbranch_execz .LBB663_154
.LBB663_187:
	s_waitcnt vmcnt(0)
	v_fma_f32 v3, -v2, v67, v13
	v_bfe_u32 v4, v3, 16, 1
	v_cmp_o_f32_e32 vcc_lo, v3, v3
	v_add3_u32 v3, v3, v4, 0x7fff
	v_mov_b32_e32 v4, 0x7fc0
	v_cndmask_b32_sdwa v3, v4, v3, vcc_lo dst_sel:DWORD dst_unused:UNUSED_PAD src0_sel:DWORD src1_sel:WORD_1
	global_store_short v[0:1], v3, off offset:1664
	s_or_b32 exec_lo, exec_lo, s0
	s_and_saveexec_b32 s0, s27
	s_cbranch_execz .LBB663_155
.LBB663_188:
	s_waitcnt vmcnt(0)
	v_fma_f32 v3, -v2, v68, v12
	v_bfe_u32 v4, v3, 16, 1
	v_cmp_o_f32_e32 vcc_lo, v3, v3
	v_add3_u32 v3, v3, v4, 0x7fff
	v_mov_b32_e32 v4, 0x7fc0
	v_cndmask_b32_sdwa v3, v4, v3, vcc_lo dst_sel:DWORD dst_unused:UNUSED_PAD src0_sel:DWORD src1_sel:WORD_1
	global_store_short v[0:1], v3, off offset:1728
	s_or_b32 exec_lo, exec_lo, s0
	s_and_saveexec_b32 s0, s28
	s_cbranch_execz .LBB663_156
.LBB663_189:
	s_waitcnt vmcnt(0)
	v_fma_f32 v3, -v2, v69, v10
	v_bfe_u32 v4, v3, 16, 1
	v_cmp_o_f32_e32 vcc_lo, v3, v3
	v_add3_u32 v3, v3, v4, 0x7fff
	v_mov_b32_e32 v4, 0x7fc0
	v_cndmask_b32_sdwa v3, v4, v3, vcc_lo dst_sel:DWORD dst_unused:UNUSED_PAD src0_sel:DWORD src1_sel:WORD_1
	global_store_short v[0:1], v3, off offset:1792
	s_or_b32 exec_lo, exec_lo, s0
	s_and_saveexec_b32 s0, s29
	s_cbranch_execz .LBB663_157
.LBB663_190:
	s_waitcnt vmcnt(0)
	v_fma_f32 v3, -v2, v70, v9
	v_bfe_u32 v4, v3, 16, 1
	v_cmp_o_f32_e32 vcc_lo, v3, v3
	v_add3_u32 v3, v3, v4, 0x7fff
	v_mov_b32_e32 v4, 0x7fc0
	v_cndmask_b32_sdwa v3, v4, v3, vcc_lo dst_sel:DWORD dst_unused:UNUSED_PAD src0_sel:DWORD src1_sel:WORD_1
	global_store_short v[0:1], v3, off offset:1856
	s_or_b32 exec_lo, exec_lo, s0
	s_and_saveexec_b32 s0, s30
	s_cbranch_execz .LBB663_158
.LBB663_191:
	s_waitcnt vmcnt(0)
	v_fma_f32 v3, -v2, v7, v8
	v_bfe_u32 v4, v3, 16, 1
	v_cmp_o_f32_e32 vcc_lo, v3, v3
	v_add3_u32 v3, v3, v4, 0x7fff
	v_mov_b32_e32 v4, 0x7fc0
	v_cndmask_b32_sdwa v3, v4, v3, vcc_lo dst_sel:DWORD dst_unused:UNUSED_PAD src0_sel:DWORD src1_sel:WORD_1
	global_store_short v[0:1], v3, off offset:1920
	s_or_b32 exec_lo, exec_lo, s0
	s_and_b32 exec_lo, exec_lo, s31
	s_cbranch_execnz .LBB663_159
	s_branch .LBB663_160
	.section	.rodata,"a",@progbits
	.p2align	6, 0x0
	.amdhsa_kernel _ZN12_GLOBAL__N_121softmax_warp_backwardIfN3c108BFloat16EfLi10ELb0ELb0ELi32EEEvPT0_PKT_S7_iiiPKb
		.amdhsa_group_segment_fixed_size 0
		.amdhsa_private_segment_fixed_size 0
		.amdhsa_kernarg_size 304
		.amdhsa_user_sgpr_count 6
		.amdhsa_user_sgpr_private_segment_buffer 1
		.amdhsa_user_sgpr_dispatch_ptr 0
		.amdhsa_user_sgpr_queue_ptr 0
		.amdhsa_user_sgpr_kernarg_segment_ptr 1
		.amdhsa_user_sgpr_dispatch_id 0
		.amdhsa_user_sgpr_flat_scratch_init 0
		.amdhsa_user_sgpr_private_segment_size 0
		.amdhsa_wavefront_size32 1
		.amdhsa_uses_dynamic_stack 0
		.amdhsa_system_sgpr_private_segment_wavefront_offset 0
		.amdhsa_system_sgpr_workgroup_id_x 1
		.amdhsa_system_sgpr_workgroup_id_y 0
		.amdhsa_system_sgpr_workgroup_id_z 0
		.amdhsa_system_sgpr_workgroup_info 0
		.amdhsa_system_vgpr_workitem_id 1
		.amdhsa_next_free_vgpr 74
		.amdhsa_next_free_sgpr 44
		.amdhsa_reserve_vcc 1
		.amdhsa_reserve_flat_scratch 0
		.amdhsa_float_round_mode_32 0
		.amdhsa_float_round_mode_16_64 0
		.amdhsa_float_denorm_mode_32 3
		.amdhsa_float_denorm_mode_16_64 3
		.amdhsa_dx10_clamp 1
		.amdhsa_ieee_mode 1
		.amdhsa_fp16_overflow 0
		.amdhsa_workgroup_processor_mode 1
		.amdhsa_memory_ordered 1
		.amdhsa_forward_progress 1
		.amdhsa_shared_vgpr_count 0
		.amdhsa_exception_fp_ieee_invalid_op 0
		.amdhsa_exception_fp_denorm_src 0
		.amdhsa_exception_fp_ieee_div_zero 0
		.amdhsa_exception_fp_ieee_overflow 0
		.amdhsa_exception_fp_ieee_underflow 0
		.amdhsa_exception_fp_ieee_inexact 0
		.amdhsa_exception_int_div_zero 0
	.end_amdhsa_kernel
	.section	.text._ZN12_GLOBAL__N_121softmax_warp_backwardIfN3c108BFloat16EfLi10ELb0ELb0ELi32EEEvPT0_PKT_S7_iiiPKb,"axG",@progbits,_ZN12_GLOBAL__N_121softmax_warp_backwardIfN3c108BFloat16EfLi10ELb0ELb0ELi32EEEvPT0_PKT_S7_iiiPKb,comdat
.Lfunc_end663:
	.size	_ZN12_GLOBAL__N_121softmax_warp_backwardIfN3c108BFloat16EfLi10ELb0ELb0ELi32EEEvPT0_PKT_S7_iiiPKb, .Lfunc_end663-_ZN12_GLOBAL__N_121softmax_warp_backwardIfN3c108BFloat16EfLi10ELb0ELb0ELi32EEEvPT0_PKT_S7_iiiPKb
                                        ; -- End function
	.set _ZN12_GLOBAL__N_121softmax_warp_backwardIfN3c108BFloat16EfLi10ELb0ELb0ELi32EEEvPT0_PKT_S7_iiiPKb.num_vgpr, 74
	.set _ZN12_GLOBAL__N_121softmax_warp_backwardIfN3c108BFloat16EfLi10ELb0ELb0ELi32EEEvPT0_PKT_S7_iiiPKb.num_agpr, 0
	.set _ZN12_GLOBAL__N_121softmax_warp_backwardIfN3c108BFloat16EfLi10ELb0ELb0ELi32EEEvPT0_PKT_S7_iiiPKb.numbered_sgpr, 44
	.set _ZN12_GLOBAL__N_121softmax_warp_backwardIfN3c108BFloat16EfLi10ELb0ELb0ELi32EEEvPT0_PKT_S7_iiiPKb.num_named_barrier, 0
	.set _ZN12_GLOBAL__N_121softmax_warp_backwardIfN3c108BFloat16EfLi10ELb0ELb0ELi32EEEvPT0_PKT_S7_iiiPKb.private_seg_size, 0
	.set _ZN12_GLOBAL__N_121softmax_warp_backwardIfN3c108BFloat16EfLi10ELb0ELb0ELi32EEEvPT0_PKT_S7_iiiPKb.uses_vcc, 1
	.set _ZN12_GLOBAL__N_121softmax_warp_backwardIfN3c108BFloat16EfLi10ELb0ELb0ELi32EEEvPT0_PKT_S7_iiiPKb.uses_flat_scratch, 0
	.set _ZN12_GLOBAL__N_121softmax_warp_backwardIfN3c108BFloat16EfLi10ELb0ELb0ELi32EEEvPT0_PKT_S7_iiiPKb.has_dyn_sized_stack, 0
	.set _ZN12_GLOBAL__N_121softmax_warp_backwardIfN3c108BFloat16EfLi10ELb0ELb0ELi32EEEvPT0_PKT_S7_iiiPKb.has_recursion, 0
	.set _ZN12_GLOBAL__N_121softmax_warp_backwardIfN3c108BFloat16EfLi10ELb0ELb0ELi32EEEvPT0_PKT_S7_iiiPKb.has_indirect_call, 0
	.section	.AMDGPU.csdata,"",@progbits
; Kernel info:
; codeLenInByte = 6220
; TotalNumSgprs: 46
; NumVgprs: 74
; ScratchSize: 0
; MemoryBound: 0
; FloatMode: 240
; IeeeMode: 1
; LDSByteSize: 0 bytes/workgroup (compile time only)
; SGPRBlocks: 0
; VGPRBlocks: 9
; NumSGPRsForWavesPerEU: 46
; NumVGPRsForWavesPerEU: 74
; Occupancy: 12
; WaveLimiterHint : 0
; COMPUTE_PGM_RSRC2:SCRATCH_EN: 0
; COMPUTE_PGM_RSRC2:USER_SGPR: 6
; COMPUTE_PGM_RSRC2:TRAP_HANDLER: 0
; COMPUTE_PGM_RSRC2:TGID_X_EN: 1
; COMPUTE_PGM_RSRC2:TGID_Y_EN: 0
; COMPUTE_PGM_RSRC2:TGID_Z_EN: 0
; COMPUTE_PGM_RSRC2:TIDIG_COMP_CNT: 1
	.section	.text._ZN2at6native12_GLOBAL__N_124cunn_SoftMaxBackwardSmemILi4EN3c108BFloat16EffNS1_23SoftMaxBackwardEpilogueEEEvPT0_PKT2_SA_l,"axG",@progbits,_ZN2at6native12_GLOBAL__N_124cunn_SoftMaxBackwardSmemILi4EN3c108BFloat16EffNS1_23SoftMaxBackwardEpilogueEEEvPT0_PKT2_SA_l,comdat
	.globl	_ZN2at6native12_GLOBAL__N_124cunn_SoftMaxBackwardSmemILi4EN3c108BFloat16EffNS1_23SoftMaxBackwardEpilogueEEEvPT0_PKT2_SA_l ; -- Begin function _ZN2at6native12_GLOBAL__N_124cunn_SoftMaxBackwardSmemILi4EN3c108BFloat16EffNS1_23SoftMaxBackwardEpilogueEEEvPT0_PKT2_SA_l
	.p2align	8
	.type	_ZN2at6native12_GLOBAL__N_124cunn_SoftMaxBackwardSmemILi4EN3c108BFloat16EffNS1_23SoftMaxBackwardEpilogueEEEvPT0_PKT2_SA_l,@function
_ZN2at6native12_GLOBAL__N_124cunn_SoftMaxBackwardSmemILi4EN3c108BFloat16EffNS1_23SoftMaxBackwardEpilogueEEEvPT0_PKT2_SA_l: ; @_ZN2at6native12_GLOBAL__N_124cunn_SoftMaxBackwardSmemILi4EN3c108BFloat16EffNS1_23SoftMaxBackwardEpilogueEEEvPT0_PKT2_SA_l
; %bb.0:
	s_load_dwordx8 s[8:15], s[4:5], 0x0
	v_mov_b32_e32 v2, 0
	v_lshlrev_b32_e32 v1, 2, v0
	v_lshl_add_u32 v5, v0, 4, 0
	s_waitcnt lgkmcnt(0)
	v_cmp_gt_i64_e32 vcc_lo, s[14:15], v[1:2]
	s_mul_i32 s0, s15, s6
	s_mul_hi_u32 s1, s14, s6
	s_mul_i32 s2, s14, s6
	s_add_i32 s3, s1, s0
	s_and_saveexec_b32 s1, vcc_lo
	s_cbranch_execz .LBB664_4
; %bb.1:
	s_load_dword s0, s[4:5], 0x2c
	s_lshl_b64 s[6:7], s[2:3], 2
	v_lshl_add_u32 v6, v0, 4, 0
	s_add_u32 s6, s12, s6
	s_addc_u32 s7, s13, s7
	v_mov_b32_e32 v2, 0
	v_mov_b32_e32 v3, v0
	s_mov_b32 s13, 0
	s_waitcnt lgkmcnt(0)
	s_and_b32 s12, s0, 0xffff
	v_add_lshl_u32 v1, v0, s12, 2
	s_lshl_b32 s16, s12, 2
	s_lshl_b32 s17, s12, 4
	.p2align	6
.LBB664_2:                              ; =>This Inner Loop Header: Depth=1
	v_ashrrev_i32_e32 v4, 31, v3
	v_lshlrev_b64 v[7:8], 4, v[3:4]
	v_add_nc_u32_e32 v3, s12, v3
	v_add_co_u32 v7, s0, s6, v7
	v_add_co_ci_u32_e64 v8, null, s7, v8, s0
	global_load_dwordx4 v[7:10], v[7:8], off
	s_waitcnt vmcnt(0)
	v_add_f32_e32 v2, v2, v7
	ds_write_b128 v6, v[7:10]
	v_add_nc_u32_e32 v6, s17, v6
	v_add_f32_e32 v4, v2, v8
	v_ashrrev_i32_e32 v2, 31, v1
	v_add_f32_e32 v4, v4, v9
	v_cmp_le_i64_e64 s0, s[14:15], v[1:2]
	v_add_nc_u32_e32 v1, s16, v1
	v_add_f32_e32 v2, v4, v10
	s_or_b32 s13, s0, s13
	s_andn2_b32 exec_lo, exec_lo, s13
	s_cbranch_execnz .LBB664_2
; %bb.3:
	s_or_b32 exec_lo, exec_lo, s13
.LBB664_4:
	s_or_b32 exec_lo, exec_lo, s1
	v_mbcnt_lo_u32_b32 v6, -1, 0
	s_lshl_b32 s1, s14, 2
	s_mov_b32 s6, exec_lo
	s_add_i32 s1, s1, 0
	s_waitcnt lgkmcnt(0)
	v_lshl_or_b32 v1, v6, 2, 64
	v_cmp_gt_u32_e64 s0, 24, v6
	s_barrier
	buffer_gl0_inv
	ds_bpermute_b32 v4, v1, v2
	v_cndmask_b32_e64 v3, 0, 8, s0
	v_cmp_gt_u32_e64 s0, 28, v6
	v_add_lshl_u32 v3, v3, v6, 2
	s_waitcnt lgkmcnt(0)
	v_add_f32_e32 v4, v2, v4
	v_cndmask_b32_e64 v2, 0, 4, s0
	v_cmp_gt_u32_e64 s0, 30, v6
	ds_bpermute_b32 v7, v3, v4
	v_add_lshl_u32 v2, v2, v6, 2
	s_waitcnt lgkmcnt(0)
	v_add_f32_e32 v7, v4, v7
	v_cndmask_b32_e64 v4, 0, 2, s0
	v_cmp_ne_u32_e64 s0, 31, v6
	ds_bpermute_b32 v8, v2, v7
	v_add_lshl_u32 v4, v4, v6, 2
	v_add_co_ci_u32_e64 v6, null, 0, v6, s0
	v_lshlrev_b32_e32 v6, 2, v6
	s_waitcnt lgkmcnt(0)
	v_add_f32_e32 v7, v7, v8
	ds_bpermute_b32 v8, v4, v7
	s_waitcnt lgkmcnt(0)
	v_add_f32_e32 v8, v7, v8
	v_and_b32_e32 v7, 31, v0
	ds_bpermute_b32 v9, v6, v8
	v_cmpx_eq_u32_e32 0, v7
	s_cbranch_execz .LBB664_6
; %bb.5:
	v_lshrrev_b32_e32 v10, 3, v0
	s_waitcnt lgkmcnt(0)
	v_add_f32_e32 v8, v8, v9
	v_add_nc_u32_e32 v10, s1, v10
	ds_write_b32 v10, v8
.LBB664_6:
	s_or_b32 exec_lo, exec_lo, s6
	s_waitcnt lgkmcnt(0)
	s_barrier
	buffer_gl0_inv
	s_load_dword s4, s[4:5], 0x2c
	v_mov_b32_e32 v8, 0
	s_mov_b32 s5, exec_lo
	s_waitcnt lgkmcnt(0)
	s_bfe_u32 s0, s4, 0xb0005
	v_cmpx_gt_u32_e64 s0, v0
; %bb.7:
	v_lshl_add_u32 v7, v7, 2, s1
	ds_read_b32 v8, v7
; %bb.8:
	s_or_b32 exec_lo, exec_lo, s5
	s_mov_b32 s5, exec_lo
	v_cmpx_gt_u32_e32 32, v0
	s_cbranch_execz .LBB664_10
; %bb.9:
	s_waitcnt lgkmcnt(0)
	ds_bpermute_b32 v1, v1, v8
	s_waitcnt lgkmcnt(0)
	v_add_f32_e32 v1, v8, v1
	ds_bpermute_b32 v3, v3, v1
	s_waitcnt lgkmcnt(0)
	v_add_f32_e32 v1, v1, v3
	;; [unrolled: 3-line block ×5, first 2 shown]
.LBB664_10:
	s_or_b32 exec_lo, exec_lo, s5
	s_mov_b32 s5, exec_lo
	v_cmpx_eq_u32_e32 0, v0
	s_cbranch_execz .LBB664_12
; %bb.11:
	v_mov_b32_e32 v1, s1
	s_waitcnt lgkmcnt(0)
	ds_write_b32 v1, v8
.LBB664_12:
	s_or_b32 exec_lo, exec_lo, s5
	s_waitcnt lgkmcnt(0)
	s_barrier
	buffer_gl0_inv
	s_and_saveexec_b32 s0, vcc_lo
	s_cbranch_execz .LBB664_15
; %bb.13:
	v_mov_b32_e32 v1, s1
	s_lshl_b64 s[0:1], s[2:3], 1
	s_and_b32 s4, 0xffff, s4
	s_add_u32 s5, s8, s0
	s_addc_u32 s6, s9, s1
	ds_read_b32 v4, v1
	s_lshl_b64 s[0:1], s[2:3], 2
	v_add_lshl_u32 v2, v0, s4, 2
	s_add_u32 s3, s10, s0
	s_addc_u32 s7, s11, s1
	s_lshl_b32 s8, s4, 2
	s_mov_b32 s9, 0
	s_lshl_b32 s10, s4, 4
.LBB664_14:                             ; =>This Inner Loop Header: Depth=1
	v_ashrrev_i32_e32 v1, 31, v0
	ds_read_b128 v[10:13], v5
	v_ashrrev_i32_e32 v3, 31, v2
	v_add_nc_u32_e32 v5, s10, v5
	v_lshlrev_b64 v[6:7], 4, v[0:1]
	v_lshlrev_b64 v[14:15], 3, v[0:1]
	v_add_nc_u32_e32 v0, s4, v0
	v_add_co_u32 v6, vcc_lo, s3, v6
	v_add_co_ci_u32_e64 v7, null, s7, v7, vcc_lo
	v_cmp_le_i64_e32 vcc_lo, s[14:15], v[2:3]
	v_add_nc_u32_e32 v2, s8, v2
	global_load_dwordx4 v[6:9], v[6:7], off
	s_or_b32 s9, vcc_lo, s9
	s_waitcnt vmcnt(0) lgkmcnt(0)
	v_fma_f32 v1, -v4, v6, v10
	v_fma_f32 v3, -v4, v7, v11
	;; [unrolled: 1-line block ×4, first 2 shown]
	v_bfe_u32 v8, v1, 16, 1
	v_bfe_u32 v9, v3, 16, 1
	;; [unrolled: 1-line block ×4, first 2 shown]
	v_cmp_o_f32_e64 s0, v7, v7
	v_add3_u32 v8, v1, v8, 0x7fff
	v_add3_u32 v9, v3, v9, 0x7fff
	;; [unrolled: 1-line block ×4, first 2 shown]
	v_cmp_o_f32_e64 s2, v6, v6
	v_lshrrev_b32_e32 v8, 16, v8
	v_and_b32_e32 v9, 0xffff0000, v9
	v_and_b32_e32 v10, 0xffff0000, v10
	v_lshrrev_b32_e32 v11, 16, v11
	v_cmp_o_f32_e64 s1, v1, v1
	v_cndmask_b32_e64 v1, 0x7fc00000, v10, s2
	v_cndmask_b32_e64 v6, 0x7fc0, v11, s0
	v_cmp_o_f32_e64 s0, v3, v3
	v_cndmask_b32_e64 v8, 0x7fc0, v8, s1
	v_or_b32_e32 v1, v1, v6
	v_cndmask_b32_e64 v3, 0x7fc00000, v9, s0
	v_add_co_u32 v6, s0, s5, v14
	v_add_co_ci_u32_e64 v7, null, s6, v15, s0
	v_or3_b32 v8, 0, v3, v8
	v_or3_b32 v9, v1, 0, 0
	global_store_dwordx2 v[6:7], v[8:9], off
	s_andn2_b32 exec_lo, exec_lo, s9
	s_cbranch_execnz .LBB664_14
.LBB664_15:
	s_endpgm
	.section	.rodata,"a",@progbits
	.p2align	6, 0x0
	.amdhsa_kernel _ZN2at6native12_GLOBAL__N_124cunn_SoftMaxBackwardSmemILi4EN3c108BFloat16EffNS1_23SoftMaxBackwardEpilogueEEEvPT0_PKT2_SA_l
		.amdhsa_group_segment_fixed_size 0
		.amdhsa_private_segment_fixed_size 0
		.amdhsa_kernarg_size 288
		.amdhsa_user_sgpr_count 6
		.amdhsa_user_sgpr_private_segment_buffer 1
		.amdhsa_user_sgpr_dispatch_ptr 0
		.amdhsa_user_sgpr_queue_ptr 0
		.amdhsa_user_sgpr_kernarg_segment_ptr 1
		.amdhsa_user_sgpr_dispatch_id 0
		.amdhsa_user_sgpr_flat_scratch_init 0
		.amdhsa_user_sgpr_private_segment_size 0
		.amdhsa_wavefront_size32 1
		.amdhsa_uses_dynamic_stack 0
		.amdhsa_system_sgpr_private_segment_wavefront_offset 0
		.amdhsa_system_sgpr_workgroup_id_x 1
		.amdhsa_system_sgpr_workgroup_id_y 0
		.amdhsa_system_sgpr_workgroup_id_z 0
		.amdhsa_system_sgpr_workgroup_info 0
		.amdhsa_system_vgpr_workitem_id 0
		.amdhsa_next_free_vgpr 16
		.amdhsa_next_free_sgpr 18
		.amdhsa_reserve_vcc 1
		.amdhsa_reserve_flat_scratch 0
		.amdhsa_float_round_mode_32 0
		.amdhsa_float_round_mode_16_64 0
		.amdhsa_float_denorm_mode_32 3
		.amdhsa_float_denorm_mode_16_64 3
		.amdhsa_dx10_clamp 1
		.amdhsa_ieee_mode 1
		.amdhsa_fp16_overflow 0
		.amdhsa_workgroup_processor_mode 1
		.amdhsa_memory_ordered 1
		.amdhsa_forward_progress 1
		.amdhsa_shared_vgpr_count 0
		.amdhsa_exception_fp_ieee_invalid_op 0
		.amdhsa_exception_fp_denorm_src 0
		.amdhsa_exception_fp_ieee_div_zero 0
		.amdhsa_exception_fp_ieee_overflow 0
		.amdhsa_exception_fp_ieee_underflow 0
		.amdhsa_exception_fp_ieee_inexact 0
		.amdhsa_exception_int_div_zero 0
	.end_amdhsa_kernel
	.section	.text._ZN2at6native12_GLOBAL__N_124cunn_SoftMaxBackwardSmemILi4EN3c108BFloat16EffNS1_23SoftMaxBackwardEpilogueEEEvPT0_PKT2_SA_l,"axG",@progbits,_ZN2at6native12_GLOBAL__N_124cunn_SoftMaxBackwardSmemILi4EN3c108BFloat16EffNS1_23SoftMaxBackwardEpilogueEEEvPT0_PKT2_SA_l,comdat
.Lfunc_end664:
	.size	_ZN2at6native12_GLOBAL__N_124cunn_SoftMaxBackwardSmemILi4EN3c108BFloat16EffNS1_23SoftMaxBackwardEpilogueEEEvPT0_PKT2_SA_l, .Lfunc_end664-_ZN2at6native12_GLOBAL__N_124cunn_SoftMaxBackwardSmemILi4EN3c108BFloat16EffNS1_23SoftMaxBackwardEpilogueEEEvPT0_PKT2_SA_l
                                        ; -- End function
	.set _ZN2at6native12_GLOBAL__N_124cunn_SoftMaxBackwardSmemILi4EN3c108BFloat16EffNS1_23SoftMaxBackwardEpilogueEEEvPT0_PKT2_SA_l.num_vgpr, 16
	.set _ZN2at6native12_GLOBAL__N_124cunn_SoftMaxBackwardSmemILi4EN3c108BFloat16EffNS1_23SoftMaxBackwardEpilogueEEEvPT0_PKT2_SA_l.num_agpr, 0
	.set _ZN2at6native12_GLOBAL__N_124cunn_SoftMaxBackwardSmemILi4EN3c108BFloat16EffNS1_23SoftMaxBackwardEpilogueEEEvPT0_PKT2_SA_l.numbered_sgpr, 18
	.set _ZN2at6native12_GLOBAL__N_124cunn_SoftMaxBackwardSmemILi4EN3c108BFloat16EffNS1_23SoftMaxBackwardEpilogueEEEvPT0_PKT2_SA_l.num_named_barrier, 0
	.set _ZN2at6native12_GLOBAL__N_124cunn_SoftMaxBackwardSmemILi4EN3c108BFloat16EffNS1_23SoftMaxBackwardEpilogueEEEvPT0_PKT2_SA_l.private_seg_size, 0
	.set _ZN2at6native12_GLOBAL__N_124cunn_SoftMaxBackwardSmemILi4EN3c108BFloat16EffNS1_23SoftMaxBackwardEpilogueEEEvPT0_PKT2_SA_l.uses_vcc, 1
	.set _ZN2at6native12_GLOBAL__N_124cunn_SoftMaxBackwardSmemILi4EN3c108BFloat16EffNS1_23SoftMaxBackwardEpilogueEEEvPT0_PKT2_SA_l.uses_flat_scratch, 0
	.set _ZN2at6native12_GLOBAL__N_124cunn_SoftMaxBackwardSmemILi4EN3c108BFloat16EffNS1_23SoftMaxBackwardEpilogueEEEvPT0_PKT2_SA_l.has_dyn_sized_stack, 0
	.set _ZN2at6native12_GLOBAL__N_124cunn_SoftMaxBackwardSmemILi4EN3c108BFloat16EffNS1_23SoftMaxBackwardEpilogueEEEvPT0_PKT2_SA_l.has_recursion, 0
	.set _ZN2at6native12_GLOBAL__N_124cunn_SoftMaxBackwardSmemILi4EN3c108BFloat16EffNS1_23SoftMaxBackwardEpilogueEEEvPT0_PKT2_SA_l.has_indirect_call, 0
	.section	.AMDGPU.csdata,"",@progbits
; Kernel info:
; codeLenInByte = 1128
; TotalNumSgprs: 20
; NumVgprs: 16
; ScratchSize: 0
; MemoryBound: 0
; FloatMode: 240
; IeeeMode: 1
; LDSByteSize: 0 bytes/workgroup (compile time only)
; SGPRBlocks: 0
; VGPRBlocks: 1
; NumSGPRsForWavesPerEU: 20
; NumVGPRsForWavesPerEU: 16
; Occupancy: 16
; WaveLimiterHint : 0
; COMPUTE_PGM_RSRC2:SCRATCH_EN: 0
; COMPUTE_PGM_RSRC2:USER_SGPR: 6
; COMPUTE_PGM_RSRC2:TRAP_HANDLER: 0
; COMPUTE_PGM_RSRC2:TGID_X_EN: 1
; COMPUTE_PGM_RSRC2:TGID_Y_EN: 0
; COMPUTE_PGM_RSRC2:TGID_Z_EN: 0
; COMPUTE_PGM_RSRC2:TIDIG_COMP_CNT: 0
	.section	.text._ZN2at6native12_GLOBAL__N_120cunn_SoftMaxBackwardILi4EN3c108BFloat16EffNS1_23SoftMaxBackwardEpilogueEEEvPT0_PKT2_SA_l,"axG",@progbits,_ZN2at6native12_GLOBAL__N_120cunn_SoftMaxBackwardILi4EN3c108BFloat16EffNS1_23SoftMaxBackwardEpilogueEEEvPT0_PKT2_SA_l,comdat
	.globl	_ZN2at6native12_GLOBAL__N_120cunn_SoftMaxBackwardILi4EN3c108BFloat16EffNS1_23SoftMaxBackwardEpilogueEEEvPT0_PKT2_SA_l ; -- Begin function _ZN2at6native12_GLOBAL__N_120cunn_SoftMaxBackwardILi4EN3c108BFloat16EffNS1_23SoftMaxBackwardEpilogueEEEvPT0_PKT2_SA_l
	.p2align	8
	.type	_ZN2at6native12_GLOBAL__N_120cunn_SoftMaxBackwardILi4EN3c108BFloat16EffNS1_23SoftMaxBackwardEpilogueEEEvPT0_PKT2_SA_l,@function
_ZN2at6native12_GLOBAL__N_120cunn_SoftMaxBackwardILi4EN3c108BFloat16EffNS1_23SoftMaxBackwardEpilogueEEEvPT0_PKT2_SA_l: ; @_ZN2at6native12_GLOBAL__N_120cunn_SoftMaxBackwardILi4EN3c108BFloat16EffNS1_23SoftMaxBackwardEpilogueEEEvPT0_PKT2_SA_l
; %bb.0:
	s_load_dwordx8 s[8:15], s[4:5], 0x0
	s_mov_b32 s3, 0
	s_waitcnt lgkmcnt(0)
	s_mul_i32 s0, s15, s6
	s_mul_hi_u32 s1, s14, s6
	s_mul_i32 s20, s14, s6
	s_add_i32 s21, s1, s0
	v_cmp_lt_i64_e64 s7, 0x7ffffffe, s[14:15]
	s_lshl_b64 s[26:27], s[20:21], 2
	s_mov_b64 s[18:19], s[14:15]
	s_add_u32 s16, s12, s26
	s_addc_u32 s17, s13, s27
	s_bfe_u32 s2, s16, 0x20002
	s_cmp_lg_u32 s2, 0
	s_cselect_b32 s30, -1, 0
	s_and_b32 vcc_lo, exec_lo, s7
	s_cbranch_vccz .LBB665_16
; %bb.1:
	v_mov_b32_e32 v1, 0
	s_add_u32 s0, s4, 32
	s_addc_u32 s1, s5, 0
	s_and_b32 vcc_lo, exec_lo, s30
	s_cbranch_vccz .LBB665_39
; %bb.2:
	s_lshl_b32 s0, s2, 2
	v_mov_b32_e32 v6, v1
	s_sub_u32 s24, s16, s0
	s_mov_b32 s28, 0
	s_subb_u32 s25, s17, 0
	s_mov_b32 s0, exec_lo
	v_cmpx_le_u64_e64 s[2:3], v[0:1]
	s_cbranch_execz .LBB665_4
; %bb.3:
	v_lshlrev_b32_e32 v2, 2, v0
	global_load_dword v2, v2, s[24:25]
	s_waitcnt vmcnt(0)
	v_add_f32_e32 v6, 0, v2
.LBB665_4:
	s_or_b32 exec_lo, exec_lo, s0
	s_load_dword s22, s[4:5], 0x2c
	s_add_u32 s23, s2, s14
	s_addc_u32 s29, 0, s15
	s_add_u32 s0, s4, 32
	s_addc_u32 s1, s5, 0
	s_waitcnt lgkmcnt(0)
	s_and_b32 s31, s22, 0xffff
	s_sub_u32 s22, s23, s31
	s_subb_u32 s23, s29, 0
	s_lshl_b32 s29, s31, 2
	s_add_u32 s24, s24, s29
	s_addc_u32 s25, s25, 0
	s_and_b32 vcc_lo, exec_lo, s28
	s_cbranch_vccz .LBB665_6
.LBB665_5:
	v_mov_b32_e32 v6, 0
	s_mov_b64 s[22:23], s[18:19]
	s_mov_b64 s[24:25], s[16:17]
.LBB665_6:
	s_load_dword s28, s[0:1], 0x0
	v_mov_b32_e32 v2, 0
	s_waitcnt lgkmcnt(0)
	s_cmp_lt_u32 s6, s28
	s_cselect_b32 s28, 12, 18
	s_add_u32 s0, s0, s28
	s_addc_u32 s1, s1, 0
	global_load_ushort v2, v2, s[0:1]
	s_mov_b32 s0, 0
	s_waitcnt vmcnt(0)
	v_readfirstlane_b32 s1, v2
	v_and_b32_e32 v7, 0xffff, v2
	s_and_b32 s28, 0xffff, s1
	s_mov_b32 s1, s23
	s_lshl_b32 s31, s28, 2
	s_cmp_lg_u64 s[0:1], 0
	s_cbranch_scc0 .LBB665_40
; %bb.7:
	v_cvt_f32_u32_e32 v2, s31
	s_sub_u32 s29, 0, s31
	s_subb_u32 s33, 0, 0
	v_fmamk_f32 v2, 0, 0x4f800000, v2
	v_rcp_f32_e32 v2, v2
	v_mul_f32_e32 v2, 0x5f7ffffc, v2
	v_mul_f32_e32 v3, 0x2f800000, v2
	v_trunc_f32_e32 v3, v3
	v_fmamk_f32 v2, v3, 0xcf800000, v2
	v_cvt_u32_f32_e32 v3, v3
	v_cvt_u32_f32_e32 v2, v2
	v_readfirstlane_b32 s1, v3
	v_readfirstlane_b32 s28, v2
	s_mul_i32 s34, s29, s1
	s_mul_hi_u32 s36, s29, s28
	s_mul_i32 s35, s33, s28
	s_add_i32 s34, s36, s34
	s_mul_i32 s37, s29, s28
	s_add_i32 s34, s34, s35
	s_mul_hi_u32 s36, s28, s37
	s_mul_i32 s39, s28, s34
	s_mul_hi_u32 s38, s1, s37
	s_mul_i32 s35, s1, s37
	s_mul_hi_u32 s37, s28, s34
	s_add_u32 s36, s36, s39
	s_addc_u32 s37, 0, s37
	s_mul_hi_u32 s40, s1, s34
	s_add_u32 s35, s36, s35
	s_mul_i32 s34, s1, s34
	s_addc_u32 s35, s37, s38
	s_addc_u32 s36, s40, 0
	s_add_u32 s34, s35, s34
	s_addc_u32 s35, 0, s36
	s_add_u32 s28, s28, s34
	s_cselect_b32 s34, -1, 0
	s_mul_hi_u32 s36, s29, s28
	s_cmp_lg_u32 s34, 0
	s_mul_i32 s34, s29, s28
	s_addc_u32 s1, s1, s35
	s_mul_i32 s33, s33, s28
	s_mul_i32 s29, s29, s1
	s_mul_hi_u32 s35, s28, s34
	s_add_i32 s29, s36, s29
	s_mul_hi_u32 s36, s1, s34
	s_add_i32 s29, s29, s33
	s_mul_i32 s33, s1, s34
	s_mul_i32 s38, s28, s29
	s_mul_hi_u32 s37, s28, s29
	s_add_u32 s35, s35, s38
	s_addc_u32 s37, 0, s37
	s_mul_hi_u32 s34, s1, s29
	s_add_u32 s33, s35, s33
	s_mul_i32 s29, s1, s29
	s_addc_u32 s33, s37, s36
	s_addc_u32 s34, s34, 0
	s_add_u32 s29, s33, s29
	s_addc_u32 s33, 0, s34
	s_add_u32 s28, s28, s29
	s_cselect_b32 s29, -1, 0
	s_mul_hi_u32 s34, s22, s28
	s_cmp_lg_u32 s29, 0
	s_mul_hi_u32 s29, s23, s28
	s_addc_u32 s1, s1, s33
	s_mul_i32 s28, s23, s28
	s_mul_i32 s35, s22, s1
	s_mul_hi_u32 s33, s22, s1
	s_add_u32 s34, s34, s35
	s_addc_u32 s33, 0, s33
	s_mul_hi_u32 s36, s23, s1
	s_add_u32 s28, s34, s28
	s_mul_i32 s1, s23, s1
	s_addc_u32 s28, s33, s29
	s_addc_u32 s29, s36, 0
	s_add_u32 s1, s28, s1
	s_addc_u32 s28, 0, s29
	s_mul_hi_u32 s29, s31, s1
	s_mul_i32 s28, s31, s28
	s_mul_i32 s1, s31, s1
	s_add_i32 s29, s29, s28
	s_sub_u32 s1, s22, s1
	s_cselect_b32 s28, -1, 0
	s_cmp_lg_u32 s28, 0
	s_subb_u32 s28, s23, s29
	s_sub_u32 s29, s1, s31
	s_cselect_b32 s33, -1, 0
	s_cmp_lg_u32 s33, 0
	s_subb_u32 s33, s28, 0
	;; [unrolled: 4-line block ×3, first 2 shown]
	s_cmp_ge_u32 s29, s31
	s_cselect_b32 s36, -1, 0
	s_cmp_eq_u32 s33, 0
	s_cselect_b32 s36, s36, -1
	s_cmp_lg_u32 s36, 0
	s_cselect_b32 s33, s35, s33
	s_cselect_b32 s34, s34, s29
	s_cmp_ge_u32 s1, s31
	s_cselect_b32 s29, -1, 0
	s_cmp_eq_u32 s28, 0
	s_cselect_b32 s29, s29, -1
	s_cmp_lg_u32 s29, 0
	s_cselect_b32 s29, s33, s28
	s_cselect_b32 s28, s34, s1
	s_andn2_b32 vcc_lo, exec_lo, s0
	s_cbranch_vccnz .LBB665_9
.LBB665_8:
	v_cvt_f32_u32_e32 v2, s31
	s_sub_i32 s1, 0, s31
	s_mov_b32 s29, 0
	v_rcp_iflag_f32_e32 v2, v2
	v_mul_f32_e32 v2, 0x4f7ffffe, v2
	v_cvt_u32_f32_e32 v2, v2
	v_readfirstlane_b32 s0, v2
	s_mul_i32 s1, s1, s0
	s_mul_hi_u32 s1, s0, s1
	s_add_i32 s0, s0, s1
	s_mul_hi_u32 s0, s22, s0
	s_mul_i32 s0, s0, s31
	s_sub_i32 s0, s22, s0
	s_sub_i32 s1, s0, s31
	s_cmp_ge_u32 s0, s31
	s_cselect_b32 s0, s1, s0
	s_sub_i32 s1, s0, s31
	s_cmp_ge_u32 s0, s31
	s_cselect_b32 s28, s1, s0
.LBB665_9:
	v_lshlrev_b32_e32 v2, 4, v0
	v_mov_b32_e32 v5, v1
	v_lshlrev_b32_e32 v8, 4, v7
	v_mov_b32_e32 v4, v0
	s_sub_u32 s28, s22, s28
	v_add_co_u32 v2, s0, s24, v2
	v_add_co_ci_u32_e64 v3, null, s25, 0, s0
	s_subb_u32 s29, s23, s29
	v_add_co_u32 v2, vcc_lo, v2, 8
	v_add_co_ci_u32_e64 v3, null, 0, v3, vcc_lo
	s_mov_b32 s1, 0
	.p2align	6
.LBB665_10:                             ; =>This Inner Loop Header: Depth=1
	global_load_dwordx4 v[9:12], v[2:3], off offset:-8
	v_add_co_u32 v4, vcc_lo, v4, v7
	v_add_co_ci_u32_e64 v5, null, 0, v5, vcc_lo
	v_add_co_u32 v2, s0, v2, v8
	v_add_co_ci_u32_e64 v3, null, 0, v3, s0
	v_lshlrev_b64 v[13:14], 2, v[4:5]
	v_cmp_le_i64_e32 vcc_lo, s[28:29], v[13:14]
	s_or_b32 s1, vcc_lo, s1
	s_waitcnt vmcnt(0)
	v_add_f32_e32 v1, v6, v9
	v_add_f32_e32 v1, v1, v10
	;; [unrolled: 1-line block ×4, first 2 shown]
	s_andn2_b32 exec_lo, exec_lo, s1
	s_cbranch_execnz .LBB665_10
; %bb.11:
	s_or_b32 exec_lo, exec_lo, s1
	v_add_co_u32 v1, s0, s28, v0
	v_add_co_ci_u32_e64 v2, null, s29, 0, s0
	s_mov_b32 s0, exec_lo
	v_cmpx_gt_u64_e64 s[22:23], v[1:2]
	s_cbranch_execz .LBB665_15
; %bb.12:
	s_mov_b32 s1, 0
	.p2align	6
.LBB665_13:                             ; =>This Inner Loop Header: Depth=1
	v_lshlrev_b64 v[3:4], 2, v[1:2]
	v_add_co_u32 v3, vcc_lo, s24, v3
	v_add_co_ci_u32_e64 v4, null, s25, v4, vcc_lo
	v_add_co_u32 v1, vcc_lo, v1, v7
	v_add_co_ci_u32_e64 v2, null, 0, v2, vcc_lo
	global_load_dword v3, v[3:4], off
	v_cmp_le_i64_e32 vcc_lo, s[22:23], v[1:2]
	s_or_b32 s1, vcc_lo, s1
	s_waitcnt vmcnt(0)
	v_add_f32_e32 v6, v6, v3
	s_andn2_b32 exec_lo, exec_lo, s1
	s_cbranch_execnz .LBB665_13
; %bb.14:
	s_or_b32 exec_lo, exec_lo, s1
.LBB665_15:
	s_or_b32 exec_lo, exec_lo, s0
	s_branch .LBB665_31
.LBB665_16:
                                        ; implicit-def: $vgpr6
	s_cbranch_execz .LBB665_31
; %bb.17:
	s_add_u32 s22, s4, 32
	s_addc_u32 s23, s5, 0
	s_and_b32 vcc_lo, exec_lo, s30
	s_cbranch_vccz .LBB665_41
; %bb.18:
	s_lshl_b64 s[0:1], s[2:3], 2
	v_cmp_le_u32_e32 vcc_lo, s2, v0
	s_sub_u32 s24, s16, s0
	s_subb_u32 s25, s17, s1
	s_add_i32 s1, s2, s14
	v_mov_b32_e32 v6, 0
	v_cmp_gt_i32_e64 s0, s1, v0
	s_and_b32 s22, vcc_lo, s0
	s_and_saveexec_b32 s0, s22
	s_cbranch_execz .LBB665_20
; %bb.19:
	v_lshlrev_b32_e32 v1, 2, v0
	global_load_dword v1, v1, s[24:25]
	s_waitcnt vmcnt(0)
	v_add_f32_e32 v6, 0, v1
.LBB665_20:
	s_or_b32 exec_lo, exec_lo, s0
	s_load_dword s0, s[4:5], 0x2c
	s_add_u32 s22, s4, 32
	s_addc_u32 s23, s5, 0
	s_waitcnt lgkmcnt(0)
	s_and_b32 s0, s0, 0xffff
	v_sub_nc_u32_e64 v1, s1, s0 clamp
	s_lshl_b32 s0, s0, 2
	s_add_u32 s0, s24, s0
	s_addc_u32 s1, s25, 0
	v_readfirstlane_b32 s28, v1
	s_branch .LBB665_22
.LBB665_21:
	v_mov_b32_e32 v6, 0
	s_mov_b32 s28, s14
	s_mov_b64 s[0:1], s[16:17]
.LBB665_22:
	s_load_dword s24, s[22:23], 0x0
	v_mov_b32_e32 v1, 0
	s_waitcnt lgkmcnt(0)
	s_cmp_lt_u32 s6, s24
	s_cselect_b32 s24, 12, 18
	s_add_u32 s22, s22, s24
	s_addc_u32 s23, s23, 0
	global_load_ushort v3, v1, s[22:23]
	s_waitcnt vmcnt(0)
	v_readfirstlane_b32 s22, v3
	s_lshl_b32 s22, s22, 2
	v_cvt_f32_u32_e32 v1, s22
	s_sub_i32 s24, 0, s22
	v_rcp_iflag_f32_e32 v1, v1
	v_mul_f32_e32 v1, 0x4f7ffffe, v1
	v_cvt_u32_f32_e32 v1, v1
	v_readfirstlane_b32 s23, v1
	v_lshlrev_b32_e32 v1, 2, v0
	s_mul_i32 s24, s24, s23
	s_mul_hi_u32 s24, s23, s24
	s_add_i32 s23, s23, s24
	s_mul_hi_u32 s23, s28, s23
	s_mul_i32 s23, s23, s22
	s_sub_i32 s23, s28, s23
	s_sub_i32 s24, s23, s22
	s_cmp_ge_u32 s23, s22
	s_cselect_b32 s23, s24, s23
	s_sub_i32 s24, s23, s22
	s_cmp_ge_u32 s23, s22
	s_cselect_b32 s22, s24, s23
	s_mov_b32 s24, 0
	s_sub_i32 s22, s28, s22
	s_mov_b32 s23, exec_lo
	v_cmpx_gt_i32_e64 s22, v1
	s_cbranch_execz .LBB665_26
; %bb.23:
	v_mov_b32_e32 v1, v0
	.p2align	6
.LBB665_24:                             ; =>This Inner Loop Header: Depth=1
	v_ashrrev_i32_e32 v2, 31, v1
	v_lshlrev_b64 v[4:5], 4, v[1:2]
	v_add_nc_u32_e32 v1, v1, v3
	v_add_co_u32 v4, vcc_lo, s0, v4
	v_add_co_ci_u32_e64 v5, null, s1, v5, vcc_lo
	global_load_dwordx4 v[7:10], v[4:5], off
	v_lshlrev_b32_e32 v4, 2, v1
	v_cmp_le_i32_e32 vcc_lo, s22, v4
	s_or_b32 s24, vcc_lo, s24
	s_waitcnt vmcnt(0)
	v_add_f32_e32 v2, v6, v7
	v_add_f32_e32 v2, v2, v8
	;; [unrolled: 1-line block ×4, first 2 shown]
	s_andn2_b32 exec_lo, exec_lo, s24
	s_cbranch_execnz .LBB665_24
; %bb.25:
	s_or_b32 exec_lo, exec_lo, s24
.LBB665_26:
	s_or_b32 exec_lo, exec_lo, s23
	v_add_nc_u32_e32 v1, s22, v0
	s_mov_b32 s22, exec_lo
	v_cmpx_gt_i32_e64 s28, v1
	s_cbranch_execz .LBB665_30
; %bb.27:
	s_mov_b32 s23, 0
.LBB665_28:                             ; =>This Inner Loop Header: Depth=1
	v_ashrrev_i32_e32 v2, 31, v1
	v_lshlrev_b64 v[4:5], 2, v[1:2]
	v_add_nc_u32_e32 v1, v1, v3
	v_add_co_u32 v4, vcc_lo, s0, v4
	v_add_co_ci_u32_e64 v5, null, s1, v5, vcc_lo
	v_cmp_le_i32_e32 vcc_lo, s28, v1
	global_load_dword v2, v[4:5], off
	s_or_b32 s23, vcc_lo, s23
	s_waitcnt vmcnt(0)
	v_add_f32_e32 v6, v6, v2
	s_andn2_b32 exec_lo, exec_lo, s23
	s_cbranch_execnz .LBB665_28
; %bb.29:
	s_or_b32 exec_lo, exec_lo, s23
.LBB665_30:
	s_or_b32 exec_lo, exec_lo, s22
.LBB665_31:
	v_lshl_add_u32 v1, v0, 2, 0
	s_barrier
	buffer_gl0_inv
	ds_write_b32 v1, v6
	s_waitcnt lgkmcnt(0)
	s_barrier
	buffer_gl0_inv
	s_load_dword s1, s[4:5], 0x2c
	s_add_u32 s4, s4, 32
	s_addc_u32 s5, s5, 0
	s_waitcnt lgkmcnt(0)
	s_bfe_u32 s0, s1, 0xb0005
	s_and_b32 s0, s0, 0xffff
	s_min_u32 s22, s0, 32
	v_cmp_gt_u32_e32 vcc_lo, s22, v0
	s_and_saveexec_b32 s22, vcc_lo
	s_cbranch_execz .LBB665_33
; %bb.32:
	v_mad_u32_u24 v10, 0x7c, v0, v1
	ds_read2_b32 v[2:3], v10 offset1:1
	ds_read2_b32 v[4:5], v10 offset0:2 offset1:3
	ds_read2_b32 v[6:7], v10 offset0:4 offset1:5
	;; [unrolled: 1-line block ×3, first 2 shown]
	s_waitcnt lgkmcnt(3)
	v_add_f32_e32 v2, 0, v2
	v_add_f32_e32 v2, v2, v3
	s_waitcnt lgkmcnt(2)
	v_add_f32_e32 v2, v2, v4
	v_add_f32_e32 v4, v2, v5
	ds_read2_b32 v[2:3], v10 offset0:8 offset1:9
	s_waitcnt lgkmcnt(2)
	v_add_f32_e32 v4, v4, v6
	v_add_f32_e32 v6, v4, v7
	ds_read2_b32 v[4:5], v10 offset0:10 offset1:11
	;; [unrolled: 4-line block ×3, first 2 shown]
	ds_read2_b32 v[8:9], v10 offset0:14 offset1:15
	s_waitcnt lgkmcnt(3)
	v_add_f32_e32 v2, v11, v2
	v_add_f32_e32 v2, v2, v3
	s_waitcnt lgkmcnt(2)
	v_add_f32_e32 v2, v2, v4
	v_add_f32_e32 v4, v2, v5
	ds_read2_b32 v[2:3], v10 offset0:16 offset1:17
	s_waitcnt lgkmcnt(2)
	v_add_f32_e32 v4, v4, v6
	v_add_f32_e32 v6, v4, v7
	ds_read2_b32 v[4:5], v10 offset0:18 offset1:19
	s_waitcnt lgkmcnt(2)
	v_add_f32_e32 v6, v6, v8
	v_add_f32_e32 v11, v6, v9
	ds_read2_b32 v[6:7], v10 offset0:20 offset1:21
	ds_read2_b32 v[8:9], v10 offset0:22 offset1:23
	s_waitcnt lgkmcnt(3)
	v_add_f32_e32 v2, v11, v2
	v_add_f32_e32 v2, v2, v3
	s_waitcnt lgkmcnt(2)
	v_add_f32_e32 v2, v2, v4
	v_add_f32_e32 v2, v2, v5
	s_waitcnt lgkmcnt(1)
	v_add_f32_e32 v4, v2, v6
	ds_read2_b32 v[2:3], v10 offset0:24 offset1:25
	v_add_f32_e32 v4, v4, v7
	s_waitcnt lgkmcnt(1)
	v_add_f32_e32 v6, v4, v8
	ds_read2_b32 v[4:5], v10 offset0:26 offset1:27
	v_add_f32_e32 v11, v6, v9
	ds_read2_b32 v[6:7], v10 offset0:28 offset1:29
	ds_read2_b32 v[8:9], v10 offset0:30 offset1:31
	s_waitcnt lgkmcnt(3)
	v_add_f32_e32 v2, v11, v2
	v_add_f32_e32 v2, v2, v3
	s_waitcnt lgkmcnt(2)
	v_add_f32_e32 v2, v2, v4
	v_add_f32_e32 v2, v2, v5
	;; [unrolled: 3-line block ×4, first 2 shown]
	ds_write_b32 v1, v2
.LBB665_33:
	s_or_b32 exec_lo, exec_lo, s22
	s_and_b32 s33, 0xffff, s1
	s_mov_b32 s1, exec_lo
	s_waitcnt lgkmcnt(0)
	s_barrier
	buffer_gl0_inv
	v_cmpx_eq_u32_e32 0, v0
	s_cbranch_execz .LBB665_46
; %bb.34:
	v_mov_b32_e32 v1, 0
	s_cmp_lt_u32 s33, 32
	s_cbranch_scc1 .LBB665_45
; %bb.35:
	s_add_i32 s22, s0, -1
	v_mov_b32_e32 v1, 0
	s_and_b32 s22, s22, 0xffff
	s_cmp_lt_u32 s22, 7
	s_cbranch_scc1 .LBB665_42
; %bb.36:
	s_and_b32 s22, s0, 0x7f8
	s_mov_b32 s23, 0
	s_mov_b32 s24, 0
	.p2align	6
.LBB665_37:                             ; =>This Inner Loop Header: Depth=1
	v_mov_b32_e32 v8, s24
	s_add_i32 s23, s23, 8
	s_add_i32 s24, s24, 32
	s_cmp_eq_u32 s22, s23
	ds_read2_b32 v[2:3], v8 offset1:1
	ds_read2_b32 v[4:5], v8 offset0:2 offset1:3
	ds_read2_b32 v[6:7], v8 offset0:4 offset1:5
	;; [unrolled: 1-line block ×3, first 2 shown]
	s_waitcnt lgkmcnt(3)
	v_add_f32_e32 v1, v1, v2
	v_add_f32_e32 v1, v1, v3
	s_waitcnt lgkmcnt(2)
	v_add_f32_e32 v1, v1, v4
	v_add_f32_e32 v1, v1, v5
	;; [unrolled: 3-line block ×4, first 2 shown]
	s_cbranch_scc0 .LBB665_37
; %bb.38:
	s_and_b32 s0, s0, 7
	s_cmp_eq_u32 s0, 0
	s_cbranch_scc0 .LBB665_43
	s_branch .LBB665_45
.LBB665_39:
                                        ; implicit-def: $sgpr24_sgpr25
                                        ; implicit-def: $sgpr22_sgpr23
                                        ; implicit-def: $vgpr6
	s_cbranch_execnz .LBB665_5
	s_branch .LBB665_6
.LBB665_40:
                                        ; implicit-def: $sgpr28_sgpr29
	s_branch .LBB665_8
.LBB665_41:
                                        ; implicit-def: $sgpr0_sgpr1
                                        ; implicit-def: $sgpr28
                                        ; implicit-def: $vgpr6
	s_cbranch_execnz .LBB665_21
	s_branch .LBB665_22
.LBB665_42:
	s_mov_b32 s22, 0
	s_and_b32 s0, s0, 7
	s_cmp_eq_u32 s0, 0
	s_cbranch_scc1 .LBB665_45
.LBB665_43:
	s_lshl_b32 s22, s22, 2
	s_add_i32 s22, s22, 0
.LBB665_44:                             ; =>This Inner Loop Header: Depth=1
	v_mov_b32_e32 v2, s22
	s_add_i32 s0, s0, -1
	s_add_i32 s22, s22, 4
	s_cmp_lg_u32 s0, 0
	ds_read_b32 v2, v2
	s_waitcnt lgkmcnt(0)
	v_add_f32_e32 v1, v1, v2
	s_cbranch_scc1 .LBB665_44
.LBB665_45:
	v_mov_b32_e32 v2, 0
	ds_write_b32 v2, v1
.LBB665_46:
	s_or_b32 exec_lo, exec_lo, s1
	v_mov_b32_e32 v1, 0
	s_waitcnt lgkmcnt(0)
	s_barrier
	buffer_gl0_inv
	s_lshl_b64 s[28:29], s[20:21], 1
	ds_read_b32 v8, v1
	s_add_u32 s20, s8, s28
	s_addc_u32 s21, s9, s29
	s_add_u32 s22, s10, s26
	s_addc_u32 s23, s11, s27
	s_lshr_b64 s[0:1], s[20:21], 1
	s_mov_b32 s25, 0
	s_and_b32 s24, s0, 7
	s_bfe_u32 s0, s22, 0x20002
	s_mov_b32 s1, s25
	s_cmp_eq_u64 s[24:25], s[0:1]
	s_cselect_b32 s0, -1, 0
	s_cmp_eq_u64 s[24:25], s[2:3]
	s_cselect_b32 s1, -1, 0
	s_and_b32 s0, s0, s1
	s_andn2_b32 vcc_lo, exec_lo, s0
	s_mov_b32 s0, -1
	s_cbranch_vccz .LBB665_65
; %bb.47:
	s_and_b32 vcc_lo, exec_lo, s7
	s_cbranch_vccz .LBB665_56
; %bb.48:
	s_lshl_b32 s40, s33, 2
	s_mov_b32 s42, 0
	v_cvt_f32_u32_e32 v1, s40
	s_sub_i32 s1, 0, s40
	s_mov_b32 s41, exec_lo
	v_rcp_iflag_f32_e32 v1, v1
	v_mul_f32_e32 v1, 0x4f7ffffe, v1
	v_cvt_u32_f32_e32 v1, v1
	v_readfirstlane_b32 s0, v1
	v_mov_b32_e32 v1, 0
	s_mul_i32 s1, s1, s0
	v_mov_b32_e32 v3, v1
	s_mul_hi_u32 s1, s0, s1
	v_mov_b32_e32 v2, v0
	s_add_i32 s0, s0, s1
	s_mul_hi_u32 s0, s14, s0
	s_mul_i32 s0, s0, s40
	s_sub_i32 s0, s14, s0
	s_sub_i32 s1, s0, s40
	s_cmp_ge_u32 s0, s40
	s_cselect_b32 s0, s1, s0
	s_sub_i32 s1, s0, s40
	s_cmp_ge_u32 s0, s40
	s_cselect_b32 s0, s1, s0
	s_bfe_i64 s[30:31], s[14:15], 0x200000
	s_sub_u32 s34, s30, s0
	s_subb_u32 s35, s31, 0
	v_cmpx_gt_i64_e64 s[34:35], v[0:1]
	s_cbranch_execz .LBB665_52
; %bb.49:
	s_lshl_b32 s43, s33, 1
	s_lshl_b32 s44, s33, 4
	s_add_u32 s0, s26, s40
	s_addc_u32 s1, s27, 0
	s_add_u32 s45, s10, s0
	s_addc_u32 s46, s11, s1
	s_lshl_b32 s47, s33, 3
	s_mul_i32 s36, s33, 12
	s_add_u32 s2, s26, s47
	s_addc_u32 s3, s27, 0
	s_add_u32 s48, s10, s2
	s_addc_u32 s49, s11, s3
	;; [unrolled: 2-line block ×5, first 2 shown]
	s_add_u32 s54, s12, s2
	v_lshlrev_b64 v[2:3], 1, v[0:1]
	s_addc_u32 s55, s13, s3
	s_add_u32 s56, s12, s36
	s_addc_u32 s57, s13, s37
	s_add_u32 s0, s8, s28
	s_addc_u32 s1, s9, s29
	v_add_co_u32 v6, vcc_lo, s0, v2
	v_lshlrev_b64 v[4:5], 2, v[0:1]
	v_add_co_ci_u32_e64 v7, null, s1, v3, vcc_lo
	v_mov_b32_e32 v3, v1
	v_mov_b32_e32 v2, v0
	s_mul_i32 s58, s33, 6
	s_mov_b64 s[36:37], s[16:17]
	s_mov_b64 s[38:39], s[22:23]
.LBB665_50:                             ; =>This Inner Loop Header: Depth=1
	v_add_co_u32 v9, vcc_lo, s38, v4
	v_add_co_ci_u32_e64 v10, null, s39, v5, vcc_lo
	v_add_co_u32 v11, vcc_lo, s36, v4
	v_add_co_ci_u32_e64 v12, null, s37, v5, vcc_lo
	;; [unrolled: 2-line block ×8, first 2 shown]
	global_load_dword v1, v[9:10], off
	global_load_dword v25, v[11:12], off
	;; [unrolled: 1-line block ×8, first 2 shown]
	v_add_co_u32 v9, vcc_lo, v6, s43
	v_add_co_ci_u32_e64 v10, null, 0, v7, vcc_lo
	v_add_co_u32 v11, vcc_lo, v6, s40
	s_add_u32 s38, s38, s44
	v_add_co_ci_u32_e64 v12, null, 0, v7, vcc_lo
	v_add_co_u32 v13, vcc_lo, v6, s58
	s_addc_u32 s39, s39, 0
	s_add_u32 s45, s45, s44
	v_add_co_ci_u32_e64 v14, null, 0, v7, vcc_lo
	v_add_co_u32 v2, vcc_lo, v2, s40
	s_addc_u32 s46, s46, 0
	s_add_u32 s48, s48, s44
	v_add_co_ci_u32_e64 v3, null, 0, v3, vcc_lo
	s_addc_u32 s49, s49, 0
	s_add_u32 s50, s50, s44
	s_addc_u32 s51, s51, 0
	s_add_u32 s36, s36, s44
	s_addc_u32 s37, s37, 0
	v_cmp_le_i64_e32 vcc_lo, s[34:35], v[2:3]
	s_add_u32 s52, s52, s44
	s_addc_u32 s53, s53, 0
	s_add_u32 s54, s54, s44
	s_addc_u32 s55, s55, 0
	;; [unrolled: 2-line block ×3, first 2 shown]
	s_or_b32 s42, vcc_lo, s42
	s_waitcnt vmcnt(6) lgkmcnt(0)
	v_fma_f32 v1, -v8, v1, v25
	s_waitcnt vmcnt(4)
	v_fma_f32 v15, -v8, v26, v15
	s_waitcnt vmcnt(2)
	v_fma_f32 v16, -v8, v16, v17
	v_cmp_o_f32_e64 s3, v1, v1
	s_waitcnt vmcnt(0)
	v_fma_f32 v17, -v8, v18, v19
	v_bfe_u32 v18, v1, 16, 1
	v_bfe_u32 v19, v15, 16, 1
	;; [unrolled: 1-line block ×3, first 2 shown]
	v_cmp_o_f32_e64 s0, v15, v15
	v_bfe_u32 v21, v17, 16, 1
	v_add3_u32 v18, v1, v18, 0x7fff
	v_add3_u32 v19, v15, v19, 0x7fff
	;; [unrolled: 1-line block ×3, first 2 shown]
	v_cmp_o_f32_e64 s1, v16, v16
	v_add3_u32 v21, v17, v21, 0x7fff
	v_lshrrev_b32_e32 v18, 16, v18
	v_lshrrev_b32_e32 v19, 16, v19
	;; [unrolled: 1-line block ×3, first 2 shown]
	v_cmp_o_f32_e64 s2, v17, v17
	v_lshrrev_b32_e32 v16, 16, v21
	v_cndmask_b32_e64 v1, 0x7fc0, v18, s3
	v_cndmask_b32_e64 v17, 0x7fc0, v19, s0
	;; [unrolled: 1-line block ×4, first 2 shown]
	global_store_short v[6:7], v1, off
	v_add_co_u32 v6, s0, v6, s47
	v_add_co_ci_u32_e64 v7, null, 0, v7, s0
	global_store_short v[9:10], v17, off
	global_store_short v[11:12], v15, off
	;; [unrolled: 1-line block ×3, first 2 shown]
	s_andn2_b32 exec_lo, exec_lo, s42
	s_cbranch_execnz .LBB665_50
; %bb.51:
	s_or_b32 exec_lo, exec_lo, s42
.LBB665_52:
	s_or_b32 exec_lo, exec_lo, s41
	s_mov_b32 s1, exec_lo
	v_cmpx_gt_i64_e64 s[30:31], v[2:3]
	s_cbranch_execz .LBB665_55
; %bb.53:
	v_lshlrev_b64 v[4:5], 2, v[2:3]
	v_lshlrev_b64 v[9:10], 1, v[2:3]
	s_add_u32 s0, s8, s28
	s_addc_u32 s2, s9, s29
	s_lshl_b32 s3, s33, 1
	v_add_co_u32 v1, vcc_lo, s26, v4
	v_add_co_ci_u32_e64 v6, null, s27, v5, vcc_lo
	v_add_co_u32 v4, vcc_lo, s0, v9
	v_add_co_ci_u32_e64 v5, null, s2, v10, vcc_lo
	s_mov_b32 s2, 0
	s_inst_prefetch 0x1
	.p2align	6
.LBB665_54:                             ; =>This Inner Loop Header: Depth=1
	v_add_co_u32 v9, vcc_lo, s12, v1
	v_add_co_ci_u32_e64 v10, null, s13, v6, vcc_lo
	v_add_co_u32 v11, vcc_lo, s10, v1
	v_add_co_ci_u32_e64 v12, null, s11, v6, vcc_lo
	global_load_dword v7, v[9:10], off
	global_load_dword v9, v[11:12], off
	v_add_co_u32 v2, vcc_lo, v2, s33
	v_add_co_ci_u32_e64 v3, null, 0, v3, vcc_lo
	v_add_co_u32 v1, vcc_lo, v1, s40
	v_add_co_ci_u32_e64 v6, null, 0, v6, vcc_lo
	v_cmp_le_i64_e32 vcc_lo, s[30:31], v[2:3]
	s_or_b32 s2, vcc_lo, s2
	s_waitcnt vmcnt(0) lgkmcnt(0)
	v_fma_f32 v7, -v8, v9, v7
	v_bfe_u32 v9, v7, 16, 1
	v_cmp_o_f32_e64 s0, v7, v7
	v_add3_u32 v9, v7, v9, 0x7fff
	v_lshrrev_b32_e32 v9, 16, v9
	v_cndmask_b32_e64 v7, 0x7fc0, v9, s0
	global_store_short v[4:5], v7, off
	v_add_co_u32 v4, s0, v4, s3
	v_add_co_ci_u32_e64 v5, null, 0, v5, s0
	s_andn2_b32 exec_lo, exec_lo, s2
	s_cbranch_execnz .LBB665_54
.LBB665_55:
	s_inst_prefetch 0x2
	s_or_b32 exec_lo, exec_lo, s1
	s_mov_b32 s0, 0
.LBB665_56:
	s_and_b32 vcc_lo, exec_lo, s0
	s_cbranch_vccz .LBB665_91
; %bb.57:
	s_lshl_b32 s0, s33, 2
	s_mov_b32 s9, 0
	v_cvt_f32_u32_e32 v1, s0
	s_sub_i32 s2, 0, s0
	s_mov_b32 s3, exec_lo
	v_rcp_iflag_f32_e32 v1, v1
	v_mul_f32_e32 v1, 0x4f7ffffe, v1
	v_cvt_u32_f32_e32 v1, v1
	v_readfirstlane_b32 s1, v1
	v_mov_b32_e32 v1, v0
	s_mul_i32 s2, s2, s1
	s_mul_hi_u32 s2, s1, s2
	s_add_i32 s1, s1, s2
	s_mul_hi_u32 s1, s14, s1
	s_mul_i32 s1, s1, s0
	s_sub_i32 s1, s14, s1
	s_sub_i32 s2, s1, s0
	s_cmp_ge_u32 s1, s0
	s_cselect_b32 s1, s2, s1
	s_sub_i32 s2, s1, s0
	s_cmp_ge_u32 s1, s0
	s_cselect_b32 s0, s2, s1
	s_sub_i32 s8, s14, s0
	v_cmpx_gt_i32_e64 s8, v0
	s_cbranch_execz .LBB665_61
; %bb.58:
	v_mov_b32_e32 v2, 0
	v_mov_b32_e32 v1, v0
	s_lshl_b32 s10, s33, 1
	s_mul_i32 s11, s33, 3
	s_add_i32 s12, s33, s33
.LBB665_59:                             ; =>This Inner Loop Header: Depth=1
	v_lshlrev_b64 v[11:12], 2, v[1:2]
	v_add_nc_u32_e32 v3, s33, v1
	v_mov_b32_e32 v4, v2
	v_add_nc_u32_e32 v5, s10, v1
	v_mov_b32_e32 v6, v2
	v_add_nc_u32_e32 v9, s11, v1
	v_add_co_u32 v19, vcc_lo, s22, v11
	v_lshlrev_b64 v[13:14], 2, v[3:4]
	v_add_co_ci_u32_e64 v20, null, s23, v12, vcc_lo
	v_add_co_u32 v11, vcc_lo, s16, v11
	v_add_co_ci_u32_e64 v12, null, s17, v12, vcc_lo
	v_mov_b32_e32 v10, v2
	v_lshlrev_b64 v[15:16], 2, v[5:6]
	global_load_dword v23, v[19:20], off
	global_load_dword v24, v[11:12], off
	v_add_co_u32 v11, vcc_lo, s22, v13
	v_lshlrev_b64 v[17:18], 2, v[9:10]
	v_add_co_ci_u32_e64 v12, null, s23, v14, vcc_lo
	v_add_co_u32 v13, vcc_lo, s16, v13
	v_add_co_ci_u32_e64 v14, null, s17, v14, vcc_lo
	v_add_co_u32 v19, vcc_lo, s22, v15
	;; [unrolled: 2-line block ×5, first 2 shown]
	v_add_co_ci_u32_e64 v18, null, s17, v18, vcc_lo
	global_load_dword v25, v[11:12], off
	global_load_dword v26, v[13:14], off
	;; [unrolled: 1-line block ×6, first 2 shown]
	v_lshlrev_b64 v[11:12], 1, v[1:2]
	v_lshlrev_b64 v[13:14], 1, v[3:4]
	;; [unrolled: 1-line block ×4, first 2 shown]
	v_add3_u32 v1, s12, s33, v3
	v_add_co_u32 v9, vcc_lo, s20, v11
	v_add_co_u32 v11, s0, s20, v13
	v_add_co_ci_u32_e64 v10, null, s21, v12, vcc_lo
	v_add_co_ci_u32_e64 v12, null, s21, v14, s0
	v_add_co_u32 v3, s0, s20, v4
	v_add_co_ci_u32_e64 v4, null, s21, v5, s0
	v_add_co_u32 v5, s0, s20, v6
	v_add_co_ci_u32_e64 v6, null, s21, v7, s0
	v_cmp_le_i32_e32 vcc_lo, s8, v1
	s_or_b32 s9, vcc_lo, s9
	s_waitcnt vmcnt(6) lgkmcnt(0)
	v_fma_f32 v7, -v8, v23, v24
	v_bfe_u32 v13, v7, 16, 1
	v_cmp_o_f32_e64 s0, v7, v7
	v_add3_u32 v13, v7, v13, 0x7fff
	v_lshrrev_b32_e32 v13, 16, v13
	v_cndmask_b32_e64 v7, 0x7fc0, v13, s0
	s_waitcnt vmcnt(4)
	v_fma_f32 v14, -v8, v25, v26
	s_waitcnt vmcnt(2)
	v_fma_f32 v15, -v8, v19, v15
	;; [unrolled: 2-line block ×3, first 2 shown]
	v_bfe_u32 v17, v14, 16, 1
	v_cmp_o_f32_e64 s2, v14, v14
	v_bfe_u32 v18, v15, 16, 1
	v_cmp_o_f32_e64 s0, v15, v15
	v_bfe_u32 v19, v16, 16, 1
	v_add3_u32 v17, v14, v17, 0x7fff
	v_cmp_o_f32_e64 s1, v16, v16
	v_add3_u32 v18, v15, v18, 0x7fff
	v_add3_u32 v19, v16, v19, 0x7fff
	v_lshrrev_b32_e32 v13, 16, v17
	v_lshrrev_b32_e32 v17, 16, v18
	;; [unrolled: 1-line block ×3, first 2 shown]
	v_cndmask_b32_e64 v13, 0x7fc0, v13, s2
	v_cndmask_b32_e64 v14, 0x7fc0, v17, s0
	;; [unrolled: 1-line block ×3, first 2 shown]
	global_store_short v[9:10], v7, off
	global_store_short v[11:12], v13, off
	;; [unrolled: 1-line block ×4, first 2 shown]
	s_andn2_b32 exec_lo, exec_lo, s9
	s_cbranch_execnz .LBB665_59
; %bb.60:
	s_or_b32 exec_lo, exec_lo, s9
.LBB665_61:
	s_or_b32 exec_lo, exec_lo, s3
	s_mov_b32 s1, exec_lo
	v_cmpx_gt_i32_e64 s14, v1
	s_cbranch_execz .LBB665_64
; %bb.62:
	s_mov_b32 s2, 0
	s_inst_prefetch 0x1
	.p2align	6
.LBB665_63:                             ; =>This Inner Loop Header: Depth=1
	v_ashrrev_i32_e32 v2, 31, v1
	v_lshlrev_b64 v[3:4], 2, v[1:2]
	v_add_co_u32 v5, vcc_lo, s16, v3
	v_add_co_ci_u32_e64 v6, null, s17, v4, vcc_lo
	v_add_co_u32 v3, vcc_lo, s22, v3
	v_add_co_ci_u32_e64 v4, null, s23, v4, vcc_lo
	global_load_dword v5, v[5:6], off
	global_load_dword v3, v[3:4], off
	s_waitcnt vmcnt(0) lgkmcnt(0)
	v_fma_f32 v4, -v8, v3, v5
	v_bfe_u32 v3, v4, 16, 1
	v_cmp_o_f32_e64 s0, v4, v4
	v_add3_u32 v5, v4, v3, 0x7fff
	v_lshlrev_b64 v[2:3], 1, v[1:2]
	v_add_nc_u32_e32 v1, s33, v1
	v_lshrrev_b32_e32 v5, 16, v5
	v_cmp_le_i32_e32 vcc_lo, s14, v1
	v_cndmask_b32_e64 v4, 0x7fc0, v5, s0
	v_add_co_u32 v2, s0, s20, v2
	v_add_co_ci_u32_e64 v3, null, s21, v3, s0
	s_or_b32 s2, vcc_lo, s2
	global_store_short v[2:3], v4, off
	s_andn2_b32 exec_lo, exec_lo, s2
	s_cbranch_execnz .LBB665_63
.LBB665_64:
	s_inst_prefetch 0x2
	s_or_b32 exec_lo, exec_lo, s1
	s_mov_b32 s0, 0
.LBB665_65:
	s_andn2_b32 vcc_lo, exec_lo, s0
	s_cbranch_vccnz .LBB665_92
.LBB665_66:
	s_cmp_lg_u64 s[24:25], 0
	s_mov_b32 s1, -1
	s_cselect_b32 s34, -1, 0
	s_and_b32 vcc_lo, exec_lo, s7
	v_cndmask_b32_e64 v1, 0, 1, s34
	v_cmp_ne_u32_e64 s0, 1, v1
	s_cbranch_vccz .LBB665_80
; %bb.67:
	v_mov_b32_e32 v1, 0
	s_and_b32 vcc_lo, exec_lo, s0
	s_mov_b64 s[8:9], s[20:21]
	s_mov_b64 s[10:11], s[22:23]
	;; [unrolled: 1-line block ×3, first 2 shown]
	s_cbranch_vccnz .LBB665_71
; %bb.68:
	s_lshl_b32 s0, s24, 1
	s_mov_b32 s8, exec_lo
	s_sub_u32 s0, s20, s0
	s_subb_u32 s1, s21, 0
	s_lshl_b32 s2, s24, 2
	s_sub_u32 s7, s22, s2
	s_subb_u32 s11, s23, 0
	s_sub_u32 s2, s16, s2
	s_subb_u32 s3, s17, 0
	v_cmpx_le_u64_e64 s[24:25], v[0:1]
	s_cbranch_execz .LBB665_70
; %bb.69:
	v_lshlrev_b64 v[2:3], 2, v[0:1]
	v_add_co_u32 v4, vcc_lo, s2, v2
	v_add_co_ci_u32_e64 v5, null, s3, v3, vcc_lo
	v_add_co_u32 v2, vcc_lo, s7, v2
	v_add_co_ci_u32_e64 v3, null, s11, v3, vcc_lo
	global_load_dword v4, v[4:5], off
	global_load_dword v2, v[2:3], off
	s_waitcnt vmcnt(0) lgkmcnt(0)
	v_fma_f32 v2, -v8, v2, v4
	v_mov_b32_e32 v4, 0x7fc0
	v_bfe_u32 v3, v2, 16, 1
	v_cmp_o_f32_e32 vcc_lo, v2, v2
	v_add3_u32 v5, v2, v3, 0x7fff
	v_lshlrev_b64 v[2:3], 1, v[0:1]
	v_cndmask_b32_sdwa v4, v4, v5, vcc_lo dst_sel:DWORD dst_unused:UNUSED_PAD src0_sel:DWORD src1_sel:WORD_1
	v_add_co_u32 v2, vcc_lo, s0, v2
	v_add_co_ci_u32_e64 v3, null, s1, v3, vcc_lo
	global_store_short v[2:3], v4, off
.LBB665_70:
	s_or_b32 exec_lo, exec_lo, s8
	s_add_u32 s8, s24, s14
	s_addc_u32 s9, 0, s15
	s_sub_u32 s18, s8, s33
	s_subb_u32 s19, s9, 0
	s_lshl_b32 s8, s33, 1
	s_add_u32 s8, s0, s8
	s_addc_u32 s9, s1, 0
	s_lshl_b32 s0, s33, 2
	s_add_u32 s10, s7, s0
	s_addc_u32 s11, s11, 0
	s_add_u32 s12, s2, s0
	s_addc_u32 s13, s3, 0
.LBB665_71:
	s_load_dword s0, s[4:5], 0x0
	v_mov_b32_e32 v2, 0
	s_waitcnt lgkmcnt(0)
	s_cmp_lt_u32 s6, s0
	s_cselect_b32 s0, 12, 18
	s_add_u32 s0, s4, s0
	s_addc_u32 s1, s5, 0
	global_load_ushort v2, v2, s[0:1]
	s_mov_b32 s0, 0
	s_waitcnt vmcnt(0)
	v_readfirstlane_b32 s1, v2
	s_and_b32 s7, s1, 0xffff
	s_mov_b32 s1, s19
	s_lshl_b32 s15, s7, 2
	s_cmp_lg_u64 s[0:1], 0
	s_cbranch_scc0 .LBB665_93
; %bb.72:
	v_cvt_f32_u32_e32 v2, s15
	s_sub_u32 s3, 0, s15
	s_subb_u32 s25, 0, 0
	v_fmamk_f32 v2, 0, 0x4f800000, v2
	v_rcp_f32_e32 v2, v2
	v_mul_f32_e32 v2, 0x5f7ffffc, v2
	v_mul_f32_e32 v3, 0x2f800000, v2
	v_trunc_f32_e32 v3, v3
	v_fmamk_f32 v2, v3, 0xcf800000, v2
	v_cvt_u32_f32_e32 v3, v3
	v_cvt_u32_f32_e32 v2, v2
	v_readfirstlane_b32 s1, v3
	v_readfirstlane_b32 s2, v2
	s_mul_i32 s26, s3, s1
	s_mul_hi_u32 s28, s3, s2
	s_mul_i32 s27, s25, s2
	s_add_i32 s26, s28, s26
	s_mul_i32 s29, s3, s2
	s_add_i32 s26, s26, s27
	s_mul_hi_u32 s28, s2, s29
	s_mul_i32 s31, s2, s26
	s_mul_hi_u32 s30, s1, s29
	s_mul_i32 s27, s1, s29
	s_mul_hi_u32 s29, s2, s26
	s_add_u32 s28, s28, s31
	s_addc_u32 s29, 0, s29
	s_mul_hi_u32 s35, s1, s26
	s_add_u32 s27, s28, s27
	s_mul_i32 s26, s1, s26
	s_addc_u32 s27, s29, s30
	s_addc_u32 s28, s35, 0
	s_add_u32 s26, s27, s26
	s_addc_u32 s27, 0, s28
	s_add_u32 s2, s2, s26
	s_cselect_b32 s26, -1, 0
	s_mul_hi_u32 s28, s3, s2
	s_cmp_lg_u32 s26, 0
	s_mul_i32 s26, s3, s2
	s_addc_u32 s1, s1, s27
	s_mul_i32 s25, s25, s2
	s_mul_i32 s3, s3, s1
	s_mul_hi_u32 s27, s2, s26
	s_add_i32 s3, s28, s3
	s_mul_hi_u32 s28, s1, s26
	s_add_i32 s3, s3, s25
	s_mul_i32 s25, s1, s26
	s_mul_i32 s30, s2, s3
	s_mul_hi_u32 s29, s2, s3
	s_add_u32 s27, s27, s30
	s_addc_u32 s29, 0, s29
	s_mul_hi_u32 s26, s1, s3
	s_add_u32 s25, s27, s25
	s_mul_i32 s3, s1, s3
	s_addc_u32 s25, s29, s28
	s_addc_u32 s26, s26, 0
	s_add_u32 s3, s25, s3
	s_addc_u32 s25, 0, s26
	s_add_u32 s2, s2, s3
	s_cselect_b32 s3, -1, 0
	s_mul_hi_u32 s26, s18, s2
	s_cmp_lg_u32 s3, 0
	s_mul_hi_u32 s3, s19, s2
	s_addc_u32 s1, s1, s25
	s_mul_i32 s2, s19, s2
	s_mul_i32 s27, s18, s1
	s_mul_hi_u32 s25, s18, s1
	s_add_u32 s26, s26, s27
	s_addc_u32 s25, 0, s25
	s_mul_hi_u32 s28, s19, s1
	s_add_u32 s2, s26, s2
	s_mul_i32 s1, s19, s1
	s_addc_u32 s2, s25, s3
	s_addc_u32 s3, s28, 0
	s_add_u32 s1, s2, s1
	s_addc_u32 s2, 0, s3
	s_mul_hi_u32 s3, s15, s1
	s_mul_i32 s2, s15, s2
	s_mul_i32 s1, s15, s1
	s_add_i32 s3, s3, s2
	s_sub_u32 s1, s18, s1
	s_cselect_b32 s2, -1, 0
	s_cmp_lg_u32 s2, 0
	s_subb_u32 s2, s19, s3
	s_sub_u32 s3, s1, s15
	s_cselect_b32 s25, -1, 0
	s_cmp_lg_u32 s25, 0
	s_subb_u32 s25, s2, 0
	s_sub_u32 s26, s3, s15
	s_cselect_b32 s27, -1, 0
	s_cmp_lg_u32 s27, 0
	s_subb_u32 s27, s25, 0
	s_cmp_ge_u32 s3, s15
	s_cselect_b32 s28, -1, 0
	s_cmp_eq_u32 s25, 0
	s_cselect_b32 s28, s28, -1
	s_cmp_lg_u32 s28, 0
	s_cselect_b32 s25, s27, s25
	s_cselect_b32 s26, s26, s3
	s_cmp_ge_u32 s1, s15
	s_cselect_b32 s3, -1, 0
	s_cmp_eq_u32 s2, 0
	s_cselect_b32 s3, s3, -1
	s_cmp_lg_u32 s3, 0
	s_cselect_b32 s3, s25, s2
	s_cselect_b32 s2, s26, s1
	s_andn2_b32 vcc_lo, exec_lo, s0
	s_cbranch_vccnz .LBB665_74
.LBB665_73:
	v_cvt_f32_u32_e32 v2, s15
	s_sub_i32 s1, 0, s15
	s_mov_b32 s3, 0
	v_rcp_iflag_f32_e32 v2, v2
	v_mul_f32_e32 v2, 0x4f7ffffe, v2
	v_cvt_u32_f32_e32 v2, v2
	v_readfirstlane_b32 s0, v2
	s_mul_i32 s1, s1, s0
	s_mul_hi_u32 s1, s0, s1
	s_add_i32 s0, s0, s1
	s_mul_hi_u32 s0, s18, s0
	s_mul_i32 s0, s0, s15
	s_sub_i32 s0, s18, s0
	s_sub_i32 s1, s0, s15
	s_cmp_ge_u32 s0, s15
	s_cselect_b32 s0, s1, s0
	s_sub_i32 s1, s0, s15
	s_cmp_ge_u32 s0, s15
	s_cselect_b32 s2, s1, s0
.LBB665_74:
	v_lshlrev_b64 v[2:3], 3, v[0:1]
	v_lshlrev_b64 v[4:5], 4, v[0:1]
	v_mov_b32_e32 v7, v1
	v_mov_b32_e32 v6, v0
	s_sub_u32 s26, s18, s2
	s_subb_u32 s27, s19, s3
	v_add_co_u32 v2, vcc_lo, s8, v2
	v_add_co_ci_u32_e64 v3, null, s9, v3, vcc_lo
	s_lshl_b32 s25, s7, 3
	s_mov_b32 s15, 0
	s_lshl_b32 s35, s7, 4
	s_mov_b64 s[28:29], s[12:13]
	s_mov_b64 s[30:31], s[10:11]
.LBB665_75:                             ; =>This Inner Loop Header: Depth=1
	v_add_co_u32 v9, vcc_lo, s30, v4
	v_add_co_ci_u32_e64 v10, null, s31, v5, vcc_lo
	v_add_co_u32 v13, vcc_lo, s28, v4
	v_add_co_ci_u32_e64 v14, null, s29, v5, vcc_lo
	global_load_dwordx4 v[9:12], v[9:10], off
	global_load_dwordx4 v[13:16], v[13:14], off
	v_add_co_u32 v6, vcc_lo, v6, s7
	v_add_co_ci_u32_e64 v7, null, 0, v7, vcc_lo
	s_add_u32 s30, s30, s35
	s_addc_u32 s31, s31, 0
	s_add_u32 s28, s28, s35
	v_lshlrev_b64 v[17:18], 2, v[6:7]
	s_addc_u32 s29, s29, 0
	v_cmp_le_i64_e32 vcc_lo, s[26:27], v[17:18]
	s_or_b32 s15, vcc_lo, s15
	s_waitcnt vmcnt(0)
	v_fma_f32 v1, -v8, v9, v13
	v_fma_f32 v9, -v8, v10, v14
	;; [unrolled: 1-line block ×4, first 2 shown]
	v_bfe_u32 v12, v1, 16, 1
	v_bfe_u32 v13, v9, 16, 1
	;; [unrolled: 1-line block ×4, first 2 shown]
	v_cmp_o_f32_e64 s2, v1, v1
	v_add3_u32 v12, v1, v12, 0x7fff
	v_add3_u32 v13, v9, v13, 0x7fff
	;; [unrolled: 1-line block ×4, first 2 shown]
	v_cmp_o_f32_e64 s3, v9, v9
	v_lshrrev_b32_e32 v12, 16, v12
	v_and_b32_e32 v13, 0xffff0000, v13
	v_lshrrev_b32_e32 v14, 16, v14
	v_and_b32_e32 v15, 0xffff0000, v15
	v_cmp_o_f32_e64 s0, v11, v11
	v_cmp_o_f32_e64 s1, v10, v10
	v_cndmask_b32_e64 v1, 0x7fc00000, v13, s3
	v_cndmask_b32_e64 v9, 0x7fc0, v12, s2
	;; [unrolled: 1-line block ×4, first 2 shown]
	v_or_b32_e32 v1, v1, v9
	v_or3_b32 v10, 0, v11, v10
	v_or3_b32 v9, v1, 0, 0
	global_store_dwordx2 v[2:3], v[9:10], off
	v_add_co_u32 v2, s0, v2, s25
	v_add_co_ci_u32_e64 v3, null, 0, v3, s0
	s_andn2_b32 exec_lo, exec_lo, s15
	s_cbranch_execnz .LBB665_75
; %bb.76:
	s_or_b32 exec_lo, exec_lo, s15
	v_add_co_u32 v1, s0, s26, v0
	v_add_co_ci_u32_e64 v2, null, s27, 0, s0
	s_mov_b32 s1, exec_lo
	v_cmpx_gt_u64_e64 s[18:19], v[1:2]
	s_cbranch_execz .LBB665_79
; %bb.77:
	s_mov_b32 s2, 0
	s_inst_prefetch 0x1
	.p2align	6
.LBB665_78:                             ; =>This Inner Loop Header: Depth=1
	v_lshlrev_b64 v[3:4], 2, v[1:2]
	v_add_co_u32 v5, vcc_lo, s12, v3
	v_add_co_ci_u32_e64 v6, null, s13, v4, vcc_lo
	v_add_co_u32 v3, vcc_lo, s10, v3
	v_add_co_ci_u32_e64 v4, null, s11, v4, vcc_lo
	global_load_dword v5, v[5:6], off
	global_load_dword v6, v[3:4], off
	v_lshlrev_b64 v[3:4], 1, v[1:2]
	v_add_co_u32 v1, vcc_lo, v1, s7
	v_add_co_ci_u32_e64 v2, null, 0, v2, vcc_lo
	v_add_co_u32 v3, s0, s8, v3
	v_add_co_ci_u32_e64 v4, null, s9, v4, s0
	v_cmp_le_i64_e32 vcc_lo, s[18:19], v[1:2]
	s_or_b32 s2, vcc_lo, s2
	s_waitcnt vmcnt(0)
	v_fma_f32 v5, -v8, v6, v5
	v_bfe_u32 v6, v5, 16, 1
	v_cmp_o_f32_e64 s0, v5, v5
	v_add3_u32 v6, v5, v6, 0x7fff
	v_lshrrev_b32_e32 v6, 16, v6
	v_cndmask_b32_e64 v5, 0x7fc0, v6, s0
	global_store_short v[3:4], v5, off
	s_andn2_b32 exec_lo, exec_lo, s2
	s_cbranch_execnz .LBB665_78
.LBB665_79:
	s_inst_prefetch 0x2
	s_or_b32 exec_lo, exec_lo, s1
	s_mov_b32 s1, 0
.LBB665_80:
	s_and_b32 vcc_lo, exec_lo, s1
	s_cbranch_vccz .LBB665_92
; %bb.81:
	s_andn2_b32 vcc_lo, exec_lo, s34
	s_cbranch_vccnz .LBB665_85
; %bb.82:
	s_lshl_b32 s0, s24, 1
	s_mov_b32 s9, exec_lo
	s_sub_u32 s3, s20, s0
	s_subb_u32 s7, s21, 0
	s_lshl_b32 s1, s24, 2
	s_sub_u32 s0, s22, s1
	s_subb_u32 s8, s23, 0
	s_sub_u32 s1, s16, s1
	s_subb_u32 s2, s17, 0
	v_cmpx_le_u32_e64 s24, v0
	s_cbranch_execz .LBB665_84
; %bb.83:
	v_mov_b32_e32 v1, 0
	v_lshlrev_b64 v[2:3], 2, v[0:1]
	v_add_co_u32 v4, vcc_lo, s1, v2
	v_add_co_ci_u32_e64 v5, null, s2, v3, vcc_lo
	v_add_co_u32 v2, vcc_lo, s0, v2
	v_add_co_ci_u32_e64 v3, null, s8, v3, vcc_lo
	global_load_dword v4, v[4:5], off
	global_load_dword v2, v[2:3], off
	s_waitcnt vmcnt(0) lgkmcnt(0)
	v_fma_f32 v2, -v8, v2, v4
	v_mov_b32_e32 v4, 0x7fc0
	v_bfe_u32 v3, v2, 16, 1
	v_cmp_o_f32_e32 vcc_lo, v2, v2
	v_add3_u32 v3, v2, v3, 0x7fff
	v_lshlrev_b64 v[1:2], 1, v[0:1]
	v_cndmask_b32_sdwa v3, v4, v3, vcc_lo dst_sel:DWORD dst_unused:UNUSED_PAD src0_sel:DWORD src1_sel:WORD_1
	v_add_co_u32 v1, vcc_lo, s3, v1
	v_add_co_ci_u32_e64 v2, null, s7, v2, vcc_lo
	global_store_short v[1:2], v3, off
.LBB665_84:
	s_or_b32 exec_lo, exec_lo, s9
	s_add_i32 s9, s24, s14
	s_lshl_b32 s10, s33, 1
	v_sub_nc_u32_e64 v1, s9, s33 clamp
	s_add_u32 s20, s3, s10
	s_addc_u32 s21, s7, 0
	s_lshl_b32 s3, s33, 2
	s_add_u32 s22, s0, s3
	v_readfirstlane_b32 s14, v1
	s_addc_u32 s23, s8, 0
	s_add_u32 s16, s1, s3
	s_addc_u32 s17, s2, 0
.LBB665_85:
	s_load_dword s0, s[4:5], 0x0
	v_mov_b32_e32 v1, 0
	s_waitcnt lgkmcnt(0)
	s_cmp_lt_u32 s6, s0
	s_cselect_b32 s0, 12, 18
	s_add_u32 s0, s4, s0
	s_addc_u32 s1, s5, 0
	global_load_ushort v3, v1, s[0:1]
	s_waitcnt vmcnt(0)
	v_readfirstlane_b32 s0, v3
	s_lshl_b32 s0, s0, 2
	v_cvt_f32_u32_e32 v1, s0
	s_sub_i32 s2, 0, s0
	v_rcp_iflag_f32_e32 v1, v1
	v_mul_f32_e32 v1, 0x4f7ffffe, v1
	v_cvt_u32_f32_e32 v1, v1
	v_readfirstlane_b32 s1, v1
	v_lshlrev_b32_e32 v1, 2, v0
	s_mul_i32 s2, s2, s1
	s_mul_hi_u32 s2, s1, s2
	s_add_i32 s1, s1, s2
	s_mul_hi_u32 s1, s14, s1
	s_mul_i32 s1, s1, s0
	s_sub_i32 s1, s14, s1
	s_sub_i32 s2, s1, s0
	s_cmp_ge_u32 s1, s0
	s_cselect_b32 s1, s2, s1
	s_sub_i32 s2, s1, s0
	s_cmp_ge_u32 s1, s0
	s_cselect_b32 s0, s2, s1
	s_mov_b32 s2, 0
	s_sub_i32 s0, s14, s0
	s_mov_b32 s1, exec_lo
	v_cmpx_gt_i32_e64 s0, v1
	s_cbranch_execz .LBB665_88
; %bb.86:
	v_mov_b32_e32 v1, v0
.LBB665_87:                             ; =>This Inner Loop Header: Depth=1
	v_ashrrev_i32_e32 v2, 31, v1
	v_lshlrev_b64 v[4:5], 4, v[1:2]
	v_add_co_u32 v6, vcc_lo, s22, v4
	v_add_co_ci_u32_e64 v7, null, s23, v5, vcc_lo
	v_add_co_u32 v9, vcc_lo, s16, v4
	v_add_co_ci_u32_e64 v10, null, s17, v5, vcc_lo
	global_load_dwordx4 v[4:7], v[6:7], off
	global_load_dwordx4 v[9:12], v[9:10], off
	s_waitcnt vmcnt(0)
	v_fma_f32 v10, -v8, v5, v10
	v_fma_f32 v9, -v8, v4, v9
	v_lshlrev_b64 v[4:5], 3, v[1:2]
	v_fma_f32 v6, -v8, v6, v11
	v_fma_f32 v7, -v8, v7, v12
	v_bfe_u32 v2, v10, 16, 1
	v_bfe_u32 v11, v9, 16, 1
	v_cmp_o_f32_e32 vcc_lo, v10, v10
	v_bfe_u32 v12, v6, 16, 1
	v_bfe_u32 v13, v7, 16, 1
	v_add3_u32 v2, v10, v2, 0x7fff
	v_add3_u32 v11, v9, v11, 0x7fff
	v_add_nc_u32_e32 v1, v1, v3
	v_add3_u32 v12, v6, v12, 0x7fff
	v_add3_u32 v13, v7, v13, 0x7fff
	v_and_b32_e32 v2, 0xffff0000, v2
	v_lshrrev_b32_e32 v11, 16, v11
	v_lshlrev_b32_e32 v14, 2, v1
	v_lshrrev_b32_e32 v12, 16, v12
	v_and_b32_e32 v13, 0xffff0000, v13
	v_cndmask_b32_e32 v2, 0x7fc00000, v2, vcc_lo
	v_cmp_o_f32_e32 vcc_lo, v9, v9
	v_cndmask_b32_e32 v9, 0x7fc0, v11, vcc_lo
	v_cmp_o_f32_e32 vcc_lo, v7, v7
	v_or_b32_e32 v2, v2, v9
	v_cndmask_b32_e32 v7, 0x7fc00000, v13, vcc_lo
	v_cmp_o_f32_e32 vcc_lo, v6, v6
	v_cndmask_b32_e32 v6, 0x7fc0, v12, vcc_lo
	v_add_co_u32 v4, vcc_lo, s20, v4
	v_add_co_ci_u32_e64 v5, null, s21, v5, vcc_lo
	v_cmp_le_i32_e32 vcc_lo, s0, v14
	v_or3_b32 v7, 0, v6, v7
	v_or3_b32 v6, v2, 0, 0
	s_or_b32 s2, vcc_lo, s2
	global_store_dwordx2 v[4:5], v[6:7], off
	s_andn2_b32 exec_lo, exec_lo, s2
	s_cbranch_execnz .LBB665_87
.LBB665_88:
	s_or_b32 exec_lo, exec_lo, s1
	v_add_nc_u32_e32 v0, s0, v0
	s_mov_b32 s0, exec_lo
	v_cmpx_gt_i32_e64 s14, v0
	s_cbranch_execz .LBB665_92
; %bb.89:
	s_mov_b32 s1, 0
	s_inst_prefetch 0x1
	.p2align	6
.LBB665_90:                             ; =>This Inner Loop Header: Depth=1
	v_ashrrev_i32_e32 v1, 31, v0
	v_lshlrev_b64 v[4:5], 2, v[0:1]
	v_add_co_u32 v6, vcc_lo, s16, v4
	v_add_co_ci_u32_e64 v7, null, s17, v5, vcc_lo
	v_add_co_u32 v4, vcc_lo, s22, v4
	v_add_co_ci_u32_e64 v5, null, s23, v5, vcc_lo
	global_load_dword v2, v[6:7], off
	global_load_dword v4, v[4:5], off
	s_waitcnt vmcnt(0)
	v_fma_f32 v4, -v8, v4, v2
	v_bfe_u32 v2, v4, 16, 1
	v_cmp_o_f32_e64 s0, v4, v4
	v_add3_u32 v5, v4, v2, 0x7fff
	v_lshlrev_b64 v[1:2], 1, v[0:1]
	v_add_nc_u32_e32 v0, v0, v3
	v_lshrrev_b32_e32 v5, 16, v5
	v_cmp_le_i32_e32 vcc_lo, s14, v0
	v_cndmask_b32_e64 v4, 0x7fc0, v5, s0
	v_add_co_u32 v1, s0, s20, v1
	v_add_co_ci_u32_e64 v2, null, s21, v2, s0
	s_or_b32 s1, vcc_lo, s1
	global_store_short v[1:2], v4, off
	s_andn2_b32 exec_lo, exec_lo, s1
	s_cbranch_execnz .LBB665_90
	s_branch .LBB665_92
.LBB665_91:
	s_cbranch_execz .LBB665_66
.LBB665_92:
	s_inst_prefetch 0x2
	s_endpgm
.LBB665_93:
                                        ; implicit-def: $sgpr2_sgpr3
	s_branch .LBB665_73
	.section	.rodata,"a",@progbits
	.p2align	6, 0x0
	.amdhsa_kernel _ZN2at6native12_GLOBAL__N_120cunn_SoftMaxBackwardILi4EN3c108BFloat16EffNS1_23SoftMaxBackwardEpilogueEEEvPT0_PKT2_SA_l
		.amdhsa_group_segment_fixed_size 0
		.amdhsa_private_segment_fixed_size 0
		.amdhsa_kernarg_size 288
		.amdhsa_user_sgpr_count 6
		.amdhsa_user_sgpr_private_segment_buffer 1
		.amdhsa_user_sgpr_dispatch_ptr 0
		.amdhsa_user_sgpr_queue_ptr 0
		.amdhsa_user_sgpr_kernarg_segment_ptr 1
		.amdhsa_user_sgpr_dispatch_id 0
		.amdhsa_user_sgpr_flat_scratch_init 0
		.amdhsa_user_sgpr_private_segment_size 0
		.amdhsa_wavefront_size32 1
		.amdhsa_uses_dynamic_stack 0
		.amdhsa_system_sgpr_private_segment_wavefront_offset 0
		.amdhsa_system_sgpr_workgroup_id_x 1
		.amdhsa_system_sgpr_workgroup_id_y 0
		.amdhsa_system_sgpr_workgroup_id_z 0
		.amdhsa_system_sgpr_workgroup_info 0
		.amdhsa_system_vgpr_workitem_id 0
		.amdhsa_next_free_vgpr 27
		.amdhsa_next_free_sgpr 59
		.amdhsa_reserve_vcc 1
		.amdhsa_reserve_flat_scratch 0
		.amdhsa_float_round_mode_32 0
		.amdhsa_float_round_mode_16_64 0
		.amdhsa_float_denorm_mode_32 3
		.amdhsa_float_denorm_mode_16_64 3
		.amdhsa_dx10_clamp 1
		.amdhsa_ieee_mode 1
		.amdhsa_fp16_overflow 0
		.amdhsa_workgroup_processor_mode 1
		.amdhsa_memory_ordered 1
		.amdhsa_forward_progress 1
		.amdhsa_shared_vgpr_count 0
		.amdhsa_exception_fp_ieee_invalid_op 0
		.amdhsa_exception_fp_denorm_src 0
		.amdhsa_exception_fp_ieee_div_zero 0
		.amdhsa_exception_fp_ieee_overflow 0
		.amdhsa_exception_fp_ieee_underflow 0
		.amdhsa_exception_fp_ieee_inexact 0
		.amdhsa_exception_int_div_zero 0
	.end_amdhsa_kernel
	.section	.text._ZN2at6native12_GLOBAL__N_120cunn_SoftMaxBackwardILi4EN3c108BFloat16EffNS1_23SoftMaxBackwardEpilogueEEEvPT0_PKT2_SA_l,"axG",@progbits,_ZN2at6native12_GLOBAL__N_120cunn_SoftMaxBackwardILi4EN3c108BFloat16EffNS1_23SoftMaxBackwardEpilogueEEEvPT0_PKT2_SA_l,comdat
.Lfunc_end665:
	.size	_ZN2at6native12_GLOBAL__N_120cunn_SoftMaxBackwardILi4EN3c108BFloat16EffNS1_23SoftMaxBackwardEpilogueEEEvPT0_PKT2_SA_l, .Lfunc_end665-_ZN2at6native12_GLOBAL__N_120cunn_SoftMaxBackwardILi4EN3c108BFloat16EffNS1_23SoftMaxBackwardEpilogueEEEvPT0_PKT2_SA_l
                                        ; -- End function
	.set _ZN2at6native12_GLOBAL__N_120cunn_SoftMaxBackwardILi4EN3c108BFloat16EffNS1_23SoftMaxBackwardEpilogueEEEvPT0_PKT2_SA_l.num_vgpr, 27
	.set _ZN2at6native12_GLOBAL__N_120cunn_SoftMaxBackwardILi4EN3c108BFloat16EffNS1_23SoftMaxBackwardEpilogueEEEvPT0_PKT2_SA_l.num_agpr, 0
	.set _ZN2at6native12_GLOBAL__N_120cunn_SoftMaxBackwardILi4EN3c108BFloat16EffNS1_23SoftMaxBackwardEpilogueEEEvPT0_PKT2_SA_l.numbered_sgpr, 59
	.set _ZN2at6native12_GLOBAL__N_120cunn_SoftMaxBackwardILi4EN3c108BFloat16EffNS1_23SoftMaxBackwardEpilogueEEEvPT0_PKT2_SA_l.num_named_barrier, 0
	.set _ZN2at6native12_GLOBAL__N_120cunn_SoftMaxBackwardILi4EN3c108BFloat16EffNS1_23SoftMaxBackwardEpilogueEEEvPT0_PKT2_SA_l.private_seg_size, 0
	.set _ZN2at6native12_GLOBAL__N_120cunn_SoftMaxBackwardILi4EN3c108BFloat16EffNS1_23SoftMaxBackwardEpilogueEEEvPT0_PKT2_SA_l.uses_vcc, 1
	.set _ZN2at6native12_GLOBAL__N_120cunn_SoftMaxBackwardILi4EN3c108BFloat16EffNS1_23SoftMaxBackwardEpilogueEEEvPT0_PKT2_SA_l.uses_flat_scratch, 0
	.set _ZN2at6native12_GLOBAL__N_120cunn_SoftMaxBackwardILi4EN3c108BFloat16EffNS1_23SoftMaxBackwardEpilogueEEEvPT0_PKT2_SA_l.has_dyn_sized_stack, 0
	.set _ZN2at6native12_GLOBAL__N_120cunn_SoftMaxBackwardILi4EN3c108BFloat16EffNS1_23SoftMaxBackwardEpilogueEEEvPT0_PKT2_SA_l.has_recursion, 0
	.set _ZN2at6native12_GLOBAL__N_120cunn_SoftMaxBackwardILi4EN3c108BFloat16EffNS1_23SoftMaxBackwardEpilogueEEEvPT0_PKT2_SA_l.has_indirect_call, 0
	.section	.AMDGPU.csdata,"",@progbits
; Kernel info:
; codeLenInByte = 7484
; TotalNumSgprs: 61
; NumVgprs: 27
; ScratchSize: 0
; MemoryBound: 0
; FloatMode: 240
; IeeeMode: 1
; LDSByteSize: 0 bytes/workgroup (compile time only)
; SGPRBlocks: 0
; VGPRBlocks: 3
; NumSGPRsForWavesPerEU: 61
; NumVGPRsForWavesPerEU: 27
; Occupancy: 16
; WaveLimiterHint : 0
; COMPUTE_PGM_RSRC2:SCRATCH_EN: 0
; COMPUTE_PGM_RSRC2:USER_SGPR: 6
; COMPUTE_PGM_RSRC2:TRAP_HANDLER: 0
; COMPUTE_PGM_RSRC2:TGID_X_EN: 1
; COMPUTE_PGM_RSRC2:TGID_Y_EN: 0
; COMPUTE_PGM_RSRC2:TGID_Z_EN: 0
; COMPUTE_PGM_RSRC2:TIDIG_COMP_CNT: 0
	.section	.text._ZN2at6native12_GLOBAL__N_127cunn_SpatialSoftMaxBackwardIdddNS1_23SoftMaxBackwardEpilogueEEEvPT_PKT1_S8_jjj,"axG",@progbits,_ZN2at6native12_GLOBAL__N_127cunn_SpatialSoftMaxBackwardIdddNS1_23SoftMaxBackwardEpilogueEEEvPT_PKT1_S8_jjj,comdat
	.globl	_ZN2at6native12_GLOBAL__N_127cunn_SpatialSoftMaxBackwardIdddNS1_23SoftMaxBackwardEpilogueEEEvPT_PKT1_S8_jjj ; -- Begin function _ZN2at6native12_GLOBAL__N_127cunn_SpatialSoftMaxBackwardIdddNS1_23SoftMaxBackwardEpilogueEEEvPT_PKT1_S8_jjj
	.p2align	8
	.type	_ZN2at6native12_GLOBAL__N_127cunn_SpatialSoftMaxBackwardIdddNS1_23SoftMaxBackwardEpilogueEEEvPT_PKT1_S8_jjj,@function
_ZN2at6native12_GLOBAL__N_127cunn_SpatialSoftMaxBackwardIdddNS1_23SoftMaxBackwardEpilogueEEEvPT_PKT1_S8_jjj: ; @_ZN2at6native12_GLOBAL__N_127cunn_SpatialSoftMaxBackwardIdddNS1_23SoftMaxBackwardEpilogueEEEvPT_PKT1_S8_jjj
; %bb.0:
	s_load_dwordx4 s[8:11], s[4:5], 0x18
	s_waitcnt lgkmcnt(0)
	s_cmp_ge_u32 s6, s8
	s_cbranch_scc1 .LBB666_26
; %bb.1:
	s_clause 0x1
	s_load_dword s1, s[4:5], 0x34
	s_load_dwordx2 s[16:17], s[4:5], 0x28
	s_mul_i32 s2, s6, s9
	s_clause 0x1
	s_load_dwordx4 s[12:15], s[4:5], 0x0
	s_load_dwordx2 s[18:19], s[4:5], 0x10
	v_add_nc_u32_e32 v2, s2, v0
	s_add_u32 s4, s4, 40
	s_addc_u32 s5, s5, 0
	s_mul_i32 s2, s2, s10
	v_cmp_gt_u32_e64 s0, s9, v0
	v_mul_lo_u32 v2, s10, v2
	v_mov_b32_e32 v3, 0
	s_waitcnt lgkmcnt(0)
	s_lshr_b32 s11, s1, 16
	s_cmp_lg_u32 s9, 0
	s_mul_i32 s7, s7, s11
	s_cselect_b32 s3, -1, 0
	v_add_nc_u32_e32 v6, s7, v1
	v_add3_u32 v7, s7, s2, v1
	v_add3_u32 v8, v1, v2, s7
	s_mul_i32 s2, s16, s10
	s_mul_i32 s7, s17, s11
	v_cmp_gt_u32_e64 s1, s10, v6
	s_mul_i32 s11, s2, s9
	s_branch .LBB666_3
.LBB666_2:                              ;   in Loop: Header=BB666_3 Depth=1
	s_or_b32 exec_lo, exec_lo, s17
	v_add_nc_u32_e32 v7, s11, v7
	v_add_nc_u32_e32 v8, s11, v8
	s_add_i32 s6, s16, s6
	s_cmp_ge_u32 s6, s8
	s_cbranch_scc1 .LBB666_26
.LBB666_3:                              ; =>This Loop Header: Depth=1
                                        ;     Child Loop BB666_7 Depth 2
                                        ;       Child Loop BB666_10 Depth 3
                                        ;       Child Loop BB666_12 Depth 3
	;; [unrolled: 1-line block ×5, first 2 shown]
	s_and_saveexec_b32 s17, s1
	s_cbranch_execz .LBB666_2
; %bb.4:                                ;   in Loop: Header=BB666_3 Depth=1
	s_load_dword s2, s[4:5], 0xc
	v_mov_b32_e32 v9, v8
	v_mov_b32_e32 v11, v7
	;; [unrolled: 1-line block ×3, first 2 shown]
	s_mov_b32 s23, 0
	s_waitcnt lgkmcnt(0)
	s_and_b32 s20, s2, 0xffff
	v_mul_u32_u24_e32 v2, s20, v1
	s_cmp_lt_u32 s20, 2
	s_mul_i32 s22, s10, s20
	s_cselect_b32 s21, -1, 0
	v_lshl_add_u32 v10, v2, 3, 0
	v_lshl_add_u32 v12, v0, 3, v10
	s_branch .LBB666_7
.LBB666_5:                              ;   in Loop: Header=BB666_7 Depth=2
	s_or_b32 exec_lo, exec_lo, s24
.LBB666_6:                              ;   in Loop: Header=BB666_7 Depth=2
	v_add_nc_u32_e32 v13, s7, v13
	v_add_nc_u32_e32 v11, s7, v11
	;; [unrolled: 1-line block ×3, first 2 shown]
	v_cmp_le_u32_e32 vcc_lo, s10, v13
	s_or_b32 s23, vcc_lo, s23
	s_andn2_b32 exec_lo, exec_lo, s23
	s_cbranch_execz .LBB666_2
.LBB666_7:                              ;   Parent Loop BB666_3 Depth=1
                                        ; =>  This Loop Header: Depth=2
                                        ;       Child Loop BB666_10 Depth 3
                                        ;       Child Loop BB666_12 Depth 3
	;; [unrolled: 1-line block ×5, first 2 shown]
	s_andn2_b32 vcc_lo, exec_lo, s21
	s_mov_b32 s2, -1
	s_cbranch_vccnz .LBB666_14
; %bb.8:                                ;   in Loop: Header=BB666_7 Depth=2
	s_andn2_b32 vcc_lo, exec_lo, s3
	s_cbranch_vccnz .LBB666_13
; %bb.9:                                ;   in Loop: Header=BB666_7 Depth=2
	v_mov_b32_e32 v4, 0
	v_mov_b32_e32 v5, 0
	;; [unrolled: 1-line block ×3, first 2 shown]
	s_mov_b32 s2, s9
.LBB666_10:                             ;   Parent Loop BB666_3 Depth=1
                                        ;     Parent Loop BB666_7 Depth=2
                                        ; =>    This Inner Loop Header: Depth=3
	v_lshlrev_b64 v[14:15], 3, v[2:3]
	v_add_nc_u32_e32 v2, s10, v2
	s_add_i32 s2, s2, -1
	s_cmp_lg_u32 s2, 0
	v_add_co_u32 v14, vcc_lo, s18, v14
	v_add_co_ci_u32_e64 v15, null, s19, v15, vcc_lo
	global_load_dwordx2 v[14:15], v[14:15], off
	s_waitcnt vmcnt(0)
	v_add_f64 v[4:5], v[4:5], v[14:15]
	s_cbranch_scc1 .LBB666_10
; %bb.11:                               ;   in Loop: Header=BB666_7 Depth=2
	v_mov_b32_e32 v2, v11
	s_mov_b32 s2, s9
	.p2align	6
.LBB666_12:                             ;   Parent Loop BB666_3 Depth=1
                                        ;     Parent Loop BB666_7 Depth=2
                                        ; =>    This Inner Loop Header: Depth=3
	v_lshlrev_b64 v[14:15], 3, v[2:3]
	v_add_nc_u32_e32 v2, s10, v2
	s_add_i32 s2, s2, -1
	s_cmp_lg_u32 s2, 0
	v_add_co_u32 v16, vcc_lo, s18, v14
	v_add_co_ci_u32_e64 v17, null, s19, v15, vcc_lo
	v_add_co_u32 v18, vcc_lo, s14, v14
	v_add_co_ci_u32_e64 v19, null, s15, v15, vcc_lo
	global_load_dwordx2 v[16:17], v[16:17], off
	global_load_dwordx2 v[18:19], v[18:19], off
	v_add_co_u32 v14, vcc_lo, s12, v14
	v_add_co_ci_u32_e64 v15, null, s13, v15, vcc_lo
	s_waitcnt vmcnt(0)
	v_fma_f64 v[16:17], -v[4:5], v[18:19], v[16:17]
	global_store_dwordx2 v[14:15], v[16:17], off
	s_cbranch_scc1 .LBB666_12
.LBB666_13:                             ;   in Loop: Header=BB666_7 Depth=2
	s_mov_b32 s2, 0
.LBB666_14:                             ;   in Loop: Header=BB666_7 Depth=2
	s_andn2_b32 vcc_lo, exec_lo, s2
	s_cbranch_vccnz .LBB666_6
; %bb.15:                               ;   in Loop: Header=BB666_7 Depth=2
	v_mov_b32_e32 v4, 0
	v_mov_b32_e32 v5, 0
	s_and_saveexec_b32 s2, s0
	s_cbranch_execz .LBB666_19
; %bb.16:                               ;   in Loop: Header=BB666_7 Depth=2
	v_mov_b32_e32 v4, 0
	v_mov_b32_e32 v5, 0
	;; [unrolled: 1-line block ×4, first 2 shown]
	s_mov_b32 s24, 0
.LBB666_17:                             ;   Parent Loop BB666_3 Depth=1
                                        ;     Parent Loop BB666_7 Depth=2
                                        ; =>    This Inner Loop Header: Depth=3
	v_lshlrev_b64 v[15:16], 3, v[2:3]
	v_add_nc_u32_e32 v14, s20, v14
	v_add_nc_u32_e32 v2, s22, v2
	v_add_co_u32 v15, vcc_lo, s18, v15
	v_add_co_ci_u32_e64 v16, null, s19, v16, vcc_lo
	v_cmp_le_u32_e32 vcc_lo, s9, v14
	global_load_dwordx2 v[15:16], v[15:16], off
	s_or_b32 s24, vcc_lo, s24
	s_waitcnt vmcnt(0)
	v_add_f64 v[4:5], v[4:5], v[15:16]
	s_andn2_b32 exec_lo, exec_lo, s24
	s_cbranch_execnz .LBB666_17
; %bb.18:                               ;   in Loop: Header=BB666_7 Depth=2
	s_or_b32 exec_lo, exec_lo, s24
.LBB666_19:                             ;   in Loop: Header=BB666_7 Depth=2
	s_or_b32 exec_lo, exec_lo, s2
	s_mov_b32 s2, s20
	s_waitcnt_vscnt null, 0x0
	s_barrier
	buffer_gl0_inv
	ds_write_b64 v12, v[4:5]
	s_branch .LBB666_21
	.p2align	6
.LBB666_20:                             ;   in Loop: Header=BB666_21 Depth=3
	s_or_b32 exec_lo, exec_lo, s25
	s_cmp_gt_u32 s2, 3
	s_mov_b32 s2, s24
	s_cbranch_scc0 .LBB666_23
.LBB666_21:                             ;   Parent Loop BB666_3 Depth=1
                                        ;     Parent Loop BB666_7 Depth=2
                                        ; =>    This Inner Loop Header: Depth=3
	s_lshr_b32 s24, s2, 1
	s_mov_b32 s25, exec_lo
	s_waitcnt lgkmcnt(0)
	s_barrier
	buffer_gl0_inv
	v_cmpx_gt_u32_e64 s24, v0
	s_cbranch_execz .LBB666_20
; %bb.22:                               ;   in Loop: Header=BB666_21 Depth=3
	v_lshl_add_u32 v2, s24, 3, v12
	ds_read_b64 v[4:5], v12
	ds_read_b64 v[14:15], v2
	s_waitcnt lgkmcnt(0)
	v_add_f64 v[4:5], v[4:5], v[14:15]
	ds_write_b64 v12, v[4:5]
	s_branch .LBB666_20
.LBB666_23:                             ;   in Loop: Header=BB666_7 Depth=2
	s_waitcnt lgkmcnt(0)
	s_barrier
	buffer_gl0_inv
	s_and_saveexec_b32 s24, s0
	s_cbranch_execz .LBB666_5
; %bb.24:                               ;   in Loop: Header=BB666_7 Depth=2
	ds_read_b64 v[4:5], v10
	v_mov_b32_e32 v2, v9
	v_mov_b32_e32 v14, v0
	s_mov_b32 s25, 0
	.p2align	6
.LBB666_25:                             ;   Parent Loop BB666_3 Depth=1
                                        ;     Parent Loop BB666_7 Depth=2
                                        ; =>    This Inner Loop Header: Depth=3
	v_lshlrev_b64 v[15:16], 3, v[2:3]
	v_add_nc_u32_e32 v14, s20, v14
	v_add_nc_u32_e32 v2, s22, v2
	v_add_co_u32 v17, vcc_lo, s18, v15
	v_add_co_ci_u32_e64 v18, null, s19, v16, vcc_lo
	v_add_co_u32 v19, vcc_lo, s14, v15
	v_add_co_ci_u32_e64 v20, null, s15, v16, vcc_lo
	global_load_dwordx2 v[17:18], v[17:18], off
	global_load_dwordx2 v[19:20], v[19:20], off
	v_cmp_le_u32_e32 vcc_lo, s9, v14
	v_add_co_u32 v15, s2, s12, v15
	v_add_co_ci_u32_e64 v16, null, s13, v16, s2
	s_or_b32 s25, vcc_lo, s25
	s_waitcnt vmcnt(0) lgkmcnt(0)
	v_fma_f64 v[17:18], -v[4:5], v[19:20], v[17:18]
	global_store_dwordx2 v[15:16], v[17:18], off
	s_andn2_b32 exec_lo, exec_lo, s25
	s_cbranch_execnz .LBB666_25
	s_branch .LBB666_5
.LBB666_26:
	s_endpgm
	.section	.rodata,"a",@progbits
	.p2align	6, 0x0
	.amdhsa_kernel _ZN2at6native12_GLOBAL__N_127cunn_SpatialSoftMaxBackwardIdddNS1_23SoftMaxBackwardEpilogueEEEvPT_PKT1_S8_jjj
		.amdhsa_group_segment_fixed_size 0
		.amdhsa_private_segment_fixed_size 0
		.amdhsa_kernarg_size 296
		.amdhsa_user_sgpr_count 6
		.amdhsa_user_sgpr_private_segment_buffer 1
		.amdhsa_user_sgpr_dispatch_ptr 0
		.amdhsa_user_sgpr_queue_ptr 0
		.amdhsa_user_sgpr_kernarg_segment_ptr 1
		.amdhsa_user_sgpr_dispatch_id 0
		.amdhsa_user_sgpr_flat_scratch_init 0
		.amdhsa_user_sgpr_private_segment_size 0
		.amdhsa_wavefront_size32 1
		.amdhsa_uses_dynamic_stack 0
		.amdhsa_system_sgpr_private_segment_wavefront_offset 0
		.amdhsa_system_sgpr_workgroup_id_x 1
		.amdhsa_system_sgpr_workgroup_id_y 1
		.amdhsa_system_sgpr_workgroup_id_z 0
		.amdhsa_system_sgpr_workgroup_info 0
		.amdhsa_system_vgpr_workitem_id 1
		.amdhsa_next_free_vgpr 21
		.amdhsa_next_free_sgpr 26
		.amdhsa_reserve_vcc 1
		.amdhsa_reserve_flat_scratch 0
		.amdhsa_float_round_mode_32 0
		.amdhsa_float_round_mode_16_64 0
		.amdhsa_float_denorm_mode_32 3
		.amdhsa_float_denorm_mode_16_64 3
		.amdhsa_dx10_clamp 1
		.amdhsa_ieee_mode 1
		.amdhsa_fp16_overflow 0
		.amdhsa_workgroup_processor_mode 1
		.amdhsa_memory_ordered 1
		.amdhsa_forward_progress 1
		.amdhsa_shared_vgpr_count 0
		.amdhsa_exception_fp_ieee_invalid_op 0
		.amdhsa_exception_fp_denorm_src 0
		.amdhsa_exception_fp_ieee_div_zero 0
		.amdhsa_exception_fp_ieee_overflow 0
		.amdhsa_exception_fp_ieee_underflow 0
		.amdhsa_exception_fp_ieee_inexact 0
		.amdhsa_exception_int_div_zero 0
	.end_amdhsa_kernel
	.section	.text._ZN2at6native12_GLOBAL__N_127cunn_SpatialSoftMaxBackwardIdddNS1_23SoftMaxBackwardEpilogueEEEvPT_PKT1_S8_jjj,"axG",@progbits,_ZN2at6native12_GLOBAL__N_127cunn_SpatialSoftMaxBackwardIdddNS1_23SoftMaxBackwardEpilogueEEEvPT_PKT1_S8_jjj,comdat
.Lfunc_end666:
	.size	_ZN2at6native12_GLOBAL__N_127cunn_SpatialSoftMaxBackwardIdddNS1_23SoftMaxBackwardEpilogueEEEvPT_PKT1_S8_jjj, .Lfunc_end666-_ZN2at6native12_GLOBAL__N_127cunn_SpatialSoftMaxBackwardIdddNS1_23SoftMaxBackwardEpilogueEEEvPT_PKT1_S8_jjj
                                        ; -- End function
	.set _ZN2at6native12_GLOBAL__N_127cunn_SpatialSoftMaxBackwardIdddNS1_23SoftMaxBackwardEpilogueEEEvPT_PKT1_S8_jjj.num_vgpr, 21
	.set _ZN2at6native12_GLOBAL__N_127cunn_SpatialSoftMaxBackwardIdddNS1_23SoftMaxBackwardEpilogueEEEvPT_PKT1_S8_jjj.num_agpr, 0
	.set _ZN2at6native12_GLOBAL__N_127cunn_SpatialSoftMaxBackwardIdddNS1_23SoftMaxBackwardEpilogueEEEvPT_PKT1_S8_jjj.numbered_sgpr, 26
	.set _ZN2at6native12_GLOBAL__N_127cunn_SpatialSoftMaxBackwardIdddNS1_23SoftMaxBackwardEpilogueEEEvPT_PKT1_S8_jjj.num_named_barrier, 0
	.set _ZN2at6native12_GLOBAL__N_127cunn_SpatialSoftMaxBackwardIdddNS1_23SoftMaxBackwardEpilogueEEEvPT_PKT1_S8_jjj.private_seg_size, 0
	.set _ZN2at6native12_GLOBAL__N_127cunn_SpatialSoftMaxBackwardIdddNS1_23SoftMaxBackwardEpilogueEEEvPT_PKT1_S8_jjj.uses_vcc, 1
	.set _ZN2at6native12_GLOBAL__N_127cunn_SpatialSoftMaxBackwardIdddNS1_23SoftMaxBackwardEpilogueEEEvPT_PKT1_S8_jjj.uses_flat_scratch, 0
	.set _ZN2at6native12_GLOBAL__N_127cunn_SpatialSoftMaxBackwardIdddNS1_23SoftMaxBackwardEpilogueEEEvPT_PKT1_S8_jjj.has_dyn_sized_stack, 0
	.set _ZN2at6native12_GLOBAL__N_127cunn_SpatialSoftMaxBackwardIdddNS1_23SoftMaxBackwardEpilogueEEEvPT_PKT1_S8_jjj.has_recursion, 0
	.set _ZN2at6native12_GLOBAL__N_127cunn_SpatialSoftMaxBackwardIdddNS1_23SoftMaxBackwardEpilogueEEEvPT_PKT1_S8_jjj.has_indirect_call, 0
	.section	.AMDGPU.csdata,"",@progbits
; Kernel info:
; codeLenInByte = 1084
; TotalNumSgprs: 28
; NumVgprs: 21
; ScratchSize: 0
; MemoryBound: 0
; FloatMode: 240
; IeeeMode: 1
; LDSByteSize: 0 bytes/workgroup (compile time only)
; SGPRBlocks: 0
; VGPRBlocks: 2
; NumSGPRsForWavesPerEU: 28
; NumVGPRsForWavesPerEU: 21
; Occupancy: 16
; WaveLimiterHint : 0
; COMPUTE_PGM_RSRC2:SCRATCH_EN: 0
; COMPUTE_PGM_RSRC2:USER_SGPR: 6
; COMPUTE_PGM_RSRC2:TRAP_HANDLER: 0
; COMPUTE_PGM_RSRC2:TGID_X_EN: 1
; COMPUTE_PGM_RSRC2:TGID_Y_EN: 1
; COMPUTE_PGM_RSRC2:TGID_Z_EN: 0
; COMPUTE_PGM_RSRC2:TIDIG_COMP_CNT: 1
	.section	.text._ZN2at6native12_GLOBAL__N_127cunn_SpatialSoftMaxBackwardIfffNS1_23SoftMaxBackwardEpilogueEEEvPT_PKT1_S8_jjj,"axG",@progbits,_ZN2at6native12_GLOBAL__N_127cunn_SpatialSoftMaxBackwardIfffNS1_23SoftMaxBackwardEpilogueEEEvPT_PKT1_S8_jjj,comdat
	.globl	_ZN2at6native12_GLOBAL__N_127cunn_SpatialSoftMaxBackwardIfffNS1_23SoftMaxBackwardEpilogueEEEvPT_PKT1_S8_jjj ; -- Begin function _ZN2at6native12_GLOBAL__N_127cunn_SpatialSoftMaxBackwardIfffNS1_23SoftMaxBackwardEpilogueEEEvPT_PKT1_S8_jjj
	.p2align	8
	.type	_ZN2at6native12_GLOBAL__N_127cunn_SpatialSoftMaxBackwardIfffNS1_23SoftMaxBackwardEpilogueEEEvPT_PKT1_S8_jjj,@function
_ZN2at6native12_GLOBAL__N_127cunn_SpatialSoftMaxBackwardIfffNS1_23SoftMaxBackwardEpilogueEEEvPT_PKT1_S8_jjj: ; @_ZN2at6native12_GLOBAL__N_127cunn_SpatialSoftMaxBackwardIfffNS1_23SoftMaxBackwardEpilogueEEEvPT_PKT1_S8_jjj
; %bb.0:
	s_load_dwordx4 s[8:11], s[4:5], 0x18
	s_waitcnt lgkmcnt(0)
	s_cmp_ge_u32 s6, s8
	s_cbranch_scc1 .LBB667_26
; %bb.1:
	s_clause 0x1
	s_load_dword s1, s[4:5], 0x34
	s_load_dwordx2 s[16:17], s[4:5], 0x28
	s_mul_i32 s2, s6, s9
	s_clause 0x1
	s_load_dwordx4 s[12:15], s[4:5], 0x0
	s_load_dwordx2 s[18:19], s[4:5], 0x10
	v_add_nc_u32_e32 v2, s2, v0
	s_add_u32 s4, s4, 40
	s_addc_u32 s5, s5, 0
	s_mul_i32 s2, s2, s10
	v_cmp_gt_u32_e64 s0, s9, v0
	v_mul_lo_u32 v2, s10, v2
	v_mov_b32_e32 v3, 0
	s_waitcnt lgkmcnt(0)
	s_lshr_b32 s11, s1, 16
	s_cmp_lg_u32 s9, 0
	s_mul_i32 s7, s7, s11
	s_cselect_b32 s3, -1, 0
	v_add_nc_u32_e32 v4, s7, v1
	v_add3_u32 v5, s7, s2, v1
	v_add3_u32 v6, v1, v2, s7
	s_mul_i32 s2, s16, s10
	s_mul_i32 s7, s17, s11
	v_cmp_gt_u32_e64 s1, s10, v4
	s_mul_i32 s11, s2, s9
	s_branch .LBB667_3
.LBB667_2:                              ;   in Loop: Header=BB667_3 Depth=1
	s_or_b32 exec_lo, exec_lo, s17
	v_add_nc_u32_e32 v5, s11, v5
	v_add_nc_u32_e32 v6, s11, v6
	s_add_i32 s6, s16, s6
	s_cmp_ge_u32 s6, s8
	s_cbranch_scc1 .LBB667_26
.LBB667_3:                              ; =>This Loop Header: Depth=1
                                        ;     Child Loop BB667_7 Depth 2
                                        ;       Child Loop BB667_10 Depth 3
                                        ;       Child Loop BB667_12 Depth 3
	;; [unrolled: 1-line block ×5, first 2 shown]
	s_and_saveexec_b32 s17, s1
	s_cbranch_execz .LBB667_2
; %bb.4:                                ;   in Loop: Header=BB667_3 Depth=1
	s_load_dword s2, s[4:5], 0xc
	v_mov_b32_e32 v7, v6
	v_mov_b32_e32 v9, v5
	;; [unrolled: 1-line block ×3, first 2 shown]
	s_mov_b32 s23, 0
	s_waitcnt lgkmcnt(0)
	s_and_b32 s20, s2, 0xffff
	v_mul_u32_u24_e32 v2, s20, v1
	s_cmp_lt_u32 s20, 2
	s_mul_i32 s22, s10, s20
	s_cselect_b32 s21, -1, 0
	v_lshl_add_u32 v8, v2, 2, 0
	v_lshl_add_u32 v10, v0, 2, v8
	s_branch .LBB667_7
.LBB667_5:                              ;   in Loop: Header=BB667_7 Depth=2
	s_or_b32 exec_lo, exec_lo, s24
.LBB667_6:                              ;   in Loop: Header=BB667_7 Depth=2
	v_add_nc_u32_e32 v11, s7, v11
	v_add_nc_u32_e32 v9, s7, v9
	;; [unrolled: 1-line block ×3, first 2 shown]
	v_cmp_le_u32_e32 vcc_lo, s10, v11
	s_or_b32 s23, vcc_lo, s23
	s_andn2_b32 exec_lo, exec_lo, s23
	s_cbranch_execz .LBB667_2
.LBB667_7:                              ;   Parent Loop BB667_3 Depth=1
                                        ; =>  This Loop Header: Depth=2
                                        ;       Child Loop BB667_10 Depth 3
                                        ;       Child Loop BB667_12 Depth 3
	;; [unrolled: 1-line block ×5, first 2 shown]
	s_andn2_b32 vcc_lo, exec_lo, s21
	s_mov_b32 s2, -1
	s_cbranch_vccnz .LBB667_14
; %bb.8:                                ;   in Loop: Header=BB667_7 Depth=2
	s_andn2_b32 vcc_lo, exec_lo, s3
	s_cbranch_vccnz .LBB667_13
; %bb.9:                                ;   in Loop: Header=BB667_7 Depth=2
	v_mov_b32_e32 v12, 0
	v_mov_b32_e32 v2, v9
	s_mov_b32 s2, s9
.LBB667_10:                             ;   Parent Loop BB667_3 Depth=1
                                        ;     Parent Loop BB667_7 Depth=2
                                        ; =>    This Inner Loop Header: Depth=3
	v_lshlrev_b64 v[13:14], 2, v[2:3]
	v_add_nc_u32_e32 v2, s10, v2
	s_add_i32 s2, s2, -1
	s_cmp_lg_u32 s2, 0
	v_add_co_u32 v13, vcc_lo, s18, v13
	v_add_co_ci_u32_e64 v14, null, s19, v14, vcc_lo
	global_load_dword v13, v[13:14], off
	s_waitcnt vmcnt(0)
	v_add_f32_e32 v12, v12, v13
	s_cbranch_scc1 .LBB667_10
; %bb.11:                               ;   in Loop: Header=BB667_7 Depth=2
	v_mov_b32_e32 v2, v9
	s_mov_b32 s2, s9
	.p2align	6
.LBB667_12:                             ;   Parent Loop BB667_3 Depth=1
                                        ;     Parent Loop BB667_7 Depth=2
                                        ; =>    This Inner Loop Header: Depth=3
	v_lshlrev_b64 v[13:14], 2, v[2:3]
	v_add_nc_u32_e32 v2, s10, v2
	s_add_i32 s2, s2, -1
	s_cmp_lg_u32 s2, 0
	v_add_co_u32 v15, vcc_lo, s18, v13
	v_add_co_ci_u32_e64 v16, null, s19, v14, vcc_lo
	v_add_co_u32 v17, vcc_lo, s14, v13
	v_add_co_ci_u32_e64 v18, null, s15, v14, vcc_lo
	global_load_dword v15, v[15:16], off
	global_load_dword v16, v[17:18], off
	v_add_co_u32 v13, vcc_lo, s12, v13
	v_add_co_ci_u32_e64 v14, null, s13, v14, vcc_lo
	s_waitcnt vmcnt(0)
	v_fma_f32 v15, -v12, v16, v15
	global_store_dword v[13:14], v15, off
	s_cbranch_scc1 .LBB667_12
.LBB667_13:                             ;   in Loop: Header=BB667_7 Depth=2
	s_mov_b32 s2, 0
.LBB667_14:                             ;   in Loop: Header=BB667_7 Depth=2
	s_andn2_b32 vcc_lo, exec_lo, s2
	s_cbranch_vccnz .LBB667_6
; %bb.15:                               ;   in Loop: Header=BB667_7 Depth=2
	v_mov_b32_e32 v12, 0
	s_and_saveexec_b32 s2, s0
	s_cbranch_execz .LBB667_19
; %bb.16:                               ;   in Loop: Header=BB667_7 Depth=2
	v_mov_b32_e32 v12, 0
	v_mov_b32_e32 v2, v7
	;; [unrolled: 1-line block ×3, first 2 shown]
	s_mov_b32 s24, 0
.LBB667_17:                             ;   Parent Loop BB667_3 Depth=1
                                        ;     Parent Loop BB667_7 Depth=2
                                        ; =>    This Inner Loop Header: Depth=3
	v_lshlrev_b64 v[14:15], 2, v[2:3]
	v_add_nc_u32_e32 v13, s20, v13
	v_add_nc_u32_e32 v2, s22, v2
	v_add_co_u32 v14, vcc_lo, s18, v14
	v_add_co_ci_u32_e64 v15, null, s19, v15, vcc_lo
	v_cmp_le_u32_e32 vcc_lo, s9, v13
	global_load_dword v14, v[14:15], off
	s_or_b32 s24, vcc_lo, s24
	s_waitcnt vmcnt(0)
	v_add_f32_e32 v12, v12, v14
	s_andn2_b32 exec_lo, exec_lo, s24
	s_cbranch_execnz .LBB667_17
; %bb.18:                               ;   in Loop: Header=BB667_7 Depth=2
	s_or_b32 exec_lo, exec_lo, s24
.LBB667_19:                             ;   in Loop: Header=BB667_7 Depth=2
	s_or_b32 exec_lo, exec_lo, s2
	s_mov_b32 s2, s20
	s_waitcnt_vscnt null, 0x0
	s_barrier
	buffer_gl0_inv
	ds_write_b32 v10, v12
	s_branch .LBB667_21
	.p2align	6
.LBB667_20:                             ;   in Loop: Header=BB667_21 Depth=3
	s_or_b32 exec_lo, exec_lo, s25
	s_cmp_gt_u32 s2, 3
	s_mov_b32 s2, s24
	s_cbranch_scc0 .LBB667_23
.LBB667_21:                             ;   Parent Loop BB667_3 Depth=1
                                        ;     Parent Loop BB667_7 Depth=2
                                        ; =>    This Inner Loop Header: Depth=3
	s_lshr_b32 s24, s2, 1
	s_mov_b32 s25, exec_lo
	s_waitcnt lgkmcnt(0)
	s_barrier
	buffer_gl0_inv
	v_cmpx_gt_u32_e64 s24, v0
	s_cbranch_execz .LBB667_20
; %bb.22:                               ;   in Loop: Header=BB667_21 Depth=3
	v_lshl_add_u32 v2, s24, 2, v10
	ds_read_b32 v12, v10
	ds_read_b32 v2, v2
	s_waitcnt lgkmcnt(0)
	v_add_f32_e32 v2, v12, v2
	ds_write_b32 v10, v2
	s_branch .LBB667_20
.LBB667_23:                             ;   in Loop: Header=BB667_7 Depth=2
	s_waitcnt lgkmcnt(0)
	s_barrier
	buffer_gl0_inv
	s_and_saveexec_b32 s24, s0
	s_cbranch_execz .LBB667_5
; %bb.24:                               ;   in Loop: Header=BB667_7 Depth=2
	ds_read_b32 v12, v8
	v_mov_b32_e32 v2, v7
	v_mov_b32_e32 v13, v0
	s_mov_b32 s25, 0
	.p2align	6
.LBB667_25:                             ;   Parent Loop BB667_3 Depth=1
                                        ;     Parent Loop BB667_7 Depth=2
                                        ; =>    This Inner Loop Header: Depth=3
	v_lshlrev_b64 v[14:15], 2, v[2:3]
	v_add_nc_u32_e32 v13, s20, v13
	v_add_nc_u32_e32 v2, s22, v2
	v_add_co_u32 v16, vcc_lo, s18, v14
	v_add_co_ci_u32_e64 v17, null, s19, v15, vcc_lo
	v_add_co_u32 v18, vcc_lo, s14, v14
	v_add_co_ci_u32_e64 v19, null, s15, v15, vcc_lo
	global_load_dword v16, v[16:17], off
	global_load_dword v17, v[18:19], off
	v_cmp_le_u32_e32 vcc_lo, s9, v13
	v_add_co_u32 v14, s2, s12, v14
	v_add_co_ci_u32_e64 v15, null, s13, v15, s2
	s_or_b32 s25, vcc_lo, s25
	s_waitcnt vmcnt(0) lgkmcnt(0)
	v_fma_f32 v16, -v12, v17, v16
	global_store_dword v[14:15], v16, off
	s_andn2_b32 exec_lo, exec_lo, s25
	s_cbranch_execnz .LBB667_25
	s_branch .LBB667_5
.LBB667_26:
	s_endpgm
	.section	.rodata,"a",@progbits
	.p2align	6, 0x0
	.amdhsa_kernel _ZN2at6native12_GLOBAL__N_127cunn_SpatialSoftMaxBackwardIfffNS1_23SoftMaxBackwardEpilogueEEEvPT_PKT1_S8_jjj
		.amdhsa_group_segment_fixed_size 0
		.amdhsa_private_segment_fixed_size 0
		.amdhsa_kernarg_size 296
		.amdhsa_user_sgpr_count 6
		.amdhsa_user_sgpr_private_segment_buffer 1
		.amdhsa_user_sgpr_dispatch_ptr 0
		.amdhsa_user_sgpr_queue_ptr 0
		.amdhsa_user_sgpr_kernarg_segment_ptr 1
		.amdhsa_user_sgpr_dispatch_id 0
		.amdhsa_user_sgpr_flat_scratch_init 0
		.amdhsa_user_sgpr_private_segment_size 0
		.amdhsa_wavefront_size32 1
		.amdhsa_uses_dynamic_stack 0
		.amdhsa_system_sgpr_private_segment_wavefront_offset 0
		.amdhsa_system_sgpr_workgroup_id_x 1
		.amdhsa_system_sgpr_workgroup_id_y 1
		.amdhsa_system_sgpr_workgroup_id_z 0
		.amdhsa_system_sgpr_workgroup_info 0
		.amdhsa_system_vgpr_workitem_id 1
		.amdhsa_next_free_vgpr 20
		.amdhsa_next_free_sgpr 26
		.amdhsa_reserve_vcc 1
		.amdhsa_reserve_flat_scratch 0
		.amdhsa_float_round_mode_32 0
		.amdhsa_float_round_mode_16_64 0
		.amdhsa_float_denorm_mode_32 3
		.amdhsa_float_denorm_mode_16_64 3
		.amdhsa_dx10_clamp 1
		.amdhsa_ieee_mode 1
		.amdhsa_fp16_overflow 0
		.amdhsa_workgroup_processor_mode 1
		.amdhsa_memory_ordered 1
		.amdhsa_forward_progress 1
		.amdhsa_shared_vgpr_count 0
		.amdhsa_exception_fp_ieee_invalid_op 0
		.amdhsa_exception_fp_denorm_src 0
		.amdhsa_exception_fp_ieee_div_zero 0
		.amdhsa_exception_fp_ieee_overflow 0
		.amdhsa_exception_fp_ieee_underflow 0
		.amdhsa_exception_fp_ieee_inexact 0
		.amdhsa_exception_int_div_zero 0
	.end_amdhsa_kernel
	.section	.text._ZN2at6native12_GLOBAL__N_127cunn_SpatialSoftMaxBackwardIfffNS1_23SoftMaxBackwardEpilogueEEEvPT_PKT1_S8_jjj,"axG",@progbits,_ZN2at6native12_GLOBAL__N_127cunn_SpatialSoftMaxBackwardIfffNS1_23SoftMaxBackwardEpilogueEEEvPT_PKT1_S8_jjj,comdat
.Lfunc_end667:
	.size	_ZN2at6native12_GLOBAL__N_127cunn_SpatialSoftMaxBackwardIfffNS1_23SoftMaxBackwardEpilogueEEEvPT_PKT1_S8_jjj, .Lfunc_end667-_ZN2at6native12_GLOBAL__N_127cunn_SpatialSoftMaxBackwardIfffNS1_23SoftMaxBackwardEpilogueEEEvPT_PKT1_S8_jjj
                                        ; -- End function
	.set _ZN2at6native12_GLOBAL__N_127cunn_SpatialSoftMaxBackwardIfffNS1_23SoftMaxBackwardEpilogueEEEvPT_PKT1_S8_jjj.num_vgpr, 20
	.set _ZN2at6native12_GLOBAL__N_127cunn_SpatialSoftMaxBackwardIfffNS1_23SoftMaxBackwardEpilogueEEEvPT_PKT1_S8_jjj.num_agpr, 0
	.set _ZN2at6native12_GLOBAL__N_127cunn_SpatialSoftMaxBackwardIfffNS1_23SoftMaxBackwardEpilogueEEEvPT_PKT1_S8_jjj.numbered_sgpr, 26
	.set _ZN2at6native12_GLOBAL__N_127cunn_SpatialSoftMaxBackwardIfffNS1_23SoftMaxBackwardEpilogueEEEvPT_PKT1_S8_jjj.num_named_barrier, 0
	.set _ZN2at6native12_GLOBAL__N_127cunn_SpatialSoftMaxBackwardIfffNS1_23SoftMaxBackwardEpilogueEEEvPT_PKT1_S8_jjj.private_seg_size, 0
	.set _ZN2at6native12_GLOBAL__N_127cunn_SpatialSoftMaxBackwardIfffNS1_23SoftMaxBackwardEpilogueEEEvPT_PKT1_S8_jjj.uses_vcc, 1
	.set _ZN2at6native12_GLOBAL__N_127cunn_SpatialSoftMaxBackwardIfffNS1_23SoftMaxBackwardEpilogueEEEvPT_PKT1_S8_jjj.uses_flat_scratch, 0
	.set _ZN2at6native12_GLOBAL__N_127cunn_SpatialSoftMaxBackwardIfffNS1_23SoftMaxBackwardEpilogueEEEvPT_PKT1_S8_jjj.has_dyn_sized_stack, 0
	.set _ZN2at6native12_GLOBAL__N_127cunn_SpatialSoftMaxBackwardIfffNS1_23SoftMaxBackwardEpilogueEEEvPT_PKT1_S8_jjj.has_recursion, 0
	.set _ZN2at6native12_GLOBAL__N_127cunn_SpatialSoftMaxBackwardIfffNS1_23SoftMaxBackwardEpilogueEEEvPT_PKT1_S8_jjj.has_indirect_call, 0
	.section	.AMDGPU.csdata,"",@progbits
; Kernel info:
; codeLenInByte = 1020
; TotalNumSgprs: 28
; NumVgprs: 20
; ScratchSize: 0
; MemoryBound: 0
; FloatMode: 240
; IeeeMode: 1
; LDSByteSize: 0 bytes/workgroup (compile time only)
; SGPRBlocks: 0
; VGPRBlocks: 2
; NumSGPRsForWavesPerEU: 28
; NumVGPRsForWavesPerEU: 20
; Occupancy: 16
; WaveLimiterHint : 0
; COMPUTE_PGM_RSRC2:SCRATCH_EN: 0
; COMPUTE_PGM_RSRC2:USER_SGPR: 6
; COMPUTE_PGM_RSRC2:TRAP_HANDLER: 0
; COMPUTE_PGM_RSRC2:TGID_X_EN: 1
; COMPUTE_PGM_RSRC2:TGID_Y_EN: 1
; COMPUTE_PGM_RSRC2:TGID_Z_EN: 0
; COMPUTE_PGM_RSRC2:TIDIG_COMP_CNT: 1
	.section	.text._ZN2at6native12_GLOBAL__N_127cunn_SpatialSoftMaxBackwardIN3c104HalfEfS4_NS1_23SoftMaxBackwardEpilogueEEEvPT_PKT1_SA_jjj,"axG",@progbits,_ZN2at6native12_GLOBAL__N_127cunn_SpatialSoftMaxBackwardIN3c104HalfEfS4_NS1_23SoftMaxBackwardEpilogueEEEvPT_PKT1_SA_jjj,comdat
	.globl	_ZN2at6native12_GLOBAL__N_127cunn_SpatialSoftMaxBackwardIN3c104HalfEfS4_NS1_23SoftMaxBackwardEpilogueEEEvPT_PKT1_SA_jjj ; -- Begin function _ZN2at6native12_GLOBAL__N_127cunn_SpatialSoftMaxBackwardIN3c104HalfEfS4_NS1_23SoftMaxBackwardEpilogueEEEvPT_PKT1_SA_jjj
	.p2align	8
	.type	_ZN2at6native12_GLOBAL__N_127cunn_SpatialSoftMaxBackwardIN3c104HalfEfS4_NS1_23SoftMaxBackwardEpilogueEEEvPT_PKT1_SA_jjj,@function
_ZN2at6native12_GLOBAL__N_127cunn_SpatialSoftMaxBackwardIN3c104HalfEfS4_NS1_23SoftMaxBackwardEpilogueEEEvPT_PKT1_SA_jjj: ; @_ZN2at6native12_GLOBAL__N_127cunn_SpatialSoftMaxBackwardIN3c104HalfEfS4_NS1_23SoftMaxBackwardEpilogueEEEvPT_PKT1_SA_jjj
; %bb.0:
	s_load_dwordx4 s[8:11], s[4:5], 0x18
	s_waitcnt lgkmcnt(0)
	s_cmp_ge_u32 s6, s8
	s_cbranch_scc1 .LBB668_26
; %bb.1:
	s_clause 0x1
	s_load_dword s1, s[4:5], 0x34
	s_load_dwordx2 s[16:17], s[4:5], 0x28
	s_mul_i32 s2, s6, s9
	s_clause 0x1
	s_load_dwordx4 s[12:15], s[4:5], 0x0
	s_load_dwordx2 s[18:19], s[4:5], 0x10
	v_add_nc_u32_e32 v2, s2, v0
	s_add_u32 s4, s4, 40
	s_addc_u32 s5, s5, 0
	s_mul_i32 s2, s2, s10
	v_cmp_gt_u32_e64 s0, s9, v0
	v_mul_lo_u32 v2, s10, v2
	v_mov_b32_e32 v3, 0
	s_waitcnt lgkmcnt(0)
	s_lshr_b32 s11, s1, 16
	s_cmp_lg_u32 s9, 0
	s_mul_i32 s7, s7, s11
	s_cselect_b32 s3, -1, 0
	v_add_nc_u32_e32 v4, s7, v1
	v_add3_u32 v5, s7, s2, v1
	v_add3_u32 v6, v1, v2, s7
	s_mul_i32 s2, s16, s10
	s_mul_i32 s7, s17, s11
	v_cmp_gt_u32_e64 s1, s10, v4
	s_mul_i32 s11, s2, s9
	s_branch .LBB668_3
.LBB668_2:                              ;   in Loop: Header=BB668_3 Depth=1
	s_or_b32 exec_lo, exec_lo, s17
	v_add_nc_u32_e32 v5, s11, v5
	v_add_nc_u32_e32 v6, s11, v6
	s_add_i32 s6, s16, s6
	s_cmp_ge_u32 s6, s8
	s_cbranch_scc1 .LBB668_26
.LBB668_3:                              ; =>This Loop Header: Depth=1
                                        ;     Child Loop BB668_7 Depth 2
                                        ;       Child Loop BB668_10 Depth 3
                                        ;       Child Loop BB668_12 Depth 3
	;; [unrolled: 1-line block ×5, first 2 shown]
	s_and_saveexec_b32 s17, s1
	s_cbranch_execz .LBB668_2
; %bb.4:                                ;   in Loop: Header=BB668_3 Depth=1
	s_load_dword s2, s[4:5], 0xc
	v_mov_b32_e32 v7, v6
	v_mov_b32_e32 v9, v5
	;; [unrolled: 1-line block ×3, first 2 shown]
	s_mov_b32 s23, 0
	s_waitcnt lgkmcnt(0)
	s_and_b32 s20, s2, 0xffff
	v_mul_u32_u24_e32 v2, s20, v1
	s_cmp_lt_u32 s20, 2
	s_mul_i32 s22, s10, s20
	s_cselect_b32 s21, -1, 0
	v_lshl_add_u32 v8, v2, 2, 0
	v_lshl_add_u32 v10, v0, 2, v8
	s_branch .LBB668_7
.LBB668_5:                              ;   in Loop: Header=BB668_7 Depth=2
	s_or_b32 exec_lo, exec_lo, s24
.LBB668_6:                              ;   in Loop: Header=BB668_7 Depth=2
	v_add_nc_u32_e32 v11, s7, v11
	v_add_nc_u32_e32 v9, s7, v9
	v_add_nc_u32_e32 v7, s7, v7
	v_cmp_le_u32_e32 vcc_lo, s10, v11
	s_or_b32 s23, vcc_lo, s23
	s_andn2_b32 exec_lo, exec_lo, s23
	s_cbranch_execz .LBB668_2
.LBB668_7:                              ;   Parent Loop BB668_3 Depth=1
                                        ; =>  This Loop Header: Depth=2
                                        ;       Child Loop BB668_10 Depth 3
                                        ;       Child Loop BB668_12 Depth 3
	;; [unrolled: 1-line block ×5, first 2 shown]
	s_andn2_b32 vcc_lo, exec_lo, s21
	s_mov_b32 s2, -1
	s_cbranch_vccnz .LBB668_14
; %bb.8:                                ;   in Loop: Header=BB668_7 Depth=2
	s_andn2_b32 vcc_lo, exec_lo, s3
	s_cbranch_vccnz .LBB668_13
; %bb.9:                                ;   in Loop: Header=BB668_7 Depth=2
	v_mov_b32_e32 v12, 0
	v_mov_b32_e32 v2, v9
	s_mov_b32 s2, s9
.LBB668_10:                             ;   Parent Loop BB668_3 Depth=1
                                        ;     Parent Loop BB668_7 Depth=2
                                        ; =>    This Inner Loop Header: Depth=3
	v_lshlrev_b64 v[13:14], 1, v[2:3]
	v_add_nc_u32_e32 v2, s10, v2
	s_add_i32 s2, s2, -1
	s_cmp_lg_u32 s2, 0
	v_add_co_u32 v13, vcc_lo, s18, v13
	v_add_co_ci_u32_e64 v14, null, s19, v14, vcc_lo
	global_load_ushort v13, v[13:14], off
	s_waitcnt vmcnt(0)
	v_cvt_f32_f16_e32 v13, v13
	v_add_f32_e32 v12, v12, v13
	s_cbranch_scc1 .LBB668_10
; %bb.11:                               ;   in Loop: Header=BB668_7 Depth=2
	v_mov_b32_e32 v2, v9
	s_mov_b32 s2, s9
	.p2align	6
.LBB668_12:                             ;   Parent Loop BB668_3 Depth=1
                                        ;     Parent Loop BB668_7 Depth=2
                                        ; =>    This Inner Loop Header: Depth=3
	v_lshlrev_b64 v[13:14], 1, v[2:3]
	v_add_nc_u32_e32 v2, s10, v2
	s_add_i32 s2, s2, -1
	s_cmp_lg_u32 s2, 0
	v_add_co_u32 v15, vcc_lo, s18, v13
	v_add_co_ci_u32_e64 v16, null, s19, v14, vcc_lo
	v_add_co_u32 v17, vcc_lo, s14, v13
	v_add_co_ci_u32_e64 v18, null, s15, v14, vcc_lo
	global_load_ushort v15, v[15:16], off
	global_load_ushort v16, v[17:18], off
	v_add_co_u32 v13, vcc_lo, s12, v13
	v_add_co_ci_u32_e64 v14, null, s13, v14, vcc_lo
	s_waitcnt vmcnt(0)
	v_fma_mixlo_f16 v15, -v12, v16, v15 op_sel_hi:[0,1,1]
	global_store_short v[13:14], v15, off
	s_cbranch_scc1 .LBB668_12
.LBB668_13:                             ;   in Loop: Header=BB668_7 Depth=2
	s_mov_b32 s2, 0
.LBB668_14:                             ;   in Loop: Header=BB668_7 Depth=2
	s_andn2_b32 vcc_lo, exec_lo, s2
	s_cbranch_vccnz .LBB668_6
; %bb.15:                               ;   in Loop: Header=BB668_7 Depth=2
	v_mov_b32_e32 v12, 0
	s_and_saveexec_b32 s2, s0
	s_cbranch_execz .LBB668_19
; %bb.16:                               ;   in Loop: Header=BB668_7 Depth=2
	v_mov_b32_e32 v12, 0
	v_mov_b32_e32 v2, v7
	;; [unrolled: 1-line block ×3, first 2 shown]
	s_mov_b32 s24, 0
.LBB668_17:                             ;   Parent Loop BB668_3 Depth=1
                                        ;     Parent Loop BB668_7 Depth=2
                                        ; =>    This Inner Loop Header: Depth=3
	v_lshlrev_b64 v[14:15], 1, v[2:3]
	v_add_nc_u32_e32 v13, s20, v13
	v_add_nc_u32_e32 v2, s22, v2
	v_add_co_u32 v14, vcc_lo, s18, v14
	v_add_co_ci_u32_e64 v15, null, s19, v15, vcc_lo
	v_cmp_le_u32_e32 vcc_lo, s9, v13
	global_load_ushort v14, v[14:15], off
	s_or_b32 s24, vcc_lo, s24
	s_waitcnt vmcnt(0)
	v_cvt_f32_f16_e32 v14, v14
	v_add_f32_e32 v12, v12, v14
	s_andn2_b32 exec_lo, exec_lo, s24
	s_cbranch_execnz .LBB668_17
; %bb.18:                               ;   in Loop: Header=BB668_7 Depth=2
	s_or_b32 exec_lo, exec_lo, s24
.LBB668_19:                             ;   in Loop: Header=BB668_7 Depth=2
	s_or_b32 exec_lo, exec_lo, s2
	s_mov_b32 s2, s20
	s_waitcnt_vscnt null, 0x0
	s_barrier
	buffer_gl0_inv
	ds_write_b32 v10, v12
	s_branch .LBB668_21
	.p2align	6
.LBB668_20:                             ;   in Loop: Header=BB668_21 Depth=3
	s_or_b32 exec_lo, exec_lo, s25
	s_cmp_gt_u32 s2, 3
	s_mov_b32 s2, s24
	s_cbranch_scc0 .LBB668_23
.LBB668_21:                             ;   Parent Loop BB668_3 Depth=1
                                        ;     Parent Loop BB668_7 Depth=2
                                        ; =>    This Inner Loop Header: Depth=3
	s_lshr_b32 s24, s2, 1
	s_mov_b32 s25, exec_lo
	s_waitcnt lgkmcnt(0)
	s_barrier
	buffer_gl0_inv
	v_cmpx_gt_u32_e64 s24, v0
	s_cbranch_execz .LBB668_20
; %bb.22:                               ;   in Loop: Header=BB668_21 Depth=3
	v_lshl_add_u32 v2, s24, 2, v10
	ds_read_b32 v12, v10
	ds_read_b32 v2, v2
	s_waitcnt lgkmcnt(0)
	v_add_f32_e32 v2, v12, v2
	ds_write_b32 v10, v2
	s_branch .LBB668_20
.LBB668_23:                             ;   in Loop: Header=BB668_7 Depth=2
	s_waitcnt lgkmcnt(0)
	s_barrier
	buffer_gl0_inv
	s_and_saveexec_b32 s24, s0
	s_cbranch_execz .LBB668_5
; %bb.24:                               ;   in Loop: Header=BB668_7 Depth=2
	ds_read_b32 v12, v8
	v_mov_b32_e32 v2, v7
	v_mov_b32_e32 v13, v0
	s_mov_b32 s25, 0
	.p2align	6
.LBB668_25:                             ;   Parent Loop BB668_3 Depth=1
                                        ;     Parent Loop BB668_7 Depth=2
                                        ; =>    This Inner Loop Header: Depth=3
	v_lshlrev_b64 v[14:15], 1, v[2:3]
	v_add_nc_u32_e32 v13, s20, v13
	v_add_nc_u32_e32 v2, s22, v2
	v_add_co_u32 v16, vcc_lo, s18, v14
	v_add_co_ci_u32_e64 v17, null, s19, v15, vcc_lo
	v_add_co_u32 v18, vcc_lo, s14, v14
	v_add_co_ci_u32_e64 v19, null, s15, v15, vcc_lo
	global_load_ushort v16, v[16:17], off
	global_load_ushort v17, v[18:19], off
	v_cmp_le_u32_e32 vcc_lo, s9, v13
	v_add_co_u32 v14, s2, s12, v14
	v_add_co_ci_u32_e64 v15, null, s13, v15, s2
	s_or_b32 s25, vcc_lo, s25
	s_waitcnt vmcnt(0) lgkmcnt(0)
	v_fma_mixlo_f16 v16, -v12, v17, v16 op_sel_hi:[0,1,1]
	global_store_short v[14:15], v16, off
	s_andn2_b32 exec_lo, exec_lo, s25
	s_cbranch_execnz .LBB668_25
	s_branch .LBB668_5
.LBB668_26:
	s_endpgm
	.section	.rodata,"a",@progbits
	.p2align	6, 0x0
	.amdhsa_kernel _ZN2at6native12_GLOBAL__N_127cunn_SpatialSoftMaxBackwardIN3c104HalfEfS4_NS1_23SoftMaxBackwardEpilogueEEEvPT_PKT1_SA_jjj
		.amdhsa_group_segment_fixed_size 0
		.amdhsa_private_segment_fixed_size 0
		.amdhsa_kernarg_size 296
		.amdhsa_user_sgpr_count 6
		.amdhsa_user_sgpr_private_segment_buffer 1
		.amdhsa_user_sgpr_dispatch_ptr 0
		.amdhsa_user_sgpr_queue_ptr 0
		.amdhsa_user_sgpr_kernarg_segment_ptr 1
		.amdhsa_user_sgpr_dispatch_id 0
		.amdhsa_user_sgpr_flat_scratch_init 0
		.amdhsa_user_sgpr_private_segment_size 0
		.amdhsa_wavefront_size32 1
		.amdhsa_uses_dynamic_stack 0
		.amdhsa_system_sgpr_private_segment_wavefront_offset 0
		.amdhsa_system_sgpr_workgroup_id_x 1
		.amdhsa_system_sgpr_workgroup_id_y 1
		.amdhsa_system_sgpr_workgroup_id_z 0
		.amdhsa_system_sgpr_workgroup_info 0
		.amdhsa_system_vgpr_workitem_id 1
		.amdhsa_next_free_vgpr 20
		.amdhsa_next_free_sgpr 26
		.amdhsa_reserve_vcc 1
		.amdhsa_reserve_flat_scratch 0
		.amdhsa_float_round_mode_32 0
		.amdhsa_float_round_mode_16_64 0
		.amdhsa_float_denorm_mode_32 3
		.amdhsa_float_denorm_mode_16_64 3
		.amdhsa_dx10_clamp 1
		.amdhsa_ieee_mode 1
		.amdhsa_fp16_overflow 0
		.amdhsa_workgroup_processor_mode 1
		.amdhsa_memory_ordered 1
		.amdhsa_forward_progress 1
		.amdhsa_shared_vgpr_count 0
		.amdhsa_exception_fp_ieee_invalid_op 0
		.amdhsa_exception_fp_denorm_src 0
		.amdhsa_exception_fp_ieee_div_zero 0
		.amdhsa_exception_fp_ieee_overflow 0
		.amdhsa_exception_fp_ieee_underflow 0
		.amdhsa_exception_fp_ieee_inexact 0
		.amdhsa_exception_int_div_zero 0
	.end_amdhsa_kernel
	.section	.text._ZN2at6native12_GLOBAL__N_127cunn_SpatialSoftMaxBackwardIN3c104HalfEfS4_NS1_23SoftMaxBackwardEpilogueEEEvPT_PKT1_SA_jjj,"axG",@progbits,_ZN2at6native12_GLOBAL__N_127cunn_SpatialSoftMaxBackwardIN3c104HalfEfS4_NS1_23SoftMaxBackwardEpilogueEEEvPT_PKT1_SA_jjj,comdat
.Lfunc_end668:
	.size	_ZN2at6native12_GLOBAL__N_127cunn_SpatialSoftMaxBackwardIN3c104HalfEfS4_NS1_23SoftMaxBackwardEpilogueEEEvPT_PKT1_SA_jjj, .Lfunc_end668-_ZN2at6native12_GLOBAL__N_127cunn_SpatialSoftMaxBackwardIN3c104HalfEfS4_NS1_23SoftMaxBackwardEpilogueEEEvPT_PKT1_SA_jjj
                                        ; -- End function
	.set _ZN2at6native12_GLOBAL__N_127cunn_SpatialSoftMaxBackwardIN3c104HalfEfS4_NS1_23SoftMaxBackwardEpilogueEEEvPT_PKT1_SA_jjj.num_vgpr, 20
	.set _ZN2at6native12_GLOBAL__N_127cunn_SpatialSoftMaxBackwardIN3c104HalfEfS4_NS1_23SoftMaxBackwardEpilogueEEEvPT_PKT1_SA_jjj.num_agpr, 0
	.set _ZN2at6native12_GLOBAL__N_127cunn_SpatialSoftMaxBackwardIN3c104HalfEfS4_NS1_23SoftMaxBackwardEpilogueEEEvPT_PKT1_SA_jjj.numbered_sgpr, 26
	.set _ZN2at6native12_GLOBAL__N_127cunn_SpatialSoftMaxBackwardIN3c104HalfEfS4_NS1_23SoftMaxBackwardEpilogueEEEvPT_PKT1_SA_jjj.num_named_barrier, 0
	.set _ZN2at6native12_GLOBAL__N_127cunn_SpatialSoftMaxBackwardIN3c104HalfEfS4_NS1_23SoftMaxBackwardEpilogueEEEvPT_PKT1_SA_jjj.private_seg_size, 0
	.set _ZN2at6native12_GLOBAL__N_127cunn_SpatialSoftMaxBackwardIN3c104HalfEfS4_NS1_23SoftMaxBackwardEpilogueEEEvPT_PKT1_SA_jjj.uses_vcc, 1
	.set _ZN2at6native12_GLOBAL__N_127cunn_SpatialSoftMaxBackwardIN3c104HalfEfS4_NS1_23SoftMaxBackwardEpilogueEEEvPT_PKT1_SA_jjj.uses_flat_scratch, 0
	.set _ZN2at6native12_GLOBAL__N_127cunn_SpatialSoftMaxBackwardIN3c104HalfEfS4_NS1_23SoftMaxBackwardEpilogueEEEvPT_PKT1_SA_jjj.has_dyn_sized_stack, 0
	.set _ZN2at6native12_GLOBAL__N_127cunn_SpatialSoftMaxBackwardIN3c104HalfEfS4_NS1_23SoftMaxBackwardEpilogueEEEvPT_PKT1_SA_jjj.has_recursion, 0
	.set _ZN2at6native12_GLOBAL__N_127cunn_SpatialSoftMaxBackwardIN3c104HalfEfS4_NS1_23SoftMaxBackwardEpilogueEEEvPT_PKT1_SA_jjj.has_indirect_call, 0
	.section	.AMDGPU.csdata,"",@progbits
; Kernel info:
; codeLenInByte = 1020
; TotalNumSgprs: 28
; NumVgprs: 20
; ScratchSize: 0
; MemoryBound: 0
; FloatMode: 240
; IeeeMode: 1
; LDSByteSize: 0 bytes/workgroup (compile time only)
; SGPRBlocks: 0
; VGPRBlocks: 2
; NumSGPRsForWavesPerEU: 28
; NumVGPRsForWavesPerEU: 20
; Occupancy: 16
; WaveLimiterHint : 0
; COMPUTE_PGM_RSRC2:SCRATCH_EN: 0
; COMPUTE_PGM_RSRC2:USER_SGPR: 6
; COMPUTE_PGM_RSRC2:TRAP_HANDLER: 0
; COMPUTE_PGM_RSRC2:TGID_X_EN: 1
; COMPUTE_PGM_RSRC2:TGID_Y_EN: 1
; COMPUTE_PGM_RSRC2:TGID_Z_EN: 0
; COMPUTE_PGM_RSRC2:TIDIG_COMP_CNT: 1
	.section	.text._ZN2at6native12_GLOBAL__N_127cunn_SpatialSoftMaxBackwardIN3c104HalfEffNS1_23SoftMaxBackwardEpilogueEEEvPT_PKT1_SA_jjj,"axG",@progbits,_ZN2at6native12_GLOBAL__N_127cunn_SpatialSoftMaxBackwardIN3c104HalfEffNS1_23SoftMaxBackwardEpilogueEEEvPT_PKT1_SA_jjj,comdat
	.globl	_ZN2at6native12_GLOBAL__N_127cunn_SpatialSoftMaxBackwardIN3c104HalfEffNS1_23SoftMaxBackwardEpilogueEEEvPT_PKT1_SA_jjj ; -- Begin function _ZN2at6native12_GLOBAL__N_127cunn_SpatialSoftMaxBackwardIN3c104HalfEffNS1_23SoftMaxBackwardEpilogueEEEvPT_PKT1_SA_jjj
	.p2align	8
	.type	_ZN2at6native12_GLOBAL__N_127cunn_SpatialSoftMaxBackwardIN3c104HalfEffNS1_23SoftMaxBackwardEpilogueEEEvPT_PKT1_SA_jjj,@function
_ZN2at6native12_GLOBAL__N_127cunn_SpatialSoftMaxBackwardIN3c104HalfEffNS1_23SoftMaxBackwardEpilogueEEEvPT_PKT1_SA_jjj: ; @_ZN2at6native12_GLOBAL__N_127cunn_SpatialSoftMaxBackwardIN3c104HalfEffNS1_23SoftMaxBackwardEpilogueEEEvPT_PKT1_SA_jjj
; %bb.0:
	s_load_dwordx4 s[8:11], s[4:5], 0x18
	s_waitcnt lgkmcnt(0)
	s_cmp_ge_u32 s6, s8
	s_cbranch_scc1 .LBB669_26
; %bb.1:
	s_clause 0x1
	s_load_dword s1, s[4:5], 0x34
	s_load_dwordx2 s[16:17], s[4:5], 0x28
	s_mul_i32 s2, s6, s9
	s_clause 0x1
	s_load_dwordx4 s[12:15], s[4:5], 0x0
	s_load_dwordx2 s[18:19], s[4:5], 0x10
	v_add_nc_u32_e32 v2, s2, v0
	s_add_u32 s4, s4, 40
	s_addc_u32 s5, s5, 0
	s_mul_i32 s2, s2, s10
	v_cmp_gt_u32_e64 s0, s9, v0
	v_mul_lo_u32 v2, s10, v2
	v_mov_b32_e32 v3, 0
	s_waitcnt lgkmcnt(0)
	s_lshr_b32 s11, s1, 16
	s_cmp_lg_u32 s9, 0
	s_mul_i32 s7, s7, s11
	s_cselect_b32 s3, -1, 0
	v_add_nc_u32_e32 v4, s7, v1
	v_add3_u32 v5, s7, s2, v1
	v_add3_u32 v6, v1, v2, s7
	s_mul_i32 s2, s16, s10
	s_mul_i32 s7, s17, s11
	v_cmp_gt_u32_e64 s1, s10, v4
	s_mul_i32 s11, s2, s9
	s_branch .LBB669_3
.LBB669_2:                              ;   in Loop: Header=BB669_3 Depth=1
	s_or_b32 exec_lo, exec_lo, s17
	v_add_nc_u32_e32 v5, s11, v5
	v_add_nc_u32_e32 v6, s11, v6
	s_add_i32 s6, s16, s6
	s_cmp_ge_u32 s6, s8
	s_cbranch_scc1 .LBB669_26
.LBB669_3:                              ; =>This Loop Header: Depth=1
                                        ;     Child Loop BB669_7 Depth 2
                                        ;       Child Loop BB669_10 Depth 3
                                        ;       Child Loop BB669_12 Depth 3
	;; [unrolled: 1-line block ×5, first 2 shown]
	s_and_saveexec_b32 s17, s1
	s_cbranch_execz .LBB669_2
; %bb.4:                                ;   in Loop: Header=BB669_3 Depth=1
	s_load_dword s2, s[4:5], 0xc
	v_mov_b32_e32 v7, v6
	v_mov_b32_e32 v9, v5
	;; [unrolled: 1-line block ×3, first 2 shown]
	s_mov_b32 s23, 0
	s_waitcnt lgkmcnt(0)
	s_and_b32 s20, s2, 0xffff
	v_mul_u32_u24_e32 v2, s20, v1
	s_cmp_lt_u32 s20, 2
	s_mul_i32 s22, s10, s20
	s_cselect_b32 s21, -1, 0
	v_lshl_add_u32 v8, v2, 2, 0
	v_lshl_add_u32 v10, v0, 2, v8
	s_branch .LBB669_7
.LBB669_5:                              ;   in Loop: Header=BB669_7 Depth=2
	s_or_b32 exec_lo, exec_lo, s24
.LBB669_6:                              ;   in Loop: Header=BB669_7 Depth=2
	v_add_nc_u32_e32 v11, s7, v11
	v_add_nc_u32_e32 v9, s7, v9
	;; [unrolled: 1-line block ×3, first 2 shown]
	v_cmp_le_u32_e32 vcc_lo, s10, v11
	s_or_b32 s23, vcc_lo, s23
	s_andn2_b32 exec_lo, exec_lo, s23
	s_cbranch_execz .LBB669_2
.LBB669_7:                              ;   Parent Loop BB669_3 Depth=1
                                        ; =>  This Loop Header: Depth=2
                                        ;       Child Loop BB669_10 Depth 3
                                        ;       Child Loop BB669_12 Depth 3
	;; [unrolled: 1-line block ×5, first 2 shown]
	s_andn2_b32 vcc_lo, exec_lo, s21
	s_mov_b32 s2, -1
	s_cbranch_vccnz .LBB669_14
; %bb.8:                                ;   in Loop: Header=BB669_7 Depth=2
	s_andn2_b32 vcc_lo, exec_lo, s3
	s_cbranch_vccnz .LBB669_13
; %bb.9:                                ;   in Loop: Header=BB669_7 Depth=2
	v_mov_b32_e32 v12, 0
	v_mov_b32_e32 v2, v9
	s_mov_b32 s2, s9
.LBB669_10:                             ;   Parent Loop BB669_3 Depth=1
                                        ;     Parent Loop BB669_7 Depth=2
                                        ; =>    This Inner Loop Header: Depth=3
	v_lshlrev_b64 v[13:14], 2, v[2:3]
	v_add_nc_u32_e32 v2, s10, v2
	s_add_i32 s2, s2, -1
	s_cmp_lg_u32 s2, 0
	v_add_co_u32 v13, vcc_lo, s18, v13
	v_add_co_ci_u32_e64 v14, null, s19, v14, vcc_lo
	global_load_dword v13, v[13:14], off
	s_waitcnt vmcnt(0)
	v_add_f32_e32 v12, v12, v13
	s_cbranch_scc1 .LBB669_10
; %bb.11:                               ;   in Loop: Header=BB669_7 Depth=2
	v_mov_b32_e32 v2, v9
	s_mov_b32 s2, s9
	.p2align	6
.LBB669_12:                             ;   Parent Loop BB669_3 Depth=1
                                        ;     Parent Loop BB669_7 Depth=2
                                        ; =>    This Inner Loop Header: Depth=3
	v_lshlrev_b64 v[13:14], 2, v[2:3]
	s_add_i32 s2, s2, -1
	s_cmp_lg_u32 s2, 0
	v_add_co_u32 v15, vcc_lo, s18, v13
	v_add_co_ci_u32_e64 v16, null, s19, v14, vcc_lo
	v_add_co_u32 v13, vcc_lo, s14, v13
	v_add_co_ci_u32_e64 v14, null, s15, v14, vcc_lo
	global_load_dword v15, v[15:16], off
	global_load_dword v16, v[13:14], off
	v_lshlrev_b64 v[13:14], 1, v[2:3]
	v_add_nc_u32_e32 v2, s10, v2
	v_add_co_u32 v13, vcc_lo, s12, v13
	v_add_co_ci_u32_e64 v14, null, s13, v14, vcc_lo
	s_waitcnt vmcnt(0)
	v_fma_mixlo_f16 v15, -v12, v16, v15
	global_store_short v[13:14], v15, off
	s_cbranch_scc1 .LBB669_12
.LBB669_13:                             ;   in Loop: Header=BB669_7 Depth=2
	s_mov_b32 s2, 0
.LBB669_14:                             ;   in Loop: Header=BB669_7 Depth=2
	s_andn2_b32 vcc_lo, exec_lo, s2
	s_cbranch_vccnz .LBB669_6
; %bb.15:                               ;   in Loop: Header=BB669_7 Depth=2
	v_mov_b32_e32 v12, 0
	s_and_saveexec_b32 s2, s0
	s_cbranch_execz .LBB669_19
; %bb.16:                               ;   in Loop: Header=BB669_7 Depth=2
	v_mov_b32_e32 v12, 0
	v_mov_b32_e32 v2, v7
	;; [unrolled: 1-line block ×3, first 2 shown]
	s_mov_b32 s24, 0
.LBB669_17:                             ;   Parent Loop BB669_3 Depth=1
                                        ;     Parent Loop BB669_7 Depth=2
                                        ; =>    This Inner Loop Header: Depth=3
	v_lshlrev_b64 v[14:15], 2, v[2:3]
	v_add_nc_u32_e32 v13, s20, v13
	v_add_nc_u32_e32 v2, s22, v2
	v_add_co_u32 v14, vcc_lo, s18, v14
	v_add_co_ci_u32_e64 v15, null, s19, v15, vcc_lo
	v_cmp_le_u32_e32 vcc_lo, s9, v13
	global_load_dword v14, v[14:15], off
	s_or_b32 s24, vcc_lo, s24
	s_waitcnt vmcnt(0)
	v_add_f32_e32 v12, v12, v14
	s_andn2_b32 exec_lo, exec_lo, s24
	s_cbranch_execnz .LBB669_17
; %bb.18:                               ;   in Loop: Header=BB669_7 Depth=2
	s_or_b32 exec_lo, exec_lo, s24
.LBB669_19:                             ;   in Loop: Header=BB669_7 Depth=2
	s_or_b32 exec_lo, exec_lo, s2
	s_mov_b32 s2, s20
	s_waitcnt_vscnt null, 0x0
	s_barrier
	buffer_gl0_inv
	ds_write_b32 v10, v12
	s_branch .LBB669_21
	.p2align	6
.LBB669_20:                             ;   in Loop: Header=BB669_21 Depth=3
	s_or_b32 exec_lo, exec_lo, s25
	s_cmp_gt_u32 s2, 3
	s_mov_b32 s2, s24
	s_cbranch_scc0 .LBB669_23
.LBB669_21:                             ;   Parent Loop BB669_3 Depth=1
                                        ;     Parent Loop BB669_7 Depth=2
                                        ; =>    This Inner Loop Header: Depth=3
	s_lshr_b32 s24, s2, 1
	s_mov_b32 s25, exec_lo
	s_waitcnt lgkmcnt(0)
	s_barrier
	buffer_gl0_inv
	v_cmpx_gt_u32_e64 s24, v0
	s_cbranch_execz .LBB669_20
; %bb.22:                               ;   in Loop: Header=BB669_21 Depth=3
	v_lshl_add_u32 v2, s24, 2, v10
	ds_read_b32 v12, v10
	ds_read_b32 v2, v2
	s_waitcnt lgkmcnt(0)
	v_add_f32_e32 v2, v12, v2
	ds_write_b32 v10, v2
	s_branch .LBB669_20
.LBB669_23:                             ;   in Loop: Header=BB669_7 Depth=2
	s_waitcnt lgkmcnt(0)
	s_barrier
	buffer_gl0_inv
	s_and_saveexec_b32 s24, s0
	s_cbranch_execz .LBB669_5
; %bb.24:                               ;   in Loop: Header=BB669_7 Depth=2
	ds_read_b32 v12, v8
	v_mov_b32_e32 v2, v7
	v_mov_b32_e32 v13, v0
	s_mov_b32 s25, 0
	.p2align	6
.LBB669_25:                             ;   Parent Loop BB669_3 Depth=1
                                        ;     Parent Loop BB669_7 Depth=2
                                        ; =>    This Inner Loop Header: Depth=3
	v_lshlrev_b64 v[14:15], 2, v[2:3]
	v_add_nc_u32_e32 v13, s20, v13
	v_add_co_u32 v16, vcc_lo, s18, v14
	v_add_co_ci_u32_e64 v17, null, s19, v15, vcc_lo
	v_add_co_u32 v14, vcc_lo, s14, v14
	v_add_co_ci_u32_e64 v15, null, s15, v15, vcc_lo
	global_load_dword v16, v[16:17], off
	global_load_dword v17, v[14:15], off
	v_lshlrev_b64 v[14:15], 1, v[2:3]
	v_cmp_le_u32_e32 vcc_lo, s9, v13
	v_add_nc_u32_e32 v2, s22, v2
	v_add_co_u32 v14, s2, s12, v14
	v_add_co_ci_u32_e64 v15, null, s13, v15, s2
	s_or_b32 s25, vcc_lo, s25
	s_waitcnt vmcnt(0) lgkmcnt(0)
	v_fma_mixlo_f16 v16, -v12, v17, v16
	global_store_short v[14:15], v16, off
	s_andn2_b32 exec_lo, exec_lo, s25
	s_cbranch_execnz .LBB669_25
	s_branch .LBB669_5
.LBB669_26:
	s_endpgm
	.section	.rodata,"a",@progbits
	.p2align	6, 0x0
	.amdhsa_kernel _ZN2at6native12_GLOBAL__N_127cunn_SpatialSoftMaxBackwardIN3c104HalfEffNS1_23SoftMaxBackwardEpilogueEEEvPT_PKT1_SA_jjj
		.amdhsa_group_segment_fixed_size 0
		.amdhsa_private_segment_fixed_size 0
		.amdhsa_kernarg_size 296
		.amdhsa_user_sgpr_count 6
		.amdhsa_user_sgpr_private_segment_buffer 1
		.amdhsa_user_sgpr_dispatch_ptr 0
		.amdhsa_user_sgpr_queue_ptr 0
		.amdhsa_user_sgpr_kernarg_segment_ptr 1
		.amdhsa_user_sgpr_dispatch_id 0
		.amdhsa_user_sgpr_flat_scratch_init 0
		.amdhsa_user_sgpr_private_segment_size 0
		.amdhsa_wavefront_size32 1
		.amdhsa_uses_dynamic_stack 0
		.amdhsa_system_sgpr_private_segment_wavefront_offset 0
		.amdhsa_system_sgpr_workgroup_id_x 1
		.amdhsa_system_sgpr_workgroup_id_y 1
		.amdhsa_system_sgpr_workgroup_id_z 0
		.amdhsa_system_sgpr_workgroup_info 0
		.amdhsa_system_vgpr_workitem_id 1
		.amdhsa_next_free_vgpr 18
		.amdhsa_next_free_sgpr 26
		.amdhsa_reserve_vcc 1
		.amdhsa_reserve_flat_scratch 0
		.amdhsa_float_round_mode_32 0
		.amdhsa_float_round_mode_16_64 0
		.amdhsa_float_denorm_mode_32 3
		.amdhsa_float_denorm_mode_16_64 3
		.amdhsa_dx10_clamp 1
		.amdhsa_ieee_mode 1
		.amdhsa_fp16_overflow 0
		.amdhsa_workgroup_processor_mode 1
		.amdhsa_memory_ordered 1
		.amdhsa_forward_progress 1
		.amdhsa_shared_vgpr_count 0
		.amdhsa_exception_fp_ieee_invalid_op 0
		.amdhsa_exception_fp_denorm_src 0
		.amdhsa_exception_fp_ieee_div_zero 0
		.amdhsa_exception_fp_ieee_overflow 0
		.amdhsa_exception_fp_ieee_underflow 0
		.amdhsa_exception_fp_ieee_inexact 0
		.amdhsa_exception_int_div_zero 0
	.end_amdhsa_kernel
	.section	.text._ZN2at6native12_GLOBAL__N_127cunn_SpatialSoftMaxBackwardIN3c104HalfEffNS1_23SoftMaxBackwardEpilogueEEEvPT_PKT1_SA_jjj,"axG",@progbits,_ZN2at6native12_GLOBAL__N_127cunn_SpatialSoftMaxBackwardIN3c104HalfEffNS1_23SoftMaxBackwardEpilogueEEEvPT_PKT1_SA_jjj,comdat
.Lfunc_end669:
	.size	_ZN2at6native12_GLOBAL__N_127cunn_SpatialSoftMaxBackwardIN3c104HalfEffNS1_23SoftMaxBackwardEpilogueEEEvPT_PKT1_SA_jjj, .Lfunc_end669-_ZN2at6native12_GLOBAL__N_127cunn_SpatialSoftMaxBackwardIN3c104HalfEffNS1_23SoftMaxBackwardEpilogueEEEvPT_PKT1_SA_jjj
                                        ; -- End function
	.set _ZN2at6native12_GLOBAL__N_127cunn_SpatialSoftMaxBackwardIN3c104HalfEffNS1_23SoftMaxBackwardEpilogueEEEvPT_PKT1_SA_jjj.num_vgpr, 18
	.set _ZN2at6native12_GLOBAL__N_127cunn_SpatialSoftMaxBackwardIN3c104HalfEffNS1_23SoftMaxBackwardEpilogueEEEvPT_PKT1_SA_jjj.num_agpr, 0
	.set _ZN2at6native12_GLOBAL__N_127cunn_SpatialSoftMaxBackwardIN3c104HalfEffNS1_23SoftMaxBackwardEpilogueEEEvPT_PKT1_SA_jjj.numbered_sgpr, 26
	.set _ZN2at6native12_GLOBAL__N_127cunn_SpatialSoftMaxBackwardIN3c104HalfEffNS1_23SoftMaxBackwardEpilogueEEEvPT_PKT1_SA_jjj.num_named_barrier, 0
	.set _ZN2at6native12_GLOBAL__N_127cunn_SpatialSoftMaxBackwardIN3c104HalfEffNS1_23SoftMaxBackwardEpilogueEEEvPT_PKT1_SA_jjj.private_seg_size, 0
	.set _ZN2at6native12_GLOBAL__N_127cunn_SpatialSoftMaxBackwardIN3c104HalfEffNS1_23SoftMaxBackwardEpilogueEEEvPT_PKT1_SA_jjj.uses_vcc, 1
	.set _ZN2at6native12_GLOBAL__N_127cunn_SpatialSoftMaxBackwardIN3c104HalfEffNS1_23SoftMaxBackwardEpilogueEEEvPT_PKT1_SA_jjj.uses_flat_scratch, 0
	.set _ZN2at6native12_GLOBAL__N_127cunn_SpatialSoftMaxBackwardIN3c104HalfEffNS1_23SoftMaxBackwardEpilogueEEEvPT_PKT1_SA_jjj.has_dyn_sized_stack, 0
	.set _ZN2at6native12_GLOBAL__N_127cunn_SpatialSoftMaxBackwardIN3c104HalfEffNS1_23SoftMaxBackwardEpilogueEEEvPT_PKT1_SA_jjj.has_recursion, 0
	.set _ZN2at6native12_GLOBAL__N_127cunn_SpatialSoftMaxBackwardIN3c104HalfEffNS1_23SoftMaxBackwardEpilogueEEEvPT_PKT1_SA_jjj.has_indirect_call, 0
	.section	.AMDGPU.csdata,"",@progbits
; Kernel info:
; codeLenInByte = 1092
; TotalNumSgprs: 28
; NumVgprs: 18
; ScratchSize: 0
; MemoryBound: 0
; FloatMode: 240
; IeeeMode: 1
; LDSByteSize: 0 bytes/workgroup (compile time only)
; SGPRBlocks: 0
; VGPRBlocks: 2
; NumSGPRsForWavesPerEU: 28
; NumVGPRsForWavesPerEU: 18
; Occupancy: 16
; WaveLimiterHint : 0
; COMPUTE_PGM_RSRC2:SCRATCH_EN: 0
; COMPUTE_PGM_RSRC2:USER_SGPR: 6
; COMPUTE_PGM_RSRC2:TRAP_HANDLER: 0
; COMPUTE_PGM_RSRC2:TGID_X_EN: 1
; COMPUTE_PGM_RSRC2:TGID_Y_EN: 1
; COMPUTE_PGM_RSRC2:TGID_Z_EN: 0
; COMPUTE_PGM_RSRC2:TIDIG_COMP_CNT: 1
	.section	.text._ZN2at6native12_GLOBAL__N_127cunn_SpatialSoftMaxBackwardIN3c108BFloat16EfS4_NS1_23SoftMaxBackwardEpilogueEEEvPT_PKT1_SA_jjj,"axG",@progbits,_ZN2at6native12_GLOBAL__N_127cunn_SpatialSoftMaxBackwardIN3c108BFloat16EfS4_NS1_23SoftMaxBackwardEpilogueEEEvPT_PKT1_SA_jjj,comdat
	.globl	_ZN2at6native12_GLOBAL__N_127cunn_SpatialSoftMaxBackwardIN3c108BFloat16EfS4_NS1_23SoftMaxBackwardEpilogueEEEvPT_PKT1_SA_jjj ; -- Begin function _ZN2at6native12_GLOBAL__N_127cunn_SpatialSoftMaxBackwardIN3c108BFloat16EfS4_NS1_23SoftMaxBackwardEpilogueEEEvPT_PKT1_SA_jjj
	.p2align	8
	.type	_ZN2at6native12_GLOBAL__N_127cunn_SpatialSoftMaxBackwardIN3c108BFloat16EfS4_NS1_23SoftMaxBackwardEpilogueEEEvPT_PKT1_SA_jjj,@function
_ZN2at6native12_GLOBAL__N_127cunn_SpatialSoftMaxBackwardIN3c108BFloat16EfS4_NS1_23SoftMaxBackwardEpilogueEEEvPT_PKT1_SA_jjj: ; @_ZN2at6native12_GLOBAL__N_127cunn_SpatialSoftMaxBackwardIN3c108BFloat16EfS4_NS1_23SoftMaxBackwardEpilogueEEEvPT_PKT1_SA_jjj
; %bb.0:
	s_load_dwordx4 s[8:11], s[4:5], 0x18
	s_waitcnt lgkmcnt(0)
	s_cmp_ge_u32 s6, s8
	s_cbranch_scc1 .LBB670_26
; %bb.1:
	s_clause 0x1
	s_load_dword s1, s[4:5], 0x34
	s_load_dwordx2 s[16:17], s[4:5], 0x28
	s_mul_i32 s2, s6, s9
	s_clause 0x1
	s_load_dwordx4 s[12:15], s[4:5], 0x0
	s_load_dwordx2 s[18:19], s[4:5], 0x10
	v_add_nc_u32_e32 v2, s2, v0
	s_add_u32 s4, s4, 40
	s_addc_u32 s5, s5, 0
	s_mul_i32 s2, s2, s10
	v_cmp_gt_u32_e64 s0, s9, v0
	v_mul_lo_u32 v2, s10, v2
	v_mov_b32_e32 v3, 0
	v_mov_b32_e32 v7, 0x7fc0
	s_waitcnt lgkmcnt(0)
	s_lshr_b32 s11, s1, 16
	s_cmp_lg_u32 s9, 0
	s_mul_i32 s7, s7, s11
	s_cselect_b32 s3, -1, 0
	v_add_nc_u32_e32 v4, s7, v1
	v_add3_u32 v5, s7, s2, v1
	v_add3_u32 v6, v1, v2, s7
	s_mul_i32 s2, s16, s10
	s_mul_i32 s7, s17, s11
	v_cmp_gt_u32_e64 s1, s10, v4
	s_mul_i32 s11, s2, s9
	s_branch .LBB670_3
.LBB670_2:                              ;   in Loop: Header=BB670_3 Depth=1
	s_or_b32 exec_lo, exec_lo, s17
	v_add_nc_u32_e32 v5, s11, v5
	v_add_nc_u32_e32 v6, s11, v6
	s_add_i32 s6, s16, s6
	s_cmp_ge_u32 s6, s8
	s_cbranch_scc1 .LBB670_26
.LBB670_3:                              ; =>This Loop Header: Depth=1
                                        ;     Child Loop BB670_7 Depth 2
                                        ;       Child Loop BB670_10 Depth 3
                                        ;       Child Loop BB670_12 Depth 3
	;; [unrolled: 1-line block ×5, first 2 shown]
	s_and_saveexec_b32 s17, s1
	s_cbranch_execz .LBB670_2
; %bb.4:                                ;   in Loop: Header=BB670_3 Depth=1
	s_load_dword s2, s[4:5], 0xc
	v_mov_b32_e32 v8, v6
	v_mov_b32_e32 v10, v5
	;; [unrolled: 1-line block ×3, first 2 shown]
	s_mov_b32 s23, 0
	s_waitcnt lgkmcnt(0)
	s_and_b32 s20, s2, 0xffff
	v_mul_u32_u24_e32 v2, s20, v1
	s_cmp_lt_u32 s20, 2
	s_mul_i32 s22, s10, s20
	s_cselect_b32 s21, -1, 0
	v_lshl_add_u32 v9, v2, 2, 0
	v_lshl_add_u32 v11, v0, 2, v9
	s_branch .LBB670_7
.LBB670_5:                              ;   in Loop: Header=BB670_7 Depth=2
	s_inst_prefetch 0x2
	s_or_b32 exec_lo, exec_lo, s24
.LBB670_6:                              ;   in Loop: Header=BB670_7 Depth=2
	v_add_nc_u32_e32 v12, s7, v12
	v_add_nc_u32_e32 v10, s7, v10
	;; [unrolled: 1-line block ×3, first 2 shown]
	v_cmp_le_u32_e32 vcc_lo, s10, v12
	s_or_b32 s23, vcc_lo, s23
	s_andn2_b32 exec_lo, exec_lo, s23
	s_cbranch_execz .LBB670_2
.LBB670_7:                              ;   Parent Loop BB670_3 Depth=1
                                        ; =>  This Loop Header: Depth=2
                                        ;       Child Loop BB670_10 Depth 3
                                        ;       Child Loop BB670_12 Depth 3
	;; [unrolled: 1-line block ×5, first 2 shown]
	s_andn2_b32 vcc_lo, exec_lo, s21
	s_mov_b32 s2, -1
	s_cbranch_vccnz .LBB670_14
; %bb.8:                                ;   in Loop: Header=BB670_7 Depth=2
	s_andn2_b32 vcc_lo, exec_lo, s3
	s_cbranch_vccnz .LBB670_13
; %bb.9:                                ;   in Loop: Header=BB670_7 Depth=2
	v_mov_b32_e32 v13, 0
	v_mov_b32_e32 v2, v10
	s_mov_b32 s2, s9
.LBB670_10:                             ;   Parent Loop BB670_3 Depth=1
                                        ;     Parent Loop BB670_7 Depth=2
                                        ; =>    This Inner Loop Header: Depth=3
	v_lshlrev_b64 v[14:15], 1, v[2:3]
	v_add_nc_u32_e32 v2, s10, v2
	s_add_i32 s2, s2, -1
	s_cmp_lg_u32 s2, 0
	v_add_co_u32 v14, vcc_lo, s18, v14
	v_add_co_ci_u32_e64 v15, null, s19, v15, vcc_lo
	global_load_ushort v14, v[14:15], off
	s_waitcnt vmcnt(0)
	v_lshlrev_b32_e32 v14, 16, v14
	v_add_f32_e32 v13, v13, v14
	s_cbranch_scc1 .LBB670_10
; %bb.11:                               ;   in Loop: Header=BB670_7 Depth=2
	v_mov_b32_e32 v2, v10
	s_mov_b32 s24, s9
	s_inst_prefetch 0x1
	.p2align	6
.LBB670_12:                             ;   Parent Loop BB670_3 Depth=1
                                        ;     Parent Loop BB670_7 Depth=2
                                        ; =>    This Inner Loop Header: Depth=3
	v_lshlrev_b64 v[14:15], 1, v[2:3]
	v_add_nc_u32_e32 v2, s10, v2
	s_add_i32 s24, s24, -1
	s_cmp_lg_u32 s24, 0
	v_add_co_u32 v16, vcc_lo, s14, v14
	v_add_co_ci_u32_e64 v17, null, s15, v15, vcc_lo
	v_add_co_u32 v18, vcc_lo, s18, v14
	v_add_co_ci_u32_e64 v19, null, s19, v15, vcc_lo
	global_load_ushort v16, v[16:17], off
	global_load_ushort v17, v[18:19], off
	v_add_co_u32 v14, s2, s12, v14
	v_add_co_ci_u32_e64 v15, null, s13, v15, s2
	s_waitcnt vmcnt(1)
	v_lshlrev_b32_e32 v16, 16, v16
	s_waitcnt vmcnt(0)
	v_lshlrev_b32_e32 v17, 16, v17
	v_fma_f32 v16, -v13, v16, v17
	v_bfe_u32 v17, v16, 16, 1
	v_cmp_o_f32_e32 vcc_lo, v16, v16
	v_add3_u32 v16, v16, v17, 0x7fff
	v_cndmask_b32_sdwa v16, v7, v16, vcc_lo dst_sel:DWORD dst_unused:UNUSED_PAD src0_sel:DWORD src1_sel:WORD_1
	global_store_short v[14:15], v16, off
	s_cbranch_scc1 .LBB670_12
.LBB670_13:                             ;   in Loop: Header=BB670_7 Depth=2
	s_inst_prefetch 0x2
	s_mov_b32 s2, 0
.LBB670_14:                             ;   in Loop: Header=BB670_7 Depth=2
	s_andn2_b32 vcc_lo, exec_lo, s2
	s_cbranch_vccnz .LBB670_6
; %bb.15:                               ;   in Loop: Header=BB670_7 Depth=2
	v_mov_b32_e32 v13, 0
	s_and_saveexec_b32 s2, s0
	s_cbranch_execz .LBB670_19
; %bb.16:                               ;   in Loop: Header=BB670_7 Depth=2
	v_mov_b32_e32 v13, 0
	v_mov_b32_e32 v2, v8
	;; [unrolled: 1-line block ×3, first 2 shown]
	s_mov_b32 s24, 0
.LBB670_17:                             ;   Parent Loop BB670_3 Depth=1
                                        ;     Parent Loop BB670_7 Depth=2
                                        ; =>    This Inner Loop Header: Depth=3
	v_lshlrev_b64 v[15:16], 1, v[2:3]
	v_add_nc_u32_e32 v14, s20, v14
	v_add_nc_u32_e32 v2, s22, v2
	v_add_co_u32 v15, vcc_lo, s18, v15
	v_add_co_ci_u32_e64 v16, null, s19, v16, vcc_lo
	v_cmp_le_u32_e32 vcc_lo, s9, v14
	global_load_ushort v15, v[15:16], off
	s_or_b32 s24, vcc_lo, s24
	s_waitcnt vmcnt(0)
	v_lshlrev_b32_e32 v15, 16, v15
	v_add_f32_e32 v13, v13, v15
	s_andn2_b32 exec_lo, exec_lo, s24
	s_cbranch_execnz .LBB670_17
; %bb.18:                               ;   in Loop: Header=BB670_7 Depth=2
	s_or_b32 exec_lo, exec_lo, s24
.LBB670_19:                             ;   in Loop: Header=BB670_7 Depth=2
	s_or_b32 exec_lo, exec_lo, s2
	s_mov_b32 s2, s20
	s_waitcnt_vscnt null, 0x0
	s_barrier
	buffer_gl0_inv
	ds_write_b32 v11, v13
	s_branch .LBB670_21
	.p2align	6
.LBB670_20:                             ;   in Loop: Header=BB670_21 Depth=3
	s_or_b32 exec_lo, exec_lo, s25
	s_cmp_gt_u32 s2, 3
	s_mov_b32 s2, s24
	s_cbranch_scc0 .LBB670_23
.LBB670_21:                             ;   Parent Loop BB670_3 Depth=1
                                        ;     Parent Loop BB670_7 Depth=2
                                        ; =>    This Inner Loop Header: Depth=3
	s_lshr_b32 s24, s2, 1
	s_mov_b32 s25, exec_lo
	s_waitcnt lgkmcnt(0)
	s_barrier
	buffer_gl0_inv
	v_cmpx_gt_u32_e64 s24, v0
	s_cbranch_execz .LBB670_20
; %bb.22:                               ;   in Loop: Header=BB670_21 Depth=3
	v_lshl_add_u32 v2, s24, 2, v11
	ds_read_b32 v13, v11
	ds_read_b32 v2, v2
	s_waitcnt lgkmcnt(0)
	v_add_f32_e32 v2, v13, v2
	ds_write_b32 v11, v2
	s_branch .LBB670_20
.LBB670_23:                             ;   in Loop: Header=BB670_7 Depth=2
	s_waitcnt lgkmcnt(0)
	s_barrier
	buffer_gl0_inv
	s_and_saveexec_b32 s24, s0
	s_cbranch_execz .LBB670_5
; %bb.24:                               ;   in Loop: Header=BB670_7 Depth=2
	ds_read_b32 v13, v9
	v_mov_b32_e32 v2, v8
	v_mov_b32_e32 v14, v0
	s_mov_b32 s25, 0
	s_inst_prefetch 0x1
	.p2align	6
.LBB670_25:                             ;   Parent Loop BB670_3 Depth=1
                                        ;     Parent Loop BB670_7 Depth=2
                                        ; =>    This Inner Loop Header: Depth=3
	v_lshlrev_b64 v[15:16], 1, v[2:3]
	v_add_nc_u32_e32 v14, s20, v14
	v_add_nc_u32_e32 v2, s22, v2
	v_add_co_u32 v17, vcc_lo, s14, v15
	v_add_co_ci_u32_e64 v18, null, s15, v16, vcc_lo
	v_add_co_u32 v19, vcc_lo, s18, v15
	v_add_co_ci_u32_e64 v20, null, s19, v16, vcc_lo
	global_load_ushort v17, v[17:18], off
	global_load_ushort v18, v[19:20], off
	v_add_co_u32 v15, s2, s12, v15
	v_add_co_ci_u32_e64 v16, null, s13, v16, s2
	v_cmp_le_u32_e32 vcc_lo, s9, v14
	s_or_b32 s25, vcc_lo, s25
	s_waitcnt vmcnt(1)
	v_lshlrev_b32_e32 v17, 16, v17
	s_waitcnt vmcnt(0)
	v_lshlrev_b32_e32 v18, 16, v18
	s_waitcnt lgkmcnt(0)
	v_fma_f32 v17, -v13, v17, v18
	v_bfe_u32 v18, v17, 16, 1
	v_cmp_o_f32_e64 s2, v17, v17
	v_add3_u32 v18, v17, v18, 0x7fff
	v_lshrrev_b32_e32 v18, 16, v18
	v_cndmask_b32_e64 v17, 0x7fc0, v18, s2
	global_store_short v[15:16], v17, off
	s_andn2_b32 exec_lo, exec_lo, s25
	s_cbranch_execnz .LBB670_25
	s_branch .LBB670_5
.LBB670_26:
	s_endpgm
	.section	.rodata,"a",@progbits
	.p2align	6, 0x0
	.amdhsa_kernel _ZN2at6native12_GLOBAL__N_127cunn_SpatialSoftMaxBackwardIN3c108BFloat16EfS4_NS1_23SoftMaxBackwardEpilogueEEEvPT_PKT1_SA_jjj
		.amdhsa_group_segment_fixed_size 0
		.amdhsa_private_segment_fixed_size 0
		.amdhsa_kernarg_size 296
		.amdhsa_user_sgpr_count 6
		.amdhsa_user_sgpr_private_segment_buffer 1
		.amdhsa_user_sgpr_dispatch_ptr 0
		.amdhsa_user_sgpr_queue_ptr 0
		.amdhsa_user_sgpr_kernarg_segment_ptr 1
		.amdhsa_user_sgpr_dispatch_id 0
		.amdhsa_user_sgpr_flat_scratch_init 0
		.amdhsa_user_sgpr_private_segment_size 0
		.amdhsa_wavefront_size32 1
		.amdhsa_uses_dynamic_stack 0
		.amdhsa_system_sgpr_private_segment_wavefront_offset 0
		.amdhsa_system_sgpr_workgroup_id_x 1
		.amdhsa_system_sgpr_workgroup_id_y 1
		.amdhsa_system_sgpr_workgroup_id_z 0
		.amdhsa_system_sgpr_workgroup_info 0
		.amdhsa_system_vgpr_workitem_id 1
		.amdhsa_next_free_vgpr 21
		.amdhsa_next_free_sgpr 26
		.amdhsa_reserve_vcc 1
		.amdhsa_reserve_flat_scratch 0
		.amdhsa_float_round_mode_32 0
		.amdhsa_float_round_mode_16_64 0
		.amdhsa_float_denorm_mode_32 3
		.amdhsa_float_denorm_mode_16_64 3
		.amdhsa_dx10_clamp 1
		.amdhsa_ieee_mode 1
		.amdhsa_fp16_overflow 0
		.amdhsa_workgroup_processor_mode 1
		.amdhsa_memory_ordered 1
		.amdhsa_forward_progress 1
		.amdhsa_shared_vgpr_count 0
		.amdhsa_exception_fp_ieee_invalid_op 0
		.amdhsa_exception_fp_denorm_src 0
		.amdhsa_exception_fp_ieee_div_zero 0
		.amdhsa_exception_fp_ieee_overflow 0
		.amdhsa_exception_fp_ieee_underflow 0
		.amdhsa_exception_fp_ieee_inexact 0
		.amdhsa_exception_int_div_zero 0
	.end_amdhsa_kernel
	.section	.text._ZN2at6native12_GLOBAL__N_127cunn_SpatialSoftMaxBackwardIN3c108BFloat16EfS4_NS1_23SoftMaxBackwardEpilogueEEEvPT_PKT1_SA_jjj,"axG",@progbits,_ZN2at6native12_GLOBAL__N_127cunn_SpatialSoftMaxBackwardIN3c108BFloat16EfS4_NS1_23SoftMaxBackwardEpilogueEEEvPT_PKT1_SA_jjj,comdat
.Lfunc_end670:
	.size	_ZN2at6native12_GLOBAL__N_127cunn_SpatialSoftMaxBackwardIN3c108BFloat16EfS4_NS1_23SoftMaxBackwardEpilogueEEEvPT_PKT1_SA_jjj, .Lfunc_end670-_ZN2at6native12_GLOBAL__N_127cunn_SpatialSoftMaxBackwardIN3c108BFloat16EfS4_NS1_23SoftMaxBackwardEpilogueEEEvPT_PKT1_SA_jjj
                                        ; -- End function
	.set _ZN2at6native12_GLOBAL__N_127cunn_SpatialSoftMaxBackwardIN3c108BFloat16EfS4_NS1_23SoftMaxBackwardEpilogueEEEvPT_PKT1_SA_jjj.num_vgpr, 21
	.set _ZN2at6native12_GLOBAL__N_127cunn_SpatialSoftMaxBackwardIN3c108BFloat16EfS4_NS1_23SoftMaxBackwardEpilogueEEEvPT_PKT1_SA_jjj.num_agpr, 0
	.set _ZN2at6native12_GLOBAL__N_127cunn_SpatialSoftMaxBackwardIN3c108BFloat16EfS4_NS1_23SoftMaxBackwardEpilogueEEEvPT_PKT1_SA_jjj.numbered_sgpr, 26
	.set _ZN2at6native12_GLOBAL__N_127cunn_SpatialSoftMaxBackwardIN3c108BFloat16EfS4_NS1_23SoftMaxBackwardEpilogueEEEvPT_PKT1_SA_jjj.num_named_barrier, 0
	.set _ZN2at6native12_GLOBAL__N_127cunn_SpatialSoftMaxBackwardIN3c108BFloat16EfS4_NS1_23SoftMaxBackwardEpilogueEEEvPT_PKT1_SA_jjj.private_seg_size, 0
	.set _ZN2at6native12_GLOBAL__N_127cunn_SpatialSoftMaxBackwardIN3c108BFloat16EfS4_NS1_23SoftMaxBackwardEpilogueEEEvPT_PKT1_SA_jjj.uses_vcc, 1
	.set _ZN2at6native12_GLOBAL__N_127cunn_SpatialSoftMaxBackwardIN3c108BFloat16EfS4_NS1_23SoftMaxBackwardEpilogueEEEvPT_PKT1_SA_jjj.uses_flat_scratch, 0
	.set _ZN2at6native12_GLOBAL__N_127cunn_SpatialSoftMaxBackwardIN3c108BFloat16EfS4_NS1_23SoftMaxBackwardEpilogueEEEvPT_PKT1_SA_jjj.has_dyn_sized_stack, 0
	.set _ZN2at6native12_GLOBAL__N_127cunn_SpatialSoftMaxBackwardIN3c108BFloat16EfS4_NS1_23SoftMaxBackwardEpilogueEEEvPT_PKT1_SA_jjj.has_recursion, 0
	.set _ZN2at6native12_GLOBAL__N_127cunn_SpatialSoftMaxBackwardIN3c108BFloat16EfS4_NS1_23SoftMaxBackwardEpilogueEEEvPT_PKT1_SA_jjj.has_indirect_call, 0
	.section	.AMDGPU.csdata,"",@progbits
; Kernel info:
; codeLenInByte = 1144
; TotalNumSgprs: 28
; NumVgprs: 21
; ScratchSize: 0
; MemoryBound: 0
; FloatMode: 240
; IeeeMode: 1
; LDSByteSize: 0 bytes/workgroup (compile time only)
; SGPRBlocks: 0
; VGPRBlocks: 2
; NumSGPRsForWavesPerEU: 28
; NumVGPRsForWavesPerEU: 21
; Occupancy: 16
; WaveLimiterHint : 0
; COMPUTE_PGM_RSRC2:SCRATCH_EN: 0
; COMPUTE_PGM_RSRC2:USER_SGPR: 6
; COMPUTE_PGM_RSRC2:TRAP_HANDLER: 0
; COMPUTE_PGM_RSRC2:TGID_X_EN: 1
; COMPUTE_PGM_RSRC2:TGID_Y_EN: 1
; COMPUTE_PGM_RSRC2:TGID_Z_EN: 0
; COMPUTE_PGM_RSRC2:TIDIG_COMP_CNT: 1
	.section	.text._ZN2at6native12_GLOBAL__N_127cunn_SpatialSoftMaxBackwardIN3c108BFloat16EffNS1_23SoftMaxBackwardEpilogueEEEvPT_PKT1_SA_jjj,"axG",@progbits,_ZN2at6native12_GLOBAL__N_127cunn_SpatialSoftMaxBackwardIN3c108BFloat16EffNS1_23SoftMaxBackwardEpilogueEEEvPT_PKT1_SA_jjj,comdat
	.globl	_ZN2at6native12_GLOBAL__N_127cunn_SpatialSoftMaxBackwardIN3c108BFloat16EffNS1_23SoftMaxBackwardEpilogueEEEvPT_PKT1_SA_jjj ; -- Begin function _ZN2at6native12_GLOBAL__N_127cunn_SpatialSoftMaxBackwardIN3c108BFloat16EffNS1_23SoftMaxBackwardEpilogueEEEvPT_PKT1_SA_jjj
	.p2align	8
	.type	_ZN2at6native12_GLOBAL__N_127cunn_SpatialSoftMaxBackwardIN3c108BFloat16EffNS1_23SoftMaxBackwardEpilogueEEEvPT_PKT1_SA_jjj,@function
_ZN2at6native12_GLOBAL__N_127cunn_SpatialSoftMaxBackwardIN3c108BFloat16EffNS1_23SoftMaxBackwardEpilogueEEEvPT_PKT1_SA_jjj: ; @_ZN2at6native12_GLOBAL__N_127cunn_SpatialSoftMaxBackwardIN3c108BFloat16EffNS1_23SoftMaxBackwardEpilogueEEEvPT_PKT1_SA_jjj
; %bb.0:
	s_load_dwordx4 s[8:11], s[4:5], 0x18
	s_waitcnt lgkmcnt(0)
	s_cmp_ge_u32 s6, s8
	s_cbranch_scc1 .LBB671_26
; %bb.1:
	s_clause 0x1
	s_load_dword s1, s[4:5], 0x34
	s_load_dwordx2 s[16:17], s[4:5], 0x28
	s_mul_i32 s2, s6, s9
	s_clause 0x1
	s_load_dwordx4 s[12:15], s[4:5], 0x0
	s_load_dwordx2 s[18:19], s[4:5], 0x10
	v_add_nc_u32_e32 v2, s2, v0
	s_add_u32 s4, s4, 40
	s_addc_u32 s5, s5, 0
	s_mul_i32 s2, s2, s10
	v_cmp_gt_u32_e64 s0, s9, v0
	v_mul_lo_u32 v2, s10, v2
	v_mov_b32_e32 v3, 0
	s_waitcnt lgkmcnt(0)
	s_lshr_b32 s11, s1, 16
	s_cmp_lg_u32 s9, 0
	s_mul_i32 s7, s7, s11
	s_cselect_b32 s3, -1, 0
	v_add_nc_u32_e32 v4, s7, v1
	v_add3_u32 v5, s7, s2, v1
	v_add3_u32 v6, v1, v2, s7
	s_mul_i32 s2, s16, s10
	s_mul_i32 s7, s17, s11
	v_cmp_gt_u32_e64 s1, s10, v4
	s_mul_i32 s11, s2, s9
	s_branch .LBB671_3
.LBB671_2:                              ;   in Loop: Header=BB671_3 Depth=1
	s_or_b32 exec_lo, exec_lo, s17
	v_add_nc_u32_e32 v5, s11, v5
	v_add_nc_u32_e32 v6, s11, v6
	s_add_i32 s6, s16, s6
	s_cmp_ge_u32 s6, s8
	s_cbranch_scc1 .LBB671_26
.LBB671_3:                              ; =>This Loop Header: Depth=1
                                        ;     Child Loop BB671_7 Depth 2
                                        ;       Child Loop BB671_10 Depth 3
                                        ;       Child Loop BB671_12 Depth 3
	;; [unrolled: 1-line block ×5, first 2 shown]
	s_and_saveexec_b32 s17, s1
	s_cbranch_execz .LBB671_2
; %bb.4:                                ;   in Loop: Header=BB671_3 Depth=1
	s_load_dword s2, s[4:5], 0xc
	v_mov_b32_e32 v7, v6
	v_mov_b32_e32 v9, v5
	;; [unrolled: 1-line block ×3, first 2 shown]
	s_mov_b32 s23, 0
	s_waitcnt lgkmcnt(0)
	s_and_b32 s20, s2, 0xffff
	v_mul_u32_u24_e32 v2, s20, v1
	s_cmp_lt_u32 s20, 2
	s_mul_i32 s22, s10, s20
	s_cselect_b32 s21, -1, 0
	v_lshl_add_u32 v8, v2, 2, 0
	v_lshl_add_u32 v10, v0, 2, v8
	s_branch .LBB671_7
.LBB671_5:                              ;   in Loop: Header=BB671_7 Depth=2
	s_inst_prefetch 0x2
	s_or_b32 exec_lo, exec_lo, s24
.LBB671_6:                              ;   in Loop: Header=BB671_7 Depth=2
	v_add_nc_u32_e32 v11, s7, v11
	v_add_nc_u32_e32 v9, s7, v9
	;; [unrolled: 1-line block ×3, first 2 shown]
	v_cmp_le_u32_e32 vcc_lo, s10, v11
	s_or_b32 s23, vcc_lo, s23
	s_andn2_b32 exec_lo, exec_lo, s23
	s_cbranch_execz .LBB671_2
.LBB671_7:                              ;   Parent Loop BB671_3 Depth=1
                                        ; =>  This Loop Header: Depth=2
                                        ;       Child Loop BB671_10 Depth 3
                                        ;       Child Loop BB671_12 Depth 3
	;; [unrolled: 1-line block ×5, first 2 shown]
	s_andn2_b32 vcc_lo, exec_lo, s21
	s_mov_b32 s2, -1
	s_cbranch_vccnz .LBB671_14
; %bb.8:                                ;   in Loop: Header=BB671_7 Depth=2
	s_andn2_b32 vcc_lo, exec_lo, s3
	s_cbranch_vccnz .LBB671_13
; %bb.9:                                ;   in Loop: Header=BB671_7 Depth=2
	v_mov_b32_e32 v12, 0
	v_mov_b32_e32 v2, v9
	s_mov_b32 s2, s9
.LBB671_10:                             ;   Parent Loop BB671_3 Depth=1
                                        ;     Parent Loop BB671_7 Depth=2
                                        ; =>    This Inner Loop Header: Depth=3
	v_lshlrev_b64 v[13:14], 2, v[2:3]
	v_add_nc_u32_e32 v2, s10, v2
	s_add_i32 s2, s2, -1
	s_cmp_lg_u32 s2, 0
	v_add_co_u32 v13, vcc_lo, s18, v13
	v_add_co_ci_u32_e64 v14, null, s19, v14, vcc_lo
	global_load_dword v13, v[13:14], off
	s_waitcnt vmcnt(0)
	v_add_f32_e32 v12, v12, v13
	s_cbranch_scc1 .LBB671_10
; %bb.11:                               ;   in Loop: Header=BB671_7 Depth=2
	v_mov_b32_e32 v2, v9
	s_mov_b32 s2, s9
	s_inst_prefetch 0x1
	.p2align	6
.LBB671_12:                             ;   Parent Loop BB671_3 Depth=1
                                        ;     Parent Loop BB671_7 Depth=2
                                        ; =>    This Inner Loop Header: Depth=3
	v_lshlrev_b64 v[13:14], 2, v[2:3]
	s_add_i32 s2, s2, -1
	s_cmp_lg_u32 s2, 0
	v_add_co_u32 v15, vcc_lo, s18, v13
	v_add_co_ci_u32_e64 v16, null, s19, v14, vcc_lo
	v_add_co_u32 v13, vcc_lo, s14, v13
	v_add_co_ci_u32_e64 v14, null, s15, v14, vcc_lo
	global_load_dword v15, v[15:16], off
	global_load_dword v13, v[13:14], off
	s_waitcnt vmcnt(0)
	v_fma_f32 v15, -v12, v13, v15
	v_bfe_u32 v13, v15, 16, 1
	v_add3_u32 v16, v15, v13, 0x7fff
	v_lshlrev_b64 v[13:14], 1, v[2:3]
	v_add_nc_u32_e32 v2, s10, v2
	v_lshrrev_b32_e32 v16, 16, v16
	v_add_co_u32 v13, vcc_lo, s12, v13
	v_add_co_ci_u32_e64 v14, null, s13, v14, vcc_lo
	v_cmp_o_f32_e32 vcc_lo, v15, v15
	v_cndmask_b32_e32 v15, 0x7fc0, v16, vcc_lo
	global_store_short v[13:14], v15, off
	s_cbranch_scc1 .LBB671_12
.LBB671_13:                             ;   in Loop: Header=BB671_7 Depth=2
	s_inst_prefetch 0x2
	s_mov_b32 s2, 0
.LBB671_14:                             ;   in Loop: Header=BB671_7 Depth=2
	s_andn2_b32 vcc_lo, exec_lo, s2
	s_cbranch_vccnz .LBB671_6
; %bb.15:                               ;   in Loop: Header=BB671_7 Depth=2
	v_mov_b32_e32 v12, 0
	s_and_saveexec_b32 s2, s0
	s_cbranch_execz .LBB671_19
; %bb.16:                               ;   in Loop: Header=BB671_7 Depth=2
	v_mov_b32_e32 v12, 0
	v_mov_b32_e32 v2, v7
	;; [unrolled: 1-line block ×3, first 2 shown]
	s_mov_b32 s24, 0
.LBB671_17:                             ;   Parent Loop BB671_3 Depth=1
                                        ;     Parent Loop BB671_7 Depth=2
                                        ; =>    This Inner Loop Header: Depth=3
	v_lshlrev_b64 v[14:15], 2, v[2:3]
	v_add_nc_u32_e32 v13, s20, v13
	v_add_nc_u32_e32 v2, s22, v2
	v_add_co_u32 v14, vcc_lo, s18, v14
	v_add_co_ci_u32_e64 v15, null, s19, v15, vcc_lo
	v_cmp_le_u32_e32 vcc_lo, s9, v13
	global_load_dword v14, v[14:15], off
	s_or_b32 s24, vcc_lo, s24
	s_waitcnt vmcnt(0)
	v_add_f32_e32 v12, v12, v14
	s_andn2_b32 exec_lo, exec_lo, s24
	s_cbranch_execnz .LBB671_17
; %bb.18:                               ;   in Loop: Header=BB671_7 Depth=2
	s_or_b32 exec_lo, exec_lo, s24
.LBB671_19:                             ;   in Loop: Header=BB671_7 Depth=2
	s_or_b32 exec_lo, exec_lo, s2
	s_mov_b32 s2, s20
	s_waitcnt_vscnt null, 0x0
	s_barrier
	buffer_gl0_inv
	ds_write_b32 v10, v12
	s_branch .LBB671_21
	.p2align	6
.LBB671_20:                             ;   in Loop: Header=BB671_21 Depth=3
	s_or_b32 exec_lo, exec_lo, s25
	s_cmp_gt_u32 s2, 3
	s_mov_b32 s2, s24
	s_cbranch_scc0 .LBB671_23
.LBB671_21:                             ;   Parent Loop BB671_3 Depth=1
                                        ;     Parent Loop BB671_7 Depth=2
                                        ; =>    This Inner Loop Header: Depth=3
	s_lshr_b32 s24, s2, 1
	s_mov_b32 s25, exec_lo
	s_waitcnt lgkmcnt(0)
	s_barrier
	buffer_gl0_inv
	v_cmpx_gt_u32_e64 s24, v0
	s_cbranch_execz .LBB671_20
; %bb.22:                               ;   in Loop: Header=BB671_21 Depth=3
	v_lshl_add_u32 v2, s24, 2, v10
	ds_read_b32 v12, v10
	ds_read_b32 v2, v2
	s_waitcnt lgkmcnt(0)
	v_add_f32_e32 v2, v12, v2
	ds_write_b32 v10, v2
	s_branch .LBB671_20
.LBB671_23:                             ;   in Loop: Header=BB671_7 Depth=2
	s_waitcnt lgkmcnt(0)
	s_barrier
	buffer_gl0_inv
	s_and_saveexec_b32 s24, s0
	s_cbranch_execz .LBB671_5
; %bb.24:                               ;   in Loop: Header=BB671_7 Depth=2
	ds_read_b32 v12, v8
	v_mov_b32_e32 v2, v7
	v_mov_b32_e32 v13, v0
	s_mov_b32 s25, 0
	s_inst_prefetch 0x1
	.p2align	6
.LBB671_25:                             ;   Parent Loop BB671_3 Depth=1
                                        ;     Parent Loop BB671_7 Depth=2
                                        ; =>    This Inner Loop Header: Depth=3
	v_lshlrev_b64 v[14:15], 2, v[2:3]
	v_add_nc_u32_e32 v13, s20, v13
	v_add_co_u32 v16, vcc_lo, s18, v14
	v_add_co_ci_u32_e64 v17, null, s19, v15, vcc_lo
	v_add_co_u32 v14, vcc_lo, s14, v14
	v_add_co_ci_u32_e64 v15, null, s15, v15, vcc_lo
	global_load_dword v16, v[16:17], off
	global_load_dword v14, v[14:15], off
	v_cmp_le_u32_e32 vcc_lo, s9, v13
	s_or_b32 s25, vcc_lo, s25
	s_waitcnt vmcnt(0) lgkmcnt(0)
	v_fma_f32 v16, -v12, v14, v16
	v_bfe_u32 v14, v16, 16, 1
	v_add3_u32 v17, v16, v14, 0x7fff
	v_lshlrev_b64 v[14:15], 1, v[2:3]
	v_add_nc_u32_e32 v2, s22, v2
	v_lshrrev_b32_e32 v17, 16, v17
	v_add_co_u32 v14, s2, s12, v14
	v_add_co_ci_u32_e64 v15, null, s13, v15, s2
	v_cmp_o_f32_e64 s2, v16, v16
	v_cndmask_b32_e64 v16, 0x7fc0, v17, s2
	global_store_short v[14:15], v16, off
	s_andn2_b32 exec_lo, exec_lo, s25
	s_cbranch_execnz .LBB671_25
	s_branch .LBB671_5
.LBB671_26:
	s_endpgm
	.section	.rodata,"a",@progbits
	.p2align	6, 0x0
	.amdhsa_kernel _ZN2at6native12_GLOBAL__N_127cunn_SpatialSoftMaxBackwardIN3c108BFloat16EffNS1_23SoftMaxBackwardEpilogueEEEvPT_PKT1_SA_jjj
		.amdhsa_group_segment_fixed_size 0
		.amdhsa_private_segment_fixed_size 0
		.amdhsa_kernarg_size 296
		.amdhsa_user_sgpr_count 6
		.amdhsa_user_sgpr_private_segment_buffer 1
		.amdhsa_user_sgpr_dispatch_ptr 0
		.amdhsa_user_sgpr_queue_ptr 0
		.amdhsa_user_sgpr_kernarg_segment_ptr 1
		.amdhsa_user_sgpr_dispatch_id 0
		.amdhsa_user_sgpr_flat_scratch_init 0
		.amdhsa_user_sgpr_private_segment_size 0
		.amdhsa_wavefront_size32 1
		.amdhsa_uses_dynamic_stack 0
		.amdhsa_system_sgpr_private_segment_wavefront_offset 0
		.amdhsa_system_sgpr_workgroup_id_x 1
		.amdhsa_system_sgpr_workgroup_id_y 1
		.amdhsa_system_sgpr_workgroup_id_z 0
		.amdhsa_system_sgpr_workgroup_info 0
		.amdhsa_system_vgpr_workitem_id 1
		.amdhsa_next_free_vgpr 18
		.amdhsa_next_free_sgpr 26
		.amdhsa_reserve_vcc 1
		.amdhsa_reserve_flat_scratch 0
		.amdhsa_float_round_mode_32 0
		.amdhsa_float_round_mode_16_64 0
		.amdhsa_float_denorm_mode_32 3
		.amdhsa_float_denorm_mode_16_64 3
		.amdhsa_dx10_clamp 1
		.amdhsa_ieee_mode 1
		.amdhsa_fp16_overflow 0
		.amdhsa_workgroup_processor_mode 1
		.amdhsa_memory_ordered 1
		.amdhsa_forward_progress 1
		.amdhsa_shared_vgpr_count 0
		.amdhsa_exception_fp_ieee_invalid_op 0
		.amdhsa_exception_fp_denorm_src 0
		.amdhsa_exception_fp_ieee_div_zero 0
		.amdhsa_exception_fp_ieee_overflow 0
		.amdhsa_exception_fp_ieee_underflow 0
		.amdhsa_exception_fp_ieee_inexact 0
		.amdhsa_exception_int_div_zero 0
	.end_amdhsa_kernel
	.section	.text._ZN2at6native12_GLOBAL__N_127cunn_SpatialSoftMaxBackwardIN3c108BFloat16EffNS1_23SoftMaxBackwardEpilogueEEEvPT_PKT1_SA_jjj,"axG",@progbits,_ZN2at6native12_GLOBAL__N_127cunn_SpatialSoftMaxBackwardIN3c108BFloat16EffNS1_23SoftMaxBackwardEpilogueEEEvPT_PKT1_SA_jjj,comdat
.Lfunc_end671:
	.size	_ZN2at6native12_GLOBAL__N_127cunn_SpatialSoftMaxBackwardIN3c108BFloat16EffNS1_23SoftMaxBackwardEpilogueEEEvPT_PKT1_SA_jjj, .Lfunc_end671-_ZN2at6native12_GLOBAL__N_127cunn_SpatialSoftMaxBackwardIN3c108BFloat16EffNS1_23SoftMaxBackwardEpilogueEEEvPT_PKT1_SA_jjj
                                        ; -- End function
	.set _ZN2at6native12_GLOBAL__N_127cunn_SpatialSoftMaxBackwardIN3c108BFloat16EffNS1_23SoftMaxBackwardEpilogueEEEvPT_PKT1_SA_jjj.num_vgpr, 18
	.set _ZN2at6native12_GLOBAL__N_127cunn_SpatialSoftMaxBackwardIN3c108BFloat16EffNS1_23SoftMaxBackwardEpilogueEEEvPT_PKT1_SA_jjj.num_agpr, 0
	.set _ZN2at6native12_GLOBAL__N_127cunn_SpatialSoftMaxBackwardIN3c108BFloat16EffNS1_23SoftMaxBackwardEpilogueEEEvPT_PKT1_SA_jjj.numbered_sgpr, 26
	.set _ZN2at6native12_GLOBAL__N_127cunn_SpatialSoftMaxBackwardIN3c108BFloat16EffNS1_23SoftMaxBackwardEpilogueEEEvPT_PKT1_SA_jjj.num_named_barrier, 0
	.set _ZN2at6native12_GLOBAL__N_127cunn_SpatialSoftMaxBackwardIN3c108BFloat16EffNS1_23SoftMaxBackwardEpilogueEEEvPT_PKT1_SA_jjj.private_seg_size, 0
	.set _ZN2at6native12_GLOBAL__N_127cunn_SpatialSoftMaxBackwardIN3c108BFloat16EffNS1_23SoftMaxBackwardEpilogueEEEvPT_PKT1_SA_jjj.uses_vcc, 1
	.set _ZN2at6native12_GLOBAL__N_127cunn_SpatialSoftMaxBackwardIN3c108BFloat16EffNS1_23SoftMaxBackwardEpilogueEEEvPT_PKT1_SA_jjj.uses_flat_scratch, 0
	.set _ZN2at6native12_GLOBAL__N_127cunn_SpatialSoftMaxBackwardIN3c108BFloat16EffNS1_23SoftMaxBackwardEpilogueEEEvPT_PKT1_SA_jjj.has_dyn_sized_stack, 0
	.set _ZN2at6native12_GLOBAL__N_127cunn_SpatialSoftMaxBackwardIN3c108BFloat16EffNS1_23SoftMaxBackwardEpilogueEEEvPT_PKT1_SA_jjj.has_recursion, 0
	.set _ZN2at6native12_GLOBAL__N_127cunn_SpatialSoftMaxBackwardIN3c108BFloat16EffNS1_23SoftMaxBackwardEpilogueEEEvPT_PKT1_SA_jjj.has_indirect_call, 0
	.section	.AMDGPU.csdata,"",@progbits
; Kernel info:
; codeLenInByte = 1136
; TotalNumSgprs: 28
; NumVgprs: 18
; ScratchSize: 0
; MemoryBound: 0
; FloatMode: 240
; IeeeMode: 1
; LDSByteSize: 0 bytes/workgroup (compile time only)
; SGPRBlocks: 0
; VGPRBlocks: 2
; NumSGPRsForWavesPerEU: 28
; NumVGPRsForWavesPerEU: 18
; Occupancy: 16
; WaveLimiterHint : 0
; COMPUTE_PGM_RSRC2:SCRATCH_EN: 0
; COMPUTE_PGM_RSRC2:USER_SGPR: 6
; COMPUTE_PGM_RSRC2:TRAP_HANDLER: 0
; COMPUTE_PGM_RSRC2:TGID_X_EN: 1
; COMPUTE_PGM_RSRC2:TGID_Y_EN: 1
; COMPUTE_PGM_RSRC2:TGID_Z_EN: 0
; COMPUTE_PGM_RSRC2:TIDIG_COMP_CNT: 1
	.section	.text._ZN12_GLOBAL__N_120softmax_warp_forwardIdddLi0ELb0ELb1ELi64EEEvPT0_PKT_iiiPKbib,"axG",@progbits,_ZN12_GLOBAL__N_120softmax_warp_forwardIdddLi0ELb0ELb1ELi64EEEvPT0_PKT_iiiPKbib,comdat
	.globl	_ZN12_GLOBAL__N_120softmax_warp_forwardIdddLi0ELb0ELb1ELi64EEEvPT0_PKT_iiiPKbib ; -- Begin function _ZN12_GLOBAL__N_120softmax_warp_forwardIdddLi0ELb0ELb1ELi64EEEvPT0_PKT_iiiPKbib
	.p2align	8
	.type	_ZN12_GLOBAL__N_120softmax_warp_forwardIdddLi0ELb0ELb1ELi64EEEvPT0_PKT_iiiPKbib,@function
_ZN12_GLOBAL__N_120softmax_warp_forwardIdddLi0ELb0ELb1ELi64EEEvPT0_PKT_iiiPKbib: ; @_ZN12_GLOBAL__N_120softmax_warp_forwardIdddLi0ELb0ELb1ELi64EEEvPT0_PKT_iiiPKbib
; %bb.0:
	s_clause 0x2
	s_load_dwordx2 s[0:1], s[4:5], 0x28
	s_load_dword s2, s[4:5], 0x3c
	s_load_dwordx4 s[8:11], s[4:5], 0x10
	s_waitcnt lgkmcnt(0)
	s_bitcmp1_b32 s1, 0
	s_cselect_b32 s3, -1, 0
	s_lshr_b32 s2, s2, 16
	s_and_b32 s2, s2, 0xffff
	s_bitcmp0_b32 s1, 0
	s_mul_i32 s6, s6, s2
	v_add_lshl_u32 v5, s6, v1, 1
	v_mul_lo_u32 v6, v5, s9
	v_add_nc_u32_e32 v3, v6, v0
	v_ashrrev_i32_e32 v4, 31, v3
	v_mov_b32_e32 v1, v3
	v_mov_b32_e32 v2, v4
	s_cbranch_scc1 .LBB672_2
; %bb.1:
	s_abs_i32 s1, s0
	v_sub_nc_u32_e32 v7, 0, v6
	v_cvt_f32_u32_e32 v1, s1
	s_sub_i32 s2, 0, s1
	v_max_i32_e32 v7, v6, v7
	v_rcp_iflag_f32_e32 v1, v1
	v_xor_b32_e32 v6, s0, v6
	v_ashrrev_i32_e32 v6, 31, v6
	v_mul_f32_e32 v1, 0x4f7ffffe, v1
	v_cvt_u32_f32_e32 v1, v1
	v_mul_lo_u32 v2, s2, v1
	v_mul_hi_u32 v2, v1, v2
	v_add_nc_u32_e32 v1, v1, v2
	v_mul_hi_u32 v1, v7, v1
	v_mul_lo_u32 v2, v1, s1
	v_sub_nc_u32_e32 v2, v7, v2
	v_add_nc_u32_e32 v7, 1, v1
	v_subrev_nc_u32_e32 v8, s1, v2
	v_cmp_le_u32_e32 vcc_lo, s1, v2
	v_cndmask_b32_e32 v1, v1, v7, vcc_lo
	v_cndmask_b32_e32 v2, v2, v8, vcc_lo
	v_add_nc_u32_e32 v7, 1, v1
	v_cmp_le_u32_e32 vcc_lo, s1, v2
	v_cndmask_b32_e32 v1, v1, v7, vcc_lo
	v_xor_b32_e32 v1, v1, v6
	v_sub_nc_u32_e32 v1, v1, v6
	v_mad_u64_u32 v[1:2], null, v1, s9, v[0:1]
	v_ashrrev_i32_e32 v2, 31, v1
.LBB672_2:
	s_load_dwordx4 s[12:15], s[4:5], 0x0
	v_lshlrev_b64 v[12:13], 3, v[3:4]
	v_sub_nc_u32_e32 v20, s8, v5
	v_cmp_gt_i32_e64 s0, s10, v0
	v_mov_b32_e32 v6, 0
	v_mov_b32_e32 v4, 0
	;; [unrolled: 1-line block ×3, first 2 shown]
	v_cmp_lt_i32_e32 vcc_lo, 0, v20
	v_mov_b32_e32 v5, 0xfff00000
	s_and_b32 s6, s0, vcc_lo
	s_waitcnt lgkmcnt(0)
	v_add_co_u32 v8, s1, s14, v12
	v_add_co_ci_u32_e64 v9, null, s15, v13, s1
	s_and_saveexec_b32 s1, s6
	s_cbranch_execz .LBB672_4
; %bb.3:
	global_load_dwordx2 v[4:5], v[8:9], off
.LBB672_4:
	s_or_b32 exec_lo, exec_lo, s1
	v_cmp_lt_i32_e64 s1, 1, v20
	s_and_b32 s2, s0, s1
	s_and_saveexec_b32 s7, s2
	s_cbranch_execz .LBB672_6
; %bb.5:
	s_mov_b32 s11, 0
	s_lshl_b64 s[8:9], s[10:11], 3
	v_add_co_u32 v6, s1, v8, s8
	v_add_co_ci_u32_e64 v7, null, s9, v9, s1
	global_load_dwordx2 v[6:7], v[6:7], off
.LBB672_6:
	s_or_b32 exec_lo, exec_lo, s7
	s_load_dwordx2 s[4:5], s[4:5], 0x20
	v_mov_b32_e32 v18, 0
	v_mov_b32_e32 v19, 0xfff00000
	s_waitcnt lgkmcnt(0)
	v_add_co_u32 v14, s1, s4, v1
	v_add_co_ci_u32_e64 v15, null, s5, v2, s1
	s_and_saveexec_b32 s4, s6
	s_cbranch_execz .LBB672_8
; %bb.7:
	global_load_ubyte v0, v[14:15], off
	s_waitcnt vmcnt(0)
	v_and_b32_e32 v0, 1, v0
	v_cmp_eq_u32_e64 s1, 1, v0
	v_cndmask_b32_e64 v19, v5, 0xfff00000, s1
	v_cndmask_b32_e64 v18, v4, 0, s1
.LBB672_8:
	s_or_b32 exec_lo, exec_lo, s4
	s_xor_b32 s4, s6, -1
	s_mov_b32 s1, 0
	s_and_saveexec_b32 s5, s2
	s_cbranch_execz .LBB672_12
; %bb.9:
	s_and_b32 s1, s3, exec_lo
	s_cselect_b32 s1, 0, s10
	s_cselect_b32 s6, 0, 0
	v_add_co_u32 v0, s1, v14, s1
	v_add_co_ci_u32_e64 v1, null, s6, v15, s1
	s_mov_b32 s6, 0
	global_load_ubyte v0, v[0:1], off
	s_waitcnt vmcnt(0)
	v_and_b32_e32 v0, 1, v0
	v_cmp_eq_u32_e64 s1, 1, v0
	s_xor_b32 s7, s1, -1
	s_and_saveexec_b32 s1, s7
; %bb.10:
	s_mov_b32 s6, exec_lo
; %bb.11:
	s_or_b32 exec_lo, exec_lo, s1
	s_and_b32 s1, s6, exec_lo
.LBB672_12:
	s_or_b32 exec_lo, exec_lo, s5
	s_waitcnt vmcnt(0)
	v_cndmask_b32_e64 v17, 0xfff00000, v7, s1
	v_cndmask_b32_e64 v16, 0, v6, s1
                                        ; implicit-def: $vgpr8_vgpr9_vgpr10_vgpr11
	s_and_saveexec_b32 s1, s4
	s_xor_b32 s1, exec_lo, s1
; %bb.13:
	s_mov_b32 s4, 0
                                        ; implicit-def: $vgpr18_vgpr19
	v_mov_b32_e32 v4, s4
	v_mov_b32_e32 v5, s4
	;; [unrolled: 1-line block ×6, first 2 shown]
                                        ; implicit-def: $vgpr4_vgpr5_vgpr6_vgpr7
; %bb.14:
	s_or_saveexec_b32 s4, s1
	v_mov_b32_e32 v0, 0
	s_xor_b32 s5, s2, -1
	s_mov_b32 s2, 0
	v_mov_b32_e32 v1, v0
	v_mov_b32_e32 v2, v0
	;; [unrolled: 1-line block ×3, first 2 shown]
	s_xor_b32 exec_lo, exec_lo, s4
	s_cbranch_execz .LBB672_20
; %bb.15:
	global_load_ubyte v0, v[14:15], off
	v_mov_b32_e32 v11, v7
	v_mov_b32_e32 v9, v5
	;; [unrolled: 1-line block ×6, first 2 shown]
	s_waitcnt vmcnt(0)
	v_and_b32_e32 v0, 1, v0
	v_cmp_eq_u32_e64 s1, 1, v0
                                        ; implicit-def: $vgpr0_vgpr1_vgpr2_vgpr3
	s_xor_b32 s1, s1, -1
	s_and_saveexec_b32 s2, s1
	s_xor_b32 s6, exec_lo, s2
	s_cbranch_execz .LBB672_17
; %bb.16:
	v_add_f64 v[0:1], v[4:5], -v[18:19]
	s_mov_b32 s8, 0x652b82fe
	s_mov_b32 s9, 0x3ff71547
	;; [unrolled: 1-line block ×4, first 2 shown]
	v_mul_f64 v[2:3], v[0:1], s[8:9]
	s_mov_b32 s8, 0xfefa39ef
	s_mov_b32 s9, 0xbfe62e42
	v_cmp_nlt_f64_e64 s1, 0x40900000, v[0:1]
	v_cmp_ngt_f64_e64 s2, 0xc090cc00, v[0:1]
	v_rndne_f64_e32 v[2:3], v[2:3]
	v_fma_f64 v[4:5], v[2:3], s[8:9], v[0:1]
	s_mov_b32 s8, 0x3b39803f
	s_mov_b32 s9, 0xbc7abc9e
	v_cvt_i32_f64_e32 v10, v[2:3]
	v_fma_f64 v[4:5], v[2:3], s[8:9], v[4:5]
	s_mov_b32 s8, 0xfca7ab0c
	s_mov_b32 s9, 0x3e928af3
	v_fma_f64 v[8:9], v[4:5], s[14:15], s[8:9]
	s_mov_b32 s8, 0x623fde64
	s_mov_b32 s9, 0x3ec71dee
	;; [unrolled: 3-line block ×9, first 2 shown]
	v_fma_f64 v[8:9], v[4:5], v[8:9], s[8:9]
	v_fma_f64 v[8:9], v[4:5], v[8:9], 1.0
	v_fma_f64 v[2:3], v[4:5], v[8:9], 1.0
	v_ldexp_f64 v[2:3], v[2:3], v10
	v_cndmask_b32_e64 v3, 0x7ff00000, v3, s1
	s_and_b32 s1, s2, s1
	v_cndmask_b32_e64 v4, 0, v2, s1
	v_mov_b32_e32 v2, 0
	v_cndmask_b32_e64 v5, 0, v3, s2
	v_mov_b32_e32 v11, v7
	v_mov_b32_e32 v10, v6
	v_mov_b32_e32 v8, v4
	v_mov_b32_e32 v3, v2
	v_add_f64 v[0:1], v[4:5], 0
	v_mov_b32_e32 v9, v5
.LBB672_17:
	s_andn2_saveexec_b32 s1, s6
; %bb.18:
	v_mov_b32_e32 v0, 0
	v_mov_b32_e32 v1, v0
	v_mov_b32_e32 v2, v0
	v_mov_b32_e32 v3, v0
; %bb.19:
	s_or_b32 exec_lo, exec_lo, s1
.LBB672_20:
	s_or_b32 exec_lo, exec_lo, s4
                                        ; implicit-def: $vgpr4_vgpr5_vgpr6_vgpr7
	s_and_saveexec_b32 s1, s5
	s_xor_b32 s1, exec_lo, s1
	s_cbranch_execz .LBB672_23
; %bb.21:
	s_mov_b32 s2, 0
                                        ; implicit-def: $vgpr14
                                        ; implicit-def: $vgpr16
	v_mov_b32_e32 v10, s2
	v_mov_b32_e32 v11, s2
	;; [unrolled: 1-line block ×6, first 2 shown]
                                        ; implicit-def: $vgpr8_vgpr9_vgpr10_vgpr11
	s_andn2_saveexec_b32 s4, s1
	s_cbranch_execnz .LBB672_24
.LBB672_22:
	s_or_b32 exec_lo, exec_lo, s4
	s_and_saveexec_b32 s1, vcc_lo
	s_cbranch_execnz .LBB672_27
	s_branch .LBB672_35
.LBB672_23:
	s_andn2_saveexec_b32 s4, s1
	s_cbranch_execz .LBB672_22
.LBB672_24:
	s_and_b32 s1, s3, exec_lo
	s_cselect_b32 s1, 0, s10
	s_cselect_b32 s2, 0, 0
	v_add_co_u32 v4, s1, v14, s1
	v_add_co_ci_u32_e64 v5, null, s2, v15, s1
	s_mov_b32 s2, 0
	global_load_ubyte v4, v[4:5], off
	s_waitcnt vmcnt(0)
	v_and_b32_e32 v4, 1, v4
	v_cmp_eq_u32_e64 s1, 1, v4
	v_mov_b32_e32 v4, v8
	v_mov_b32_e32 v6, v10
	;; [unrolled: 1-line block ×6, first 2 shown]
	s_xor_b32 s1, s1, -1
	s_and_saveexec_b32 s2, s1
	s_xor_b32 s3, exec_lo, s2
	s_cbranch_execz .LBB672_26
; %bb.25:
	v_add_f64 v[4:5], v[10:11], -v[16:17]
	s_mov_b32 s6, 0x652b82fe
	s_mov_b32 s7, 0x3ff71547
	;; [unrolled: 1-line block ×4, first 2 shown]
	v_mul_f64 v[6:7], v[4:5], s[6:7]
	s_mov_b32 s6, 0xfefa39ef
	s_mov_b32 s7, 0xbfe62e42
	v_cmp_nlt_f64_e64 s1, 0x40900000, v[4:5]
	v_cmp_ngt_f64_e64 s2, 0xc090cc00, v[4:5]
	v_rndne_f64_e32 v[6:7], v[6:7]
	v_fma_f64 v[10:11], v[6:7], s[6:7], v[4:5]
	s_mov_b32 s6, 0x3b39803f
	s_mov_b32 s7, 0xbc7abc9e
	v_cvt_i32_f64_e32 v16, v[6:7]
	v_fma_f64 v[10:11], v[6:7], s[6:7], v[10:11]
	s_mov_b32 s6, 0xfca7ab0c
	s_mov_b32 s7, 0x3e928af3
	v_fma_f64 v[14:15], v[10:11], s[8:9], s[6:7]
	s_mov_b32 s6, 0x623fde64
	s_mov_b32 s7, 0x3ec71dee
	;; [unrolled: 3-line block ×9, first 2 shown]
	v_fma_f64 v[14:15], v[10:11], v[14:15], s[6:7]
	v_fma_f64 v[14:15], v[10:11], v[14:15], 1.0
	v_fma_f64 v[6:7], v[10:11], v[14:15], 1.0
	v_ldexp_f64 v[6:7], v[6:7], v16
	v_cndmask_b32_e64 v7, 0x7ff00000, v7, s1
	s_and_b32 s1, s2, s1
	v_cndmask_b32_e64 v10, 0, v6, s1
	v_cndmask_b32_e64 v11, 0, v7, s2
	v_mov_b32_e32 v4, v8
	v_mov_b32_e32 v5, v9
	v_mov_b32_e32 v6, v10
	v_add_f64 v[2:3], v[2:3], v[10:11]
	v_mov_b32_e32 v7, v11
.LBB672_26:
	s_andn2_saveexec_b32 s1, s3
	s_or_b32 exec_lo, exec_lo, s1
	s_or_b32 exec_lo, exec_lo, s4
	s_and_saveexec_b32 s1, vcc_lo
	s_cbranch_execz .LBB672_35
.LBB672_27:
	v_add_co_u32 v8, vcc_lo, s12, v12
	v_add_co_ci_u32_e64 v9, null, s13, v13, vcc_lo
	s_and_saveexec_b32 s1, s0
	s_cbranch_execz .LBB672_31
; %bb.28:
	v_mov_b32_e32 v10, 0
	v_mov_b32_e32 v11, 0x7ff80000
	s_mov_b32 s2, exec_lo
	v_cmpx_neq_f64_e32 0, v[0:1]
	s_cbranch_execz .LBB672_30
; %bb.29:
	v_div_scale_f64 v[10:11], null, v[0:1], v[0:1], v[4:5]
	v_rcp_f64_e32 v[12:13], v[10:11]
	v_fma_f64 v[14:15], -v[10:11], v[12:13], 1.0
	v_fma_f64 v[12:13], v[12:13], v[14:15], v[12:13]
	v_fma_f64 v[14:15], -v[10:11], v[12:13], 1.0
	v_fma_f64 v[12:13], v[12:13], v[14:15], v[12:13]
	v_div_scale_f64 v[14:15], vcc_lo, v[4:5], v[0:1], v[4:5]
	v_mul_f64 v[16:17], v[14:15], v[12:13]
	v_fma_f64 v[10:11], -v[10:11], v[16:17], v[14:15]
	v_div_fmas_f64 v[10:11], v[10:11], v[12:13], v[16:17]
	v_div_fixup_f64 v[10:11], v[10:11], v[0:1], v[4:5]
.LBB672_30:
	s_or_b32 exec_lo, exec_lo, s2
	global_store_dwordx2 v[8:9], v[10:11], off
.LBB672_31:
	s_or_b32 exec_lo, exec_lo, s1
	v_cmp_ne_u32_e32 vcc_lo, 1, v20
	s_and_b32 s0, vcc_lo, s0
	s_and_b32 exec_lo, exec_lo, s0
	s_cbranch_execz .LBB672_35
; %bb.32:
	v_mov_b32_e32 v0, 0
	v_mov_b32_e32 v1, 0x7ff80000
	s_mov_b32 s0, exec_lo
	v_cmpx_neq_f64_e32 0, v[2:3]
	s_cbranch_execz .LBB672_34
; %bb.33:
	v_div_scale_f64 v[0:1], null, v[2:3], v[2:3], v[6:7]
	v_rcp_f64_e32 v[4:5], v[0:1]
	v_fma_f64 v[10:11], -v[0:1], v[4:5], 1.0
	v_fma_f64 v[4:5], v[4:5], v[10:11], v[4:5]
	v_fma_f64 v[10:11], -v[0:1], v[4:5], 1.0
	v_fma_f64 v[4:5], v[4:5], v[10:11], v[4:5]
	v_div_scale_f64 v[10:11], vcc_lo, v[6:7], v[2:3], v[6:7]
	v_mul_f64 v[12:13], v[10:11], v[4:5]
	v_fma_f64 v[0:1], -v[0:1], v[12:13], v[10:11]
	v_div_fmas_f64 v[0:1], v[0:1], v[4:5], v[12:13]
	v_div_fixup_f64 v[0:1], v[0:1], v[2:3], v[6:7]
.LBB672_34:
	s_or_b32 exec_lo, exec_lo, s0
	s_mov_b32 s11, 0
	s_lshl_b64 s[0:1], s[10:11], 3
	v_add_co_u32 v2, vcc_lo, v8, s0
	v_add_co_ci_u32_e64 v3, null, s1, v9, vcc_lo
	global_store_dwordx2 v[2:3], v[0:1], off
	s_endpgm
.LBB672_35:
	s_endpgm
	.section	.rodata,"a",@progbits
	.p2align	6, 0x0
	.amdhsa_kernel _ZN12_GLOBAL__N_120softmax_warp_forwardIdddLi0ELb0ELb1ELi64EEEvPT0_PKT_iiiPKbib
		.amdhsa_group_segment_fixed_size 0
		.amdhsa_private_segment_fixed_size 0
		.amdhsa_kernarg_size 304
		.amdhsa_user_sgpr_count 6
		.amdhsa_user_sgpr_private_segment_buffer 1
		.amdhsa_user_sgpr_dispatch_ptr 0
		.amdhsa_user_sgpr_queue_ptr 0
		.amdhsa_user_sgpr_kernarg_segment_ptr 1
		.amdhsa_user_sgpr_dispatch_id 0
		.amdhsa_user_sgpr_flat_scratch_init 0
		.amdhsa_user_sgpr_private_segment_size 0
		.amdhsa_wavefront_size32 1
		.amdhsa_uses_dynamic_stack 0
		.amdhsa_system_sgpr_private_segment_wavefront_offset 0
		.amdhsa_system_sgpr_workgroup_id_x 1
		.amdhsa_system_sgpr_workgroup_id_y 0
		.amdhsa_system_sgpr_workgroup_id_z 0
		.amdhsa_system_sgpr_workgroup_info 0
		.amdhsa_system_vgpr_workitem_id 1
		.amdhsa_next_free_vgpr 21
		.amdhsa_next_free_sgpr 16
		.amdhsa_reserve_vcc 1
		.amdhsa_reserve_flat_scratch 0
		.amdhsa_float_round_mode_32 0
		.amdhsa_float_round_mode_16_64 0
		.amdhsa_float_denorm_mode_32 3
		.amdhsa_float_denorm_mode_16_64 3
		.amdhsa_dx10_clamp 1
		.amdhsa_ieee_mode 1
		.amdhsa_fp16_overflow 0
		.amdhsa_workgroup_processor_mode 1
		.amdhsa_memory_ordered 1
		.amdhsa_forward_progress 1
		.amdhsa_shared_vgpr_count 0
		.amdhsa_exception_fp_ieee_invalid_op 0
		.amdhsa_exception_fp_denorm_src 0
		.amdhsa_exception_fp_ieee_div_zero 0
		.amdhsa_exception_fp_ieee_overflow 0
		.amdhsa_exception_fp_ieee_underflow 0
		.amdhsa_exception_fp_ieee_inexact 0
		.amdhsa_exception_int_div_zero 0
	.end_amdhsa_kernel
	.section	.text._ZN12_GLOBAL__N_120softmax_warp_forwardIdddLi0ELb0ELb1ELi64EEEvPT0_PKT_iiiPKbib,"axG",@progbits,_ZN12_GLOBAL__N_120softmax_warp_forwardIdddLi0ELb0ELb1ELi64EEEvPT0_PKT_iiiPKbib,comdat
.Lfunc_end672:
	.size	_ZN12_GLOBAL__N_120softmax_warp_forwardIdddLi0ELb0ELb1ELi64EEEvPT0_PKT_iiiPKbib, .Lfunc_end672-_ZN12_GLOBAL__N_120softmax_warp_forwardIdddLi0ELb0ELb1ELi64EEEvPT0_PKT_iiiPKbib
                                        ; -- End function
	.set _ZN12_GLOBAL__N_120softmax_warp_forwardIdddLi0ELb0ELb1ELi64EEEvPT0_PKT_iiiPKbib.num_vgpr, 21
	.set _ZN12_GLOBAL__N_120softmax_warp_forwardIdddLi0ELb0ELb1ELi64EEEvPT0_PKT_iiiPKbib.num_agpr, 0
	.set _ZN12_GLOBAL__N_120softmax_warp_forwardIdddLi0ELb0ELb1ELi64EEEvPT0_PKT_iiiPKbib.numbered_sgpr, 16
	.set _ZN12_GLOBAL__N_120softmax_warp_forwardIdddLi0ELb0ELb1ELi64EEEvPT0_PKT_iiiPKbib.num_named_barrier, 0
	.set _ZN12_GLOBAL__N_120softmax_warp_forwardIdddLi0ELb0ELb1ELi64EEEvPT0_PKT_iiiPKbib.private_seg_size, 0
	.set _ZN12_GLOBAL__N_120softmax_warp_forwardIdddLi0ELb0ELb1ELi64EEEvPT0_PKT_iiiPKbib.uses_vcc, 1
	.set _ZN12_GLOBAL__N_120softmax_warp_forwardIdddLi0ELb0ELb1ELi64EEEvPT0_PKT_iiiPKbib.uses_flat_scratch, 0
	.set _ZN12_GLOBAL__N_120softmax_warp_forwardIdddLi0ELb0ELb1ELi64EEEvPT0_PKT_iiiPKbib.has_dyn_sized_stack, 0
	.set _ZN12_GLOBAL__N_120softmax_warp_forwardIdddLi0ELb0ELb1ELi64EEEvPT0_PKT_iiiPKbib.has_recursion, 0
	.set _ZN12_GLOBAL__N_120softmax_warp_forwardIdddLi0ELb0ELb1ELi64EEEvPT0_PKT_iiiPKbib.has_indirect_call, 0
	.section	.AMDGPU.csdata,"",@progbits
; Kernel info:
; codeLenInByte = 2120
; TotalNumSgprs: 18
; NumVgprs: 21
; ScratchSize: 0
; MemoryBound: 1
; FloatMode: 240
; IeeeMode: 1
; LDSByteSize: 0 bytes/workgroup (compile time only)
; SGPRBlocks: 0
; VGPRBlocks: 2
; NumSGPRsForWavesPerEU: 18
; NumVGPRsForWavesPerEU: 21
; Occupancy: 16
; WaveLimiterHint : 0
; COMPUTE_PGM_RSRC2:SCRATCH_EN: 0
; COMPUTE_PGM_RSRC2:USER_SGPR: 6
; COMPUTE_PGM_RSRC2:TRAP_HANDLER: 0
; COMPUTE_PGM_RSRC2:TGID_X_EN: 1
; COMPUTE_PGM_RSRC2:TGID_Y_EN: 0
; COMPUTE_PGM_RSRC2:TGID_Z_EN: 0
; COMPUTE_PGM_RSRC2:TIDIG_COMP_CNT: 1
	.section	.text._ZN12_GLOBAL__N_120softmax_warp_forwardIdddLi0ELb0ELb1ELi32EEEvPT0_PKT_iiiPKbib,"axG",@progbits,_ZN12_GLOBAL__N_120softmax_warp_forwardIdddLi0ELb0ELb1ELi32EEEvPT0_PKT_iiiPKbib,comdat
	.globl	_ZN12_GLOBAL__N_120softmax_warp_forwardIdddLi0ELb0ELb1ELi32EEEvPT0_PKT_iiiPKbib ; -- Begin function _ZN12_GLOBAL__N_120softmax_warp_forwardIdddLi0ELb0ELb1ELi32EEEvPT0_PKT_iiiPKbib
	.p2align	8
	.type	_ZN12_GLOBAL__N_120softmax_warp_forwardIdddLi0ELb0ELb1ELi32EEEvPT0_PKT_iiiPKbib,@function
_ZN12_GLOBAL__N_120softmax_warp_forwardIdddLi0ELb0ELb1ELi32EEEvPT0_PKT_iiiPKbib: ; @_ZN12_GLOBAL__N_120softmax_warp_forwardIdddLi0ELb0ELb1ELi32EEEvPT0_PKT_iiiPKbib
; %bb.0:
	s_clause 0x2
	s_load_dwordx2 s[0:1], s[4:5], 0x28
	s_load_dword s2, s[4:5], 0x3c
	s_load_dwordx4 s[8:11], s[4:5], 0x10
	s_waitcnt lgkmcnt(0)
	s_bitcmp1_b32 s1, 0
	s_cselect_b32 s3, -1, 0
	s_lshr_b32 s2, s2, 16
	s_and_b32 s2, s2, 0xffff
	s_bitcmp0_b32 s1, 0
	s_mul_i32 s6, s6, s2
	v_add_lshl_u32 v5, s6, v1, 1
	v_mul_lo_u32 v6, v5, s9
	v_add_nc_u32_e32 v3, v6, v0
	v_ashrrev_i32_e32 v4, 31, v3
	v_mov_b32_e32 v1, v3
	v_mov_b32_e32 v2, v4
	s_cbranch_scc1 .LBB673_2
; %bb.1:
	s_abs_i32 s1, s0
	v_sub_nc_u32_e32 v7, 0, v6
	v_cvt_f32_u32_e32 v1, s1
	s_sub_i32 s2, 0, s1
	v_max_i32_e32 v7, v6, v7
	v_rcp_iflag_f32_e32 v1, v1
	v_xor_b32_e32 v6, s0, v6
	v_ashrrev_i32_e32 v6, 31, v6
	v_mul_f32_e32 v1, 0x4f7ffffe, v1
	v_cvt_u32_f32_e32 v1, v1
	v_mul_lo_u32 v2, s2, v1
	v_mul_hi_u32 v2, v1, v2
	v_add_nc_u32_e32 v1, v1, v2
	v_mul_hi_u32 v1, v7, v1
	v_mul_lo_u32 v2, v1, s1
	v_sub_nc_u32_e32 v2, v7, v2
	v_add_nc_u32_e32 v7, 1, v1
	v_subrev_nc_u32_e32 v8, s1, v2
	v_cmp_le_u32_e32 vcc_lo, s1, v2
	v_cndmask_b32_e32 v1, v1, v7, vcc_lo
	v_cndmask_b32_e32 v2, v2, v8, vcc_lo
	v_add_nc_u32_e32 v7, 1, v1
	v_cmp_le_u32_e32 vcc_lo, s1, v2
	v_cndmask_b32_e32 v1, v1, v7, vcc_lo
	v_xor_b32_e32 v1, v1, v6
	v_sub_nc_u32_e32 v1, v1, v6
	v_mad_u64_u32 v[1:2], null, v1, s9, v[0:1]
	v_ashrrev_i32_e32 v2, 31, v1
.LBB673_2:
	s_load_dwordx4 s[12:15], s[4:5], 0x0
	v_lshlrev_b64 v[12:13], 3, v[3:4]
	v_sub_nc_u32_e32 v20, s8, v5
	v_cmp_gt_i32_e64 s0, s10, v0
	v_mov_b32_e32 v6, 0
	v_mov_b32_e32 v4, 0
	;; [unrolled: 1-line block ×3, first 2 shown]
	v_cmp_lt_i32_e32 vcc_lo, 0, v20
	v_mov_b32_e32 v5, 0xfff00000
	s_and_b32 s6, s0, vcc_lo
	s_waitcnt lgkmcnt(0)
	v_add_co_u32 v8, s1, s14, v12
	v_add_co_ci_u32_e64 v9, null, s15, v13, s1
	s_and_saveexec_b32 s1, s6
	s_cbranch_execz .LBB673_4
; %bb.3:
	global_load_dwordx2 v[4:5], v[8:9], off
.LBB673_4:
	s_or_b32 exec_lo, exec_lo, s1
	v_cmp_lt_i32_e64 s1, 1, v20
	s_and_b32 s2, s0, s1
	s_and_saveexec_b32 s7, s2
	s_cbranch_execz .LBB673_6
; %bb.5:
	s_mov_b32 s11, 0
	s_lshl_b64 s[8:9], s[10:11], 3
	v_add_co_u32 v6, s1, v8, s8
	v_add_co_ci_u32_e64 v7, null, s9, v9, s1
	global_load_dwordx2 v[6:7], v[6:7], off
.LBB673_6:
	s_or_b32 exec_lo, exec_lo, s7
	s_load_dwordx2 s[4:5], s[4:5], 0x20
	v_mov_b32_e32 v18, 0
	v_mov_b32_e32 v19, 0xfff00000
	s_waitcnt lgkmcnt(0)
	v_add_co_u32 v14, s1, s4, v1
	v_add_co_ci_u32_e64 v15, null, s5, v2, s1
	s_and_saveexec_b32 s4, s6
	s_cbranch_execz .LBB673_8
; %bb.7:
	global_load_ubyte v0, v[14:15], off
	s_waitcnt vmcnt(0)
	v_and_b32_e32 v0, 1, v0
	v_cmp_eq_u32_e64 s1, 1, v0
	v_cndmask_b32_e64 v19, v5, 0xfff00000, s1
	v_cndmask_b32_e64 v18, v4, 0, s1
.LBB673_8:
	s_or_b32 exec_lo, exec_lo, s4
	s_xor_b32 s4, s6, -1
	s_mov_b32 s1, 0
	s_and_saveexec_b32 s5, s2
	s_cbranch_execz .LBB673_12
; %bb.9:
	s_and_b32 s1, s3, exec_lo
	s_cselect_b32 s1, 0, s10
	s_cselect_b32 s6, 0, 0
	v_add_co_u32 v0, s1, v14, s1
	v_add_co_ci_u32_e64 v1, null, s6, v15, s1
	s_mov_b32 s6, 0
	global_load_ubyte v0, v[0:1], off
	s_waitcnt vmcnt(0)
	v_and_b32_e32 v0, 1, v0
	v_cmp_eq_u32_e64 s1, 1, v0
	s_xor_b32 s7, s1, -1
	s_and_saveexec_b32 s1, s7
; %bb.10:
	s_mov_b32 s6, exec_lo
; %bb.11:
	s_or_b32 exec_lo, exec_lo, s1
	s_and_b32 s1, s6, exec_lo
.LBB673_12:
	s_or_b32 exec_lo, exec_lo, s5
	s_waitcnt vmcnt(0)
	v_cndmask_b32_e64 v17, 0xfff00000, v7, s1
	v_cndmask_b32_e64 v16, 0, v6, s1
                                        ; implicit-def: $vgpr8_vgpr9_vgpr10_vgpr11
	s_and_saveexec_b32 s1, s4
	s_xor_b32 s1, exec_lo, s1
; %bb.13:
	s_mov_b32 s4, 0
                                        ; implicit-def: $vgpr18_vgpr19
	v_mov_b32_e32 v4, s4
	v_mov_b32_e32 v5, s4
	;; [unrolled: 1-line block ×6, first 2 shown]
                                        ; implicit-def: $vgpr4_vgpr5_vgpr6_vgpr7
; %bb.14:
	s_or_saveexec_b32 s4, s1
	v_mov_b32_e32 v0, 0
	s_xor_b32 s5, s2, -1
	s_mov_b32 s2, 0
	v_mov_b32_e32 v1, v0
	v_mov_b32_e32 v2, v0
	;; [unrolled: 1-line block ×3, first 2 shown]
	s_xor_b32 exec_lo, exec_lo, s4
	s_cbranch_execz .LBB673_20
; %bb.15:
	global_load_ubyte v0, v[14:15], off
	v_mov_b32_e32 v11, v7
	v_mov_b32_e32 v9, v5
	v_mov_b32_e32 v8, v4
	v_mov_b32_e32 v10, v6
	v_mov_b32_e32 v8, s2
	v_mov_b32_e32 v9, s2
	s_waitcnt vmcnt(0)
	v_and_b32_e32 v0, 1, v0
	v_cmp_eq_u32_e64 s1, 1, v0
                                        ; implicit-def: $vgpr0_vgpr1_vgpr2_vgpr3
	s_xor_b32 s1, s1, -1
	s_and_saveexec_b32 s2, s1
	s_xor_b32 s6, exec_lo, s2
	s_cbranch_execz .LBB673_17
; %bb.16:
	v_add_f64 v[0:1], v[4:5], -v[18:19]
	s_mov_b32 s8, 0x652b82fe
	s_mov_b32 s9, 0x3ff71547
	;; [unrolled: 1-line block ×4, first 2 shown]
	v_mul_f64 v[2:3], v[0:1], s[8:9]
	s_mov_b32 s8, 0xfefa39ef
	s_mov_b32 s9, 0xbfe62e42
	v_cmp_nlt_f64_e64 s1, 0x40900000, v[0:1]
	v_cmp_ngt_f64_e64 s2, 0xc090cc00, v[0:1]
	v_rndne_f64_e32 v[2:3], v[2:3]
	v_fma_f64 v[4:5], v[2:3], s[8:9], v[0:1]
	s_mov_b32 s8, 0x3b39803f
	s_mov_b32 s9, 0xbc7abc9e
	v_cvt_i32_f64_e32 v10, v[2:3]
	v_fma_f64 v[4:5], v[2:3], s[8:9], v[4:5]
	s_mov_b32 s8, 0xfca7ab0c
	s_mov_b32 s9, 0x3e928af3
	v_fma_f64 v[8:9], v[4:5], s[14:15], s[8:9]
	s_mov_b32 s8, 0x623fde64
	s_mov_b32 s9, 0x3ec71dee
	v_fma_f64 v[8:9], v[4:5], v[8:9], s[8:9]
	s_mov_b32 s8, 0x7c89e6b0
	s_mov_b32 s9, 0x3efa0199
	v_fma_f64 v[8:9], v[4:5], v[8:9], s[8:9]
	s_mov_b32 s8, 0x14761f6e
	s_mov_b32 s9, 0x3f2a01a0
	v_fma_f64 v[8:9], v[4:5], v[8:9], s[8:9]
	s_mov_b32 s8, 0x1852b7b0
	s_mov_b32 s9, 0x3f56c16c
	v_fma_f64 v[8:9], v[4:5], v[8:9], s[8:9]
	s_mov_b32 s8, 0x11122322
	s_mov_b32 s9, 0x3f811111
	v_fma_f64 v[8:9], v[4:5], v[8:9], s[8:9]
	s_mov_b32 s8, 0x555502a1
	s_mov_b32 s9, 0x3fa55555
	v_fma_f64 v[8:9], v[4:5], v[8:9], s[8:9]
	s_mov_b32 s8, 0x55555511
	s_mov_b32 s9, 0x3fc55555
	v_fma_f64 v[8:9], v[4:5], v[8:9], s[8:9]
	s_mov_b32 s8, 11
	s_mov_b32 s9, 0x3fe00000
	v_fma_f64 v[8:9], v[4:5], v[8:9], s[8:9]
	v_fma_f64 v[8:9], v[4:5], v[8:9], 1.0
	v_fma_f64 v[2:3], v[4:5], v[8:9], 1.0
	v_ldexp_f64 v[2:3], v[2:3], v10
	v_cndmask_b32_e64 v3, 0x7ff00000, v3, s1
	s_and_b32 s1, s2, s1
	v_cndmask_b32_e64 v4, 0, v2, s1
	v_mov_b32_e32 v2, 0
	v_cndmask_b32_e64 v5, 0, v3, s2
	v_mov_b32_e32 v11, v7
	v_mov_b32_e32 v10, v6
	;; [unrolled: 1-line block ×4, first 2 shown]
	v_add_f64 v[0:1], v[4:5], 0
	v_mov_b32_e32 v9, v5
.LBB673_17:
	s_andn2_saveexec_b32 s1, s6
; %bb.18:
	v_mov_b32_e32 v0, 0
	v_mov_b32_e32 v1, v0
	v_mov_b32_e32 v2, v0
	v_mov_b32_e32 v3, v0
; %bb.19:
	s_or_b32 exec_lo, exec_lo, s1
.LBB673_20:
	s_or_b32 exec_lo, exec_lo, s4
                                        ; implicit-def: $vgpr4_vgpr5_vgpr6_vgpr7
	s_and_saveexec_b32 s1, s5
	s_xor_b32 s1, exec_lo, s1
	s_cbranch_execz .LBB673_23
; %bb.21:
	s_mov_b32 s2, 0
                                        ; implicit-def: $vgpr14
                                        ; implicit-def: $vgpr16
	v_mov_b32_e32 v10, s2
	v_mov_b32_e32 v11, s2
	;; [unrolled: 1-line block ×6, first 2 shown]
                                        ; implicit-def: $vgpr8_vgpr9_vgpr10_vgpr11
	s_andn2_saveexec_b32 s4, s1
	s_cbranch_execnz .LBB673_24
.LBB673_22:
	s_or_b32 exec_lo, exec_lo, s4
	s_and_saveexec_b32 s1, vcc_lo
	s_cbranch_execnz .LBB673_27
	s_branch .LBB673_35
.LBB673_23:
	s_andn2_saveexec_b32 s4, s1
	s_cbranch_execz .LBB673_22
.LBB673_24:
	s_and_b32 s1, s3, exec_lo
	s_cselect_b32 s1, 0, s10
	s_cselect_b32 s2, 0, 0
	v_add_co_u32 v4, s1, v14, s1
	v_add_co_ci_u32_e64 v5, null, s2, v15, s1
	s_mov_b32 s2, 0
	global_load_ubyte v4, v[4:5], off
	s_waitcnt vmcnt(0)
	v_and_b32_e32 v4, 1, v4
	v_cmp_eq_u32_e64 s1, 1, v4
	v_mov_b32_e32 v4, v8
	v_mov_b32_e32 v6, v10
	;; [unrolled: 1-line block ×6, first 2 shown]
	s_xor_b32 s1, s1, -1
	s_and_saveexec_b32 s2, s1
	s_xor_b32 s3, exec_lo, s2
	s_cbranch_execz .LBB673_26
; %bb.25:
	v_add_f64 v[4:5], v[10:11], -v[16:17]
	s_mov_b32 s6, 0x652b82fe
	s_mov_b32 s7, 0x3ff71547
	s_mov_b32 s8, 0x6a5dcb37
	s_mov_b32 s9, 0x3e5ade15
	v_mul_f64 v[6:7], v[4:5], s[6:7]
	s_mov_b32 s6, 0xfefa39ef
	s_mov_b32 s7, 0xbfe62e42
	v_cmp_nlt_f64_e64 s1, 0x40900000, v[4:5]
	v_cmp_ngt_f64_e64 s2, 0xc090cc00, v[4:5]
	v_rndne_f64_e32 v[6:7], v[6:7]
	v_fma_f64 v[10:11], v[6:7], s[6:7], v[4:5]
	s_mov_b32 s6, 0x3b39803f
	s_mov_b32 s7, 0xbc7abc9e
	v_cvt_i32_f64_e32 v16, v[6:7]
	v_fma_f64 v[10:11], v[6:7], s[6:7], v[10:11]
	s_mov_b32 s6, 0xfca7ab0c
	s_mov_b32 s7, 0x3e928af3
	v_fma_f64 v[14:15], v[10:11], s[8:9], s[6:7]
	s_mov_b32 s6, 0x623fde64
	s_mov_b32 s7, 0x3ec71dee
	v_fma_f64 v[14:15], v[10:11], v[14:15], s[6:7]
	s_mov_b32 s6, 0x7c89e6b0
	s_mov_b32 s7, 0x3efa0199
	v_fma_f64 v[14:15], v[10:11], v[14:15], s[6:7]
	s_mov_b32 s6, 0x14761f6e
	s_mov_b32 s7, 0x3f2a01a0
	v_fma_f64 v[14:15], v[10:11], v[14:15], s[6:7]
	s_mov_b32 s6, 0x1852b7b0
	s_mov_b32 s7, 0x3f56c16c
	v_fma_f64 v[14:15], v[10:11], v[14:15], s[6:7]
	s_mov_b32 s6, 0x11122322
	s_mov_b32 s7, 0x3f811111
	v_fma_f64 v[14:15], v[10:11], v[14:15], s[6:7]
	s_mov_b32 s6, 0x555502a1
	s_mov_b32 s7, 0x3fa55555
	v_fma_f64 v[14:15], v[10:11], v[14:15], s[6:7]
	s_mov_b32 s6, 0x55555511
	s_mov_b32 s7, 0x3fc55555
	v_fma_f64 v[14:15], v[10:11], v[14:15], s[6:7]
	s_mov_b32 s6, 11
	s_mov_b32 s7, 0x3fe00000
	v_fma_f64 v[14:15], v[10:11], v[14:15], s[6:7]
	v_fma_f64 v[14:15], v[10:11], v[14:15], 1.0
	v_fma_f64 v[6:7], v[10:11], v[14:15], 1.0
	v_ldexp_f64 v[6:7], v[6:7], v16
	v_cndmask_b32_e64 v7, 0x7ff00000, v7, s1
	s_and_b32 s1, s2, s1
	v_cndmask_b32_e64 v10, 0, v6, s1
	v_cndmask_b32_e64 v11, 0, v7, s2
	v_mov_b32_e32 v4, v8
	v_mov_b32_e32 v5, v9
	;; [unrolled: 1-line block ×3, first 2 shown]
	v_add_f64 v[2:3], v[2:3], v[10:11]
	v_mov_b32_e32 v7, v11
.LBB673_26:
	s_andn2_saveexec_b32 s1, s3
	s_or_b32 exec_lo, exec_lo, s1
	s_or_b32 exec_lo, exec_lo, s4
	s_and_saveexec_b32 s1, vcc_lo
	s_cbranch_execz .LBB673_35
.LBB673_27:
	v_add_co_u32 v8, vcc_lo, s12, v12
	v_add_co_ci_u32_e64 v9, null, s13, v13, vcc_lo
	s_and_saveexec_b32 s1, s0
	s_cbranch_execz .LBB673_31
; %bb.28:
	v_mov_b32_e32 v10, 0
	v_mov_b32_e32 v11, 0x7ff80000
	s_mov_b32 s2, exec_lo
	v_cmpx_neq_f64_e32 0, v[0:1]
	s_cbranch_execz .LBB673_30
; %bb.29:
	v_div_scale_f64 v[10:11], null, v[0:1], v[0:1], v[4:5]
	v_rcp_f64_e32 v[12:13], v[10:11]
	v_fma_f64 v[14:15], -v[10:11], v[12:13], 1.0
	v_fma_f64 v[12:13], v[12:13], v[14:15], v[12:13]
	v_fma_f64 v[14:15], -v[10:11], v[12:13], 1.0
	v_fma_f64 v[12:13], v[12:13], v[14:15], v[12:13]
	v_div_scale_f64 v[14:15], vcc_lo, v[4:5], v[0:1], v[4:5]
	v_mul_f64 v[16:17], v[14:15], v[12:13]
	v_fma_f64 v[10:11], -v[10:11], v[16:17], v[14:15]
	v_div_fmas_f64 v[10:11], v[10:11], v[12:13], v[16:17]
	v_div_fixup_f64 v[10:11], v[10:11], v[0:1], v[4:5]
.LBB673_30:
	s_or_b32 exec_lo, exec_lo, s2
	global_store_dwordx2 v[8:9], v[10:11], off
.LBB673_31:
	s_or_b32 exec_lo, exec_lo, s1
	v_cmp_ne_u32_e32 vcc_lo, 1, v20
	s_and_b32 s0, vcc_lo, s0
	s_and_b32 exec_lo, exec_lo, s0
	s_cbranch_execz .LBB673_35
; %bb.32:
	v_mov_b32_e32 v0, 0
	v_mov_b32_e32 v1, 0x7ff80000
	s_mov_b32 s0, exec_lo
	v_cmpx_neq_f64_e32 0, v[2:3]
	s_cbranch_execz .LBB673_34
; %bb.33:
	v_div_scale_f64 v[0:1], null, v[2:3], v[2:3], v[6:7]
	v_rcp_f64_e32 v[4:5], v[0:1]
	v_fma_f64 v[10:11], -v[0:1], v[4:5], 1.0
	v_fma_f64 v[4:5], v[4:5], v[10:11], v[4:5]
	v_fma_f64 v[10:11], -v[0:1], v[4:5], 1.0
	v_fma_f64 v[4:5], v[4:5], v[10:11], v[4:5]
	v_div_scale_f64 v[10:11], vcc_lo, v[6:7], v[2:3], v[6:7]
	v_mul_f64 v[12:13], v[10:11], v[4:5]
	v_fma_f64 v[0:1], -v[0:1], v[12:13], v[10:11]
	v_div_fmas_f64 v[0:1], v[0:1], v[4:5], v[12:13]
	v_div_fixup_f64 v[0:1], v[0:1], v[2:3], v[6:7]
.LBB673_34:
	s_or_b32 exec_lo, exec_lo, s0
	s_mov_b32 s11, 0
	s_lshl_b64 s[0:1], s[10:11], 3
	v_add_co_u32 v2, vcc_lo, v8, s0
	v_add_co_ci_u32_e64 v3, null, s1, v9, vcc_lo
	global_store_dwordx2 v[2:3], v[0:1], off
	s_endpgm
.LBB673_35:
	s_endpgm
	.section	.rodata,"a",@progbits
	.p2align	6, 0x0
	.amdhsa_kernel _ZN12_GLOBAL__N_120softmax_warp_forwardIdddLi0ELb0ELb1ELi32EEEvPT0_PKT_iiiPKbib
		.amdhsa_group_segment_fixed_size 0
		.amdhsa_private_segment_fixed_size 0
		.amdhsa_kernarg_size 304
		.amdhsa_user_sgpr_count 6
		.amdhsa_user_sgpr_private_segment_buffer 1
		.amdhsa_user_sgpr_dispatch_ptr 0
		.amdhsa_user_sgpr_queue_ptr 0
		.amdhsa_user_sgpr_kernarg_segment_ptr 1
		.amdhsa_user_sgpr_dispatch_id 0
		.amdhsa_user_sgpr_flat_scratch_init 0
		.amdhsa_user_sgpr_private_segment_size 0
		.amdhsa_wavefront_size32 1
		.amdhsa_uses_dynamic_stack 0
		.amdhsa_system_sgpr_private_segment_wavefront_offset 0
		.amdhsa_system_sgpr_workgroup_id_x 1
		.amdhsa_system_sgpr_workgroup_id_y 0
		.amdhsa_system_sgpr_workgroup_id_z 0
		.amdhsa_system_sgpr_workgroup_info 0
		.amdhsa_system_vgpr_workitem_id 1
		.amdhsa_next_free_vgpr 21
		.amdhsa_next_free_sgpr 16
		.amdhsa_reserve_vcc 1
		.amdhsa_reserve_flat_scratch 0
		.amdhsa_float_round_mode_32 0
		.amdhsa_float_round_mode_16_64 0
		.amdhsa_float_denorm_mode_32 3
		.amdhsa_float_denorm_mode_16_64 3
		.amdhsa_dx10_clamp 1
		.amdhsa_ieee_mode 1
		.amdhsa_fp16_overflow 0
		.amdhsa_workgroup_processor_mode 1
		.amdhsa_memory_ordered 1
		.amdhsa_forward_progress 1
		.amdhsa_shared_vgpr_count 0
		.amdhsa_exception_fp_ieee_invalid_op 0
		.amdhsa_exception_fp_denorm_src 0
		.amdhsa_exception_fp_ieee_div_zero 0
		.amdhsa_exception_fp_ieee_overflow 0
		.amdhsa_exception_fp_ieee_underflow 0
		.amdhsa_exception_fp_ieee_inexact 0
		.amdhsa_exception_int_div_zero 0
	.end_amdhsa_kernel
	.section	.text._ZN12_GLOBAL__N_120softmax_warp_forwardIdddLi0ELb0ELb1ELi32EEEvPT0_PKT_iiiPKbib,"axG",@progbits,_ZN12_GLOBAL__N_120softmax_warp_forwardIdddLi0ELb0ELb1ELi32EEEvPT0_PKT_iiiPKbib,comdat
.Lfunc_end673:
	.size	_ZN12_GLOBAL__N_120softmax_warp_forwardIdddLi0ELb0ELb1ELi32EEEvPT0_PKT_iiiPKbib, .Lfunc_end673-_ZN12_GLOBAL__N_120softmax_warp_forwardIdddLi0ELb0ELb1ELi32EEEvPT0_PKT_iiiPKbib
                                        ; -- End function
	.set _ZN12_GLOBAL__N_120softmax_warp_forwardIdddLi0ELb0ELb1ELi32EEEvPT0_PKT_iiiPKbib.num_vgpr, 21
	.set _ZN12_GLOBAL__N_120softmax_warp_forwardIdddLi0ELb0ELb1ELi32EEEvPT0_PKT_iiiPKbib.num_agpr, 0
	.set _ZN12_GLOBAL__N_120softmax_warp_forwardIdddLi0ELb0ELb1ELi32EEEvPT0_PKT_iiiPKbib.numbered_sgpr, 16
	.set _ZN12_GLOBAL__N_120softmax_warp_forwardIdddLi0ELb0ELb1ELi32EEEvPT0_PKT_iiiPKbib.num_named_barrier, 0
	.set _ZN12_GLOBAL__N_120softmax_warp_forwardIdddLi0ELb0ELb1ELi32EEEvPT0_PKT_iiiPKbib.private_seg_size, 0
	.set _ZN12_GLOBAL__N_120softmax_warp_forwardIdddLi0ELb0ELb1ELi32EEEvPT0_PKT_iiiPKbib.uses_vcc, 1
	.set _ZN12_GLOBAL__N_120softmax_warp_forwardIdddLi0ELb0ELb1ELi32EEEvPT0_PKT_iiiPKbib.uses_flat_scratch, 0
	.set _ZN12_GLOBAL__N_120softmax_warp_forwardIdddLi0ELb0ELb1ELi32EEEvPT0_PKT_iiiPKbib.has_dyn_sized_stack, 0
	.set _ZN12_GLOBAL__N_120softmax_warp_forwardIdddLi0ELb0ELb1ELi32EEEvPT0_PKT_iiiPKbib.has_recursion, 0
	.set _ZN12_GLOBAL__N_120softmax_warp_forwardIdddLi0ELb0ELb1ELi32EEEvPT0_PKT_iiiPKbib.has_indirect_call, 0
	.section	.AMDGPU.csdata,"",@progbits
; Kernel info:
; codeLenInByte = 2120
; TotalNumSgprs: 18
; NumVgprs: 21
; ScratchSize: 0
; MemoryBound: 1
; FloatMode: 240
; IeeeMode: 1
; LDSByteSize: 0 bytes/workgroup (compile time only)
; SGPRBlocks: 0
; VGPRBlocks: 2
; NumSGPRsForWavesPerEU: 18
; NumVGPRsForWavesPerEU: 21
; Occupancy: 16
; WaveLimiterHint : 0
; COMPUTE_PGM_RSRC2:SCRATCH_EN: 0
; COMPUTE_PGM_RSRC2:USER_SGPR: 6
; COMPUTE_PGM_RSRC2:TRAP_HANDLER: 0
; COMPUTE_PGM_RSRC2:TGID_X_EN: 1
; COMPUTE_PGM_RSRC2:TGID_Y_EN: 0
; COMPUTE_PGM_RSRC2:TGID_Z_EN: 0
; COMPUTE_PGM_RSRC2:TIDIG_COMP_CNT: 1
	.section	.text._ZN12_GLOBAL__N_120softmax_warp_forwardIdddLi1ELb0ELb1ELi64EEEvPT0_PKT_iiiPKbib,"axG",@progbits,_ZN12_GLOBAL__N_120softmax_warp_forwardIdddLi1ELb0ELb1ELi64EEEvPT0_PKT_iiiPKbib,comdat
	.globl	_ZN12_GLOBAL__N_120softmax_warp_forwardIdddLi1ELb0ELb1ELi64EEEvPT0_PKT_iiiPKbib ; -- Begin function _ZN12_GLOBAL__N_120softmax_warp_forwardIdddLi1ELb0ELb1ELi64EEEvPT0_PKT_iiiPKbib
	.p2align	8
	.type	_ZN12_GLOBAL__N_120softmax_warp_forwardIdddLi1ELb0ELb1ELi64EEEvPT0_PKT_iiiPKbib,@function
_ZN12_GLOBAL__N_120softmax_warp_forwardIdddLi1ELb0ELb1ELi64EEEvPT0_PKT_iiiPKbib: ; @_ZN12_GLOBAL__N_120softmax_warp_forwardIdddLi1ELb0ELb1ELi64EEEvPT0_PKT_iiiPKbib
; %bb.0:
	s_clause 0x2
	s_load_dwordx2 s[0:1], s[4:5], 0x28
	s_load_dword s2, s[4:5], 0x3c
	s_load_dwordx4 s[8:11], s[4:5], 0x10
	s_waitcnt lgkmcnt(0)
	s_bitcmp1_b32 s1, 0
	s_cselect_b32 s3, -1, 0
	s_lshr_b32 s2, s2, 16
	s_and_b32 s2, s2, 0xffff
	s_bitcmp0_b32 s1, 0
	s_mul_i32 s6, s6, s2
	v_add_lshl_u32 v5, s6, v1, 1
	v_mul_lo_u32 v6, v5, s9
	v_add_nc_u32_e32 v3, v6, v0
	v_ashrrev_i32_e32 v4, 31, v3
	v_mov_b32_e32 v1, v3
	v_mov_b32_e32 v2, v4
	s_cbranch_scc1 .LBB674_2
; %bb.1:
	s_abs_i32 s1, s0
	v_sub_nc_u32_e32 v7, 0, v6
	v_cvt_f32_u32_e32 v1, s1
	s_sub_i32 s2, 0, s1
	v_max_i32_e32 v7, v6, v7
	v_rcp_iflag_f32_e32 v1, v1
	v_xor_b32_e32 v6, s0, v6
	v_ashrrev_i32_e32 v6, 31, v6
	v_mul_f32_e32 v1, 0x4f7ffffe, v1
	v_cvt_u32_f32_e32 v1, v1
	v_mul_lo_u32 v2, s2, v1
	v_mul_hi_u32 v2, v1, v2
	v_add_nc_u32_e32 v1, v1, v2
	v_mul_hi_u32 v1, v7, v1
	v_mul_lo_u32 v2, v1, s1
	v_sub_nc_u32_e32 v2, v7, v2
	v_add_nc_u32_e32 v7, 1, v1
	v_subrev_nc_u32_e32 v8, s1, v2
	v_cmp_le_u32_e32 vcc_lo, s1, v2
	v_cndmask_b32_e32 v1, v1, v7, vcc_lo
	v_cndmask_b32_e32 v2, v2, v8, vcc_lo
	v_add_nc_u32_e32 v7, 1, v1
	v_cmp_le_u32_e32 vcc_lo, s1, v2
	v_cndmask_b32_e32 v1, v1, v7, vcc_lo
	v_xor_b32_e32 v1, v1, v6
	v_sub_nc_u32_e32 v1, v1, v6
	v_mad_u64_u32 v[1:2], null, v1, s9, v[0:1]
	v_ashrrev_i32_e32 v2, 31, v1
.LBB674_2:
	s_load_dwordx4 s[12:15], s[4:5], 0x0
	v_lshlrev_b64 v[12:13], 3, v[3:4]
	v_sub_nc_u32_e32 v23, s8, v5
	v_cmp_gt_i32_e64 s0, s10, v0
	v_mov_b32_e32 v6, 0
	v_mov_b32_e32 v4, 0
	;; [unrolled: 1-line block ×3, first 2 shown]
	v_cmp_lt_i32_e32 vcc_lo, 0, v23
	v_mov_b32_e32 v5, 0xfff00000
	s_and_b32 s6, s0, vcc_lo
	s_waitcnt lgkmcnt(0)
	v_add_co_u32 v8, s1, s14, v12
	v_add_co_ci_u32_e64 v9, null, s15, v13, s1
	s_and_saveexec_b32 s1, s6
	s_cbranch_execz .LBB674_4
; %bb.3:
	global_load_dwordx2 v[4:5], v[8:9], off
.LBB674_4:
	s_or_b32 exec_lo, exec_lo, s1
	v_cmp_lt_i32_e64 s1, 1, v23
	s_and_b32 s2, s0, s1
	s_and_saveexec_b32 s7, s2
	s_cbranch_execz .LBB674_6
; %bb.5:
	s_mov_b32 s11, 0
	s_lshl_b64 s[8:9], s[10:11], 3
	v_add_co_u32 v6, s1, v8, s8
	v_add_co_ci_u32_e64 v7, null, s9, v9, s1
	global_load_dwordx2 v[6:7], v[6:7], off
.LBB674_6:
	s_or_b32 exec_lo, exec_lo, s7
	s_load_dwordx2 s[4:5], s[4:5], 0x20
	v_mov_b32_e32 v19, 0
	v_mov_b32_e32 v20, 0xfff00000
	s_waitcnt lgkmcnt(0)
	v_add_co_u32 v14, s1, s4, v1
	v_add_co_ci_u32_e64 v15, null, s5, v2, s1
	s_and_saveexec_b32 s4, s6
	s_cbranch_execz .LBB674_8
; %bb.7:
	global_load_ubyte v0, v[14:15], off
	s_waitcnt vmcnt(0)
	v_and_b32_e32 v0, 1, v0
	v_cmp_eq_u32_e64 s1, 1, v0
	v_cndmask_b32_e64 v20, v5, 0xfff00000, s1
	v_cndmask_b32_e64 v19, v4, 0, s1
.LBB674_8:
	s_or_b32 exec_lo, exec_lo, s4
	s_xor_b32 s4, s6, -1
	s_mov_b32 s6, 0
	s_and_saveexec_b32 s5, s2
	s_cbranch_execz .LBB674_12
; %bb.9:
	s_and_b32 s1, s3, exec_lo
	s_cselect_b32 s1, 0, s10
	s_cselect_b32 s6, 0, 0
	v_add_co_u32 v0, s1, v14, s1
	v_add_co_ci_u32_e64 v1, null, s6, v15, s1
	s_mov_b32 s6, 0
	global_load_ubyte v0, v[0:1], off
	s_waitcnt vmcnt(0)
	v_and_b32_e32 v0, 1, v0
	v_cmp_eq_u32_e64 s1, 1, v0
	s_xor_b32 s7, s1, -1
	s_and_saveexec_b32 s1, s7
; %bb.10:
	s_mov_b32 s6, exec_lo
; %bb.11:
	s_or_b32 exec_lo, exec_lo, s1
	s_and_b32 s6, s6, exec_lo
.LBB674_12:
	s_or_b32 exec_lo, exec_lo, s5
	v_mbcnt_lo_u32_b32 v0, -1, 0
	s_waitcnt vmcnt(0)
	v_cndmask_b32_e64 v16, 0, v6, s6
	v_cndmask_b32_e64 v17, 0xfff00000, v7, s6
                                        ; implicit-def: $vgpr8_vgpr9_vgpr10_vgpr11
	v_and_b32_e32 v1, 30, v0
	v_xor_b32_e32 v2, 1, v0
	v_add_nc_u32_e32 v1, 2, v1
	v_cmp_lt_i32_e64 s1, v2, v1
	v_cndmask_b32_e64 v0, v0, v2, s1
	v_lshlrev_b32_e32 v24, 2, v0
	ds_bpermute_b32 v21, v24, v19
	ds_bpermute_b32 v26, v24, v20
	;; [unrolled: 1-line block ×4, first 2 shown]
	s_and_saveexec_b32 s1, s4
	s_xor_b32 s1, exec_lo, s1
; %bb.13:
	s_mov_b32 s4, 0
                                        ; implicit-def: $vgpr26
                                        ; implicit-def: $vgpr21
                                        ; implicit-def: $vgpr19_vgpr20
	v_mov_b32_e32 v4, s4
	v_mov_b32_e32 v5, s4
	;; [unrolled: 1-line block ×6, first 2 shown]
                                        ; implicit-def: $vgpr4_vgpr5_vgpr6_vgpr7
; %bb.14:
	s_or_saveexec_b32 s4, s1
	v_mov_b32_e32 v0, 0
	s_xor_b32 s5, s2, -1
	s_mov_b32 s2, 0
	v_mov_b32_e32 v1, v0
	v_mov_b32_e32 v2, v0
	;; [unrolled: 1-line block ×3, first 2 shown]
	s_xor_b32 exec_lo, exec_lo, s4
	s_cbranch_execz .LBB674_20
; %bb.15:
	global_load_ubyte v0, v[14:15], off
	v_mov_b32_e32 v11, v7
	v_mov_b32_e32 v9, v5
	;; [unrolled: 1-line block ×6, first 2 shown]
	s_waitcnt vmcnt(0)
	v_and_b32_e32 v0, 1, v0
	v_cmp_eq_u32_e64 s1, 1, v0
                                        ; implicit-def: $vgpr0_vgpr1_vgpr2_vgpr3
	s_xor_b32 s1, s1, -1
	s_and_saveexec_b32 s2, s1
	s_xor_b32 s6, exec_lo, s2
	s_cbranch_execz .LBB674_17
; %bb.16:
	s_waitcnt lgkmcnt(2)
	v_mov_b32_e32 v22, v26
	s_mov_b32 s8, 0x652b82fe
	s_mov_b32 s9, 0x3ff71547
	;; [unrolled: 1-line block ×4, first 2 shown]
	v_cmp_lt_f64_e64 s1, v[19:20], v[21:22]
	v_cndmask_b32_e64 v1, v20, v26, s1
	v_cndmask_b32_e64 v0, v19, v21, s1
	v_add_f64 v[0:1], v[4:5], -v[0:1]
	v_mul_f64 v[2:3], v[0:1], s[8:9]
	s_mov_b32 s8, 0xfefa39ef
	s_mov_b32 s9, 0xbfe62e42
	v_cmp_nlt_f64_e64 s1, 0x40900000, v[0:1]
	v_cmp_ngt_f64_e64 s2, 0xc090cc00, v[0:1]
	v_rndne_f64_e32 v[2:3], v[2:3]
	v_fma_f64 v[4:5], v[2:3], s[8:9], v[0:1]
	s_mov_b32 s8, 0x3b39803f
	s_mov_b32 s9, 0xbc7abc9e
	v_cvt_i32_f64_e32 v10, v[2:3]
	v_fma_f64 v[4:5], v[2:3], s[8:9], v[4:5]
	s_mov_b32 s8, 0xfca7ab0c
	s_mov_b32 s9, 0x3e928af3
	v_fma_f64 v[8:9], v[4:5], s[14:15], s[8:9]
	s_mov_b32 s8, 0x623fde64
	s_mov_b32 s9, 0x3ec71dee
	;; [unrolled: 3-line block ×9, first 2 shown]
	v_fma_f64 v[8:9], v[4:5], v[8:9], s[8:9]
	v_fma_f64 v[8:9], v[4:5], v[8:9], 1.0
	v_fma_f64 v[2:3], v[4:5], v[8:9], 1.0
	v_ldexp_f64 v[2:3], v[2:3], v10
	v_cndmask_b32_e64 v3, 0x7ff00000, v3, s1
	s_and_b32 s1, s2, s1
	v_cndmask_b32_e64 v4, 0, v2, s1
	v_mov_b32_e32 v2, 0
	v_cndmask_b32_e64 v5, 0, v3, s2
	v_mov_b32_e32 v11, v7
	v_mov_b32_e32 v10, v6
	;; [unrolled: 1-line block ×4, first 2 shown]
	v_add_f64 v[0:1], v[4:5], 0
	v_mov_b32_e32 v9, v5
.LBB674_17:
	s_andn2_saveexec_b32 s1, s6
; %bb.18:
	v_mov_b32_e32 v0, 0
	v_mov_b32_e32 v1, v0
	;; [unrolled: 1-line block ×4, first 2 shown]
; %bb.19:
	s_or_b32 exec_lo, exec_lo, s1
.LBB674_20:
	s_or_b32 exec_lo, exec_lo, s4
                                        ; implicit-def: $vgpr4_vgpr5_vgpr6_vgpr7
	s_and_saveexec_b32 s1, s5
	s_xor_b32 s1, exec_lo, s1
	s_cbranch_execz .LBB674_22
; %bb.21:
	s_mov_b32 s2, 0
                                        ; implicit-def: $vgpr14
                                        ; implicit-def: $vgpr16
                                        ; implicit-def: $vgpr25
                                        ; implicit-def: $vgpr18
	v_mov_b32_e32 v10, s2
	v_mov_b32_e32 v11, s2
	;; [unrolled: 1-line block ×6, first 2 shown]
                                        ; implicit-def: $vgpr8_vgpr9_vgpr10_vgpr11
	s_andn2_saveexec_b32 s4, s1
	s_cbranch_execz .LBB674_26
	s_branch .LBB674_23
.LBB674_22:
	s_andn2_saveexec_b32 s4, s1
	s_cbranch_execz .LBB674_26
.LBB674_23:
	s_and_b32 s1, s3, exec_lo
	s_cselect_b32 s1, 0, s10
	s_cselect_b32 s2, 0, 0
	v_add_co_u32 v4, s1, v14, s1
	v_add_co_ci_u32_e64 v5, null, s2, v15, s1
	s_mov_b32 s2, 0
	global_load_ubyte v4, v[4:5], off
	s_waitcnt vmcnt(0)
	v_and_b32_e32 v4, 1, v4
	v_cmp_eq_u32_e64 s1, 1, v4
	v_mov_b32_e32 v4, v8
	v_mov_b32_e32 v6, v10
	;; [unrolled: 1-line block ×6, first 2 shown]
	s_xor_b32 s1, s1, -1
	s_and_saveexec_b32 s2, s1
	s_xor_b32 s3, exec_lo, s2
	s_cbranch_execz .LBB674_25
; %bb.24:
	s_waitcnt lgkmcnt(0)
	v_mov_b32_e32 v19, v25
	s_mov_b32 s6, 0x652b82fe
	s_mov_b32 s7, 0x3ff71547
	;; [unrolled: 1-line block ×4, first 2 shown]
	v_cmp_lt_f64_e64 s1, v[16:17], v[18:19]
	v_cndmask_b32_e64 v5, v17, v25, s1
	v_cndmask_b32_e64 v4, v16, v18, s1
	v_add_f64 v[4:5], v[10:11], -v[4:5]
	v_mul_f64 v[6:7], v[4:5], s[6:7]
	s_mov_b32 s6, 0xfefa39ef
	s_mov_b32 s7, 0xbfe62e42
	v_cmp_nlt_f64_e64 s1, 0x40900000, v[4:5]
	v_cmp_ngt_f64_e64 s2, 0xc090cc00, v[4:5]
	v_rndne_f64_e32 v[6:7], v[6:7]
	v_fma_f64 v[10:11], v[6:7], s[6:7], v[4:5]
	s_mov_b32 s6, 0x3b39803f
	s_mov_b32 s7, 0xbc7abc9e
	v_cvt_i32_f64_e32 v16, v[6:7]
	v_fma_f64 v[10:11], v[6:7], s[6:7], v[10:11]
	s_mov_b32 s6, 0xfca7ab0c
	s_mov_b32 s7, 0x3e928af3
	v_fma_f64 v[14:15], v[10:11], s[8:9], s[6:7]
	s_mov_b32 s6, 0x623fde64
	s_mov_b32 s7, 0x3ec71dee
	;; [unrolled: 3-line block ×9, first 2 shown]
	v_fma_f64 v[14:15], v[10:11], v[14:15], s[6:7]
	v_fma_f64 v[14:15], v[10:11], v[14:15], 1.0
	v_fma_f64 v[6:7], v[10:11], v[14:15], 1.0
	v_ldexp_f64 v[6:7], v[6:7], v16
	v_cndmask_b32_e64 v7, 0x7ff00000, v7, s1
	s_and_b32 s1, s2, s1
	v_cndmask_b32_e64 v10, 0, v6, s1
	v_cndmask_b32_e64 v11, 0, v7, s2
	v_mov_b32_e32 v4, v8
	v_mov_b32_e32 v5, v9
	v_mov_b32_e32 v6, v10
	v_add_f64 v[2:3], v[2:3], v[10:11]
	v_mov_b32_e32 v7, v11
.LBB674_25:
	s_andn2_saveexec_b32 s1, s3
	s_or_b32 exec_lo, exec_lo, s1
.LBB674_26:
	s_or_b32 exec_lo, exec_lo, s4
	ds_bpermute_b32 v14, v24, v0
	ds_bpermute_b32 v15, v24, v1
	;; [unrolled: 1-line block ×4, first 2 shown]
	s_and_saveexec_b32 s1, vcc_lo
	s_cbranch_execz .LBB674_35
; %bb.27:
	v_add_co_u32 v8, vcc_lo, s12, v12
	v_add_co_ci_u32_e64 v9, null, s13, v13, vcc_lo
	s_and_saveexec_b32 s1, s0
	s_cbranch_execz .LBB674_31
; %bb.28:
	s_waitcnt lgkmcnt(2)
	v_add_f64 v[0:1], v[0:1], v[14:15]
	v_mov_b32_e32 v12, 0
	v_mov_b32_e32 v13, 0x7ff80000
	s_mov_b32 s2, exec_lo
	v_cmpx_neq_f64_e32 0, v[0:1]
	s_cbranch_execz .LBB674_30
; %bb.29:
	v_div_scale_f64 v[12:13], null, v[0:1], v[0:1], v[4:5]
	v_rcp_f64_e32 v[14:15], v[12:13]
	v_fma_f64 v[16:17], -v[12:13], v[14:15], 1.0
	v_fma_f64 v[14:15], v[14:15], v[16:17], v[14:15]
	v_fma_f64 v[16:17], -v[12:13], v[14:15], 1.0
	v_fma_f64 v[14:15], v[14:15], v[16:17], v[14:15]
	v_div_scale_f64 v[16:17], vcc_lo, v[4:5], v[0:1], v[4:5]
	v_mul_f64 v[18:19], v[16:17], v[14:15]
	v_fma_f64 v[12:13], -v[12:13], v[18:19], v[16:17]
	v_div_fmas_f64 v[12:13], v[12:13], v[14:15], v[18:19]
	v_div_fixup_f64 v[12:13], v[12:13], v[0:1], v[4:5]
.LBB674_30:
	s_or_b32 exec_lo, exec_lo, s2
	global_store_dwordx2 v[8:9], v[12:13], off
.LBB674_31:
	s_or_b32 exec_lo, exec_lo, s1
	v_cmp_ne_u32_e32 vcc_lo, 1, v23
	s_and_b32 s0, vcc_lo, s0
	s_and_b32 exec_lo, exec_lo, s0
	s_cbranch_execz .LBB674_35
; %bb.32:
	s_waitcnt lgkmcnt(0)
	v_add_f64 v[0:1], v[2:3], v[10:11]
	v_mov_b32_e32 v2, 0
	v_mov_b32_e32 v3, 0x7ff80000
	s_mov_b32 s0, exec_lo
	v_cmpx_neq_f64_e32 0, v[0:1]
	s_cbranch_execz .LBB674_34
; %bb.33:
	v_div_scale_f64 v[2:3], null, v[0:1], v[0:1], v[6:7]
	v_rcp_f64_e32 v[4:5], v[2:3]
	v_fma_f64 v[10:11], -v[2:3], v[4:5], 1.0
	v_fma_f64 v[4:5], v[4:5], v[10:11], v[4:5]
	v_fma_f64 v[10:11], -v[2:3], v[4:5], 1.0
	v_fma_f64 v[4:5], v[4:5], v[10:11], v[4:5]
	v_div_scale_f64 v[10:11], vcc_lo, v[6:7], v[0:1], v[6:7]
	v_mul_f64 v[12:13], v[10:11], v[4:5]
	v_fma_f64 v[2:3], -v[2:3], v[12:13], v[10:11]
	v_div_fmas_f64 v[2:3], v[2:3], v[4:5], v[12:13]
	v_div_fixup_f64 v[2:3], v[2:3], v[0:1], v[6:7]
.LBB674_34:
	s_or_b32 exec_lo, exec_lo, s0
	s_mov_b32 s11, 0
	s_lshl_b64 s[0:1], s[10:11], 3
	v_add_co_u32 v0, vcc_lo, v8, s0
	v_add_co_ci_u32_e64 v1, null, s1, v9, vcc_lo
	global_store_dwordx2 v[0:1], v[2:3], off
.LBB674_35:
	s_endpgm
	.section	.rodata,"a",@progbits
	.p2align	6, 0x0
	.amdhsa_kernel _ZN12_GLOBAL__N_120softmax_warp_forwardIdddLi1ELb0ELb1ELi64EEEvPT0_PKT_iiiPKbib
		.amdhsa_group_segment_fixed_size 0
		.amdhsa_private_segment_fixed_size 0
		.amdhsa_kernarg_size 304
		.amdhsa_user_sgpr_count 6
		.amdhsa_user_sgpr_private_segment_buffer 1
		.amdhsa_user_sgpr_dispatch_ptr 0
		.amdhsa_user_sgpr_queue_ptr 0
		.amdhsa_user_sgpr_kernarg_segment_ptr 1
		.amdhsa_user_sgpr_dispatch_id 0
		.amdhsa_user_sgpr_flat_scratch_init 0
		.amdhsa_user_sgpr_private_segment_size 0
		.amdhsa_wavefront_size32 1
		.amdhsa_uses_dynamic_stack 0
		.amdhsa_system_sgpr_private_segment_wavefront_offset 0
		.amdhsa_system_sgpr_workgroup_id_x 1
		.amdhsa_system_sgpr_workgroup_id_y 0
		.amdhsa_system_sgpr_workgroup_id_z 0
		.amdhsa_system_sgpr_workgroup_info 0
		.amdhsa_system_vgpr_workitem_id 1
		.amdhsa_next_free_vgpr 27
		.amdhsa_next_free_sgpr 16
		.amdhsa_reserve_vcc 1
		.amdhsa_reserve_flat_scratch 0
		.amdhsa_float_round_mode_32 0
		.amdhsa_float_round_mode_16_64 0
		.amdhsa_float_denorm_mode_32 3
		.amdhsa_float_denorm_mode_16_64 3
		.amdhsa_dx10_clamp 1
		.amdhsa_ieee_mode 1
		.amdhsa_fp16_overflow 0
		.amdhsa_workgroup_processor_mode 1
		.amdhsa_memory_ordered 1
		.amdhsa_forward_progress 1
		.amdhsa_shared_vgpr_count 0
		.amdhsa_exception_fp_ieee_invalid_op 0
		.amdhsa_exception_fp_denorm_src 0
		.amdhsa_exception_fp_ieee_div_zero 0
		.amdhsa_exception_fp_ieee_overflow 0
		.amdhsa_exception_fp_ieee_underflow 0
		.amdhsa_exception_fp_ieee_inexact 0
		.amdhsa_exception_int_div_zero 0
	.end_amdhsa_kernel
	.section	.text._ZN12_GLOBAL__N_120softmax_warp_forwardIdddLi1ELb0ELb1ELi64EEEvPT0_PKT_iiiPKbib,"axG",@progbits,_ZN12_GLOBAL__N_120softmax_warp_forwardIdddLi1ELb0ELb1ELi64EEEvPT0_PKT_iiiPKbib,comdat
.Lfunc_end674:
	.size	_ZN12_GLOBAL__N_120softmax_warp_forwardIdddLi1ELb0ELb1ELi64EEEvPT0_PKT_iiiPKbib, .Lfunc_end674-_ZN12_GLOBAL__N_120softmax_warp_forwardIdddLi1ELb0ELb1ELi64EEEvPT0_PKT_iiiPKbib
                                        ; -- End function
	.set _ZN12_GLOBAL__N_120softmax_warp_forwardIdddLi1ELb0ELb1ELi64EEEvPT0_PKT_iiiPKbib.num_vgpr, 27
	.set _ZN12_GLOBAL__N_120softmax_warp_forwardIdddLi1ELb0ELb1ELi64EEEvPT0_PKT_iiiPKbib.num_agpr, 0
	.set _ZN12_GLOBAL__N_120softmax_warp_forwardIdddLi1ELb0ELb1ELi64EEEvPT0_PKT_iiiPKbib.numbered_sgpr, 16
	.set _ZN12_GLOBAL__N_120softmax_warp_forwardIdddLi1ELb0ELb1ELi64EEEvPT0_PKT_iiiPKbib.num_named_barrier, 0
	.set _ZN12_GLOBAL__N_120softmax_warp_forwardIdddLi1ELb0ELb1ELi64EEEvPT0_PKT_iiiPKbib.private_seg_size, 0
	.set _ZN12_GLOBAL__N_120softmax_warp_forwardIdddLi1ELb0ELb1ELi64EEEvPT0_PKT_iiiPKbib.uses_vcc, 1
	.set _ZN12_GLOBAL__N_120softmax_warp_forwardIdddLi1ELb0ELb1ELi64EEEvPT0_PKT_iiiPKbib.uses_flat_scratch, 0
	.set _ZN12_GLOBAL__N_120softmax_warp_forwardIdddLi1ELb0ELb1ELi64EEEvPT0_PKT_iiiPKbib.has_dyn_sized_stack, 0
	.set _ZN12_GLOBAL__N_120softmax_warp_forwardIdddLi1ELb0ELb1ELi64EEEvPT0_PKT_iiiPKbib.has_recursion, 0
	.set _ZN12_GLOBAL__N_120softmax_warp_forwardIdddLi1ELb0ELb1ELi64EEEvPT0_PKT_iiiPKbib.has_indirect_call, 0
	.section	.AMDGPU.csdata,"",@progbits
; Kernel info:
; codeLenInByte = 2296
; TotalNumSgprs: 18
; NumVgprs: 27
; ScratchSize: 0
; MemoryBound: 1
; FloatMode: 240
; IeeeMode: 1
; LDSByteSize: 0 bytes/workgroup (compile time only)
; SGPRBlocks: 0
; VGPRBlocks: 3
; NumSGPRsForWavesPerEU: 18
; NumVGPRsForWavesPerEU: 27
; Occupancy: 16
; WaveLimiterHint : 0
; COMPUTE_PGM_RSRC2:SCRATCH_EN: 0
; COMPUTE_PGM_RSRC2:USER_SGPR: 6
; COMPUTE_PGM_RSRC2:TRAP_HANDLER: 0
; COMPUTE_PGM_RSRC2:TGID_X_EN: 1
; COMPUTE_PGM_RSRC2:TGID_Y_EN: 0
; COMPUTE_PGM_RSRC2:TGID_Z_EN: 0
; COMPUTE_PGM_RSRC2:TIDIG_COMP_CNT: 1
	.section	.text._ZN12_GLOBAL__N_120softmax_warp_forwardIdddLi1ELb0ELb1ELi32EEEvPT0_PKT_iiiPKbib,"axG",@progbits,_ZN12_GLOBAL__N_120softmax_warp_forwardIdddLi1ELb0ELb1ELi32EEEvPT0_PKT_iiiPKbib,comdat
	.globl	_ZN12_GLOBAL__N_120softmax_warp_forwardIdddLi1ELb0ELb1ELi32EEEvPT0_PKT_iiiPKbib ; -- Begin function _ZN12_GLOBAL__N_120softmax_warp_forwardIdddLi1ELb0ELb1ELi32EEEvPT0_PKT_iiiPKbib
	.p2align	8
	.type	_ZN12_GLOBAL__N_120softmax_warp_forwardIdddLi1ELb0ELb1ELi32EEEvPT0_PKT_iiiPKbib,@function
_ZN12_GLOBAL__N_120softmax_warp_forwardIdddLi1ELb0ELb1ELi32EEEvPT0_PKT_iiiPKbib: ; @_ZN12_GLOBAL__N_120softmax_warp_forwardIdddLi1ELb0ELb1ELi32EEEvPT0_PKT_iiiPKbib
; %bb.0:
	s_clause 0x2
	s_load_dwordx2 s[0:1], s[4:5], 0x28
	s_load_dword s2, s[4:5], 0x3c
	s_load_dwordx4 s[8:11], s[4:5], 0x10
	s_waitcnt lgkmcnt(0)
	s_bitcmp1_b32 s1, 0
	s_cselect_b32 s3, -1, 0
	s_lshr_b32 s2, s2, 16
	s_and_b32 s2, s2, 0xffff
	s_bitcmp0_b32 s1, 0
	s_mul_i32 s6, s6, s2
	v_add_lshl_u32 v5, s6, v1, 1
	v_mul_lo_u32 v6, v5, s9
	v_add_nc_u32_e32 v3, v6, v0
	v_ashrrev_i32_e32 v4, 31, v3
	v_mov_b32_e32 v1, v3
	v_mov_b32_e32 v2, v4
	s_cbranch_scc1 .LBB675_2
; %bb.1:
	s_abs_i32 s1, s0
	v_sub_nc_u32_e32 v7, 0, v6
	v_cvt_f32_u32_e32 v1, s1
	s_sub_i32 s2, 0, s1
	v_max_i32_e32 v7, v6, v7
	v_rcp_iflag_f32_e32 v1, v1
	v_xor_b32_e32 v6, s0, v6
	v_ashrrev_i32_e32 v6, 31, v6
	v_mul_f32_e32 v1, 0x4f7ffffe, v1
	v_cvt_u32_f32_e32 v1, v1
	v_mul_lo_u32 v2, s2, v1
	v_mul_hi_u32 v2, v1, v2
	v_add_nc_u32_e32 v1, v1, v2
	v_mul_hi_u32 v1, v7, v1
	v_mul_lo_u32 v2, v1, s1
	v_sub_nc_u32_e32 v2, v7, v2
	v_add_nc_u32_e32 v7, 1, v1
	v_subrev_nc_u32_e32 v8, s1, v2
	v_cmp_le_u32_e32 vcc_lo, s1, v2
	v_cndmask_b32_e32 v1, v1, v7, vcc_lo
	v_cndmask_b32_e32 v2, v2, v8, vcc_lo
	v_add_nc_u32_e32 v7, 1, v1
	v_cmp_le_u32_e32 vcc_lo, s1, v2
	v_cndmask_b32_e32 v1, v1, v7, vcc_lo
	v_xor_b32_e32 v1, v1, v6
	v_sub_nc_u32_e32 v1, v1, v6
	v_mad_u64_u32 v[1:2], null, v1, s9, v[0:1]
	v_ashrrev_i32_e32 v2, 31, v1
.LBB675_2:
	s_load_dwordx4 s[12:15], s[4:5], 0x0
	v_lshlrev_b64 v[12:13], 3, v[3:4]
	v_sub_nc_u32_e32 v23, s8, v5
	v_cmp_gt_i32_e64 s0, s10, v0
	v_mov_b32_e32 v6, 0
	v_mov_b32_e32 v4, 0
	;; [unrolled: 1-line block ×3, first 2 shown]
	v_cmp_lt_i32_e32 vcc_lo, 0, v23
	v_mov_b32_e32 v5, 0xfff00000
	s_and_b32 s6, s0, vcc_lo
	s_waitcnt lgkmcnt(0)
	v_add_co_u32 v8, s1, s14, v12
	v_add_co_ci_u32_e64 v9, null, s15, v13, s1
	s_and_saveexec_b32 s1, s6
	s_cbranch_execz .LBB675_4
; %bb.3:
	global_load_dwordx2 v[4:5], v[8:9], off
.LBB675_4:
	s_or_b32 exec_lo, exec_lo, s1
	v_cmp_lt_i32_e64 s1, 1, v23
	s_and_b32 s2, s0, s1
	s_and_saveexec_b32 s7, s2
	s_cbranch_execz .LBB675_6
; %bb.5:
	s_mov_b32 s11, 0
	s_lshl_b64 s[8:9], s[10:11], 3
	v_add_co_u32 v6, s1, v8, s8
	v_add_co_ci_u32_e64 v7, null, s9, v9, s1
	global_load_dwordx2 v[6:7], v[6:7], off
.LBB675_6:
	s_or_b32 exec_lo, exec_lo, s7
	s_load_dwordx2 s[4:5], s[4:5], 0x20
	v_mov_b32_e32 v19, 0
	v_mov_b32_e32 v20, 0xfff00000
	s_waitcnt lgkmcnt(0)
	v_add_co_u32 v14, s1, s4, v1
	v_add_co_ci_u32_e64 v15, null, s5, v2, s1
	s_and_saveexec_b32 s4, s6
	s_cbranch_execz .LBB675_8
; %bb.7:
	global_load_ubyte v0, v[14:15], off
	s_waitcnt vmcnt(0)
	v_and_b32_e32 v0, 1, v0
	v_cmp_eq_u32_e64 s1, 1, v0
	v_cndmask_b32_e64 v20, v5, 0xfff00000, s1
	v_cndmask_b32_e64 v19, v4, 0, s1
.LBB675_8:
	s_or_b32 exec_lo, exec_lo, s4
	s_xor_b32 s4, s6, -1
	s_mov_b32 s6, 0
	s_and_saveexec_b32 s5, s2
	s_cbranch_execz .LBB675_12
; %bb.9:
	s_and_b32 s1, s3, exec_lo
	s_cselect_b32 s1, 0, s10
	s_cselect_b32 s6, 0, 0
	v_add_co_u32 v0, s1, v14, s1
	v_add_co_ci_u32_e64 v1, null, s6, v15, s1
	s_mov_b32 s6, 0
	global_load_ubyte v0, v[0:1], off
	s_waitcnt vmcnt(0)
	v_and_b32_e32 v0, 1, v0
	v_cmp_eq_u32_e64 s1, 1, v0
	s_xor_b32 s7, s1, -1
	s_and_saveexec_b32 s1, s7
; %bb.10:
	s_mov_b32 s6, exec_lo
; %bb.11:
	s_or_b32 exec_lo, exec_lo, s1
	s_and_b32 s6, s6, exec_lo
.LBB675_12:
	s_or_b32 exec_lo, exec_lo, s5
	v_mbcnt_lo_u32_b32 v0, -1, 0
	s_waitcnt vmcnt(0)
	v_cndmask_b32_e64 v16, 0, v6, s6
	v_cndmask_b32_e64 v17, 0xfff00000, v7, s6
                                        ; implicit-def: $vgpr8_vgpr9_vgpr10_vgpr11
	v_and_b32_e32 v1, 30, v0
	v_xor_b32_e32 v2, 1, v0
	v_add_nc_u32_e32 v1, 2, v1
	v_cmp_lt_i32_e64 s1, v2, v1
	v_cndmask_b32_e64 v0, v0, v2, s1
	v_lshlrev_b32_e32 v24, 2, v0
	ds_bpermute_b32 v21, v24, v19
	ds_bpermute_b32 v26, v24, v20
	;; [unrolled: 1-line block ×4, first 2 shown]
	s_and_saveexec_b32 s1, s4
	s_xor_b32 s1, exec_lo, s1
; %bb.13:
	s_mov_b32 s4, 0
                                        ; implicit-def: $vgpr26
                                        ; implicit-def: $vgpr21
                                        ; implicit-def: $vgpr19_vgpr20
	v_mov_b32_e32 v4, s4
	v_mov_b32_e32 v5, s4
	;; [unrolled: 1-line block ×6, first 2 shown]
                                        ; implicit-def: $vgpr4_vgpr5_vgpr6_vgpr7
; %bb.14:
	s_or_saveexec_b32 s4, s1
	v_mov_b32_e32 v0, 0
	s_xor_b32 s5, s2, -1
	s_mov_b32 s2, 0
	v_mov_b32_e32 v1, v0
	v_mov_b32_e32 v2, v0
	;; [unrolled: 1-line block ×3, first 2 shown]
	s_xor_b32 exec_lo, exec_lo, s4
	s_cbranch_execz .LBB675_20
; %bb.15:
	global_load_ubyte v0, v[14:15], off
	v_mov_b32_e32 v11, v7
	v_mov_b32_e32 v9, v5
	;; [unrolled: 1-line block ×6, first 2 shown]
	s_waitcnt vmcnt(0)
	v_and_b32_e32 v0, 1, v0
	v_cmp_eq_u32_e64 s1, 1, v0
                                        ; implicit-def: $vgpr0_vgpr1_vgpr2_vgpr3
	s_xor_b32 s1, s1, -1
	s_and_saveexec_b32 s2, s1
	s_xor_b32 s6, exec_lo, s2
	s_cbranch_execz .LBB675_17
; %bb.16:
	s_waitcnt lgkmcnt(2)
	v_mov_b32_e32 v22, v26
	s_mov_b32 s8, 0x652b82fe
	s_mov_b32 s9, 0x3ff71547
	;; [unrolled: 1-line block ×4, first 2 shown]
	v_cmp_lt_f64_e64 s1, v[19:20], v[21:22]
	v_cndmask_b32_e64 v1, v20, v26, s1
	v_cndmask_b32_e64 v0, v19, v21, s1
	v_add_f64 v[0:1], v[4:5], -v[0:1]
	v_mul_f64 v[2:3], v[0:1], s[8:9]
	s_mov_b32 s8, 0xfefa39ef
	s_mov_b32 s9, 0xbfe62e42
	v_cmp_nlt_f64_e64 s1, 0x40900000, v[0:1]
	v_cmp_ngt_f64_e64 s2, 0xc090cc00, v[0:1]
	v_rndne_f64_e32 v[2:3], v[2:3]
	v_fma_f64 v[4:5], v[2:3], s[8:9], v[0:1]
	s_mov_b32 s8, 0x3b39803f
	s_mov_b32 s9, 0xbc7abc9e
	v_cvt_i32_f64_e32 v10, v[2:3]
	v_fma_f64 v[4:5], v[2:3], s[8:9], v[4:5]
	s_mov_b32 s8, 0xfca7ab0c
	s_mov_b32 s9, 0x3e928af3
	v_fma_f64 v[8:9], v[4:5], s[14:15], s[8:9]
	s_mov_b32 s8, 0x623fde64
	s_mov_b32 s9, 0x3ec71dee
	;; [unrolled: 3-line block ×9, first 2 shown]
	v_fma_f64 v[8:9], v[4:5], v[8:9], s[8:9]
	v_fma_f64 v[8:9], v[4:5], v[8:9], 1.0
	v_fma_f64 v[2:3], v[4:5], v[8:9], 1.0
	v_ldexp_f64 v[2:3], v[2:3], v10
	v_cndmask_b32_e64 v3, 0x7ff00000, v3, s1
	s_and_b32 s1, s2, s1
	v_cndmask_b32_e64 v4, 0, v2, s1
	v_mov_b32_e32 v2, 0
	v_cndmask_b32_e64 v5, 0, v3, s2
	v_mov_b32_e32 v11, v7
	v_mov_b32_e32 v10, v6
	;; [unrolled: 1-line block ×4, first 2 shown]
	v_add_f64 v[0:1], v[4:5], 0
	v_mov_b32_e32 v9, v5
.LBB675_17:
	s_andn2_saveexec_b32 s1, s6
; %bb.18:
	v_mov_b32_e32 v0, 0
	v_mov_b32_e32 v1, v0
	;; [unrolled: 1-line block ×4, first 2 shown]
; %bb.19:
	s_or_b32 exec_lo, exec_lo, s1
.LBB675_20:
	s_or_b32 exec_lo, exec_lo, s4
                                        ; implicit-def: $vgpr4_vgpr5_vgpr6_vgpr7
	s_and_saveexec_b32 s1, s5
	s_xor_b32 s1, exec_lo, s1
	s_cbranch_execz .LBB675_22
; %bb.21:
	s_mov_b32 s2, 0
                                        ; implicit-def: $vgpr14
                                        ; implicit-def: $vgpr16
                                        ; implicit-def: $vgpr25
                                        ; implicit-def: $vgpr18
	v_mov_b32_e32 v10, s2
	v_mov_b32_e32 v11, s2
	;; [unrolled: 1-line block ×6, first 2 shown]
                                        ; implicit-def: $vgpr8_vgpr9_vgpr10_vgpr11
	s_andn2_saveexec_b32 s4, s1
	s_cbranch_execz .LBB675_26
	s_branch .LBB675_23
.LBB675_22:
	s_andn2_saveexec_b32 s4, s1
	s_cbranch_execz .LBB675_26
.LBB675_23:
	s_and_b32 s1, s3, exec_lo
	s_cselect_b32 s1, 0, s10
	s_cselect_b32 s2, 0, 0
	v_add_co_u32 v4, s1, v14, s1
	v_add_co_ci_u32_e64 v5, null, s2, v15, s1
	s_mov_b32 s2, 0
	global_load_ubyte v4, v[4:5], off
	s_waitcnt vmcnt(0)
	v_and_b32_e32 v4, 1, v4
	v_cmp_eq_u32_e64 s1, 1, v4
	v_mov_b32_e32 v4, v8
	v_mov_b32_e32 v6, v10
	;; [unrolled: 1-line block ×6, first 2 shown]
	s_xor_b32 s1, s1, -1
	s_and_saveexec_b32 s2, s1
	s_xor_b32 s3, exec_lo, s2
	s_cbranch_execz .LBB675_25
; %bb.24:
	s_waitcnt lgkmcnt(0)
	v_mov_b32_e32 v19, v25
	s_mov_b32 s6, 0x652b82fe
	s_mov_b32 s7, 0x3ff71547
	;; [unrolled: 1-line block ×4, first 2 shown]
	v_cmp_lt_f64_e64 s1, v[16:17], v[18:19]
	v_cndmask_b32_e64 v5, v17, v25, s1
	v_cndmask_b32_e64 v4, v16, v18, s1
	v_add_f64 v[4:5], v[10:11], -v[4:5]
	v_mul_f64 v[6:7], v[4:5], s[6:7]
	s_mov_b32 s6, 0xfefa39ef
	s_mov_b32 s7, 0xbfe62e42
	v_cmp_nlt_f64_e64 s1, 0x40900000, v[4:5]
	v_cmp_ngt_f64_e64 s2, 0xc090cc00, v[4:5]
	v_rndne_f64_e32 v[6:7], v[6:7]
	v_fma_f64 v[10:11], v[6:7], s[6:7], v[4:5]
	s_mov_b32 s6, 0x3b39803f
	s_mov_b32 s7, 0xbc7abc9e
	v_cvt_i32_f64_e32 v16, v[6:7]
	v_fma_f64 v[10:11], v[6:7], s[6:7], v[10:11]
	s_mov_b32 s6, 0xfca7ab0c
	s_mov_b32 s7, 0x3e928af3
	v_fma_f64 v[14:15], v[10:11], s[8:9], s[6:7]
	s_mov_b32 s6, 0x623fde64
	s_mov_b32 s7, 0x3ec71dee
	;; [unrolled: 3-line block ×9, first 2 shown]
	v_fma_f64 v[14:15], v[10:11], v[14:15], s[6:7]
	v_fma_f64 v[14:15], v[10:11], v[14:15], 1.0
	v_fma_f64 v[6:7], v[10:11], v[14:15], 1.0
	v_ldexp_f64 v[6:7], v[6:7], v16
	v_cndmask_b32_e64 v7, 0x7ff00000, v7, s1
	s_and_b32 s1, s2, s1
	v_cndmask_b32_e64 v10, 0, v6, s1
	v_cndmask_b32_e64 v11, 0, v7, s2
	v_mov_b32_e32 v4, v8
	v_mov_b32_e32 v5, v9
	;; [unrolled: 1-line block ×3, first 2 shown]
	v_add_f64 v[2:3], v[2:3], v[10:11]
	v_mov_b32_e32 v7, v11
.LBB675_25:
	s_andn2_saveexec_b32 s1, s3
	s_or_b32 exec_lo, exec_lo, s1
.LBB675_26:
	s_or_b32 exec_lo, exec_lo, s4
	ds_bpermute_b32 v14, v24, v0
	ds_bpermute_b32 v15, v24, v1
	;; [unrolled: 1-line block ×4, first 2 shown]
	s_and_saveexec_b32 s1, vcc_lo
	s_cbranch_execz .LBB675_35
; %bb.27:
	v_add_co_u32 v8, vcc_lo, s12, v12
	v_add_co_ci_u32_e64 v9, null, s13, v13, vcc_lo
	s_and_saveexec_b32 s1, s0
	s_cbranch_execz .LBB675_31
; %bb.28:
	s_waitcnt lgkmcnt(2)
	v_add_f64 v[0:1], v[0:1], v[14:15]
	v_mov_b32_e32 v12, 0
	v_mov_b32_e32 v13, 0x7ff80000
	s_mov_b32 s2, exec_lo
	v_cmpx_neq_f64_e32 0, v[0:1]
	s_cbranch_execz .LBB675_30
; %bb.29:
	v_div_scale_f64 v[12:13], null, v[0:1], v[0:1], v[4:5]
	v_rcp_f64_e32 v[14:15], v[12:13]
	v_fma_f64 v[16:17], -v[12:13], v[14:15], 1.0
	v_fma_f64 v[14:15], v[14:15], v[16:17], v[14:15]
	v_fma_f64 v[16:17], -v[12:13], v[14:15], 1.0
	v_fma_f64 v[14:15], v[14:15], v[16:17], v[14:15]
	v_div_scale_f64 v[16:17], vcc_lo, v[4:5], v[0:1], v[4:5]
	v_mul_f64 v[18:19], v[16:17], v[14:15]
	v_fma_f64 v[12:13], -v[12:13], v[18:19], v[16:17]
	v_div_fmas_f64 v[12:13], v[12:13], v[14:15], v[18:19]
	v_div_fixup_f64 v[12:13], v[12:13], v[0:1], v[4:5]
.LBB675_30:
	s_or_b32 exec_lo, exec_lo, s2
	global_store_dwordx2 v[8:9], v[12:13], off
.LBB675_31:
	s_or_b32 exec_lo, exec_lo, s1
	v_cmp_ne_u32_e32 vcc_lo, 1, v23
	s_and_b32 s0, vcc_lo, s0
	s_and_b32 exec_lo, exec_lo, s0
	s_cbranch_execz .LBB675_35
; %bb.32:
	s_waitcnt lgkmcnt(0)
	v_add_f64 v[0:1], v[2:3], v[10:11]
	v_mov_b32_e32 v2, 0
	v_mov_b32_e32 v3, 0x7ff80000
	s_mov_b32 s0, exec_lo
	v_cmpx_neq_f64_e32 0, v[0:1]
	s_cbranch_execz .LBB675_34
; %bb.33:
	v_div_scale_f64 v[2:3], null, v[0:1], v[0:1], v[6:7]
	v_rcp_f64_e32 v[4:5], v[2:3]
	v_fma_f64 v[10:11], -v[2:3], v[4:5], 1.0
	v_fma_f64 v[4:5], v[4:5], v[10:11], v[4:5]
	v_fma_f64 v[10:11], -v[2:3], v[4:5], 1.0
	v_fma_f64 v[4:5], v[4:5], v[10:11], v[4:5]
	v_div_scale_f64 v[10:11], vcc_lo, v[6:7], v[0:1], v[6:7]
	v_mul_f64 v[12:13], v[10:11], v[4:5]
	v_fma_f64 v[2:3], -v[2:3], v[12:13], v[10:11]
	v_div_fmas_f64 v[2:3], v[2:3], v[4:5], v[12:13]
	v_div_fixup_f64 v[2:3], v[2:3], v[0:1], v[6:7]
.LBB675_34:
	s_or_b32 exec_lo, exec_lo, s0
	s_mov_b32 s11, 0
	s_lshl_b64 s[0:1], s[10:11], 3
	v_add_co_u32 v0, vcc_lo, v8, s0
	v_add_co_ci_u32_e64 v1, null, s1, v9, vcc_lo
	global_store_dwordx2 v[0:1], v[2:3], off
.LBB675_35:
	s_endpgm
	.section	.rodata,"a",@progbits
	.p2align	6, 0x0
	.amdhsa_kernel _ZN12_GLOBAL__N_120softmax_warp_forwardIdddLi1ELb0ELb1ELi32EEEvPT0_PKT_iiiPKbib
		.amdhsa_group_segment_fixed_size 0
		.amdhsa_private_segment_fixed_size 0
		.amdhsa_kernarg_size 304
		.amdhsa_user_sgpr_count 6
		.amdhsa_user_sgpr_private_segment_buffer 1
		.amdhsa_user_sgpr_dispatch_ptr 0
		.amdhsa_user_sgpr_queue_ptr 0
		.amdhsa_user_sgpr_kernarg_segment_ptr 1
		.amdhsa_user_sgpr_dispatch_id 0
		.amdhsa_user_sgpr_flat_scratch_init 0
		.amdhsa_user_sgpr_private_segment_size 0
		.amdhsa_wavefront_size32 1
		.amdhsa_uses_dynamic_stack 0
		.amdhsa_system_sgpr_private_segment_wavefront_offset 0
		.amdhsa_system_sgpr_workgroup_id_x 1
		.amdhsa_system_sgpr_workgroup_id_y 0
		.amdhsa_system_sgpr_workgroup_id_z 0
		.amdhsa_system_sgpr_workgroup_info 0
		.amdhsa_system_vgpr_workitem_id 1
		.amdhsa_next_free_vgpr 27
		.amdhsa_next_free_sgpr 16
		.amdhsa_reserve_vcc 1
		.amdhsa_reserve_flat_scratch 0
		.amdhsa_float_round_mode_32 0
		.amdhsa_float_round_mode_16_64 0
		.amdhsa_float_denorm_mode_32 3
		.amdhsa_float_denorm_mode_16_64 3
		.amdhsa_dx10_clamp 1
		.amdhsa_ieee_mode 1
		.amdhsa_fp16_overflow 0
		.amdhsa_workgroup_processor_mode 1
		.amdhsa_memory_ordered 1
		.amdhsa_forward_progress 1
		.amdhsa_shared_vgpr_count 0
		.amdhsa_exception_fp_ieee_invalid_op 0
		.amdhsa_exception_fp_denorm_src 0
		.amdhsa_exception_fp_ieee_div_zero 0
		.amdhsa_exception_fp_ieee_overflow 0
		.amdhsa_exception_fp_ieee_underflow 0
		.amdhsa_exception_fp_ieee_inexact 0
		.amdhsa_exception_int_div_zero 0
	.end_amdhsa_kernel
	.section	.text._ZN12_GLOBAL__N_120softmax_warp_forwardIdddLi1ELb0ELb1ELi32EEEvPT0_PKT_iiiPKbib,"axG",@progbits,_ZN12_GLOBAL__N_120softmax_warp_forwardIdddLi1ELb0ELb1ELi32EEEvPT0_PKT_iiiPKbib,comdat
.Lfunc_end675:
	.size	_ZN12_GLOBAL__N_120softmax_warp_forwardIdddLi1ELb0ELb1ELi32EEEvPT0_PKT_iiiPKbib, .Lfunc_end675-_ZN12_GLOBAL__N_120softmax_warp_forwardIdddLi1ELb0ELb1ELi32EEEvPT0_PKT_iiiPKbib
                                        ; -- End function
	.set _ZN12_GLOBAL__N_120softmax_warp_forwardIdddLi1ELb0ELb1ELi32EEEvPT0_PKT_iiiPKbib.num_vgpr, 27
	.set _ZN12_GLOBAL__N_120softmax_warp_forwardIdddLi1ELb0ELb1ELi32EEEvPT0_PKT_iiiPKbib.num_agpr, 0
	.set _ZN12_GLOBAL__N_120softmax_warp_forwardIdddLi1ELb0ELb1ELi32EEEvPT0_PKT_iiiPKbib.numbered_sgpr, 16
	.set _ZN12_GLOBAL__N_120softmax_warp_forwardIdddLi1ELb0ELb1ELi32EEEvPT0_PKT_iiiPKbib.num_named_barrier, 0
	.set _ZN12_GLOBAL__N_120softmax_warp_forwardIdddLi1ELb0ELb1ELi32EEEvPT0_PKT_iiiPKbib.private_seg_size, 0
	.set _ZN12_GLOBAL__N_120softmax_warp_forwardIdddLi1ELb0ELb1ELi32EEEvPT0_PKT_iiiPKbib.uses_vcc, 1
	.set _ZN12_GLOBAL__N_120softmax_warp_forwardIdddLi1ELb0ELb1ELi32EEEvPT0_PKT_iiiPKbib.uses_flat_scratch, 0
	.set _ZN12_GLOBAL__N_120softmax_warp_forwardIdddLi1ELb0ELb1ELi32EEEvPT0_PKT_iiiPKbib.has_dyn_sized_stack, 0
	.set _ZN12_GLOBAL__N_120softmax_warp_forwardIdddLi1ELb0ELb1ELi32EEEvPT0_PKT_iiiPKbib.has_recursion, 0
	.set _ZN12_GLOBAL__N_120softmax_warp_forwardIdddLi1ELb0ELb1ELi32EEEvPT0_PKT_iiiPKbib.has_indirect_call, 0
	.section	.AMDGPU.csdata,"",@progbits
; Kernel info:
; codeLenInByte = 2296
; TotalNumSgprs: 18
; NumVgprs: 27
; ScratchSize: 0
; MemoryBound: 1
; FloatMode: 240
; IeeeMode: 1
; LDSByteSize: 0 bytes/workgroup (compile time only)
; SGPRBlocks: 0
; VGPRBlocks: 3
; NumSGPRsForWavesPerEU: 18
; NumVGPRsForWavesPerEU: 27
; Occupancy: 16
; WaveLimiterHint : 0
; COMPUTE_PGM_RSRC2:SCRATCH_EN: 0
; COMPUTE_PGM_RSRC2:USER_SGPR: 6
; COMPUTE_PGM_RSRC2:TRAP_HANDLER: 0
; COMPUTE_PGM_RSRC2:TGID_X_EN: 1
; COMPUTE_PGM_RSRC2:TGID_Y_EN: 0
; COMPUTE_PGM_RSRC2:TGID_Z_EN: 0
; COMPUTE_PGM_RSRC2:TIDIG_COMP_CNT: 1
	.section	.text._ZN12_GLOBAL__N_120softmax_warp_forwardIdddLi2ELb0ELb1ELi64EEEvPT0_PKT_iiiPKbib,"axG",@progbits,_ZN12_GLOBAL__N_120softmax_warp_forwardIdddLi2ELb0ELb1ELi64EEEvPT0_PKT_iiiPKbib,comdat
	.globl	_ZN12_GLOBAL__N_120softmax_warp_forwardIdddLi2ELb0ELb1ELi64EEEvPT0_PKT_iiiPKbib ; -- Begin function _ZN12_GLOBAL__N_120softmax_warp_forwardIdddLi2ELb0ELb1ELi64EEEvPT0_PKT_iiiPKbib
	.p2align	8
	.type	_ZN12_GLOBAL__N_120softmax_warp_forwardIdddLi2ELb0ELb1ELi64EEEvPT0_PKT_iiiPKbib,@function
_ZN12_GLOBAL__N_120softmax_warp_forwardIdddLi2ELb0ELb1ELi64EEEvPT0_PKT_iiiPKbib: ; @_ZN12_GLOBAL__N_120softmax_warp_forwardIdddLi2ELb0ELb1ELi64EEEvPT0_PKT_iiiPKbib
; %bb.0:
	s_clause 0x2
	s_load_dwordx2 s[0:1], s[4:5], 0x28
	s_load_dword s2, s[4:5], 0x3c
	s_load_dwordx4 s[8:11], s[4:5], 0x10
	s_waitcnt lgkmcnt(0)
	s_bitcmp1_b32 s1, 0
	s_cselect_b32 s7, -1, 0
	s_lshr_b32 s2, s2, 16
	s_and_b32 s2, s2, 0xffff
	s_bitcmp0_b32 s1, 0
	s_mul_i32 s6, s6, s2
	v_add_lshl_u32 v3, s6, v1, 1
	v_mul_lo_u32 v4, v3, s9
	v_add_nc_u32_e32 v1, v4, v0
	v_ashrrev_i32_e32 v2, 31, v1
	v_mov_b32_e32 v7, v2
	v_mov_b32_e32 v6, v1
	s_cbranch_scc1 .LBB676_2
; %bb.1:
	s_abs_i32 s1, s0
	v_sub_nc_u32_e32 v7, 0, v4
	v_cvt_f32_u32_e32 v5, s1
	s_sub_i32 s2, 0, s1
	v_max_i32_e32 v7, v4, v7
	v_rcp_iflag_f32_e32 v5, v5
	v_xor_b32_e32 v4, s0, v4
	v_ashrrev_i32_e32 v4, 31, v4
	v_mul_f32_e32 v5, 0x4f7ffffe, v5
	v_cvt_u32_f32_e32 v5, v5
	v_mul_lo_u32 v6, s2, v5
	v_mul_hi_u32 v6, v5, v6
	v_add_nc_u32_e32 v5, v5, v6
	v_mul_hi_u32 v5, v7, v5
	v_mul_lo_u32 v6, v5, s1
	v_sub_nc_u32_e32 v6, v7, v6
	v_add_nc_u32_e32 v7, 1, v5
	v_subrev_nc_u32_e32 v8, s1, v6
	v_cmp_le_u32_e32 vcc_lo, s1, v6
	v_cndmask_b32_e32 v5, v5, v7, vcc_lo
	v_cndmask_b32_e32 v6, v6, v8, vcc_lo
	v_add_nc_u32_e32 v7, 1, v5
	v_cmp_le_u32_e32 vcc_lo, s1, v6
	v_cndmask_b32_e32 v5, v5, v7, vcc_lo
	v_xor_b32_e32 v5, v5, v4
	v_sub_nc_u32_e32 v4, v5, v4
	v_mad_u64_u32 v[6:7], null, v4, s9, v[0:1]
	v_ashrrev_i32_e32 v7, 31, v6
.LBB676_2:
	s_load_dwordx4 s[12:15], s[4:5], 0x0
	v_lshlrev_b64 v[12:13], 3, v[1:2]
	v_sub_nc_u32_e32 v23, s8, v3
	v_cmp_gt_i32_e64 s0, s10, v0
	v_mov_b32_e32 v2, 0
	v_mov_b32_e32 v0, 0
	;; [unrolled: 1-line block ×3, first 2 shown]
	v_cmp_lt_i32_e32 vcc_lo, 0, v23
	v_mov_b32_e32 v1, 0xfff00000
	s_and_b32 s2, s0, vcc_lo
	s_waitcnt lgkmcnt(0)
	v_add_co_u32 v4, s1, s14, v12
	v_add_co_ci_u32_e64 v5, null, s15, v13, s1
	s_and_saveexec_b32 s1, s2
	s_cbranch_execz .LBB676_4
; %bb.3:
	global_load_dwordx2 v[0:1], v[4:5], off
.LBB676_4:
	s_or_b32 exec_lo, exec_lo, s1
	v_cmp_lt_i32_e64 s1, 1, v23
	s_and_b32 s6, s0, s1
	s_and_saveexec_b32 s3, s6
	s_cbranch_execz .LBB676_6
; %bb.5:
	s_mov_b32 s11, 0
	s_lshl_b64 s[8:9], s[10:11], 3
	v_add_co_u32 v2, s1, v4, s8
	v_add_co_ci_u32_e64 v3, null, s9, v5, s1
	global_load_dwordx2 v[2:3], v[2:3], off
.LBB676_6:
	s_or_b32 exec_lo, exec_lo, s3
	s_load_dwordx2 s[4:5], s[4:5], 0x20
	v_mov_b32_e32 v4, 0
	v_mov_b32_e32 v5, 0xfff00000
	s_waitcnt lgkmcnt(0)
	v_add_co_u32 v14, s1, s4, v6
	v_add_co_ci_u32_e64 v15, null, s5, v7, s1
	s_and_saveexec_b32 s3, s2
	s_cbranch_execz .LBB676_8
; %bb.7:
	global_load_ubyte v4, v[14:15], off
	s_waitcnt vmcnt(0)
	v_and_b32_e32 v4, 1, v4
	v_cmp_eq_u32_e64 s1, 1, v4
	v_cndmask_b32_e64 v5, v1, 0xfff00000, s1
	v_cndmask_b32_e64 v4, v0, 0, s1
.LBB676_8:
	s_or_b32 exec_lo, exec_lo, s3
	s_xor_b32 s4, s2, -1
	s_mov_b32 s3, 0
	s_and_saveexec_b32 s2, s6
	s_cbranch_execz .LBB676_12
; %bb.9:
	s_and_b32 s1, s7, exec_lo
	s_cselect_b32 s1, 0, s10
	s_cselect_b32 s3, 0, 0
	v_add_co_u32 v6, s1, v14, s1
	v_add_co_ci_u32_e64 v7, null, s3, v15, s1
	s_mov_b32 s3, 0
	global_load_ubyte v6, v[6:7], off
	s_waitcnt vmcnt(0)
	v_and_b32_e32 v6, 1, v6
	v_cmp_eq_u32_e64 s1, 1, v6
	s_xor_b32 s5, s1, -1
	s_and_saveexec_b32 s1, s5
; %bb.10:
	s_mov_b32 s3, exec_lo
; %bb.11:
	s_or_b32 exec_lo, exec_lo, s1
	s_and_b32 s3, s3, exec_lo
.LBB676_12:
	s_or_b32 exec_lo, exec_lo, s2
	v_mbcnt_lo_u32_b32 v16, -1, 0
	v_and_b32_e32 v6, 28, v16
	v_xor_b32_e32 v7, 2, v16
	v_xor_b32_e32 v18, 1, v16
	v_add_nc_u32_e32 v17, 4, v6
	v_cmp_lt_i32_e64 s1, v7, v17
	v_cndmask_b32_e64 v6, v16, v7, s1
	s_waitcnt vmcnt(0)
	v_cndmask_b32_e64 v7, 0xfff00000, v3, s3
	v_lshlrev_b32_e32 v24, 2, v6
	v_cndmask_b32_e64 v6, 0, v2, s3
	v_cmp_lt_i32_e64 s3, v18, v17
	ds_bpermute_b32 v8, v24, v4
	ds_bpermute_b32 v9, v24, v5
	;; [unrolled: 1-line block ×4, first 2 shown]
	v_cndmask_b32_e64 v16, v16, v18, s3
	v_lshlrev_b32_e32 v25, 2, v16
	s_waitcnt lgkmcnt(2)
	v_cmp_lt_f64_e64 s1, v[4:5], v[8:9]
	s_waitcnt lgkmcnt(0)
	v_cmp_lt_f64_e64 s2, v[6:7], v[10:11]
	v_cndmask_b32_e64 v20, v5, v9, s1
	v_cndmask_b32_e64 v19, v4, v8, s1
	;; [unrolled: 1-line block ×4, first 2 shown]
                                        ; implicit-def: $vgpr8_vgpr9_vgpr10_vgpr11
	ds_bpermute_b32 v27, v25, v20
	ds_bpermute_b32 v21, v25, v19
	;; [unrolled: 1-line block ×4, first 2 shown]
	s_and_saveexec_b32 s1, s4
	s_xor_b32 s1, exec_lo, s1
; %bb.13:
	s_mov_b32 s2, 0
                                        ; implicit-def: $vgpr19
                                        ; implicit-def: $vgpr27
                                        ; implicit-def: $vgpr21
	v_mov_b32_e32 v0, s2
	v_mov_b32_e32 v1, s2
	v_mov_b32_e32 v11, v3
	v_mov_b32_e32 v10, v2
	v_mov_b32_e32 v8, v0
	v_mov_b32_e32 v9, v1
                                        ; implicit-def: $vgpr0_vgpr1_vgpr2_vgpr3
; %bb.14:
	s_or_saveexec_b32 s3, s1
	v_mov_b32_e32 v4, 0
	s_xor_b32 s4, s6, -1
	s_mov_b32 s2, 0
	v_mov_b32_e32 v5, v4
	v_mov_b32_e32 v6, v4
	;; [unrolled: 1-line block ×3, first 2 shown]
	s_xor_b32 exec_lo, exec_lo, s3
	s_cbranch_execz .LBB676_20
; %bb.15:
	global_load_ubyte v4, v[14:15], off
	v_mov_b32_e32 v11, v3
	v_mov_b32_e32 v9, v1
	;; [unrolled: 1-line block ×6, first 2 shown]
	s_waitcnt vmcnt(0)
	v_and_b32_e32 v4, 1, v4
	v_cmp_eq_u32_e64 s1, 1, v4
                                        ; implicit-def: $vgpr4_vgpr5_vgpr6_vgpr7
	s_xor_b32 s1, s1, -1
	s_and_saveexec_b32 s2, s1
	s_xor_b32 s5, exec_lo, s2
	s_cbranch_execz .LBB676_17
; %bb.16:
	s_waitcnt lgkmcnt(3)
	v_mov_b32_e32 v22, v27
	s_mov_b32 s8, 0x652b82fe
	s_mov_b32 s9, 0x3ff71547
	;; [unrolled: 1-line block ×4, first 2 shown]
	s_waitcnt lgkmcnt(2)
	v_cmp_lt_f64_e64 s1, v[19:20], v[21:22]
	v_cndmask_b32_e64 v5, v20, v27, s1
	v_cndmask_b32_e64 v4, v19, v21, s1
	v_add_f64 v[0:1], v[0:1], -v[4:5]
	v_mul_f64 v[4:5], v[0:1], s[8:9]
	s_mov_b32 s8, 0xfefa39ef
	s_mov_b32 s9, 0xbfe62e42
	v_cmp_nlt_f64_e64 s1, 0x40900000, v[0:1]
	v_cmp_ngt_f64_e64 s2, 0xc090cc00, v[0:1]
	v_rndne_f64_e32 v[4:5], v[4:5]
	v_fma_f64 v[6:7], v[4:5], s[8:9], v[0:1]
	s_mov_b32 s8, 0x3b39803f
	s_mov_b32 s9, 0xbc7abc9e
	v_cvt_i32_f64_e32 v10, v[4:5]
	v_fma_f64 v[6:7], v[4:5], s[8:9], v[6:7]
	s_mov_b32 s8, 0xfca7ab0c
	s_mov_b32 s9, 0x3e928af3
	v_fma_f64 v[8:9], v[6:7], s[14:15], s[8:9]
	s_mov_b32 s8, 0x623fde64
	s_mov_b32 s9, 0x3ec71dee
	;; [unrolled: 3-line block ×9, first 2 shown]
	v_fma_f64 v[8:9], v[6:7], v[8:9], s[8:9]
	v_fma_f64 v[8:9], v[6:7], v[8:9], 1.0
	v_fma_f64 v[4:5], v[6:7], v[8:9], 1.0
	v_mov_b32_e32 v6, 0
	v_mov_b32_e32 v7, v6
	v_ldexp_f64 v[4:5], v[4:5], v10
	v_cndmask_b32_e64 v5, 0x7ff00000, v5, s1
	s_and_b32 s1, s2, s1
	v_cndmask_b32_e64 v0, 0, v4, s1
	v_cndmask_b32_e64 v1, 0, v5, s2
	v_mov_b32_e32 v11, v3
	v_mov_b32_e32 v10, v2
	;; [unrolled: 1-line block ×3, first 2 shown]
	v_add_f64 v[4:5], v[0:1], 0
	v_mov_b32_e32 v9, v1
.LBB676_17:
	s_andn2_saveexec_b32 s1, s5
; %bb.18:
	v_mov_b32_e32 v4, 0
	v_mov_b32_e32 v5, v4
	;; [unrolled: 1-line block ×4, first 2 shown]
; %bb.19:
	s_or_b32 exec_lo, exec_lo, s1
.LBB676_20:
	s_or_b32 exec_lo, exec_lo, s3
                                        ; implicit-def: $vgpr0_vgpr1_vgpr2_vgpr3
	s_and_saveexec_b32 s1, s4
	s_xor_b32 s1, exec_lo, s1
	s_cbranch_execz .LBB676_22
; %bb.21:
	s_mov_b32 s2, 0
                                        ; implicit-def: $vgpr14
                                        ; implicit-def: $vgpr16
                                        ; implicit-def: $vgpr26
                                        ; implicit-def: $vgpr18
	v_mov_b32_e32 v10, s2
	v_mov_b32_e32 v11, s2
	;; [unrolled: 1-line block ×6, first 2 shown]
                                        ; implicit-def: $vgpr8_vgpr9_vgpr10_vgpr11
	s_andn2_saveexec_b32 s3, s1
	s_cbranch_execz .LBB676_26
	s_branch .LBB676_23
.LBB676_22:
	s_andn2_saveexec_b32 s3, s1
	s_cbranch_execz .LBB676_26
.LBB676_23:
	s_and_b32 s1, s7, exec_lo
	s_cselect_b32 s1, 0, s10
	s_cselect_b32 s2, 0, 0
	v_add_co_u32 v0, s1, v14, s1
	v_add_co_ci_u32_e64 v1, null, s2, v15, s1
	s_mov_b32 s2, 0
	global_load_ubyte v0, v[0:1], off
	s_waitcnt vmcnt(0)
	v_and_b32_e32 v0, 1, v0
	v_cmp_eq_u32_e64 s1, 1, v0
	v_mov_b32_e32 v0, v8
	v_mov_b32_e32 v2, v10
	;; [unrolled: 1-line block ×6, first 2 shown]
	s_xor_b32 s1, s1, -1
	s_and_saveexec_b32 s2, s1
	s_xor_b32 s4, exec_lo, s2
	s_cbranch_execz .LBB676_25
; %bb.24:
	s_waitcnt lgkmcnt(1)
	v_mov_b32_e32 v19, v26
	s_mov_b32 s6, 0x652b82fe
	s_mov_b32 s7, 0x3ff71547
	;; [unrolled: 1-line block ×4, first 2 shown]
	s_waitcnt lgkmcnt(0)
	v_cmp_lt_f64_e64 s1, v[16:17], v[18:19]
	v_cndmask_b32_e64 v1, v17, v26, s1
	v_cndmask_b32_e64 v0, v16, v18, s1
	v_add_f64 v[0:1], v[10:11], -v[0:1]
	v_mul_f64 v[2:3], v[0:1], s[6:7]
	s_mov_b32 s6, 0xfefa39ef
	s_mov_b32 s7, 0xbfe62e42
	v_cmp_nlt_f64_e64 s1, 0x40900000, v[0:1]
	v_cmp_ngt_f64_e64 s2, 0xc090cc00, v[0:1]
	v_rndne_f64_e32 v[2:3], v[2:3]
	v_fma_f64 v[10:11], v[2:3], s[6:7], v[0:1]
	s_mov_b32 s6, 0x3b39803f
	s_mov_b32 s7, 0xbc7abc9e
	v_cvt_i32_f64_e32 v16, v[2:3]
	v_fma_f64 v[10:11], v[2:3], s[6:7], v[10:11]
	s_mov_b32 s6, 0xfca7ab0c
	s_mov_b32 s7, 0x3e928af3
	v_fma_f64 v[14:15], v[10:11], s[8:9], s[6:7]
	s_mov_b32 s6, 0x623fde64
	s_mov_b32 s7, 0x3ec71dee
	;; [unrolled: 3-line block ×9, first 2 shown]
	v_fma_f64 v[14:15], v[10:11], v[14:15], s[6:7]
	v_fma_f64 v[14:15], v[10:11], v[14:15], 1.0
	v_fma_f64 v[2:3], v[10:11], v[14:15], 1.0
	v_ldexp_f64 v[2:3], v[2:3], v16
	v_cndmask_b32_e64 v3, 0x7ff00000, v3, s1
	s_and_b32 s1, s2, s1
	v_cndmask_b32_e64 v10, 0, v2, s1
	v_cndmask_b32_e64 v11, 0, v3, s2
	v_mov_b32_e32 v0, v8
	v_mov_b32_e32 v1, v9
	;; [unrolled: 1-line block ×3, first 2 shown]
	v_add_f64 v[6:7], v[6:7], v[10:11]
	v_mov_b32_e32 v3, v11
.LBB676_25:
	s_andn2_saveexec_b32 s1, s4
	s_or_b32 exec_lo, exec_lo, s1
.LBB676_26:
	s_or_b32 exec_lo, exec_lo, s3
	ds_bpermute_b32 v8, v24, v4
	ds_bpermute_b32 v9, v24, v5
	;; [unrolled: 1-line block ×4, first 2 shown]
	s_waitcnt lgkmcnt(2)
	v_add_f64 v[10:11], v[4:5], v[8:9]
	s_waitcnt lgkmcnt(0)
	v_add_f64 v[6:7], v[6:7], v[14:15]
	ds_bpermute_b32 v14, v25, v10
	ds_bpermute_b32 v15, v25, v11
	;; [unrolled: 1-line block ×4, first 2 shown]
	s_and_saveexec_b32 s1, vcc_lo
	s_cbranch_execz .LBB676_35
; %bb.27:
	v_add_co_u32 v4, vcc_lo, s12, v12
	v_add_co_ci_u32_e64 v5, null, s13, v13, vcc_lo
	s_and_saveexec_b32 s1, s0
	s_cbranch_execz .LBB676_31
; %bb.28:
	s_waitcnt lgkmcnt(2)
	v_add_f64 v[10:11], v[10:11], v[14:15]
	v_mov_b32_e32 v12, 0
	v_mov_b32_e32 v13, 0x7ff80000
	s_mov_b32 s2, exec_lo
	v_cmpx_neq_f64_e32 0, v[10:11]
	s_cbranch_execz .LBB676_30
; %bb.29:
	v_div_scale_f64 v[12:13], null, v[10:11], v[10:11], v[0:1]
	v_rcp_f64_e32 v[14:15], v[12:13]
	v_fma_f64 v[16:17], -v[12:13], v[14:15], 1.0
	v_fma_f64 v[14:15], v[14:15], v[16:17], v[14:15]
	v_fma_f64 v[16:17], -v[12:13], v[14:15], 1.0
	v_fma_f64 v[14:15], v[14:15], v[16:17], v[14:15]
	v_div_scale_f64 v[16:17], vcc_lo, v[0:1], v[10:11], v[0:1]
	v_mul_f64 v[18:19], v[16:17], v[14:15]
	v_fma_f64 v[12:13], -v[12:13], v[18:19], v[16:17]
	v_div_fmas_f64 v[12:13], v[12:13], v[14:15], v[18:19]
	v_div_fixup_f64 v[12:13], v[12:13], v[10:11], v[0:1]
.LBB676_30:
	s_or_b32 exec_lo, exec_lo, s2
	global_store_dwordx2 v[4:5], v[12:13], off
.LBB676_31:
	s_or_b32 exec_lo, exec_lo, s1
	v_cmp_ne_u32_e32 vcc_lo, 1, v23
	s_and_b32 s0, vcc_lo, s0
	s_and_b32 exec_lo, exec_lo, s0
	s_cbranch_execz .LBB676_35
; %bb.32:
	s_waitcnt lgkmcnt(0)
	v_add_f64 v[0:1], v[6:7], v[8:9]
	v_mov_b32_e32 v6, 0
	v_mov_b32_e32 v7, 0x7ff80000
	s_mov_b32 s0, exec_lo
	v_cmpx_neq_f64_e32 0, v[0:1]
	s_cbranch_execz .LBB676_34
; %bb.33:
	v_div_scale_f64 v[6:7], null, v[0:1], v[0:1], v[2:3]
	v_rcp_f64_e32 v[8:9], v[6:7]
	v_fma_f64 v[10:11], -v[6:7], v[8:9], 1.0
	v_fma_f64 v[8:9], v[8:9], v[10:11], v[8:9]
	v_fma_f64 v[10:11], -v[6:7], v[8:9], 1.0
	v_fma_f64 v[8:9], v[8:9], v[10:11], v[8:9]
	v_div_scale_f64 v[10:11], vcc_lo, v[2:3], v[0:1], v[2:3]
	v_mul_f64 v[12:13], v[10:11], v[8:9]
	v_fma_f64 v[6:7], -v[6:7], v[12:13], v[10:11]
	v_div_fmas_f64 v[6:7], v[6:7], v[8:9], v[12:13]
	v_div_fixup_f64 v[6:7], v[6:7], v[0:1], v[2:3]
.LBB676_34:
	s_or_b32 exec_lo, exec_lo, s0
	s_mov_b32 s11, 0
	s_lshl_b64 s[0:1], s[10:11], 3
	v_add_co_u32 v0, vcc_lo, v4, s0
	v_add_co_ci_u32_e64 v1, null, s1, v5, vcc_lo
	global_store_dwordx2 v[0:1], v[6:7], off
.LBB676_35:
	s_endpgm
	.section	.rodata,"a",@progbits
	.p2align	6, 0x0
	.amdhsa_kernel _ZN12_GLOBAL__N_120softmax_warp_forwardIdddLi2ELb0ELb1ELi64EEEvPT0_PKT_iiiPKbib
		.amdhsa_group_segment_fixed_size 0
		.amdhsa_private_segment_fixed_size 0
		.amdhsa_kernarg_size 304
		.amdhsa_user_sgpr_count 6
		.amdhsa_user_sgpr_private_segment_buffer 1
		.amdhsa_user_sgpr_dispatch_ptr 0
		.amdhsa_user_sgpr_queue_ptr 0
		.amdhsa_user_sgpr_kernarg_segment_ptr 1
		.amdhsa_user_sgpr_dispatch_id 0
		.amdhsa_user_sgpr_flat_scratch_init 0
		.amdhsa_user_sgpr_private_segment_size 0
		.amdhsa_wavefront_size32 1
		.amdhsa_uses_dynamic_stack 0
		.amdhsa_system_sgpr_private_segment_wavefront_offset 0
		.amdhsa_system_sgpr_workgroup_id_x 1
		.amdhsa_system_sgpr_workgroup_id_y 0
		.amdhsa_system_sgpr_workgroup_id_z 0
		.amdhsa_system_sgpr_workgroup_info 0
		.amdhsa_system_vgpr_workitem_id 1
		.amdhsa_next_free_vgpr 28
		.amdhsa_next_free_sgpr 16
		.amdhsa_reserve_vcc 1
		.amdhsa_reserve_flat_scratch 0
		.amdhsa_float_round_mode_32 0
		.amdhsa_float_round_mode_16_64 0
		.amdhsa_float_denorm_mode_32 3
		.amdhsa_float_denorm_mode_16_64 3
		.amdhsa_dx10_clamp 1
		.amdhsa_ieee_mode 1
		.amdhsa_fp16_overflow 0
		.amdhsa_workgroup_processor_mode 1
		.amdhsa_memory_ordered 1
		.amdhsa_forward_progress 1
		.amdhsa_shared_vgpr_count 0
		.amdhsa_exception_fp_ieee_invalid_op 0
		.amdhsa_exception_fp_denorm_src 0
		.amdhsa_exception_fp_ieee_div_zero 0
		.amdhsa_exception_fp_ieee_overflow 0
		.amdhsa_exception_fp_ieee_underflow 0
		.amdhsa_exception_fp_ieee_inexact 0
		.amdhsa_exception_int_div_zero 0
	.end_amdhsa_kernel
	.section	.text._ZN12_GLOBAL__N_120softmax_warp_forwardIdddLi2ELb0ELb1ELi64EEEvPT0_PKT_iiiPKbib,"axG",@progbits,_ZN12_GLOBAL__N_120softmax_warp_forwardIdddLi2ELb0ELb1ELi64EEEvPT0_PKT_iiiPKbib,comdat
.Lfunc_end676:
	.size	_ZN12_GLOBAL__N_120softmax_warp_forwardIdddLi2ELb0ELb1ELi64EEEvPT0_PKT_iiiPKbib, .Lfunc_end676-_ZN12_GLOBAL__N_120softmax_warp_forwardIdddLi2ELb0ELb1ELi64EEEvPT0_PKT_iiiPKbib
                                        ; -- End function
	.set _ZN12_GLOBAL__N_120softmax_warp_forwardIdddLi2ELb0ELb1ELi64EEEvPT0_PKT_iiiPKbib.num_vgpr, 28
	.set _ZN12_GLOBAL__N_120softmax_warp_forwardIdddLi2ELb0ELb1ELi64EEEvPT0_PKT_iiiPKbib.num_agpr, 0
	.set _ZN12_GLOBAL__N_120softmax_warp_forwardIdddLi2ELb0ELb1ELi64EEEvPT0_PKT_iiiPKbib.numbered_sgpr, 16
	.set _ZN12_GLOBAL__N_120softmax_warp_forwardIdddLi2ELb0ELb1ELi64EEEvPT0_PKT_iiiPKbib.num_named_barrier, 0
	.set _ZN12_GLOBAL__N_120softmax_warp_forwardIdddLi2ELb0ELb1ELi64EEEvPT0_PKT_iiiPKbib.private_seg_size, 0
	.set _ZN12_GLOBAL__N_120softmax_warp_forwardIdddLi2ELb0ELb1ELi64EEEvPT0_PKT_iiiPKbib.uses_vcc, 1
	.set _ZN12_GLOBAL__N_120softmax_warp_forwardIdddLi2ELb0ELb1ELi64EEEvPT0_PKT_iiiPKbib.uses_flat_scratch, 0
	.set _ZN12_GLOBAL__N_120softmax_warp_forwardIdddLi2ELb0ELb1ELi64EEEvPT0_PKT_iiiPKbib.has_dyn_sized_stack, 0
	.set _ZN12_GLOBAL__N_120softmax_warp_forwardIdddLi2ELb0ELb1ELi64EEEvPT0_PKT_iiiPKbib.has_recursion, 0
	.set _ZN12_GLOBAL__N_120softmax_warp_forwardIdddLi2ELb0ELb1ELi64EEEvPT0_PKT_iiiPKbib.has_indirect_call, 0
	.section	.AMDGPU.csdata,"",@progbits
; Kernel info:
; codeLenInByte = 2472
; TotalNumSgprs: 18
; NumVgprs: 28
; ScratchSize: 0
; MemoryBound: 1
; FloatMode: 240
; IeeeMode: 1
; LDSByteSize: 0 bytes/workgroup (compile time only)
; SGPRBlocks: 0
; VGPRBlocks: 3
; NumSGPRsForWavesPerEU: 18
; NumVGPRsForWavesPerEU: 28
; Occupancy: 16
; WaveLimiterHint : 0
; COMPUTE_PGM_RSRC2:SCRATCH_EN: 0
; COMPUTE_PGM_RSRC2:USER_SGPR: 6
; COMPUTE_PGM_RSRC2:TRAP_HANDLER: 0
; COMPUTE_PGM_RSRC2:TGID_X_EN: 1
; COMPUTE_PGM_RSRC2:TGID_Y_EN: 0
; COMPUTE_PGM_RSRC2:TGID_Z_EN: 0
; COMPUTE_PGM_RSRC2:TIDIG_COMP_CNT: 1
	.section	.text._ZN12_GLOBAL__N_120softmax_warp_forwardIdddLi2ELb0ELb1ELi32EEEvPT0_PKT_iiiPKbib,"axG",@progbits,_ZN12_GLOBAL__N_120softmax_warp_forwardIdddLi2ELb0ELb1ELi32EEEvPT0_PKT_iiiPKbib,comdat
	.globl	_ZN12_GLOBAL__N_120softmax_warp_forwardIdddLi2ELb0ELb1ELi32EEEvPT0_PKT_iiiPKbib ; -- Begin function _ZN12_GLOBAL__N_120softmax_warp_forwardIdddLi2ELb0ELb1ELi32EEEvPT0_PKT_iiiPKbib
	.p2align	8
	.type	_ZN12_GLOBAL__N_120softmax_warp_forwardIdddLi2ELb0ELb1ELi32EEEvPT0_PKT_iiiPKbib,@function
_ZN12_GLOBAL__N_120softmax_warp_forwardIdddLi2ELb0ELb1ELi32EEEvPT0_PKT_iiiPKbib: ; @_ZN12_GLOBAL__N_120softmax_warp_forwardIdddLi2ELb0ELb1ELi32EEEvPT0_PKT_iiiPKbib
; %bb.0:
	s_clause 0x2
	s_load_dwordx2 s[0:1], s[4:5], 0x28
	s_load_dword s2, s[4:5], 0x3c
	s_load_dwordx4 s[8:11], s[4:5], 0x10
	s_waitcnt lgkmcnt(0)
	s_bitcmp1_b32 s1, 0
	s_cselect_b32 s7, -1, 0
	s_lshr_b32 s2, s2, 16
	s_and_b32 s2, s2, 0xffff
	s_bitcmp0_b32 s1, 0
	s_mul_i32 s6, s6, s2
	v_add_lshl_u32 v3, s6, v1, 1
	v_mul_lo_u32 v4, v3, s9
	v_add_nc_u32_e32 v1, v4, v0
	v_ashrrev_i32_e32 v2, 31, v1
	v_mov_b32_e32 v7, v2
	v_mov_b32_e32 v6, v1
	s_cbranch_scc1 .LBB677_2
; %bb.1:
	s_abs_i32 s1, s0
	v_sub_nc_u32_e32 v7, 0, v4
	v_cvt_f32_u32_e32 v5, s1
	s_sub_i32 s2, 0, s1
	v_max_i32_e32 v7, v4, v7
	v_rcp_iflag_f32_e32 v5, v5
	v_xor_b32_e32 v4, s0, v4
	v_ashrrev_i32_e32 v4, 31, v4
	v_mul_f32_e32 v5, 0x4f7ffffe, v5
	v_cvt_u32_f32_e32 v5, v5
	v_mul_lo_u32 v6, s2, v5
	v_mul_hi_u32 v6, v5, v6
	v_add_nc_u32_e32 v5, v5, v6
	v_mul_hi_u32 v5, v7, v5
	v_mul_lo_u32 v6, v5, s1
	v_sub_nc_u32_e32 v6, v7, v6
	v_add_nc_u32_e32 v7, 1, v5
	v_subrev_nc_u32_e32 v8, s1, v6
	v_cmp_le_u32_e32 vcc_lo, s1, v6
	v_cndmask_b32_e32 v5, v5, v7, vcc_lo
	v_cndmask_b32_e32 v6, v6, v8, vcc_lo
	v_add_nc_u32_e32 v7, 1, v5
	v_cmp_le_u32_e32 vcc_lo, s1, v6
	v_cndmask_b32_e32 v5, v5, v7, vcc_lo
	v_xor_b32_e32 v5, v5, v4
	v_sub_nc_u32_e32 v4, v5, v4
	v_mad_u64_u32 v[6:7], null, v4, s9, v[0:1]
	v_ashrrev_i32_e32 v7, 31, v6
.LBB677_2:
	s_load_dwordx4 s[12:15], s[4:5], 0x0
	v_lshlrev_b64 v[12:13], 3, v[1:2]
	v_sub_nc_u32_e32 v23, s8, v3
	v_cmp_gt_i32_e64 s0, s10, v0
	v_mov_b32_e32 v2, 0
	v_mov_b32_e32 v0, 0
	;; [unrolled: 1-line block ×3, first 2 shown]
	v_cmp_lt_i32_e32 vcc_lo, 0, v23
	v_mov_b32_e32 v1, 0xfff00000
	s_and_b32 s2, s0, vcc_lo
	s_waitcnt lgkmcnt(0)
	v_add_co_u32 v4, s1, s14, v12
	v_add_co_ci_u32_e64 v5, null, s15, v13, s1
	s_and_saveexec_b32 s1, s2
	s_cbranch_execz .LBB677_4
; %bb.3:
	global_load_dwordx2 v[0:1], v[4:5], off
.LBB677_4:
	s_or_b32 exec_lo, exec_lo, s1
	v_cmp_lt_i32_e64 s1, 1, v23
	s_and_b32 s6, s0, s1
	s_and_saveexec_b32 s3, s6
	s_cbranch_execz .LBB677_6
; %bb.5:
	s_mov_b32 s11, 0
	s_lshl_b64 s[8:9], s[10:11], 3
	v_add_co_u32 v2, s1, v4, s8
	v_add_co_ci_u32_e64 v3, null, s9, v5, s1
	global_load_dwordx2 v[2:3], v[2:3], off
.LBB677_6:
	s_or_b32 exec_lo, exec_lo, s3
	s_load_dwordx2 s[4:5], s[4:5], 0x20
	v_mov_b32_e32 v4, 0
	v_mov_b32_e32 v5, 0xfff00000
	s_waitcnt lgkmcnt(0)
	v_add_co_u32 v14, s1, s4, v6
	v_add_co_ci_u32_e64 v15, null, s5, v7, s1
	s_and_saveexec_b32 s3, s2
	s_cbranch_execz .LBB677_8
; %bb.7:
	global_load_ubyte v4, v[14:15], off
	s_waitcnt vmcnt(0)
	v_and_b32_e32 v4, 1, v4
	v_cmp_eq_u32_e64 s1, 1, v4
	v_cndmask_b32_e64 v5, v1, 0xfff00000, s1
	v_cndmask_b32_e64 v4, v0, 0, s1
.LBB677_8:
	s_or_b32 exec_lo, exec_lo, s3
	s_xor_b32 s4, s2, -1
	s_mov_b32 s3, 0
	s_and_saveexec_b32 s2, s6
	s_cbranch_execz .LBB677_12
; %bb.9:
	s_and_b32 s1, s7, exec_lo
	s_cselect_b32 s1, 0, s10
	s_cselect_b32 s3, 0, 0
	v_add_co_u32 v6, s1, v14, s1
	v_add_co_ci_u32_e64 v7, null, s3, v15, s1
	s_mov_b32 s3, 0
	global_load_ubyte v6, v[6:7], off
	s_waitcnt vmcnt(0)
	v_and_b32_e32 v6, 1, v6
	v_cmp_eq_u32_e64 s1, 1, v6
	s_xor_b32 s5, s1, -1
	s_and_saveexec_b32 s1, s5
; %bb.10:
	s_mov_b32 s3, exec_lo
; %bb.11:
	s_or_b32 exec_lo, exec_lo, s1
	s_and_b32 s3, s3, exec_lo
.LBB677_12:
	s_or_b32 exec_lo, exec_lo, s2
	v_mbcnt_lo_u32_b32 v16, -1, 0
	v_and_b32_e32 v6, 28, v16
	v_xor_b32_e32 v7, 2, v16
	v_xor_b32_e32 v18, 1, v16
	v_add_nc_u32_e32 v17, 4, v6
	v_cmp_lt_i32_e64 s1, v7, v17
	v_cndmask_b32_e64 v6, v16, v7, s1
	s_waitcnt vmcnt(0)
	v_cndmask_b32_e64 v7, 0xfff00000, v3, s3
	v_lshlrev_b32_e32 v24, 2, v6
	v_cndmask_b32_e64 v6, 0, v2, s3
	v_cmp_lt_i32_e64 s3, v18, v17
	ds_bpermute_b32 v8, v24, v4
	ds_bpermute_b32 v9, v24, v5
	;; [unrolled: 1-line block ×4, first 2 shown]
	v_cndmask_b32_e64 v16, v16, v18, s3
	v_lshlrev_b32_e32 v25, 2, v16
	s_waitcnt lgkmcnt(2)
	v_cmp_lt_f64_e64 s1, v[4:5], v[8:9]
	s_waitcnt lgkmcnt(0)
	v_cmp_lt_f64_e64 s2, v[6:7], v[10:11]
	v_cndmask_b32_e64 v20, v5, v9, s1
	v_cndmask_b32_e64 v19, v4, v8, s1
	;; [unrolled: 1-line block ×4, first 2 shown]
                                        ; implicit-def: $vgpr8_vgpr9_vgpr10_vgpr11
	ds_bpermute_b32 v27, v25, v20
	ds_bpermute_b32 v21, v25, v19
	;; [unrolled: 1-line block ×4, first 2 shown]
	s_and_saveexec_b32 s1, s4
	s_xor_b32 s1, exec_lo, s1
; %bb.13:
	s_mov_b32 s2, 0
                                        ; implicit-def: $vgpr19
                                        ; implicit-def: $vgpr27
                                        ; implicit-def: $vgpr21
	v_mov_b32_e32 v0, s2
	v_mov_b32_e32 v1, s2
	;; [unrolled: 1-line block ×6, first 2 shown]
                                        ; implicit-def: $vgpr0_vgpr1_vgpr2_vgpr3
; %bb.14:
	s_or_saveexec_b32 s3, s1
	v_mov_b32_e32 v4, 0
	s_xor_b32 s4, s6, -1
	s_mov_b32 s2, 0
	v_mov_b32_e32 v5, v4
	v_mov_b32_e32 v6, v4
	v_mov_b32_e32 v7, v4
	s_xor_b32 exec_lo, exec_lo, s3
	s_cbranch_execz .LBB677_20
; %bb.15:
	global_load_ubyte v4, v[14:15], off
	v_mov_b32_e32 v11, v3
	v_mov_b32_e32 v9, v1
	;; [unrolled: 1-line block ×6, first 2 shown]
	s_waitcnt vmcnt(0)
	v_and_b32_e32 v4, 1, v4
	v_cmp_eq_u32_e64 s1, 1, v4
                                        ; implicit-def: $vgpr4_vgpr5_vgpr6_vgpr7
	s_xor_b32 s1, s1, -1
	s_and_saveexec_b32 s2, s1
	s_xor_b32 s5, exec_lo, s2
	s_cbranch_execz .LBB677_17
; %bb.16:
	s_waitcnt lgkmcnt(3)
	v_mov_b32_e32 v22, v27
	s_mov_b32 s8, 0x652b82fe
	s_mov_b32 s9, 0x3ff71547
	s_mov_b32 s14, 0x6a5dcb37
	s_mov_b32 s15, 0x3e5ade15
	s_waitcnt lgkmcnt(2)
	v_cmp_lt_f64_e64 s1, v[19:20], v[21:22]
	v_cndmask_b32_e64 v5, v20, v27, s1
	v_cndmask_b32_e64 v4, v19, v21, s1
	v_add_f64 v[0:1], v[0:1], -v[4:5]
	v_mul_f64 v[4:5], v[0:1], s[8:9]
	s_mov_b32 s8, 0xfefa39ef
	s_mov_b32 s9, 0xbfe62e42
	v_cmp_nlt_f64_e64 s1, 0x40900000, v[0:1]
	v_cmp_ngt_f64_e64 s2, 0xc090cc00, v[0:1]
	v_rndne_f64_e32 v[4:5], v[4:5]
	v_fma_f64 v[6:7], v[4:5], s[8:9], v[0:1]
	s_mov_b32 s8, 0x3b39803f
	s_mov_b32 s9, 0xbc7abc9e
	v_cvt_i32_f64_e32 v10, v[4:5]
	v_fma_f64 v[6:7], v[4:5], s[8:9], v[6:7]
	s_mov_b32 s8, 0xfca7ab0c
	s_mov_b32 s9, 0x3e928af3
	v_fma_f64 v[8:9], v[6:7], s[14:15], s[8:9]
	s_mov_b32 s8, 0x623fde64
	s_mov_b32 s9, 0x3ec71dee
	v_fma_f64 v[8:9], v[6:7], v[8:9], s[8:9]
	s_mov_b32 s8, 0x7c89e6b0
	s_mov_b32 s9, 0x3efa0199
	v_fma_f64 v[8:9], v[6:7], v[8:9], s[8:9]
	s_mov_b32 s8, 0x14761f6e
	s_mov_b32 s9, 0x3f2a01a0
	v_fma_f64 v[8:9], v[6:7], v[8:9], s[8:9]
	s_mov_b32 s8, 0x1852b7b0
	s_mov_b32 s9, 0x3f56c16c
	v_fma_f64 v[8:9], v[6:7], v[8:9], s[8:9]
	s_mov_b32 s8, 0x11122322
	s_mov_b32 s9, 0x3f811111
	v_fma_f64 v[8:9], v[6:7], v[8:9], s[8:9]
	s_mov_b32 s8, 0x555502a1
	s_mov_b32 s9, 0x3fa55555
	v_fma_f64 v[8:9], v[6:7], v[8:9], s[8:9]
	s_mov_b32 s8, 0x55555511
	s_mov_b32 s9, 0x3fc55555
	v_fma_f64 v[8:9], v[6:7], v[8:9], s[8:9]
	s_mov_b32 s8, 11
	s_mov_b32 s9, 0x3fe00000
	v_fma_f64 v[8:9], v[6:7], v[8:9], s[8:9]
	v_fma_f64 v[8:9], v[6:7], v[8:9], 1.0
	v_fma_f64 v[4:5], v[6:7], v[8:9], 1.0
	v_mov_b32_e32 v6, 0
	v_mov_b32_e32 v7, v6
	v_ldexp_f64 v[4:5], v[4:5], v10
	v_cndmask_b32_e64 v5, 0x7ff00000, v5, s1
	s_and_b32 s1, s2, s1
	v_cndmask_b32_e64 v0, 0, v4, s1
	v_cndmask_b32_e64 v1, 0, v5, s2
	v_mov_b32_e32 v11, v3
	v_mov_b32_e32 v10, v2
	;; [unrolled: 1-line block ×3, first 2 shown]
	v_add_f64 v[4:5], v[0:1], 0
	v_mov_b32_e32 v9, v1
.LBB677_17:
	s_andn2_saveexec_b32 s1, s5
; %bb.18:
	v_mov_b32_e32 v4, 0
	v_mov_b32_e32 v5, v4
	v_mov_b32_e32 v6, v4
	v_mov_b32_e32 v7, v4
; %bb.19:
	s_or_b32 exec_lo, exec_lo, s1
.LBB677_20:
	s_or_b32 exec_lo, exec_lo, s3
                                        ; implicit-def: $vgpr0_vgpr1_vgpr2_vgpr3
	s_and_saveexec_b32 s1, s4
	s_xor_b32 s1, exec_lo, s1
	s_cbranch_execz .LBB677_22
; %bb.21:
	s_mov_b32 s2, 0
                                        ; implicit-def: $vgpr14
                                        ; implicit-def: $vgpr16
                                        ; implicit-def: $vgpr26
                                        ; implicit-def: $vgpr18
	v_mov_b32_e32 v10, s2
	v_mov_b32_e32 v11, s2
	;; [unrolled: 1-line block ×6, first 2 shown]
                                        ; implicit-def: $vgpr8_vgpr9_vgpr10_vgpr11
	s_andn2_saveexec_b32 s3, s1
	s_cbranch_execz .LBB677_26
	s_branch .LBB677_23
.LBB677_22:
	s_andn2_saveexec_b32 s3, s1
	s_cbranch_execz .LBB677_26
.LBB677_23:
	s_and_b32 s1, s7, exec_lo
	s_cselect_b32 s1, 0, s10
	s_cselect_b32 s2, 0, 0
	v_add_co_u32 v0, s1, v14, s1
	v_add_co_ci_u32_e64 v1, null, s2, v15, s1
	s_mov_b32 s2, 0
	global_load_ubyte v0, v[0:1], off
	s_waitcnt vmcnt(0)
	v_and_b32_e32 v0, 1, v0
	v_cmp_eq_u32_e64 s1, 1, v0
	v_mov_b32_e32 v0, v8
	v_mov_b32_e32 v2, v10
	;; [unrolled: 1-line block ×6, first 2 shown]
	s_xor_b32 s1, s1, -1
	s_and_saveexec_b32 s2, s1
	s_xor_b32 s4, exec_lo, s2
	s_cbranch_execz .LBB677_25
; %bb.24:
	s_waitcnt lgkmcnt(1)
	v_mov_b32_e32 v19, v26
	s_mov_b32 s6, 0x652b82fe
	s_mov_b32 s7, 0x3ff71547
	s_mov_b32 s8, 0x6a5dcb37
	s_mov_b32 s9, 0x3e5ade15
	s_waitcnt lgkmcnt(0)
	v_cmp_lt_f64_e64 s1, v[16:17], v[18:19]
	v_cndmask_b32_e64 v1, v17, v26, s1
	v_cndmask_b32_e64 v0, v16, v18, s1
	v_add_f64 v[0:1], v[10:11], -v[0:1]
	v_mul_f64 v[2:3], v[0:1], s[6:7]
	s_mov_b32 s6, 0xfefa39ef
	s_mov_b32 s7, 0xbfe62e42
	v_cmp_nlt_f64_e64 s1, 0x40900000, v[0:1]
	v_cmp_ngt_f64_e64 s2, 0xc090cc00, v[0:1]
	v_rndne_f64_e32 v[2:3], v[2:3]
	v_fma_f64 v[10:11], v[2:3], s[6:7], v[0:1]
	s_mov_b32 s6, 0x3b39803f
	s_mov_b32 s7, 0xbc7abc9e
	v_cvt_i32_f64_e32 v16, v[2:3]
	v_fma_f64 v[10:11], v[2:3], s[6:7], v[10:11]
	s_mov_b32 s6, 0xfca7ab0c
	s_mov_b32 s7, 0x3e928af3
	v_fma_f64 v[14:15], v[10:11], s[8:9], s[6:7]
	s_mov_b32 s6, 0x623fde64
	s_mov_b32 s7, 0x3ec71dee
	;; [unrolled: 3-line block ×9, first 2 shown]
	v_fma_f64 v[14:15], v[10:11], v[14:15], s[6:7]
	v_fma_f64 v[14:15], v[10:11], v[14:15], 1.0
	v_fma_f64 v[2:3], v[10:11], v[14:15], 1.0
	v_ldexp_f64 v[2:3], v[2:3], v16
	v_cndmask_b32_e64 v3, 0x7ff00000, v3, s1
	s_and_b32 s1, s2, s1
	v_cndmask_b32_e64 v10, 0, v2, s1
	v_cndmask_b32_e64 v11, 0, v3, s2
	v_mov_b32_e32 v0, v8
	v_mov_b32_e32 v1, v9
	;; [unrolled: 1-line block ×3, first 2 shown]
	v_add_f64 v[6:7], v[6:7], v[10:11]
	v_mov_b32_e32 v3, v11
.LBB677_25:
	s_andn2_saveexec_b32 s1, s4
	s_or_b32 exec_lo, exec_lo, s1
.LBB677_26:
	s_or_b32 exec_lo, exec_lo, s3
	ds_bpermute_b32 v8, v24, v4
	ds_bpermute_b32 v9, v24, v5
	ds_bpermute_b32 v14, v24, v6
	ds_bpermute_b32 v15, v24, v7
	s_waitcnt lgkmcnt(2)
	v_add_f64 v[10:11], v[4:5], v[8:9]
	s_waitcnt lgkmcnt(0)
	v_add_f64 v[6:7], v[6:7], v[14:15]
	ds_bpermute_b32 v14, v25, v10
	ds_bpermute_b32 v15, v25, v11
	;; [unrolled: 1-line block ×4, first 2 shown]
	s_and_saveexec_b32 s1, vcc_lo
	s_cbranch_execz .LBB677_35
; %bb.27:
	v_add_co_u32 v4, vcc_lo, s12, v12
	v_add_co_ci_u32_e64 v5, null, s13, v13, vcc_lo
	s_and_saveexec_b32 s1, s0
	s_cbranch_execz .LBB677_31
; %bb.28:
	s_waitcnt lgkmcnt(2)
	v_add_f64 v[10:11], v[10:11], v[14:15]
	v_mov_b32_e32 v12, 0
	v_mov_b32_e32 v13, 0x7ff80000
	s_mov_b32 s2, exec_lo
	v_cmpx_neq_f64_e32 0, v[10:11]
	s_cbranch_execz .LBB677_30
; %bb.29:
	v_div_scale_f64 v[12:13], null, v[10:11], v[10:11], v[0:1]
	v_rcp_f64_e32 v[14:15], v[12:13]
	v_fma_f64 v[16:17], -v[12:13], v[14:15], 1.0
	v_fma_f64 v[14:15], v[14:15], v[16:17], v[14:15]
	v_fma_f64 v[16:17], -v[12:13], v[14:15], 1.0
	v_fma_f64 v[14:15], v[14:15], v[16:17], v[14:15]
	v_div_scale_f64 v[16:17], vcc_lo, v[0:1], v[10:11], v[0:1]
	v_mul_f64 v[18:19], v[16:17], v[14:15]
	v_fma_f64 v[12:13], -v[12:13], v[18:19], v[16:17]
	v_div_fmas_f64 v[12:13], v[12:13], v[14:15], v[18:19]
	v_div_fixup_f64 v[12:13], v[12:13], v[10:11], v[0:1]
.LBB677_30:
	s_or_b32 exec_lo, exec_lo, s2
	global_store_dwordx2 v[4:5], v[12:13], off
.LBB677_31:
	s_or_b32 exec_lo, exec_lo, s1
	v_cmp_ne_u32_e32 vcc_lo, 1, v23
	s_and_b32 s0, vcc_lo, s0
	s_and_b32 exec_lo, exec_lo, s0
	s_cbranch_execz .LBB677_35
; %bb.32:
	s_waitcnt lgkmcnt(0)
	v_add_f64 v[0:1], v[6:7], v[8:9]
	v_mov_b32_e32 v6, 0
	v_mov_b32_e32 v7, 0x7ff80000
	s_mov_b32 s0, exec_lo
	v_cmpx_neq_f64_e32 0, v[0:1]
	s_cbranch_execz .LBB677_34
; %bb.33:
	v_div_scale_f64 v[6:7], null, v[0:1], v[0:1], v[2:3]
	v_rcp_f64_e32 v[8:9], v[6:7]
	v_fma_f64 v[10:11], -v[6:7], v[8:9], 1.0
	v_fma_f64 v[8:9], v[8:9], v[10:11], v[8:9]
	v_fma_f64 v[10:11], -v[6:7], v[8:9], 1.0
	v_fma_f64 v[8:9], v[8:9], v[10:11], v[8:9]
	v_div_scale_f64 v[10:11], vcc_lo, v[2:3], v[0:1], v[2:3]
	v_mul_f64 v[12:13], v[10:11], v[8:9]
	v_fma_f64 v[6:7], -v[6:7], v[12:13], v[10:11]
	v_div_fmas_f64 v[6:7], v[6:7], v[8:9], v[12:13]
	v_div_fixup_f64 v[6:7], v[6:7], v[0:1], v[2:3]
.LBB677_34:
	s_or_b32 exec_lo, exec_lo, s0
	s_mov_b32 s11, 0
	s_lshl_b64 s[0:1], s[10:11], 3
	v_add_co_u32 v0, vcc_lo, v4, s0
	v_add_co_ci_u32_e64 v1, null, s1, v5, vcc_lo
	global_store_dwordx2 v[0:1], v[6:7], off
.LBB677_35:
	s_endpgm
	.section	.rodata,"a",@progbits
	.p2align	6, 0x0
	.amdhsa_kernel _ZN12_GLOBAL__N_120softmax_warp_forwardIdddLi2ELb0ELb1ELi32EEEvPT0_PKT_iiiPKbib
		.amdhsa_group_segment_fixed_size 0
		.amdhsa_private_segment_fixed_size 0
		.amdhsa_kernarg_size 304
		.amdhsa_user_sgpr_count 6
		.amdhsa_user_sgpr_private_segment_buffer 1
		.amdhsa_user_sgpr_dispatch_ptr 0
		.amdhsa_user_sgpr_queue_ptr 0
		.amdhsa_user_sgpr_kernarg_segment_ptr 1
		.amdhsa_user_sgpr_dispatch_id 0
		.amdhsa_user_sgpr_flat_scratch_init 0
		.amdhsa_user_sgpr_private_segment_size 0
		.amdhsa_wavefront_size32 1
		.amdhsa_uses_dynamic_stack 0
		.amdhsa_system_sgpr_private_segment_wavefront_offset 0
		.amdhsa_system_sgpr_workgroup_id_x 1
		.amdhsa_system_sgpr_workgroup_id_y 0
		.amdhsa_system_sgpr_workgroup_id_z 0
		.amdhsa_system_sgpr_workgroup_info 0
		.amdhsa_system_vgpr_workitem_id 1
		.amdhsa_next_free_vgpr 28
		.amdhsa_next_free_sgpr 16
		.amdhsa_reserve_vcc 1
		.amdhsa_reserve_flat_scratch 0
		.amdhsa_float_round_mode_32 0
		.amdhsa_float_round_mode_16_64 0
		.amdhsa_float_denorm_mode_32 3
		.amdhsa_float_denorm_mode_16_64 3
		.amdhsa_dx10_clamp 1
		.amdhsa_ieee_mode 1
		.amdhsa_fp16_overflow 0
		.amdhsa_workgroup_processor_mode 1
		.amdhsa_memory_ordered 1
		.amdhsa_forward_progress 1
		.amdhsa_shared_vgpr_count 0
		.amdhsa_exception_fp_ieee_invalid_op 0
		.amdhsa_exception_fp_denorm_src 0
		.amdhsa_exception_fp_ieee_div_zero 0
		.amdhsa_exception_fp_ieee_overflow 0
		.amdhsa_exception_fp_ieee_underflow 0
		.amdhsa_exception_fp_ieee_inexact 0
		.amdhsa_exception_int_div_zero 0
	.end_amdhsa_kernel
	.section	.text._ZN12_GLOBAL__N_120softmax_warp_forwardIdddLi2ELb0ELb1ELi32EEEvPT0_PKT_iiiPKbib,"axG",@progbits,_ZN12_GLOBAL__N_120softmax_warp_forwardIdddLi2ELb0ELb1ELi32EEEvPT0_PKT_iiiPKbib,comdat
.Lfunc_end677:
	.size	_ZN12_GLOBAL__N_120softmax_warp_forwardIdddLi2ELb0ELb1ELi32EEEvPT0_PKT_iiiPKbib, .Lfunc_end677-_ZN12_GLOBAL__N_120softmax_warp_forwardIdddLi2ELb0ELb1ELi32EEEvPT0_PKT_iiiPKbib
                                        ; -- End function
	.set _ZN12_GLOBAL__N_120softmax_warp_forwardIdddLi2ELb0ELb1ELi32EEEvPT0_PKT_iiiPKbib.num_vgpr, 28
	.set _ZN12_GLOBAL__N_120softmax_warp_forwardIdddLi2ELb0ELb1ELi32EEEvPT0_PKT_iiiPKbib.num_agpr, 0
	.set _ZN12_GLOBAL__N_120softmax_warp_forwardIdddLi2ELb0ELb1ELi32EEEvPT0_PKT_iiiPKbib.numbered_sgpr, 16
	.set _ZN12_GLOBAL__N_120softmax_warp_forwardIdddLi2ELb0ELb1ELi32EEEvPT0_PKT_iiiPKbib.num_named_barrier, 0
	.set _ZN12_GLOBAL__N_120softmax_warp_forwardIdddLi2ELb0ELb1ELi32EEEvPT0_PKT_iiiPKbib.private_seg_size, 0
	.set _ZN12_GLOBAL__N_120softmax_warp_forwardIdddLi2ELb0ELb1ELi32EEEvPT0_PKT_iiiPKbib.uses_vcc, 1
	.set _ZN12_GLOBAL__N_120softmax_warp_forwardIdddLi2ELb0ELb1ELi32EEEvPT0_PKT_iiiPKbib.uses_flat_scratch, 0
	.set _ZN12_GLOBAL__N_120softmax_warp_forwardIdddLi2ELb0ELb1ELi32EEEvPT0_PKT_iiiPKbib.has_dyn_sized_stack, 0
	.set _ZN12_GLOBAL__N_120softmax_warp_forwardIdddLi2ELb0ELb1ELi32EEEvPT0_PKT_iiiPKbib.has_recursion, 0
	.set _ZN12_GLOBAL__N_120softmax_warp_forwardIdddLi2ELb0ELb1ELi32EEEvPT0_PKT_iiiPKbib.has_indirect_call, 0
	.section	.AMDGPU.csdata,"",@progbits
; Kernel info:
; codeLenInByte = 2472
; TotalNumSgprs: 18
; NumVgprs: 28
; ScratchSize: 0
; MemoryBound: 1
; FloatMode: 240
; IeeeMode: 1
; LDSByteSize: 0 bytes/workgroup (compile time only)
; SGPRBlocks: 0
; VGPRBlocks: 3
; NumSGPRsForWavesPerEU: 18
; NumVGPRsForWavesPerEU: 28
; Occupancy: 16
; WaveLimiterHint : 0
; COMPUTE_PGM_RSRC2:SCRATCH_EN: 0
; COMPUTE_PGM_RSRC2:USER_SGPR: 6
; COMPUTE_PGM_RSRC2:TRAP_HANDLER: 0
; COMPUTE_PGM_RSRC2:TGID_X_EN: 1
; COMPUTE_PGM_RSRC2:TGID_Y_EN: 0
; COMPUTE_PGM_RSRC2:TGID_Z_EN: 0
; COMPUTE_PGM_RSRC2:TIDIG_COMP_CNT: 1
	.section	.text._ZN12_GLOBAL__N_120softmax_warp_forwardIdddLi3ELb0ELb1ELi64EEEvPT0_PKT_iiiPKbib,"axG",@progbits,_ZN12_GLOBAL__N_120softmax_warp_forwardIdddLi3ELb0ELb1ELi64EEEvPT0_PKT_iiiPKbib,comdat
	.globl	_ZN12_GLOBAL__N_120softmax_warp_forwardIdddLi3ELb0ELb1ELi64EEEvPT0_PKT_iiiPKbib ; -- Begin function _ZN12_GLOBAL__N_120softmax_warp_forwardIdddLi3ELb0ELb1ELi64EEEvPT0_PKT_iiiPKbib
	.p2align	8
	.type	_ZN12_GLOBAL__N_120softmax_warp_forwardIdddLi3ELb0ELb1ELi64EEEvPT0_PKT_iiiPKbib,@function
_ZN12_GLOBAL__N_120softmax_warp_forwardIdddLi3ELb0ELb1ELi64EEEvPT0_PKT_iiiPKbib: ; @_ZN12_GLOBAL__N_120softmax_warp_forwardIdddLi3ELb0ELb1ELi64EEEvPT0_PKT_iiiPKbib
; %bb.0:
	s_clause 0x2
	s_load_dwordx2 s[0:1], s[4:5], 0x28
	s_load_dword s2, s[4:5], 0x3c
	s_load_dwordx4 s[8:11], s[4:5], 0x10
	s_waitcnt lgkmcnt(0)
	s_bitcmp1_b32 s1, 0
	s_cselect_b32 s7, -1, 0
	s_lshr_b32 s2, s2, 16
	s_and_b32 s2, s2, 0xffff
	s_bitcmp0_b32 s1, 0
	s_mul_i32 s6, s6, s2
	v_add_lshl_u32 v3, s6, v1, 1
	v_mul_lo_u32 v4, v3, s9
	v_add_nc_u32_e32 v1, v4, v0
	v_ashrrev_i32_e32 v2, 31, v1
	v_mov_b32_e32 v7, v2
	v_mov_b32_e32 v6, v1
	s_cbranch_scc1 .LBB678_2
; %bb.1:
	s_abs_i32 s1, s0
	v_sub_nc_u32_e32 v7, 0, v4
	v_cvt_f32_u32_e32 v5, s1
	s_sub_i32 s2, 0, s1
	v_max_i32_e32 v7, v4, v7
	v_rcp_iflag_f32_e32 v5, v5
	v_xor_b32_e32 v4, s0, v4
	v_ashrrev_i32_e32 v4, 31, v4
	v_mul_f32_e32 v5, 0x4f7ffffe, v5
	v_cvt_u32_f32_e32 v5, v5
	v_mul_lo_u32 v6, s2, v5
	v_mul_hi_u32 v6, v5, v6
	v_add_nc_u32_e32 v5, v5, v6
	v_mul_hi_u32 v5, v7, v5
	v_mul_lo_u32 v6, v5, s1
	v_sub_nc_u32_e32 v6, v7, v6
	v_add_nc_u32_e32 v7, 1, v5
	v_subrev_nc_u32_e32 v8, s1, v6
	v_cmp_le_u32_e32 vcc_lo, s1, v6
	v_cndmask_b32_e32 v5, v5, v7, vcc_lo
	v_cndmask_b32_e32 v6, v6, v8, vcc_lo
	v_add_nc_u32_e32 v7, 1, v5
	v_cmp_le_u32_e32 vcc_lo, s1, v6
	v_cndmask_b32_e32 v5, v5, v7, vcc_lo
	v_xor_b32_e32 v5, v5, v4
	v_sub_nc_u32_e32 v4, v5, v4
	v_mad_u64_u32 v[6:7], null, v4, s9, v[0:1]
	v_ashrrev_i32_e32 v7, 31, v6
.LBB678_2:
	s_load_dwordx4 s[12:15], s[4:5], 0x0
	v_lshlrev_b64 v[12:13], 3, v[1:2]
	v_sub_nc_u32_e32 v23, s8, v3
	v_cmp_gt_i32_e64 s0, s10, v0
	v_mov_b32_e32 v2, 0
	v_mov_b32_e32 v0, 0
	;; [unrolled: 1-line block ×3, first 2 shown]
	v_cmp_lt_i32_e32 vcc_lo, 0, v23
	v_mov_b32_e32 v1, 0xfff00000
	s_and_b32 s2, s0, vcc_lo
	s_waitcnt lgkmcnt(0)
	v_add_co_u32 v4, s1, s14, v12
	v_add_co_ci_u32_e64 v5, null, s15, v13, s1
	s_and_saveexec_b32 s1, s2
	s_cbranch_execz .LBB678_4
; %bb.3:
	global_load_dwordx2 v[0:1], v[4:5], off
.LBB678_4:
	s_or_b32 exec_lo, exec_lo, s1
	v_cmp_lt_i32_e64 s1, 1, v23
	s_and_b32 s6, s0, s1
	s_and_saveexec_b32 s3, s6
	s_cbranch_execz .LBB678_6
; %bb.5:
	s_mov_b32 s11, 0
	s_lshl_b64 s[8:9], s[10:11], 3
	v_add_co_u32 v2, s1, v4, s8
	v_add_co_ci_u32_e64 v3, null, s9, v5, s1
	global_load_dwordx2 v[2:3], v[2:3], off
.LBB678_6:
	s_or_b32 exec_lo, exec_lo, s3
	s_load_dwordx2 s[4:5], s[4:5], 0x20
	v_mov_b32_e32 v4, 0
	v_mov_b32_e32 v5, 0xfff00000
	s_waitcnt lgkmcnt(0)
	v_add_co_u32 v14, s1, s4, v6
	v_add_co_ci_u32_e64 v15, null, s5, v7, s1
	s_and_saveexec_b32 s3, s2
	s_cbranch_execz .LBB678_8
; %bb.7:
	global_load_ubyte v4, v[14:15], off
	s_waitcnt vmcnt(0)
	v_and_b32_e32 v4, 1, v4
	v_cmp_eq_u32_e64 s1, 1, v4
	v_cndmask_b32_e64 v5, v1, 0xfff00000, s1
	v_cndmask_b32_e64 v4, v0, 0, s1
.LBB678_8:
	s_or_b32 exec_lo, exec_lo, s3
	s_xor_b32 s4, s2, -1
	s_mov_b32 s3, 0
	s_and_saveexec_b32 s2, s6
	s_cbranch_execz .LBB678_12
; %bb.9:
	s_and_b32 s1, s7, exec_lo
	s_cselect_b32 s1, 0, s10
	s_cselect_b32 s3, 0, 0
	v_add_co_u32 v6, s1, v14, s1
	v_add_co_ci_u32_e64 v7, null, s3, v15, s1
	s_mov_b32 s3, 0
	global_load_ubyte v6, v[6:7], off
	s_waitcnt vmcnt(0)
	v_and_b32_e32 v6, 1, v6
	v_cmp_eq_u32_e64 s1, 1, v6
	s_xor_b32 s5, s1, -1
	s_and_saveexec_b32 s1, s5
; %bb.10:
	s_mov_b32 s3, exec_lo
; %bb.11:
	s_or_b32 exec_lo, exec_lo, s1
	s_and_b32 s3, s3, exec_lo
.LBB678_12:
	s_or_b32 exec_lo, exec_lo, s2
	v_mbcnt_lo_u32_b32 v16, -1, 0
	v_and_b32_e32 v6, 24, v16
	v_xor_b32_e32 v7, 4, v16
	v_xor_b32_e32 v18, 2, v16
	v_add_nc_u32_e32 v17, 8, v6
	v_cmp_lt_i32_e64 s1, v7, v17
	v_cndmask_b32_e64 v6, v16, v7, s1
	s_waitcnt vmcnt(0)
	v_cndmask_b32_e64 v7, 0xfff00000, v3, s3
	v_lshlrev_b32_e32 v24, 2, v6
	v_cndmask_b32_e64 v6, 0, v2, s3
	v_cmp_lt_i32_e64 s3, v18, v17
	ds_bpermute_b32 v8, v24, v4
	ds_bpermute_b32 v9, v24, v5
	ds_bpermute_b32 v10, v24, v6
	ds_bpermute_b32 v11, v24, v7
	v_cndmask_b32_e64 v18, v16, v18, s3
	v_lshlrev_b32_e32 v25, 2, v18
	v_xor_b32_e32 v18, 1, v16
	v_cmp_lt_i32_e64 s3, v18, v17
	v_cndmask_b32_e64 v16, v16, v18, s3
	s_waitcnt lgkmcnt(2)
	v_cmp_lt_f64_e64 s1, v[4:5], v[8:9]
	s_waitcnt lgkmcnt(0)
	v_cmp_lt_f64_e64 s2, v[6:7], v[10:11]
	v_lshlrev_b32_e32 v26, 2, v16
	v_cndmask_b32_e64 v5, v5, v9, s1
	v_cndmask_b32_e64 v4, v4, v8, s1
	;; [unrolled: 1-line block ×4, first 2 shown]
	ds_bpermute_b32 v9, v25, v5
	ds_bpermute_b32 v8, v25, v4
	;; [unrolled: 1-line block ×4, first 2 shown]
	s_waitcnt lgkmcnt(2)
	v_cmp_lt_f64_e64 s1, v[4:5], v[8:9]
	s_waitcnt lgkmcnt(0)
	v_cmp_lt_f64_e64 s2, v[6:7], v[10:11]
	v_cndmask_b32_e64 v20, v5, v9, s1
	v_cndmask_b32_e64 v19, v4, v8, s1
	;; [unrolled: 1-line block ×4, first 2 shown]
                                        ; implicit-def: $vgpr8_vgpr9_vgpr10_vgpr11
	ds_bpermute_b32 v28, v26, v20
	ds_bpermute_b32 v21, v26, v19
	;; [unrolled: 1-line block ×4, first 2 shown]
	s_and_saveexec_b32 s1, s4
	s_xor_b32 s1, exec_lo, s1
; %bb.13:
	s_mov_b32 s2, 0
                                        ; implicit-def: $vgpr19
                                        ; implicit-def: $vgpr28
                                        ; implicit-def: $vgpr21
	v_mov_b32_e32 v0, s2
	v_mov_b32_e32 v1, s2
	;; [unrolled: 1-line block ×6, first 2 shown]
                                        ; implicit-def: $vgpr0_vgpr1_vgpr2_vgpr3
; %bb.14:
	s_or_saveexec_b32 s3, s1
	v_mov_b32_e32 v4, 0
	s_xor_b32 s4, s6, -1
	s_mov_b32 s2, 0
	v_mov_b32_e32 v5, v4
	v_mov_b32_e32 v6, v4
	;; [unrolled: 1-line block ×3, first 2 shown]
	s_xor_b32 exec_lo, exec_lo, s3
	s_cbranch_execz .LBB678_20
; %bb.15:
	global_load_ubyte v4, v[14:15], off
	v_mov_b32_e32 v11, v3
	v_mov_b32_e32 v9, v1
	;; [unrolled: 1-line block ×6, first 2 shown]
	s_waitcnt vmcnt(0)
	v_and_b32_e32 v4, 1, v4
	v_cmp_eq_u32_e64 s1, 1, v4
                                        ; implicit-def: $vgpr4_vgpr5_vgpr6_vgpr7
	s_xor_b32 s1, s1, -1
	s_and_saveexec_b32 s2, s1
	s_xor_b32 s5, exec_lo, s2
	s_cbranch_execz .LBB678_17
; %bb.16:
	s_waitcnt lgkmcnt(3)
	v_mov_b32_e32 v22, v28
	s_mov_b32 s8, 0x652b82fe
	s_mov_b32 s9, 0x3ff71547
	;; [unrolled: 1-line block ×4, first 2 shown]
	s_waitcnt lgkmcnt(2)
	v_cmp_lt_f64_e64 s1, v[19:20], v[21:22]
	v_cndmask_b32_e64 v5, v20, v28, s1
	v_cndmask_b32_e64 v4, v19, v21, s1
	v_add_f64 v[0:1], v[0:1], -v[4:5]
	v_mul_f64 v[4:5], v[0:1], s[8:9]
	s_mov_b32 s8, 0xfefa39ef
	s_mov_b32 s9, 0xbfe62e42
	v_cmp_nlt_f64_e64 s1, 0x40900000, v[0:1]
	v_cmp_ngt_f64_e64 s2, 0xc090cc00, v[0:1]
	v_rndne_f64_e32 v[4:5], v[4:5]
	v_fma_f64 v[6:7], v[4:5], s[8:9], v[0:1]
	s_mov_b32 s8, 0x3b39803f
	s_mov_b32 s9, 0xbc7abc9e
	v_cvt_i32_f64_e32 v10, v[4:5]
	v_fma_f64 v[6:7], v[4:5], s[8:9], v[6:7]
	s_mov_b32 s8, 0xfca7ab0c
	s_mov_b32 s9, 0x3e928af3
	v_fma_f64 v[8:9], v[6:7], s[14:15], s[8:9]
	s_mov_b32 s8, 0x623fde64
	s_mov_b32 s9, 0x3ec71dee
	;; [unrolled: 3-line block ×9, first 2 shown]
	v_fma_f64 v[8:9], v[6:7], v[8:9], s[8:9]
	v_fma_f64 v[8:9], v[6:7], v[8:9], 1.0
	v_fma_f64 v[4:5], v[6:7], v[8:9], 1.0
	v_mov_b32_e32 v6, 0
	v_mov_b32_e32 v7, v6
	v_ldexp_f64 v[4:5], v[4:5], v10
	v_cndmask_b32_e64 v5, 0x7ff00000, v5, s1
	s_and_b32 s1, s2, s1
	v_cndmask_b32_e64 v0, 0, v4, s1
	v_cndmask_b32_e64 v1, 0, v5, s2
	v_mov_b32_e32 v11, v3
	v_mov_b32_e32 v10, v2
	;; [unrolled: 1-line block ×3, first 2 shown]
	v_add_f64 v[4:5], v[0:1], 0
	v_mov_b32_e32 v9, v1
.LBB678_17:
	s_andn2_saveexec_b32 s1, s5
; %bb.18:
	v_mov_b32_e32 v4, 0
	v_mov_b32_e32 v5, v4
	;; [unrolled: 1-line block ×4, first 2 shown]
; %bb.19:
	s_or_b32 exec_lo, exec_lo, s1
.LBB678_20:
	s_or_b32 exec_lo, exec_lo, s3
                                        ; implicit-def: $vgpr0_vgpr1_vgpr2_vgpr3
	s_and_saveexec_b32 s1, s4
	s_xor_b32 s1, exec_lo, s1
	s_cbranch_execz .LBB678_22
; %bb.21:
	s_mov_b32 s2, 0
                                        ; implicit-def: $vgpr14
                                        ; implicit-def: $vgpr16
                                        ; implicit-def: $vgpr27
                                        ; implicit-def: $vgpr18
	v_mov_b32_e32 v10, s2
	v_mov_b32_e32 v11, s2
	;; [unrolled: 1-line block ×6, first 2 shown]
                                        ; implicit-def: $vgpr8_vgpr9_vgpr10_vgpr11
	s_andn2_saveexec_b32 s3, s1
	s_cbranch_execz .LBB678_26
	s_branch .LBB678_23
.LBB678_22:
	s_andn2_saveexec_b32 s3, s1
	s_cbranch_execz .LBB678_26
.LBB678_23:
	s_and_b32 s1, s7, exec_lo
	s_cselect_b32 s1, 0, s10
	s_cselect_b32 s2, 0, 0
	v_add_co_u32 v0, s1, v14, s1
	v_add_co_ci_u32_e64 v1, null, s2, v15, s1
	s_mov_b32 s2, 0
	global_load_ubyte v0, v[0:1], off
	s_waitcnt vmcnt(0)
	v_and_b32_e32 v0, 1, v0
	v_cmp_eq_u32_e64 s1, 1, v0
	v_mov_b32_e32 v0, v8
	v_mov_b32_e32 v2, v10
	;; [unrolled: 1-line block ×6, first 2 shown]
	s_xor_b32 s1, s1, -1
	s_and_saveexec_b32 s2, s1
	s_xor_b32 s4, exec_lo, s2
	s_cbranch_execz .LBB678_25
; %bb.24:
	s_waitcnt lgkmcnt(1)
	v_mov_b32_e32 v19, v27
	s_mov_b32 s6, 0x652b82fe
	s_mov_b32 s7, 0x3ff71547
	s_mov_b32 s8, 0x6a5dcb37
	s_mov_b32 s9, 0x3e5ade15
	s_waitcnt lgkmcnt(0)
	v_cmp_lt_f64_e64 s1, v[16:17], v[18:19]
	v_cndmask_b32_e64 v1, v17, v27, s1
	v_cndmask_b32_e64 v0, v16, v18, s1
	v_add_f64 v[0:1], v[10:11], -v[0:1]
	v_mul_f64 v[2:3], v[0:1], s[6:7]
	s_mov_b32 s6, 0xfefa39ef
	s_mov_b32 s7, 0xbfe62e42
	v_cmp_nlt_f64_e64 s1, 0x40900000, v[0:1]
	v_cmp_ngt_f64_e64 s2, 0xc090cc00, v[0:1]
	v_rndne_f64_e32 v[2:3], v[2:3]
	v_fma_f64 v[10:11], v[2:3], s[6:7], v[0:1]
	s_mov_b32 s6, 0x3b39803f
	s_mov_b32 s7, 0xbc7abc9e
	v_cvt_i32_f64_e32 v16, v[2:3]
	v_fma_f64 v[10:11], v[2:3], s[6:7], v[10:11]
	s_mov_b32 s6, 0xfca7ab0c
	s_mov_b32 s7, 0x3e928af3
	v_fma_f64 v[14:15], v[10:11], s[8:9], s[6:7]
	s_mov_b32 s6, 0x623fde64
	s_mov_b32 s7, 0x3ec71dee
	v_fma_f64 v[14:15], v[10:11], v[14:15], s[6:7]
	s_mov_b32 s6, 0x7c89e6b0
	s_mov_b32 s7, 0x3efa0199
	v_fma_f64 v[14:15], v[10:11], v[14:15], s[6:7]
	s_mov_b32 s6, 0x14761f6e
	s_mov_b32 s7, 0x3f2a01a0
	v_fma_f64 v[14:15], v[10:11], v[14:15], s[6:7]
	s_mov_b32 s6, 0x1852b7b0
	s_mov_b32 s7, 0x3f56c16c
	v_fma_f64 v[14:15], v[10:11], v[14:15], s[6:7]
	s_mov_b32 s6, 0x11122322
	s_mov_b32 s7, 0x3f811111
	v_fma_f64 v[14:15], v[10:11], v[14:15], s[6:7]
	s_mov_b32 s6, 0x555502a1
	s_mov_b32 s7, 0x3fa55555
	v_fma_f64 v[14:15], v[10:11], v[14:15], s[6:7]
	s_mov_b32 s6, 0x55555511
	s_mov_b32 s7, 0x3fc55555
	v_fma_f64 v[14:15], v[10:11], v[14:15], s[6:7]
	s_mov_b32 s6, 11
	s_mov_b32 s7, 0x3fe00000
	v_fma_f64 v[14:15], v[10:11], v[14:15], s[6:7]
	v_fma_f64 v[14:15], v[10:11], v[14:15], 1.0
	v_fma_f64 v[2:3], v[10:11], v[14:15], 1.0
	v_ldexp_f64 v[2:3], v[2:3], v16
	v_cndmask_b32_e64 v3, 0x7ff00000, v3, s1
	s_and_b32 s1, s2, s1
	v_cndmask_b32_e64 v10, 0, v2, s1
	v_cndmask_b32_e64 v11, 0, v3, s2
	v_mov_b32_e32 v0, v8
	v_mov_b32_e32 v1, v9
	;; [unrolled: 1-line block ×3, first 2 shown]
	v_add_f64 v[6:7], v[6:7], v[10:11]
	v_mov_b32_e32 v3, v11
.LBB678_25:
	s_andn2_saveexec_b32 s1, s4
	s_or_b32 exec_lo, exec_lo, s1
.LBB678_26:
	s_or_b32 exec_lo, exec_lo, s3
	ds_bpermute_b32 v8, v24, v4
	ds_bpermute_b32 v9, v24, v5
	;; [unrolled: 1-line block ×4, first 2 shown]
	s_waitcnt lgkmcnt(2)
	v_add_f64 v[4:5], v[4:5], v[8:9]
	s_waitcnt lgkmcnt(0)
	v_add_f64 v[6:7], v[6:7], v[10:11]
	ds_bpermute_b32 v8, v25, v4
	ds_bpermute_b32 v9, v25, v5
	;; [unrolled: 1-line block ×4, first 2 shown]
	s_waitcnt lgkmcnt(2)
	v_add_f64 v[10:11], v[4:5], v[8:9]
	s_waitcnt lgkmcnt(0)
	v_add_f64 v[6:7], v[6:7], v[14:15]
	ds_bpermute_b32 v14, v26, v10
	ds_bpermute_b32 v15, v26, v11
	;; [unrolled: 1-line block ×4, first 2 shown]
	s_and_saveexec_b32 s1, vcc_lo
	s_cbranch_execz .LBB678_35
; %bb.27:
	v_add_co_u32 v4, vcc_lo, s12, v12
	v_add_co_ci_u32_e64 v5, null, s13, v13, vcc_lo
	s_and_saveexec_b32 s1, s0
	s_cbranch_execz .LBB678_31
; %bb.28:
	s_waitcnt lgkmcnt(2)
	v_add_f64 v[10:11], v[10:11], v[14:15]
	v_mov_b32_e32 v12, 0
	v_mov_b32_e32 v13, 0x7ff80000
	s_mov_b32 s2, exec_lo
	v_cmpx_neq_f64_e32 0, v[10:11]
	s_cbranch_execz .LBB678_30
; %bb.29:
	v_div_scale_f64 v[12:13], null, v[10:11], v[10:11], v[0:1]
	v_rcp_f64_e32 v[14:15], v[12:13]
	v_fma_f64 v[16:17], -v[12:13], v[14:15], 1.0
	v_fma_f64 v[14:15], v[14:15], v[16:17], v[14:15]
	v_fma_f64 v[16:17], -v[12:13], v[14:15], 1.0
	v_fma_f64 v[14:15], v[14:15], v[16:17], v[14:15]
	v_div_scale_f64 v[16:17], vcc_lo, v[0:1], v[10:11], v[0:1]
	v_mul_f64 v[18:19], v[16:17], v[14:15]
	v_fma_f64 v[12:13], -v[12:13], v[18:19], v[16:17]
	v_div_fmas_f64 v[12:13], v[12:13], v[14:15], v[18:19]
	v_div_fixup_f64 v[12:13], v[12:13], v[10:11], v[0:1]
.LBB678_30:
	s_or_b32 exec_lo, exec_lo, s2
	global_store_dwordx2 v[4:5], v[12:13], off
.LBB678_31:
	s_or_b32 exec_lo, exec_lo, s1
	v_cmp_ne_u32_e32 vcc_lo, 1, v23
	s_and_b32 s0, vcc_lo, s0
	s_and_b32 exec_lo, exec_lo, s0
	s_cbranch_execz .LBB678_35
; %bb.32:
	s_waitcnt lgkmcnt(0)
	v_add_f64 v[0:1], v[6:7], v[8:9]
	v_mov_b32_e32 v6, 0
	v_mov_b32_e32 v7, 0x7ff80000
	s_mov_b32 s0, exec_lo
	v_cmpx_neq_f64_e32 0, v[0:1]
	s_cbranch_execz .LBB678_34
; %bb.33:
	v_div_scale_f64 v[6:7], null, v[0:1], v[0:1], v[2:3]
	v_rcp_f64_e32 v[8:9], v[6:7]
	v_fma_f64 v[10:11], -v[6:7], v[8:9], 1.0
	v_fma_f64 v[8:9], v[8:9], v[10:11], v[8:9]
	v_fma_f64 v[10:11], -v[6:7], v[8:9], 1.0
	v_fma_f64 v[8:9], v[8:9], v[10:11], v[8:9]
	v_div_scale_f64 v[10:11], vcc_lo, v[2:3], v[0:1], v[2:3]
	v_mul_f64 v[12:13], v[10:11], v[8:9]
	v_fma_f64 v[6:7], -v[6:7], v[12:13], v[10:11]
	v_div_fmas_f64 v[6:7], v[6:7], v[8:9], v[12:13]
	v_div_fixup_f64 v[6:7], v[6:7], v[0:1], v[2:3]
.LBB678_34:
	s_or_b32 exec_lo, exec_lo, s0
	s_mov_b32 s11, 0
	s_lshl_b64 s[0:1], s[10:11], 3
	v_add_co_u32 v0, vcc_lo, v4, s0
	v_add_co_ci_u32_e64 v1, null, s1, v5, vcc_lo
	global_store_dwordx2 v[0:1], v[6:7], off
.LBB678_35:
	s_endpgm
	.section	.rodata,"a",@progbits
	.p2align	6, 0x0
	.amdhsa_kernel _ZN12_GLOBAL__N_120softmax_warp_forwardIdddLi3ELb0ELb1ELi64EEEvPT0_PKT_iiiPKbib
		.amdhsa_group_segment_fixed_size 0
		.amdhsa_private_segment_fixed_size 0
		.amdhsa_kernarg_size 304
		.amdhsa_user_sgpr_count 6
		.amdhsa_user_sgpr_private_segment_buffer 1
		.amdhsa_user_sgpr_dispatch_ptr 0
		.amdhsa_user_sgpr_queue_ptr 0
		.amdhsa_user_sgpr_kernarg_segment_ptr 1
		.amdhsa_user_sgpr_dispatch_id 0
		.amdhsa_user_sgpr_flat_scratch_init 0
		.amdhsa_user_sgpr_private_segment_size 0
		.amdhsa_wavefront_size32 1
		.amdhsa_uses_dynamic_stack 0
		.amdhsa_system_sgpr_private_segment_wavefront_offset 0
		.amdhsa_system_sgpr_workgroup_id_x 1
		.amdhsa_system_sgpr_workgroup_id_y 0
		.amdhsa_system_sgpr_workgroup_id_z 0
		.amdhsa_system_sgpr_workgroup_info 0
		.amdhsa_system_vgpr_workitem_id 1
		.amdhsa_next_free_vgpr 29
		.amdhsa_next_free_sgpr 16
		.amdhsa_reserve_vcc 1
		.amdhsa_reserve_flat_scratch 0
		.amdhsa_float_round_mode_32 0
		.amdhsa_float_round_mode_16_64 0
		.amdhsa_float_denorm_mode_32 3
		.amdhsa_float_denorm_mode_16_64 3
		.amdhsa_dx10_clamp 1
		.amdhsa_ieee_mode 1
		.amdhsa_fp16_overflow 0
		.amdhsa_workgroup_processor_mode 1
		.amdhsa_memory_ordered 1
		.amdhsa_forward_progress 1
		.amdhsa_shared_vgpr_count 0
		.amdhsa_exception_fp_ieee_invalid_op 0
		.amdhsa_exception_fp_denorm_src 0
		.amdhsa_exception_fp_ieee_div_zero 0
		.amdhsa_exception_fp_ieee_overflow 0
		.amdhsa_exception_fp_ieee_underflow 0
		.amdhsa_exception_fp_ieee_inexact 0
		.amdhsa_exception_int_div_zero 0
	.end_amdhsa_kernel
	.section	.text._ZN12_GLOBAL__N_120softmax_warp_forwardIdddLi3ELb0ELb1ELi64EEEvPT0_PKT_iiiPKbib,"axG",@progbits,_ZN12_GLOBAL__N_120softmax_warp_forwardIdddLi3ELb0ELb1ELi64EEEvPT0_PKT_iiiPKbib,comdat
.Lfunc_end678:
	.size	_ZN12_GLOBAL__N_120softmax_warp_forwardIdddLi3ELb0ELb1ELi64EEEvPT0_PKT_iiiPKbib, .Lfunc_end678-_ZN12_GLOBAL__N_120softmax_warp_forwardIdddLi3ELb0ELb1ELi64EEEvPT0_PKT_iiiPKbib
                                        ; -- End function
	.set _ZN12_GLOBAL__N_120softmax_warp_forwardIdddLi3ELb0ELb1ELi64EEEvPT0_PKT_iiiPKbib.num_vgpr, 29
	.set _ZN12_GLOBAL__N_120softmax_warp_forwardIdddLi3ELb0ELb1ELi64EEEvPT0_PKT_iiiPKbib.num_agpr, 0
	.set _ZN12_GLOBAL__N_120softmax_warp_forwardIdddLi3ELb0ELb1ELi64EEEvPT0_PKT_iiiPKbib.numbered_sgpr, 16
	.set _ZN12_GLOBAL__N_120softmax_warp_forwardIdddLi3ELb0ELb1ELi64EEEvPT0_PKT_iiiPKbib.num_named_barrier, 0
	.set _ZN12_GLOBAL__N_120softmax_warp_forwardIdddLi3ELb0ELb1ELi64EEEvPT0_PKT_iiiPKbib.private_seg_size, 0
	.set _ZN12_GLOBAL__N_120softmax_warp_forwardIdddLi3ELb0ELb1ELi64EEEvPT0_PKT_iiiPKbib.uses_vcc, 1
	.set _ZN12_GLOBAL__N_120softmax_warp_forwardIdddLi3ELb0ELb1ELi64EEEvPT0_PKT_iiiPKbib.uses_flat_scratch, 0
	.set _ZN12_GLOBAL__N_120softmax_warp_forwardIdddLi3ELb0ELb1ELi64EEEvPT0_PKT_iiiPKbib.has_dyn_sized_stack, 0
	.set _ZN12_GLOBAL__N_120softmax_warp_forwardIdddLi3ELb0ELb1ELi64EEEvPT0_PKT_iiiPKbib.has_recursion, 0
	.set _ZN12_GLOBAL__N_120softmax_warp_forwardIdddLi3ELb0ELb1ELi64EEEvPT0_PKT_iiiPKbib.has_indirect_call, 0
	.section	.AMDGPU.csdata,"",@progbits
; Kernel info:
; codeLenInByte = 2640
; TotalNumSgprs: 18
; NumVgprs: 29
; ScratchSize: 0
; MemoryBound: 1
; FloatMode: 240
; IeeeMode: 1
; LDSByteSize: 0 bytes/workgroup (compile time only)
; SGPRBlocks: 0
; VGPRBlocks: 3
; NumSGPRsForWavesPerEU: 18
; NumVGPRsForWavesPerEU: 29
; Occupancy: 16
; WaveLimiterHint : 0
; COMPUTE_PGM_RSRC2:SCRATCH_EN: 0
; COMPUTE_PGM_RSRC2:USER_SGPR: 6
; COMPUTE_PGM_RSRC2:TRAP_HANDLER: 0
; COMPUTE_PGM_RSRC2:TGID_X_EN: 1
; COMPUTE_PGM_RSRC2:TGID_Y_EN: 0
; COMPUTE_PGM_RSRC2:TGID_Z_EN: 0
; COMPUTE_PGM_RSRC2:TIDIG_COMP_CNT: 1
	.section	.text._ZN12_GLOBAL__N_120softmax_warp_forwardIdddLi3ELb0ELb1ELi32EEEvPT0_PKT_iiiPKbib,"axG",@progbits,_ZN12_GLOBAL__N_120softmax_warp_forwardIdddLi3ELb0ELb1ELi32EEEvPT0_PKT_iiiPKbib,comdat
	.globl	_ZN12_GLOBAL__N_120softmax_warp_forwardIdddLi3ELb0ELb1ELi32EEEvPT0_PKT_iiiPKbib ; -- Begin function _ZN12_GLOBAL__N_120softmax_warp_forwardIdddLi3ELb0ELb1ELi32EEEvPT0_PKT_iiiPKbib
	.p2align	8
	.type	_ZN12_GLOBAL__N_120softmax_warp_forwardIdddLi3ELb0ELb1ELi32EEEvPT0_PKT_iiiPKbib,@function
_ZN12_GLOBAL__N_120softmax_warp_forwardIdddLi3ELb0ELb1ELi32EEEvPT0_PKT_iiiPKbib: ; @_ZN12_GLOBAL__N_120softmax_warp_forwardIdddLi3ELb0ELb1ELi32EEEvPT0_PKT_iiiPKbib
; %bb.0:
	s_clause 0x2
	s_load_dwordx2 s[0:1], s[4:5], 0x28
	s_load_dword s2, s[4:5], 0x3c
	s_load_dwordx4 s[8:11], s[4:5], 0x10
	s_waitcnt lgkmcnt(0)
	s_bitcmp1_b32 s1, 0
	s_cselect_b32 s7, -1, 0
	s_lshr_b32 s2, s2, 16
	s_and_b32 s2, s2, 0xffff
	s_bitcmp0_b32 s1, 0
	s_mul_i32 s6, s6, s2
	v_add_lshl_u32 v3, s6, v1, 1
	v_mul_lo_u32 v4, v3, s9
	v_add_nc_u32_e32 v1, v4, v0
	v_ashrrev_i32_e32 v2, 31, v1
	v_mov_b32_e32 v7, v2
	v_mov_b32_e32 v6, v1
	s_cbranch_scc1 .LBB679_2
; %bb.1:
	s_abs_i32 s1, s0
	v_sub_nc_u32_e32 v7, 0, v4
	v_cvt_f32_u32_e32 v5, s1
	s_sub_i32 s2, 0, s1
	v_max_i32_e32 v7, v4, v7
	v_rcp_iflag_f32_e32 v5, v5
	v_xor_b32_e32 v4, s0, v4
	v_ashrrev_i32_e32 v4, 31, v4
	v_mul_f32_e32 v5, 0x4f7ffffe, v5
	v_cvt_u32_f32_e32 v5, v5
	v_mul_lo_u32 v6, s2, v5
	v_mul_hi_u32 v6, v5, v6
	v_add_nc_u32_e32 v5, v5, v6
	v_mul_hi_u32 v5, v7, v5
	v_mul_lo_u32 v6, v5, s1
	v_sub_nc_u32_e32 v6, v7, v6
	v_add_nc_u32_e32 v7, 1, v5
	v_subrev_nc_u32_e32 v8, s1, v6
	v_cmp_le_u32_e32 vcc_lo, s1, v6
	v_cndmask_b32_e32 v5, v5, v7, vcc_lo
	v_cndmask_b32_e32 v6, v6, v8, vcc_lo
	v_add_nc_u32_e32 v7, 1, v5
	v_cmp_le_u32_e32 vcc_lo, s1, v6
	v_cndmask_b32_e32 v5, v5, v7, vcc_lo
	v_xor_b32_e32 v5, v5, v4
	v_sub_nc_u32_e32 v4, v5, v4
	v_mad_u64_u32 v[6:7], null, v4, s9, v[0:1]
	v_ashrrev_i32_e32 v7, 31, v6
.LBB679_2:
	s_load_dwordx4 s[12:15], s[4:5], 0x0
	v_lshlrev_b64 v[12:13], 3, v[1:2]
	v_sub_nc_u32_e32 v23, s8, v3
	v_cmp_gt_i32_e64 s0, s10, v0
	v_mov_b32_e32 v2, 0
	v_mov_b32_e32 v0, 0
	;; [unrolled: 1-line block ×3, first 2 shown]
	v_cmp_lt_i32_e32 vcc_lo, 0, v23
	v_mov_b32_e32 v1, 0xfff00000
	s_and_b32 s2, s0, vcc_lo
	s_waitcnt lgkmcnt(0)
	v_add_co_u32 v4, s1, s14, v12
	v_add_co_ci_u32_e64 v5, null, s15, v13, s1
	s_and_saveexec_b32 s1, s2
	s_cbranch_execz .LBB679_4
; %bb.3:
	global_load_dwordx2 v[0:1], v[4:5], off
.LBB679_4:
	s_or_b32 exec_lo, exec_lo, s1
	v_cmp_lt_i32_e64 s1, 1, v23
	s_and_b32 s6, s0, s1
	s_and_saveexec_b32 s3, s6
	s_cbranch_execz .LBB679_6
; %bb.5:
	s_mov_b32 s11, 0
	s_lshl_b64 s[8:9], s[10:11], 3
	v_add_co_u32 v2, s1, v4, s8
	v_add_co_ci_u32_e64 v3, null, s9, v5, s1
	global_load_dwordx2 v[2:3], v[2:3], off
.LBB679_6:
	s_or_b32 exec_lo, exec_lo, s3
	s_load_dwordx2 s[4:5], s[4:5], 0x20
	v_mov_b32_e32 v4, 0
	v_mov_b32_e32 v5, 0xfff00000
	s_waitcnt lgkmcnt(0)
	v_add_co_u32 v14, s1, s4, v6
	v_add_co_ci_u32_e64 v15, null, s5, v7, s1
	s_and_saveexec_b32 s3, s2
	s_cbranch_execz .LBB679_8
; %bb.7:
	global_load_ubyte v4, v[14:15], off
	s_waitcnt vmcnt(0)
	v_and_b32_e32 v4, 1, v4
	v_cmp_eq_u32_e64 s1, 1, v4
	v_cndmask_b32_e64 v5, v1, 0xfff00000, s1
	v_cndmask_b32_e64 v4, v0, 0, s1
.LBB679_8:
	s_or_b32 exec_lo, exec_lo, s3
	s_xor_b32 s4, s2, -1
	s_mov_b32 s3, 0
	s_and_saveexec_b32 s2, s6
	s_cbranch_execz .LBB679_12
; %bb.9:
	s_and_b32 s1, s7, exec_lo
	s_cselect_b32 s1, 0, s10
	s_cselect_b32 s3, 0, 0
	v_add_co_u32 v6, s1, v14, s1
	v_add_co_ci_u32_e64 v7, null, s3, v15, s1
	s_mov_b32 s3, 0
	global_load_ubyte v6, v[6:7], off
	s_waitcnt vmcnt(0)
	v_and_b32_e32 v6, 1, v6
	v_cmp_eq_u32_e64 s1, 1, v6
	s_xor_b32 s5, s1, -1
	s_and_saveexec_b32 s1, s5
; %bb.10:
	s_mov_b32 s3, exec_lo
; %bb.11:
	s_or_b32 exec_lo, exec_lo, s1
	s_and_b32 s3, s3, exec_lo
.LBB679_12:
	s_or_b32 exec_lo, exec_lo, s2
	v_mbcnt_lo_u32_b32 v16, -1, 0
	v_and_b32_e32 v6, 24, v16
	v_xor_b32_e32 v7, 4, v16
	v_xor_b32_e32 v18, 2, v16
	v_add_nc_u32_e32 v17, 8, v6
	v_cmp_lt_i32_e64 s1, v7, v17
	v_cndmask_b32_e64 v6, v16, v7, s1
	s_waitcnt vmcnt(0)
	v_cndmask_b32_e64 v7, 0xfff00000, v3, s3
	v_lshlrev_b32_e32 v24, 2, v6
	v_cndmask_b32_e64 v6, 0, v2, s3
	v_cmp_lt_i32_e64 s3, v18, v17
	ds_bpermute_b32 v8, v24, v4
	ds_bpermute_b32 v9, v24, v5
	;; [unrolled: 1-line block ×4, first 2 shown]
	v_cndmask_b32_e64 v18, v16, v18, s3
	v_lshlrev_b32_e32 v25, 2, v18
	v_xor_b32_e32 v18, 1, v16
	v_cmp_lt_i32_e64 s3, v18, v17
	v_cndmask_b32_e64 v16, v16, v18, s3
	s_waitcnt lgkmcnt(2)
	v_cmp_lt_f64_e64 s1, v[4:5], v[8:9]
	s_waitcnt lgkmcnt(0)
	v_cmp_lt_f64_e64 s2, v[6:7], v[10:11]
	v_lshlrev_b32_e32 v26, 2, v16
	v_cndmask_b32_e64 v5, v5, v9, s1
	v_cndmask_b32_e64 v4, v4, v8, s1
	;; [unrolled: 1-line block ×4, first 2 shown]
	ds_bpermute_b32 v9, v25, v5
	ds_bpermute_b32 v8, v25, v4
	;; [unrolled: 1-line block ×4, first 2 shown]
	s_waitcnt lgkmcnt(2)
	v_cmp_lt_f64_e64 s1, v[4:5], v[8:9]
	s_waitcnt lgkmcnt(0)
	v_cmp_lt_f64_e64 s2, v[6:7], v[10:11]
	v_cndmask_b32_e64 v20, v5, v9, s1
	v_cndmask_b32_e64 v19, v4, v8, s1
	v_cndmask_b32_e64 v17, v7, v11, s2
	v_cndmask_b32_e64 v16, v6, v10, s2
                                        ; implicit-def: $vgpr8_vgpr9_vgpr10_vgpr11
	ds_bpermute_b32 v28, v26, v20
	ds_bpermute_b32 v21, v26, v19
	;; [unrolled: 1-line block ×4, first 2 shown]
	s_and_saveexec_b32 s1, s4
	s_xor_b32 s1, exec_lo, s1
; %bb.13:
	s_mov_b32 s2, 0
                                        ; implicit-def: $vgpr19
                                        ; implicit-def: $vgpr28
                                        ; implicit-def: $vgpr21
	v_mov_b32_e32 v0, s2
	v_mov_b32_e32 v1, s2
	;; [unrolled: 1-line block ×6, first 2 shown]
                                        ; implicit-def: $vgpr0_vgpr1_vgpr2_vgpr3
; %bb.14:
	s_or_saveexec_b32 s3, s1
	v_mov_b32_e32 v4, 0
	s_xor_b32 s4, s6, -1
	s_mov_b32 s2, 0
	v_mov_b32_e32 v5, v4
	v_mov_b32_e32 v6, v4
	;; [unrolled: 1-line block ×3, first 2 shown]
	s_xor_b32 exec_lo, exec_lo, s3
	s_cbranch_execz .LBB679_20
; %bb.15:
	global_load_ubyte v4, v[14:15], off
	v_mov_b32_e32 v11, v3
	v_mov_b32_e32 v9, v1
	;; [unrolled: 1-line block ×6, first 2 shown]
	s_waitcnt vmcnt(0)
	v_and_b32_e32 v4, 1, v4
	v_cmp_eq_u32_e64 s1, 1, v4
                                        ; implicit-def: $vgpr4_vgpr5_vgpr6_vgpr7
	s_xor_b32 s1, s1, -1
	s_and_saveexec_b32 s2, s1
	s_xor_b32 s5, exec_lo, s2
	s_cbranch_execz .LBB679_17
; %bb.16:
	s_waitcnt lgkmcnt(3)
	v_mov_b32_e32 v22, v28
	s_mov_b32 s8, 0x652b82fe
	s_mov_b32 s9, 0x3ff71547
	;; [unrolled: 1-line block ×4, first 2 shown]
	s_waitcnt lgkmcnt(2)
	v_cmp_lt_f64_e64 s1, v[19:20], v[21:22]
	v_cndmask_b32_e64 v5, v20, v28, s1
	v_cndmask_b32_e64 v4, v19, v21, s1
	v_add_f64 v[0:1], v[0:1], -v[4:5]
	v_mul_f64 v[4:5], v[0:1], s[8:9]
	s_mov_b32 s8, 0xfefa39ef
	s_mov_b32 s9, 0xbfe62e42
	v_cmp_nlt_f64_e64 s1, 0x40900000, v[0:1]
	v_cmp_ngt_f64_e64 s2, 0xc090cc00, v[0:1]
	v_rndne_f64_e32 v[4:5], v[4:5]
	v_fma_f64 v[6:7], v[4:5], s[8:9], v[0:1]
	s_mov_b32 s8, 0x3b39803f
	s_mov_b32 s9, 0xbc7abc9e
	v_cvt_i32_f64_e32 v10, v[4:5]
	v_fma_f64 v[6:7], v[4:5], s[8:9], v[6:7]
	s_mov_b32 s8, 0xfca7ab0c
	s_mov_b32 s9, 0x3e928af3
	v_fma_f64 v[8:9], v[6:7], s[14:15], s[8:9]
	s_mov_b32 s8, 0x623fde64
	s_mov_b32 s9, 0x3ec71dee
	;; [unrolled: 3-line block ×9, first 2 shown]
	v_fma_f64 v[8:9], v[6:7], v[8:9], s[8:9]
	v_fma_f64 v[8:9], v[6:7], v[8:9], 1.0
	v_fma_f64 v[4:5], v[6:7], v[8:9], 1.0
	v_mov_b32_e32 v6, 0
	v_mov_b32_e32 v7, v6
	v_ldexp_f64 v[4:5], v[4:5], v10
	v_cndmask_b32_e64 v5, 0x7ff00000, v5, s1
	s_and_b32 s1, s2, s1
	v_cndmask_b32_e64 v0, 0, v4, s1
	v_cndmask_b32_e64 v1, 0, v5, s2
	v_mov_b32_e32 v11, v3
	v_mov_b32_e32 v10, v2
	;; [unrolled: 1-line block ×3, first 2 shown]
	v_add_f64 v[4:5], v[0:1], 0
	v_mov_b32_e32 v9, v1
.LBB679_17:
	s_andn2_saveexec_b32 s1, s5
; %bb.18:
	v_mov_b32_e32 v4, 0
	v_mov_b32_e32 v5, v4
	;; [unrolled: 1-line block ×4, first 2 shown]
; %bb.19:
	s_or_b32 exec_lo, exec_lo, s1
.LBB679_20:
	s_or_b32 exec_lo, exec_lo, s3
                                        ; implicit-def: $vgpr0_vgpr1_vgpr2_vgpr3
	s_and_saveexec_b32 s1, s4
	s_xor_b32 s1, exec_lo, s1
	s_cbranch_execz .LBB679_22
; %bb.21:
	s_mov_b32 s2, 0
                                        ; implicit-def: $vgpr14
                                        ; implicit-def: $vgpr16
                                        ; implicit-def: $vgpr27
                                        ; implicit-def: $vgpr18
	v_mov_b32_e32 v10, s2
	v_mov_b32_e32 v11, s2
	;; [unrolled: 1-line block ×6, first 2 shown]
                                        ; implicit-def: $vgpr8_vgpr9_vgpr10_vgpr11
	s_andn2_saveexec_b32 s3, s1
	s_cbranch_execz .LBB679_26
	s_branch .LBB679_23
.LBB679_22:
	s_andn2_saveexec_b32 s3, s1
	s_cbranch_execz .LBB679_26
.LBB679_23:
	s_and_b32 s1, s7, exec_lo
	s_cselect_b32 s1, 0, s10
	s_cselect_b32 s2, 0, 0
	v_add_co_u32 v0, s1, v14, s1
	v_add_co_ci_u32_e64 v1, null, s2, v15, s1
	s_mov_b32 s2, 0
	global_load_ubyte v0, v[0:1], off
	s_waitcnt vmcnt(0)
	v_and_b32_e32 v0, 1, v0
	v_cmp_eq_u32_e64 s1, 1, v0
	v_mov_b32_e32 v0, v8
	v_mov_b32_e32 v2, v10
	v_mov_b32_e32 v3, v11
	v_mov_b32_e32 v1, v9
	v_mov_b32_e32 v2, s2
	v_mov_b32_e32 v3, s2
	s_xor_b32 s1, s1, -1
	s_and_saveexec_b32 s2, s1
	s_xor_b32 s4, exec_lo, s2
	s_cbranch_execz .LBB679_25
; %bb.24:
	s_waitcnt lgkmcnt(1)
	v_mov_b32_e32 v19, v27
	s_mov_b32 s6, 0x652b82fe
	s_mov_b32 s7, 0x3ff71547
	;; [unrolled: 1-line block ×4, first 2 shown]
	s_waitcnt lgkmcnt(0)
	v_cmp_lt_f64_e64 s1, v[16:17], v[18:19]
	v_cndmask_b32_e64 v1, v17, v27, s1
	v_cndmask_b32_e64 v0, v16, v18, s1
	v_add_f64 v[0:1], v[10:11], -v[0:1]
	v_mul_f64 v[2:3], v[0:1], s[6:7]
	s_mov_b32 s6, 0xfefa39ef
	s_mov_b32 s7, 0xbfe62e42
	v_cmp_nlt_f64_e64 s1, 0x40900000, v[0:1]
	v_cmp_ngt_f64_e64 s2, 0xc090cc00, v[0:1]
	v_rndne_f64_e32 v[2:3], v[2:3]
	v_fma_f64 v[10:11], v[2:3], s[6:7], v[0:1]
	s_mov_b32 s6, 0x3b39803f
	s_mov_b32 s7, 0xbc7abc9e
	v_cvt_i32_f64_e32 v16, v[2:3]
	v_fma_f64 v[10:11], v[2:3], s[6:7], v[10:11]
	s_mov_b32 s6, 0xfca7ab0c
	s_mov_b32 s7, 0x3e928af3
	v_fma_f64 v[14:15], v[10:11], s[8:9], s[6:7]
	s_mov_b32 s6, 0x623fde64
	s_mov_b32 s7, 0x3ec71dee
	;; [unrolled: 3-line block ×9, first 2 shown]
	v_fma_f64 v[14:15], v[10:11], v[14:15], s[6:7]
	v_fma_f64 v[14:15], v[10:11], v[14:15], 1.0
	v_fma_f64 v[2:3], v[10:11], v[14:15], 1.0
	v_ldexp_f64 v[2:3], v[2:3], v16
	v_cndmask_b32_e64 v3, 0x7ff00000, v3, s1
	s_and_b32 s1, s2, s1
	v_cndmask_b32_e64 v10, 0, v2, s1
	v_cndmask_b32_e64 v11, 0, v3, s2
	v_mov_b32_e32 v0, v8
	v_mov_b32_e32 v1, v9
	;; [unrolled: 1-line block ×3, first 2 shown]
	v_add_f64 v[6:7], v[6:7], v[10:11]
	v_mov_b32_e32 v3, v11
.LBB679_25:
	s_andn2_saveexec_b32 s1, s4
	s_or_b32 exec_lo, exec_lo, s1
.LBB679_26:
	s_or_b32 exec_lo, exec_lo, s3
	ds_bpermute_b32 v8, v24, v4
	ds_bpermute_b32 v9, v24, v5
	;; [unrolled: 1-line block ×4, first 2 shown]
	s_waitcnt lgkmcnt(2)
	v_add_f64 v[4:5], v[4:5], v[8:9]
	s_waitcnt lgkmcnt(0)
	v_add_f64 v[6:7], v[6:7], v[10:11]
	ds_bpermute_b32 v8, v25, v4
	ds_bpermute_b32 v9, v25, v5
	ds_bpermute_b32 v14, v25, v6
	ds_bpermute_b32 v15, v25, v7
	s_waitcnt lgkmcnt(2)
	v_add_f64 v[10:11], v[4:5], v[8:9]
	s_waitcnt lgkmcnt(0)
	v_add_f64 v[6:7], v[6:7], v[14:15]
	ds_bpermute_b32 v14, v26, v10
	ds_bpermute_b32 v15, v26, v11
	;; [unrolled: 1-line block ×4, first 2 shown]
	s_and_saveexec_b32 s1, vcc_lo
	s_cbranch_execz .LBB679_35
; %bb.27:
	v_add_co_u32 v4, vcc_lo, s12, v12
	v_add_co_ci_u32_e64 v5, null, s13, v13, vcc_lo
	s_and_saveexec_b32 s1, s0
	s_cbranch_execz .LBB679_31
; %bb.28:
	s_waitcnt lgkmcnt(2)
	v_add_f64 v[10:11], v[10:11], v[14:15]
	v_mov_b32_e32 v12, 0
	v_mov_b32_e32 v13, 0x7ff80000
	s_mov_b32 s2, exec_lo
	v_cmpx_neq_f64_e32 0, v[10:11]
	s_cbranch_execz .LBB679_30
; %bb.29:
	v_div_scale_f64 v[12:13], null, v[10:11], v[10:11], v[0:1]
	v_rcp_f64_e32 v[14:15], v[12:13]
	v_fma_f64 v[16:17], -v[12:13], v[14:15], 1.0
	v_fma_f64 v[14:15], v[14:15], v[16:17], v[14:15]
	v_fma_f64 v[16:17], -v[12:13], v[14:15], 1.0
	v_fma_f64 v[14:15], v[14:15], v[16:17], v[14:15]
	v_div_scale_f64 v[16:17], vcc_lo, v[0:1], v[10:11], v[0:1]
	v_mul_f64 v[18:19], v[16:17], v[14:15]
	v_fma_f64 v[12:13], -v[12:13], v[18:19], v[16:17]
	v_div_fmas_f64 v[12:13], v[12:13], v[14:15], v[18:19]
	v_div_fixup_f64 v[12:13], v[12:13], v[10:11], v[0:1]
.LBB679_30:
	s_or_b32 exec_lo, exec_lo, s2
	global_store_dwordx2 v[4:5], v[12:13], off
.LBB679_31:
	s_or_b32 exec_lo, exec_lo, s1
	v_cmp_ne_u32_e32 vcc_lo, 1, v23
	s_and_b32 s0, vcc_lo, s0
	s_and_b32 exec_lo, exec_lo, s0
	s_cbranch_execz .LBB679_35
; %bb.32:
	s_waitcnt lgkmcnt(0)
	v_add_f64 v[0:1], v[6:7], v[8:9]
	v_mov_b32_e32 v6, 0
	v_mov_b32_e32 v7, 0x7ff80000
	s_mov_b32 s0, exec_lo
	v_cmpx_neq_f64_e32 0, v[0:1]
	s_cbranch_execz .LBB679_34
; %bb.33:
	v_div_scale_f64 v[6:7], null, v[0:1], v[0:1], v[2:3]
	v_rcp_f64_e32 v[8:9], v[6:7]
	v_fma_f64 v[10:11], -v[6:7], v[8:9], 1.0
	v_fma_f64 v[8:9], v[8:9], v[10:11], v[8:9]
	v_fma_f64 v[10:11], -v[6:7], v[8:9], 1.0
	v_fma_f64 v[8:9], v[8:9], v[10:11], v[8:9]
	v_div_scale_f64 v[10:11], vcc_lo, v[2:3], v[0:1], v[2:3]
	v_mul_f64 v[12:13], v[10:11], v[8:9]
	v_fma_f64 v[6:7], -v[6:7], v[12:13], v[10:11]
	v_div_fmas_f64 v[6:7], v[6:7], v[8:9], v[12:13]
	v_div_fixup_f64 v[6:7], v[6:7], v[0:1], v[2:3]
.LBB679_34:
	s_or_b32 exec_lo, exec_lo, s0
	s_mov_b32 s11, 0
	s_lshl_b64 s[0:1], s[10:11], 3
	v_add_co_u32 v0, vcc_lo, v4, s0
	v_add_co_ci_u32_e64 v1, null, s1, v5, vcc_lo
	global_store_dwordx2 v[0:1], v[6:7], off
.LBB679_35:
	s_endpgm
	.section	.rodata,"a",@progbits
	.p2align	6, 0x0
	.amdhsa_kernel _ZN12_GLOBAL__N_120softmax_warp_forwardIdddLi3ELb0ELb1ELi32EEEvPT0_PKT_iiiPKbib
		.amdhsa_group_segment_fixed_size 0
		.amdhsa_private_segment_fixed_size 0
		.amdhsa_kernarg_size 304
		.amdhsa_user_sgpr_count 6
		.amdhsa_user_sgpr_private_segment_buffer 1
		.amdhsa_user_sgpr_dispatch_ptr 0
		.amdhsa_user_sgpr_queue_ptr 0
		.amdhsa_user_sgpr_kernarg_segment_ptr 1
		.amdhsa_user_sgpr_dispatch_id 0
		.amdhsa_user_sgpr_flat_scratch_init 0
		.amdhsa_user_sgpr_private_segment_size 0
		.amdhsa_wavefront_size32 1
		.amdhsa_uses_dynamic_stack 0
		.amdhsa_system_sgpr_private_segment_wavefront_offset 0
		.amdhsa_system_sgpr_workgroup_id_x 1
		.amdhsa_system_sgpr_workgroup_id_y 0
		.amdhsa_system_sgpr_workgroup_id_z 0
		.amdhsa_system_sgpr_workgroup_info 0
		.amdhsa_system_vgpr_workitem_id 1
		.amdhsa_next_free_vgpr 29
		.amdhsa_next_free_sgpr 16
		.amdhsa_reserve_vcc 1
		.amdhsa_reserve_flat_scratch 0
		.amdhsa_float_round_mode_32 0
		.amdhsa_float_round_mode_16_64 0
		.amdhsa_float_denorm_mode_32 3
		.amdhsa_float_denorm_mode_16_64 3
		.amdhsa_dx10_clamp 1
		.amdhsa_ieee_mode 1
		.amdhsa_fp16_overflow 0
		.amdhsa_workgroup_processor_mode 1
		.amdhsa_memory_ordered 1
		.amdhsa_forward_progress 1
		.amdhsa_shared_vgpr_count 0
		.amdhsa_exception_fp_ieee_invalid_op 0
		.amdhsa_exception_fp_denorm_src 0
		.amdhsa_exception_fp_ieee_div_zero 0
		.amdhsa_exception_fp_ieee_overflow 0
		.amdhsa_exception_fp_ieee_underflow 0
		.amdhsa_exception_fp_ieee_inexact 0
		.amdhsa_exception_int_div_zero 0
	.end_amdhsa_kernel
	.section	.text._ZN12_GLOBAL__N_120softmax_warp_forwardIdddLi3ELb0ELb1ELi32EEEvPT0_PKT_iiiPKbib,"axG",@progbits,_ZN12_GLOBAL__N_120softmax_warp_forwardIdddLi3ELb0ELb1ELi32EEEvPT0_PKT_iiiPKbib,comdat
.Lfunc_end679:
	.size	_ZN12_GLOBAL__N_120softmax_warp_forwardIdddLi3ELb0ELb1ELi32EEEvPT0_PKT_iiiPKbib, .Lfunc_end679-_ZN12_GLOBAL__N_120softmax_warp_forwardIdddLi3ELb0ELb1ELi32EEEvPT0_PKT_iiiPKbib
                                        ; -- End function
	.set _ZN12_GLOBAL__N_120softmax_warp_forwardIdddLi3ELb0ELb1ELi32EEEvPT0_PKT_iiiPKbib.num_vgpr, 29
	.set _ZN12_GLOBAL__N_120softmax_warp_forwardIdddLi3ELb0ELb1ELi32EEEvPT0_PKT_iiiPKbib.num_agpr, 0
	.set _ZN12_GLOBAL__N_120softmax_warp_forwardIdddLi3ELb0ELb1ELi32EEEvPT0_PKT_iiiPKbib.numbered_sgpr, 16
	.set _ZN12_GLOBAL__N_120softmax_warp_forwardIdddLi3ELb0ELb1ELi32EEEvPT0_PKT_iiiPKbib.num_named_barrier, 0
	.set _ZN12_GLOBAL__N_120softmax_warp_forwardIdddLi3ELb0ELb1ELi32EEEvPT0_PKT_iiiPKbib.private_seg_size, 0
	.set _ZN12_GLOBAL__N_120softmax_warp_forwardIdddLi3ELb0ELb1ELi32EEEvPT0_PKT_iiiPKbib.uses_vcc, 1
	.set _ZN12_GLOBAL__N_120softmax_warp_forwardIdddLi3ELb0ELb1ELi32EEEvPT0_PKT_iiiPKbib.uses_flat_scratch, 0
	.set _ZN12_GLOBAL__N_120softmax_warp_forwardIdddLi3ELb0ELb1ELi32EEEvPT0_PKT_iiiPKbib.has_dyn_sized_stack, 0
	.set _ZN12_GLOBAL__N_120softmax_warp_forwardIdddLi3ELb0ELb1ELi32EEEvPT0_PKT_iiiPKbib.has_recursion, 0
	.set _ZN12_GLOBAL__N_120softmax_warp_forwardIdddLi3ELb0ELb1ELi32EEEvPT0_PKT_iiiPKbib.has_indirect_call, 0
	.section	.AMDGPU.csdata,"",@progbits
; Kernel info:
; codeLenInByte = 2640
; TotalNumSgprs: 18
; NumVgprs: 29
; ScratchSize: 0
; MemoryBound: 1
; FloatMode: 240
; IeeeMode: 1
; LDSByteSize: 0 bytes/workgroup (compile time only)
; SGPRBlocks: 0
; VGPRBlocks: 3
; NumSGPRsForWavesPerEU: 18
; NumVGPRsForWavesPerEU: 29
; Occupancy: 16
; WaveLimiterHint : 0
; COMPUTE_PGM_RSRC2:SCRATCH_EN: 0
; COMPUTE_PGM_RSRC2:USER_SGPR: 6
; COMPUTE_PGM_RSRC2:TRAP_HANDLER: 0
; COMPUTE_PGM_RSRC2:TGID_X_EN: 1
; COMPUTE_PGM_RSRC2:TGID_Y_EN: 0
; COMPUTE_PGM_RSRC2:TGID_Z_EN: 0
; COMPUTE_PGM_RSRC2:TIDIG_COMP_CNT: 1
	.section	.text._ZN12_GLOBAL__N_120softmax_warp_forwardIdddLi4ELb0ELb1ELi64EEEvPT0_PKT_iiiPKbib,"axG",@progbits,_ZN12_GLOBAL__N_120softmax_warp_forwardIdddLi4ELb0ELb1ELi64EEEvPT0_PKT_iiiPKbib,comdat
	.globl	_ZN12_GLOBAL__N_120softmax_warp_forwardIdddLi4ELb0ELb1ELi64EEEvPT0_PKT_iiiPKbib ; -- Begin function _ZN12_GLOBAL__N_120softmax_warp_forwardIdddLi4ELb0ELb1ELi64EEEvPT0_PKT_iiiPKbib
	.p2align	8
	.type	_ZN12_GLOBAL__N_120softmax_warp_forwardIdddLi4ELb0ELb1ELi64EEEvPT0_PKT_iiiPKbib,@function
_ZN12_GLOBAL__N_120softmax_warp_forwardIdddLi4ELb0ELb1ELi64EEEvPT0_PKT_iiiPKbib: ; @_ZN12_GLOBAL__N_120softmax_warp_forwardIdddLi4ELb0ELb1ELi64EEEvPT0_PKT_iiiPKbib
; %bb.0:
	s_clause 0x2
	s_load_dwordx2 s[0:1], s[4:5], 0x28
	s_load_dword s2, s[4:5], 0x3c
	s_load_dwordx4 s[8:11], s[4:5], 0x10
	s_waitcnt lgkmcnt(0)
	s_bitcmp1_b32 s1, 0
	s_cselect_b32 s7, -1, 0
	s_lshr_b32 s2, s2, 16
	s_and_b32 s2, s2, 0xffff
	s_bitcmp0_b32 s1, 0
	s_mul_i32 s6, s6, s2
	v_add_lshl_u32 v3, s6, v1, 1
	v_mul_lo_u32 v4, v3, s9
	v_add_nc_u32_e32 v1, v4, v0
	v_ashrrev_i32_e32 v2, 31, v1
	v_mov_b32_e32 v7, v2
	v_mov_b32_e32 v6, v1
	s_cbranch_scc1 .LBB680_2
; %bb.1:
	s_abs_i32 s1, s0
	v_sub_nc_u32_e32 v7, 0, v4
	v_cvt_f32_u32_e32 v5, s1
	s_sub_i32 s2, 0, s1
	v_max_i32_e32 v7, v4, v7
	v_rcp_iflag_f32_e32 v5, v5
	v_xor_b32_e32 v4, s0, v4
	v_ashrrev_i32_e32 v4, 31, v4
	v_mul_f32_e32 v5, 0x4f7ffffe, v5
	v_cvt_u32_f32_e32 v5, v5
	v_mul_lo_u32 v6, s2, v5
	v_mul_hi_u32 v6, v5, v6
	v_add_nc_u32_e32 v5, v5, v6
	v_mul_hi_u32 v5, v7, v5
	v_mul_lo_u32 v6, v5, s1
	v_sub_nc_u32_e32 v6, v7, v6
	v_add_nc_u32_e32 v7, 1, v5
	v_subrev_nc_u32_e32 v8, s1, v6
	v_cmp_le_u32_e32 vcc_lo, s1, v6
	v_cndmask_b32_e32 v5, v5, v7, vcc_lo
	v_cndmask_b32_e32 v6, v6, v8, vcc_lo
	v_add_nc_u32_e32 v7, 1, v5
	v_cmp_le_u32_e32 vcc_lo, s1, v6
	v_cndmask_b32_e32 v5, v5, v7, vcc_lo
	v_xor_b32_e32 v5, v5, v4
	v_sub_nc_u32_e32 v4, v5, v4
	v_mad_u64_u32 v[6:7], null, v4, s9, v[0:1]
	v_ashrrev_i32_e32 v7, 31, v6
.LBB680_2:
	s_load_dwordx4 s[12:15], s[4:5], 0x0
	v_lshlrev_b64 v[12:13], 3, v[1:2]
	v_sub_nc_u32_e32 v23, s8, v3
	v_cmp_gt_i32_e64 s0, s10, v0
	v_mov_b32_e32 v2, 0
	v_mov_b32_e32 v0, 0
	;; [unrolled: 1-line block ×3, first 2 shown]
	v_cmp_lt_i32_e32 vcc_lo, 0, v23
	v_mov_b32_e32 v1, 0xfff00000
	s_and_b32 s2, s0, vcc_lo
	s_waitcnt lgkmcnt(0)
	v_add_co_u32 v4, s1, s14, v12
	v_add_co_ci_u32_e64 v5, null, s15, v13, s1
	s_and_saveexec_b32 s1, s2
	s_cbranch_execz .LBB680_4
; %bb.3:
	global_load_dwordx2 v[0:1], v[4:5], off
.LBB680_4:
	s_or_b32 exec_lo, exec_lo, s1
	v_cmp_lt_i32_e64 s1, 1, v23
	s_and_b32 s6, s0, s1
	s_and_saveexec_b32 s3, s6
	s_cbranch_execz .LBB680_6
; %bb.5:
	s_mov_b32 s11, 0
	s_lshl_b64 s[8:9], s[10:11], 3
	v_add_co_u32 v2, s1, v4, s8
	v_add_co_ci_u32_e64 v3, null, s9, v5, s1
	global_load_dwordx2 v[2:3], v[2:3], off
.LBB680_6:
	s_or_b32 exec_lo, exec_lo, s3
	s_load_dwordx2 s[4:5], s[4:5], 0x20
	v_mov_b32_e32 v4, 0
	v_mov_b32_e32 v5, 0xfff00000
	s_waitcnt lgkmcnt(0)
	v_add_co_u32 v14, s1, s4, v6
	v_add_co_ci_u32_e64 v15, null, s5, v7, s1
	s_and_saveexec_b32 s3, s2
	s_cbranch_execz .LBB680_8
; %bb.7:
	global_load_ubyte v4, v[14:15], off
	s_waitcnt vmcnt(0)
	v_and_b32_e32 v4, 1, v4
	v_cmp_eq_u32_e64 s1, 1, v4
	v_cndmask_b32_e64 v5, v1, 0xfff00000, s1
	v_cndmask_b32_e64 v4, v0, 0, s1
.LBB680_8:
	s_or_b32 exec_lo, exec_lo, s3
	s_xor_b32 s4, s2, -1
	s_mov_b32 s3, 0
	s_and_saveexec_b32 s2, s6
	s_cbranch_execz .LBB680_12
; %bb.9:
	s_and_b32 s1, s7, exec_lo
	s_cselect_b32 s1, 0, s10
	s_cselect_b32 s3, 0, 0
	v_add_co_u32 v6, s1, v14, s1
	v_add_co_ci_u32_e64 v7, null, s3, v15, s1
	s_mov_b32 s3, 0
	global_load_ubyte v6, v[6:7], off
	s_waitcnt vmcnt(0)
	v_and_b32_e32 v6, 1, v6
	v_cmp_eq_u32_e64 s1, 1, v6
	s_xor_b32 s5, s1, -1
	s_and_saveexec_b32 s1, s5
; %bb.10:
	s_mov_b32 s3, exec_lo
; %bb.11:
	s_or_b32 exec_lo, exec_lo, s1
	s_and_b32 s3, s3, exec_lo
.LBB680_12:
	s_or_b32 exec_lo, exec_lo, s2
	v_mbcnt_lo_u32_b32 v16, -1, 0
	v_and_b32_e32 v6, 16, v16
	v_xor_b32_e32 v7, 8, v16
	v_xor_b32_e32 v18, 4, v16
	v_add_nc_u32_e32 v17, 16, v6
	v_cmp_lt_i32_e64 s1, v7, v17
	v_cndmask_b32_e64 v6, v16, v7, s1
	s_waitcnt vmcnt(0)
	v_cndmask_b32_e64 v7, 0xfff00000, v3, s3
	v_lshlrev_b32_e32 v24, 2, v6
	v_cndmask_b32_e64 v6, 0, v2, s3
	v_cmp_lt_i32_e64 s3, v18, v17
	ds_bpermute_b32 v8, v24, v4
	ds_bpermute_b32 v9, v24, v5
	;; [unrolled: 1-line block ×4, first 2 shown]
	v_cndmask_b32_e64 v18, v16, v18, s3
	v_lshlrev_b32_e32 v25, 2, v18
	v_xor_b32_e32 v18, 2, v16
	v_cmp_lt_i32_e64 s3, v18, v17
	v_cndmask_b32_e64 v18, v16, v18, s3
	s_waitcnt lgkmcnt(2)
	v_cmp_lt_f64_e64 s1, v[4:5], v[8:9]
	s_waitcnt lgkmcnt(0)
	v_cmp_lt_f64_e64 s2, v[6:7], v[10:11]
	v_lshlrev_b32_e32 v26, 2, v18
	v_xor_b32_e32 v18, 1, v16
	v_cmp_lt_i32_e64 s3, v18, v17
	v_cndmask_b32_e64 v16, v16, v18, s3
	v_lshlrev_b32_e32 v27, 2, v16
	v_cndmask_b32_e64 v5, v5, v9, s1
	v_cndmask_b32_e64 v4, v4, v8, s1
	;; [unrolled: 1-line block ×4, first 2 shown]
	ds_bpermute_b32 v9, v25, v5
	ds_bpermute_b32 v8, v25, v4
	;; [unrolled: 1-line block ×4, first 2 shown]
	s_waitcnt lgkmcnt(2)
	v_cmp_lt_f64_e64 s1, v[4:5], v[8:9]
	s_waitcnt lgkmcnt(0)
	v_cmp_lt_f64_e64 s2, v[6:7], v[10:11]
	v_cndmask_b32_e64 v5, v5, v9, s1
	v_cndmask_b32_e64 v4, v4, v8, s1
	;; [unrolled: 1-line block ×4, first 2 shown]
	ds_bpermute_b32 v9, v26, v5
	ds_bpermute_b32 v8, v26, v4
	;; [unrolled: 1-line block ×4, first 2 shown]
	s_waitcnt lgkmcnt(2)
	v_cmp_lt_f64_e64 s1, v[4:5], v[8:9]
	s_waitcnt lgkmcnt(0)
	v_cmp_lt_f64_e64 s2, v[6:7], v[10:11]
	v_cndmask_b32_e64 v20, v5, v9, s1
	v_cndmask_b32_e64 v19, v4, v8, s1
	;; [unrolled: 1-line block ×4, first 2 shown]
                                        ; implicit-def: $vgpr8_vgpr9_vgpr10_vgpr11
	ds_bpermute_b32 v29, v27, v20
	ds_bpermute_b32 v21, v27, v19
	;; [unrolled: 1-line block ×4, first 2 shown]
	s_and_saveexec_b32 s1, s4
	s_xor_b32 s1, exec_lo, s1
; %bb.13:
	s_mov_b32 s2, 0
                                        ; implicit-def: $vgpr19
                                        ; implicit-def: $vgpr29
                                        ; implicit-def: $vgpr21
	v_mov_b32_e32 v0, s2
	v_mov_b32_e32 v1, s2
	;; [unrolled: 1-line block ×6, first 2 shown]
                                        ; implicit-def: $vgpr0_vgpr1_vgpr2_vgpr3
; %bb.14:
	s_or_saveexec_b32 s3, s1
	v_mov_b32_e32 v4, 0
	s_xor_b32 s4, s6, -1
	s_mov_b32 s2, 0
	v_mov_b32_e32 v5, v4
	v_mov_b32_e32 v6, v4
	;; [unrolled: 1-line block ×3, first 2 shown]
	s_xor_b32 exec_lo, exec_lo, s3
	s_cbranch_execz .LBB680_20
; %bb.15:
	global_load_ubyte v4, v[14:15], off
	v_mov_b32_e32 v11, v3
	v_mov_b32_e32 v9, v1
	v_mov_b32_e32 v8, v0
	v_mov_b32_e32 v10, v2
	v_mov_b32_e32 v8, s2
	v_mov_b32_e32 v9, s2
	s_waitcnt vmcnt(0)
	v_and_b32_e32 v4, 1, v4
	v_cmp_eq_u32_e64 s1, 1, v4
                                        ; implicit-def: $vgpr4_vgpr5_vgpr6_vgpr7
	s_xor_b32 s1, s1, -1
	s_and_saveexec_b32 s2, s1
	s_xor_b32 s5, exec_lo, s2
	s_cbranch_execz .LBB680_17
; %bb.16:
	s_waitcnt lgkmcnt(3)
	v_mov_b32_e32 v22, v29
	s_mov_b32 s8, 0x652b82fe
	s_mov_b32 s9, 0x3ff71547
	;; [unrolled: 1-line block ×4, first 2 shown]
	s_waitcnt lgkmcnt(2)
	v_cmp_lt_f64_e64 s1, v[19:20], v[21:22]
	v_cndmask_b32_e64 v5, v20, v29, s1
	v_cndmask_b32_e64 v4, v19, v21, s1
	v_add_f64 v[0:1], v[0:1], -v[4:5]
	v_mul_f64 v[4:5], v[0:1], s[8:9]
	s_mov_b32 s8, 0xfefa39ef
	s_mov_b32 s9, 0xbfe62e42
	v_cmp_nlt_f64_e64 s1, 0x40900000, v[0:1]
	v_cmp_ngt_f64_e64 s2, 0xc090cc00, v[0:1]
	v_rndne_f64_e32 v[4:5], v[4:5]
	v_fma_f64 v[6:7], v[4:5], s[8:9], v[0:1]
	s_mov_b32 s8, 0x3b39803f
	s_mov_b32 s9, 0xbc7abc9e
	v_cvt_i32_f64_e32 v10, v[4:5]
	v_fma_f64 v[6:7], v[4:5], s[8:9], v[6:7]
	s_mov_b32 s8, 0xfca7ab0c
	s_mov_b32 s9, 0x3e928af3
	v_fma_f64 v[8:9], v[6:7], s[14:15], s[8:9]
	s_mov_b32 s8, 0x623fde64
	s_mov_b32 s9, 0x3ec71dee
	;; [unrolled: 3-line block ×9, first 2 shown]
	v_fma_f64 v[8:9], v[6:7], v[8:9], s[8:9]
	v_fma_f64 v[8:9], v[6:7], v[8:9], 1.0
	v_fma_f64 v[4:5], v[6:7], v[8:9], 1.0
	v_mov_b32_e32 v6, 0
	v_mov_b32_e32 v7, v6
	v_ldexp_f64 v[4:5], v[4:5], v10
	v_cndmask_b32_e64 v5, 0x7ff00000, v5, s1
	s_and_b32 s1, s2, s1
	v_cndmask_b32_e64 v0, 0, v4, s1
	v_cndmask_b32_e64 v1, 0, v5, s2
	v_mov_b32_e32 v11, v3
	v_mov_b32_e32 v10, v2
	;; [unrolled: 1-line block ×3, first 2 shown]
	v_add_f64 v[4:5], v[0:1], 0
	v_mov_b32_e32 v9, v1
.LBB680_17:
	s_andn2_saveexec_b32 s1, s5
; %bb.18:
	v_mov_b32_e32 v4, 0
	v_mov_b32_e32 v5, v4
	;; [unrolled: 1-line block ×4, first 2 shown]
; %bb.19:
	s_or_b32 exec_lo, exec_lo, s1
.LBB680_20:
	s_or_b32 exec_lo, exec_lo, s3
                                        ; implicit-def: $vgpr0_vgpr1_vgpr2_vgpr3
	s_and_saveexec_b32 s1, s4
	s_xor_b32 s1, exec_lo, s1
	s_cbranch_execz .LBB680_22
; %bb.21:
	s_mov_b32 s2, 0
                                        ; implicit-def: $vgpr14
                                        ; implicit-def: $vgpr16
                                        ; implicit-def: $vgpr28
                                        ; implicit-def: $vgpr18
	v_mov_b32_e32 v10, s2
	v_mov_b32_e32 v11, s2
	;; [unrolled: 1-line block ×6, first 2 shown]
                                        ; implicit-def: $vgpr8_vgpr9_vgpr10_vgpr11
	s_andn2_saveexec_b32 s3, s1
	s_cbranch_execz .LBB680_26
	s_branch .LBB680_23
.LBB680_22:
	s_andn2_saveexec_b32 s3, s1
	s_cbranch_execz .LBB680_26
.LBB680_23:
	s_and_b32 s1, s7, exec_lo
	s_cselect_b32 s1, 0, s10
	s_cselect_b32 s2, 0, 0
	v_add_co_u32 v0, s1, v14, s1
	v_add_co_ci_u32_e64 v1, null, s2, v15, s1
	s_mov_b32 s2, 0
	global_load_ubyte v0, v[0:1], off
	s_waitcnt vmcnt(0)
	v_and_b32_e32 v0, 1, v0
	v_cmp_eq_u32_e64 s1, 1, v0
	v_mov_b32_e32 v0, v8
	v_mov_b32_e32 v2, v10
	;; [unrolled: 1-line block ×6, first 2 shown]
	s_xor_b32 s1, s1, -1
	s_and_saveexec_b32 s2, s1
	s_xor_b32 s4, exec_lo, s2
	s_cbranch_execz .LBB680_25
; %bb.24:
	s_waitcnt lgkmcnt(1)
	v_mov_b32_e32 v19, v28
	s_mov_b32 s6, 0x652b82fe
	s_mov_b32 s7, 0x3ff71547
	;; [unrolled: 1-line block ×4, first 2 shown]
	s_waitcnt lgkmcnt(0)
	v_cmp_lt_f64_e64 s1, v[16:17], v[18:19]
	v_cndmask_b32_e64 v1, v17, v28, s1
	v_cndmask_b32_e64 v0, v16, v18, s1
	v_add_f64 v[0:1], v[10:11], -v[0:1]
	v_mul_f64 v[2:3], v[0:1], s[6:7]
	s_mov_b32 s6, 0xfefa39ef
	s_mov_b32 s7, 0xbfe62e42
	v_cmp_nlt_f64_e64 s1, 0x40900000, v[0:1]
	v_cmp_ngt_f64_e64 s2, 0xc090cc00, v[0:1]
	v_rndne_f64_e32 v[2:3], v[2:3]
	v_fma_f64 v[10:11], v[2:3], s[6:7], v[0:1]
	s_mov_b32 s6, 0x3b39803f
	s_mov_b32 s7, 0xbc7abc9e
	v_cvt_i32_f64_e32 v16, v[2:3]
	v_fma_f64 v[10:11], v[2:3], s[6:7], v[10:11]
	s_mov_b32 s6, 0xfca7ab0c
	s_mov_b32 s7, 0x3e928af3
	v_fma_f64 v[14:15], v[10:11], s[8:9], s[6:7]
	s_mov_b32 s6, 0x623fde64
	s_mov_b32 s7, 0x3ec71dee
	;; [unrolled: 3-line block ×9, first 2 shown]
	v_fma_f64 v[14:15], v[10:11], v[14:15], s[6:7]
	v_fma_f64 v[14:15], v[10:11], v[14:15], 1.0
	v_fma_f64 v[2:3], v[10:11], v[14:15], 1.0
	v_ldexp_f64 v[2:3], v[2:3], v16
	v_cndmask_b32_e64 v3, 0x7ff00000, v3, s1
	s_and_b32 s1, s2, s1
	v_cndmask_b32_e64 v10, 0, v2, s1
	v_cndmask_b32_e64 v11, 0, v3, s2
	v_mov_b32_e32 v0, v8
	v_mov_b32_e32 v1, v9
	;; [unrolled: 1-line block ×3, first 2 shown]
	v_add_f64 v[6:7], v[6:7], v[10:11]
	v_mov_b32_e32 v3, v11
.LBB680_25:
	s_andn2_saveexec_b32 s1, s4
	s_or_b32 exec_lo, exec_lo, s1
.LBB680_26:
	s_or_b32 exec_lo, exec_lo, s3
	ds_bpermute_b32 v8, v24, v4
	ds_bpermute_b32 v9, v24, v5
	ds_bpermute_b32 v10, v24, v6
	ds_bpermute_b32 v11, v24, v7
	s_waitcnt lgkmcnt(2)
	v_add_f64 v[4:5], v[4:5], v[8:9]
	s_waitcnt lgkmcnt(0)
	v_add_f64 v[6:7], v[6:7], v[10:11]
	ds_bpermute_b32 v8, v25, v4
	ds_bpermute_b32 v9, v25, v5
	ds_bpermute_b32 v10, v25, v6
	ds_bpermute_b32 v11, v25, v7
	s_waitcnt lgkmcnt(2)
	v_add_f64 v[4:5], v[4:5], v[8:9]
	s_waitcnt lgkmcnt(0)
	v_add_f64 v[6:7], v[6:7], v[10:11]
	;; [unrolled: 8-line block ×3, first 2 shown]
	ds_bpermute_b32 v14, v27, v10
	ds_bpermute_b32 v15, v27, v11
	;; [unrolled: 1-line block ×4, first 2 shown]
	s_and_saveexec_b32 s1, vcc_lo
	s_cbranch_execz .LBB680_35
; %bb.27:
	v_add_co_u32 v4, vcc_lo, s12, v12
	v_add_co_ci_u32_e64 v5, null, s13, v13, vcc_lo
	s_and_saveexec_b32 s1, s0
	s_cbranch_execz .LBB680_31
; %bb.28:
	s_waitcnt lgkmcnt(2)
	v_add_f64 v[10:11], v[10:11], v[14:15]
	v_mov_b32_e32 v12, 0
	v_mov_b32_e32 v13, 0x7ff80000
	s_mov_b32 s2, exec_lo
	v_cmpx_neq_f64_e32 0, v[10:11]
	s_cbranch_execz .LBB680_30
; %bb.29:
	v_div_scale_f64 v[12:13], null, v[10:11], v[10:11], v[0:1]
	v_rcp_f64_e32 v[14:15], v[12:13]
	v_fma_f64 v[16:17], -v[12:13], v[14:15], 1.0
	v_fma_f64 v[14:15], v[14:15], v[16:17], v[14:15]
	v_fma_f64 v[16:17], -v[12:13], v[14:15], 1.0
	v_fma_f64 v[14:15], v[14:15], v[16:17], v[14:15]
	v_div_scale_f64 v[16:17], vcc_lo, v[0:1], v[10:11], v[0:1]
	v_mul_f64 v[18:19], v[16:17], v[14:15]
	v_fma_f64 v[12:13], -v[12:13], v[18:19], v[16:17]
	v_div_fmas_f64 v[12:13], v[12:13], v[14:15], v[18:19]
	v_div_fixup_f64 v[12:13], v[12:13], v[10:11], v[0:1]
.LBB680_30:
	s_or_b32 exec_lo, exec_lo, s2
	global_store_dwordx2 v[4:5], v[12:13], off
.LBB680_31:
	s_or_b32 exec_lo, exec_lo, s1
	v_cmp_ne_u32_e32 vcc_lo, 1, v23
	s_and_b32 s0, vcc_lo, s0
	s_and_b32 exec_lo, exec_lo, s0
	s_cbranch_execz .LBB680_35
; %bb.32:
	s_waitcnt lgkmcnt(0)
	v_add_f64 v[0:1], v[6:7], v[8:9]
	v_mov_b32_e32 v6, 0
	v_mov_b32_e32 v7, 0x7ff80000
	s_mov_b32 s0, exec_lo
	v_cmpx_neq_f64_e32 0, v[0:1]
	s_cbranch_execz .LBB680_34
; %bb.33:
	v_div_scale_f64 v[6:7], null, v[0:1], v[0:1], v[2:3]
	v_rcp_f64_e32 v[8:9], v[6:7]
	v_fma_f64 v[10:11], -v[6:7], v[8:9], 1.0
	v_fma_f64 v[8:9], v[8:9], v[10:11], v[8:9]
	v_fma_f64 v[10:11], -v[6:7], v[8:9], 1.0
	v_fma_f64 v[8:9], v[8:9], v[10:11], v[8:9]
	v_div_scale_f64 v[10:11], vcc_lo, v[2:3], v[0:1], v[2:3]
	v_mul_f64 v[12:13], v[10:11], v[8:9]
	v_fma_f64 v[6:7], -v[6:7], v[12:13], v[10:11]
	v_div_fmas_f64 v[6:7], v[6:7], v[8:9], v[12:13]
	v_div_fixup_f64 v[6:7], v[6:7], v[0:1], v[2:3]
.LBB680_34:
	s_or_b32 exec_lo, exec_lo, s0
	s_mov_b32 s11, 0
	s_lshl_b64 s[0:1], s[10:11], 3
	v_add_co_u32 v0, vcc_lo, v4, s0
	v_add_co_ci_u32_e64 v1, null, s1, v5, vcc_lo
	global_store_dwordx2 v[0:1], v[6:7], off
.LBB680_35:
	s_endpgm
	.section	.rodata,"a",@progbits
	.p2align	6, 0x0
	.amdhsa_kernel _ZN12_GLOBAL__N_120softmax_warp_forwardIdddLi4ELb0ELb1ELi64EEEvPT0_PKT_iiiPKbib
		.amdhsa_group_segment_fixed_size 0
		.amdhsa_private_segment_fixed_size 0
		.amdhsa_kernarg_size 304
		.amdhsa_user_sgpr_count 6
		.amdhsa_user_sgpr_private_segment_buffer 1
		.amdhsa_user_sgpr_dispatch_ptr 0
		.amdhsa_user_sgpr_queue_ptr 0
		.amdhsa_user_sgpr_kernarg_segment_ptr 1
		.amdhsa_user_sgpr_dispatch_id 0
		.amdhsa_user_sgpr_flat_scratch_init 0
		.amdhsa_user_sgpr_private_segment_size 0
		.amdhsa_wavefront_size32 1
		.amdhsa_uses_dynamic_stack 0
		.amdhsa_system_sgpr_private_segment_wavefront_offset 0
		.amdhsa_system_sgpr_workgroup_id_x 1
		.amdhsa_system_sgpr_workgroup_id_y 0
		.amdhsa_system_sgpr_workgroup_id_z 0
		.amdhsa_system_sgpr_workgroup_info 0
		.amdhsa_system_vgpr_workitem_id 1
		.amdhsa_next_free_vgpr 30
		.amdhsa_next_free_sgpr 16
		.amdhsa_reserve_vcc 1
		.amdhsa_reserve_flat_scratch 0
		.amdhsa_float_round_mode_32 0
		.amdhsa_float_round_mode_16_64 0
		.amdhsa_float_denorm_mode_32 3
		.amdhsa_float_denorm_mode_16_64 3
		.amdhsa_dx10_clamp 1
		.amdhsa_ieee_mode 1
		.amdhsa_fp16_overflow 0
		.amdhsa_workgroup_processor_mode 1
		.amdhsa_memory_ordered 1
		.amdhsa_forward_progress 1
		.amdhsa_shared_vgpr_count 0
		.amdhsa_exception_fp_ieee_invalid_op 0
		.amdhsa_exception_fp_denorm_src 0
		.amdhsa_exception_fp_ieee_div_zero 0
		.amdhsa_exception_fp_ieee_overflow 0
		.amdhsa_exception_fp_ieee_underflow 0
		.amdhsa_exception_fp_ieee_inexact 0
		.amdhsa_exception_int_div_zero 0
	.end_amdhsa_kernel
	.section	.text._ZN12_GLOBAL__N_120softmax_warp_forwardIdddLi4ELb0ELb1ELi64EEEvPT0_PKT_iiiPKbib,"axG",@progbits,_ZN12_GLOBAL__N_120softmax_warp_forwardIdddLi4ELb0ELb1ELi64EEEvPT0_PKT_iiiPKbib,comdat
.Lfunc_end680:
	.size	_ZN12_GLOBAL__N_120softmax_warp_forwardIdddLi4ELb0ELb1ELi64EEEvPT0_PKT_iiiPKbib, .Lfunc_end680-_ZN12_GLOBAL__N_120softmax_warp_forwardIdddLi4ELb0ELb1ELi64EEEvPT0_PKT_iiiPKbib
                                        ; -- End function
	.set _ZN12_GLOBAL__N_120softmax_warp_forwardIdddLi4ELb0ELb1ELi64EEEvPT0_PKT_iiiPKbib.num_vgpr, 30
	.set _ZN12_GLOBAL__N_120softmax_warp_forwardIdddLi4ELb0ELb1ELi64EEEvPT0_PKT_iiiPKbib.num_agpr, 0
	.set _ZN12_GLOBAL__N_120softmax_warp_forwardIdddLi4ELb0ELb1ELi64EEEvPT0_PKT_iiiPKbib.numbered_sgpr, 16
	.set _ZN12_GLOBAL__N_120softmax_warp_forwardIdddLi4ELb0ELb1ELi64EEEvPT0_PKT_iiiPKbib.num_named_barrier, 0
	.set _ZN12_GLOBAL__N_120softmax_warp_forwardIdddLi4ELb0ELb1ELi64EEEvPT0_PKT_iiiPKbib.private_seg_size, 0
	.set _ZN12_GLOBAL__N_120softmax_warp_forwardIdddLi4ELb0ELb1ELi64EEEvPT0_PKT_iiiPKbib.uses_vcc, 1
	.set _ZN12_GLOBAL__N_120softmax_warp_forwardIdddLi4ELb0ELb1ELi64EEEvPT0_PKT_iiiPKbib.uses_flat_scratch, 0
	.set _ZN12_GLOBAL__N_120softmax_warp_forwardIdddLi4ELb0ELb1ELi64EEEvPT0_PKT_iiiPKbib.has_dyn_sized_stack, 0
	.set _ZN12_GLOBAL__N_120softmax_warp_forwardIdddLi4ELb0ELb1ELi64EEEvPT0_PKT_iiiPKbib.has_recursion, 0
	.set _ZN12_GLOBAL__N_120softmax_warp_forwardIdddLi4ELb0ELb1ELi64EEEvPT0_PKT_iiiPKbib.has_indirect_call, 0
	.section	.AMDGPU.csdata,"",@progbits
; Kernel info:
; codeLenInByte = 2808
; TotalNumSgprs: 18
; NumVgprs: 30
; ScratchSize: 0
; MemoryBound: 1
; FloatMode: 240
; IeeeMode: 1
; LDSByteSize: 0 bytes/workgroup (compile time only)
; SGPRBlocks: 0
; VGPRBlocks: 3
; NumSGPRsForWavesPerEU: 18
; NumVGPRsForWavesPerEU: 30
; Occupancy: 16
; WaveLimiterHint : 0
; COMPUTE_PGM_RSRC2:SCRATCH_EN: 0
; COMPUTE_PGM_RSRC2:USER_SGPR: 6
; COMPUTE_PGM_RSRC2:TRAP_HANDLER: 0
; COMPUTE_PGM_RSRC2:TGID_X_EN: 1
; COMPUTE_PGM_RSRC2:TGID_Y_EN: 0
; COMPUTE_PGM_RSRC2:TGID_Z_EN: 0
; COMPUTE_PGM_RSRC2:TIDIG_COMP_CNT: 1
	.section	.text._ZN12_GLOBAL__N_120softmax_warp_forwardIdddLi4ELb0ELb1ELi32EEEvPT0_PKT_iiiPKbib,"axG",@progbits,_ZN12_GLOBAL__N_120softmax_warp_forwardIdddLi4ELb0ELb1ELi32EEEvPT0_PKT_iiiPKbib,comdat
	.globl	_ZN12_GLOBAL__N_120softmax_warp_forwardIdddLi4ELb0ELb1ELi32EEEvPT0_PKT_iiiPKbib ; -- Begin function _ZN12_GLOBAL__N_120softmax_warp_forwardIdddLi4ELb0ELb1ELi32EEEvPT0_PKT_iiiPKbib
	.p2align	8
	.type	_ZN12_GLOBAL__N_120softmax_warp_forwardIdddLi4ELb0ELb1ELi32EEEvPT0_PKT_iiiPKbib,@function
_ZN12_GLOBAL__N_120softmax_warp_forwardIdddLi4ELb0ELb1ELi32EEEvPT0_PKT_iiiPKbib: ; @_ZN12_GLOBAL__N_120softmax_warp_forwardIdddLi4ELb0ELb1ELi32EEEvPT0_PKT_iiiPKbib
; %bb.0:
	s_clause 0x2
	s_load_dwordx2 s[0:1], s[4:5], 0x28
	s_load_dword s2, s[4:5], 0x3c
	s_load_dwordx4 s[8:11], s[4:5], 0x10
	s_waitcnt lgkmcnt(0)
	s_bitcmp1_b32 s1, 0
	s_cselect_b32 s7, -1, 0
	s_lshr_b32 s2, s2, 16
	s_and_b32 s2, s2, 0xffff
	s_bitcmp0_b32 s1, 0
	s_mul_i32 s6, s6, s2
	v_add_lshl_u32 v3, s6, v1, 1
	v_mul_lo_u32 v4, v3, s9
	v_add_nc_u32_e32 v1, v4, v0
	v_ashrrev_i32_e32 v2, 31, v1
	v_mov_b32_e32 v7, v2
	v_mov_b32_e32 v6, v1
	s_cbranch_scc1 .LBB681_2
; %bb.1:
	s_abs_i32 s1, s0
	v_sub_nc_u32_e32 v7, 0, v4
	v_cvt_f32_u32_e32 v5, s1
	s_sub_i32 s2, 0, s1
	v_max_i32_e32 v7, v4, v7
	v_rcp_iflag_f32_e32 v5, v5
	v_xor_b32_e32 v4, s0, v4
	v_ashrrev_i32_e32 v4, 31, v4
	v_mul_f32_e32 v5, 0x4f7ffffe, v5
	v_cvt_u32_f32_e32 v5, v5
	v_mul_lo_u32 v6, s2, v5
	v_mul_hi_u32 v6, v5, v6
	v_add_nc_u32_e32 v5, v5, v6
	v_mul_hi_u32 v5, v7, v5
	v_mul_lo_u32 v6, v5, s1
	v_sub_nc_u32_e32 v6, v7, v6
	v_add_nc_u32_e32 v7, 1, v5
	v_subrev_nc_u32_e32 v8, s1, v6
	v_cmp_le_u32_e32 vcc_lo, s1, v6
	v_cndmask_b32_e32 v5, v5, v7, vcc_lo
	v_cndmask_b32_e32 v6, v6, v8, vcc_lo
	v_add_nc_u32_e32 v7, 1, v5
	v_cmp_le_u32_e32 vcc_lo, s1, v6
	v_cndmask_b32_e32 v5, v5, v7, vcc_lo
	v_xor_b32_e32 v5, v5, v4
	v_sub_nc_u32_e32 v4, v5, v4
	v_mad_u64_u32 v[6:7], null, v4, s9, v[0:1]
	v_ashrrev_i32_e32 v7, 31, v6
.LBB681_2:
	s_load_dwordx4 s[12:15], s[4:5], 0x0
	v_lshlrev_b64 v[12:13], 3, v[1:2]
	v_sub_nc_u32_e32 v23, s8, v3
	v_cmp_gt_i32_e64 s0, s10, v0
	v_mov_b32_e32 v2, 0
	v_mov_b32_e32 v0, 0
	;; [unrolled: 1-line block ×3, first 2 shown]
	v_cmp_lt_i32_e32 vcc_lo, 0, v23
	v_mov_b32_e32 v1, 0xfff00000
	s_and_b32 s2, s0, vcc_lo
	s_waitcnt lgkmcnt(0)
	v_add_co_u32 v4, s1, s14, v12
	v_add_co_ci_u32_e64 v5, null, s15, v13, s1
	s_and_saveexec_b32 s1, s2
	s_cbranch_execz .LBB681_4
; %bb.3:
	global_load_dwordx2 v[0:1], v[4:5], off
.LBB681_4:
	s_or_b32 exec_lo, exec_lo, s1
	v_cmp_lt_i32_e64 s1, 1, v23
	s_and_b32 s6, s0, s1
	s_and_saveexec_b32 s3, s6
	s_cbranch_execz .LBB681_6
; %bb.5:
	s_mov_b32 s11, 0
	s_lshl_b64 s[8:9], s[10:11], 3
	v_add_co_u32 v2, s1, v4, s8
	v_add_co_ci_u32_e64 v3, null, s9, v5, s1
	global_load_dwordx2 v[2:3], v[2:3], off
.LBB681_6:
	s_or_b32 exec_lo, exec_lo, s3
	s_load_dwordx2 s[4:5], s[4:5], 0x20
	v_mov_b32_e32 v4, 0
	v_mov_b32_e32 v5, 0xfff00000
	s_waitcnt lgkmcnt(0)
	v_add_co_u32 v14, s1, s4, v6
	v_add_co_ci_u32_e64 v15, null, s5, v7, s1
	s_and_saveexec_b32 s3, s2
	s_cbranch_execz .LBB681_8
; %bb.7:
	global_load_ubyte v4, v[14:15], off
	s_waitcnt vmcnt(0)
	v_and_b32_e32 v4, 1, v4
	v_cmp_eq_u32_e64 s1, 1, v4
	v_cndmask_b32_e64 v5, v1, 0xfff00000, s1
	v_cndmask_b32_e64 v4, v0, 0, s1
.LBB681_8:
	s_or_b32 exec_lo, exec_lo, s3
	s_xor_b32 s4, s2, -1
	s_mov_b32 s3, 0
	s_and_saveexec_b32 s2, s6
	s_cbranch_execz .LBB681_12
; %bb.9:
	s_and_b32 s1, s7, exec_lo
	s_cselect_b32 s1, 0, s10
	s_cselect_b32 s3, 0, 0
	v_add_co_u32 v6, s1, v14, s1
	v_add_co_ci_u32_e64 v7, null, s3, v15, s1
	s_mov_b32 s3, 0
	global_load_ubyte v6, v[6:7], off
	s_waitcnt vmcnt(0)
	v_and_b32_e32 v6, 1, v6
	v_cmp_eq_u32_e64 s1, 1, v6
	s_xor_b32 s5, s1, -1
	s_and_saveexec_b32 s1, s5
; %bb.10:
	s_mov_b32 s3, exec_lo
; %bb.11:
	s_or_b32 exec_lo, exec_lo, s1
	s_and_b32 s3, s3, exec_lo
.LBB681_12:
	s_or_b32 exec_lo, exec_lo, s2
	v_mbcnt_lo_u32_b32 v16, -1, 0
	v_and_b32_e32 v6, 16, v16
	v_xor_b32_e32 v7, 8, v16
	v_xor_b32_e32 v18, 4, v16
	v_add_nc_u32_e32 v17, 16, v6
	v_cmp_lt_i32_e64 s1, v7, v17
	v_cndmask_b32_e64 v6, v16, v7, s1
	s_waitcnt vmcnt(0)
	v_cndmask_b32_e64 v7, 0xfff00000, v3, s3
	v_lshlrev_b32_e32 v24, 2, v6
	v_cndmask_b32_e64 v6, 0, v2, s3
	v_cmp_lt_i32_e64 s3, v18, v17
	ds_bpermute_b32 v8, v24, v4
	ds_bpermute_b32 v9, v24, v5
	ds_bpermute_b32 v10, v24, v6
	ds_bpermute_b32 v11, v24, v7
	v_cndmask_b32_e64 v18, v16, v18, s3
	v_lshlrev_b32_e32 v25, 2, v18
	v_xor_b32_e32 v18, 2, v16
	v_cmp_lt_i32_e64 s3, v18, v17
	v_cndmask_b32_e64 v18, v16, v18, s3
	s_waitcnt lgkmcnt(2)
	v_cmp_lt_f64_e64 s1, v[4:5], v[8:9]
	s_waitcnt lgkmcnt(0)
	v_cmp_lt_f64_e64 s2, v[6:7], v[10:11]
	v_lshlrev_b32_e32 v26, 2, v18
	v_xor_b32_e32 v18, 1, v16
	v_cmp_lt_i32_e64 s3, v18, v17
	v_cndmask_b32_e64 v16, v16, v18, s3
	v_lshlrev_b32_e32 v27, 2, v16
	v_cndmask_b32_e64 v5, v5, v9, s1
	v_cndmask_b32_e64 v4, v4, v8, s1
	;; [unrolled: 1-line block ×4, first 2 shown]
	ds_bpermute_b32 v9, v25, v5
	ds_bpermute_b32 v8, v25, v4
	;; [unrolled: 1-line block ×4, first 2 shown]
	s_waitcnt lgkmcnt(2)
	v_cmp_lt_f64_e64 s1, v[4:5], v[8:9]
	s_waitcnt lgkmcnt(0)
	v_cmp_lt_f64_e64 s2, v[6:7], v[10:11]
	v_cndmask_b32_e64 v5, v5, v9, s1
	v_cndmask_b32_e64 v4, v4, v8, s1
	;; [unrolled: 1-line block ×4, first 2 shown]
	ds_bpermute_b32 v9, v26, v5
	ds_bpermute_b32 v8, v26, v4
	;; [unrolled: 1-line block ×4, first 2 shown]
	s_waitcnt lgkmcnt(2)
	v_cmp_lt_f64_e64 s1, v[4:5], v[8:9]
	s_waitcnt lgkmcnt(0)
	v_cmp_lt_f64_e64 s2, v[6:7], v[10:11]
	v_cndmask_b32_e64 v20, v5, v9, s1
	v_cndmask_b32_e64 v19, v4, v8, s1
	;; [unrolled: 1-line block ×4, first 2 shown]
                                        ; implicit-def: $vgpr8_vgpr9_vgpr10_vgpr11
	ds_bpermute_b32 v29, v27, v20
	ds_bpermute_b32 v21, v27, v19
	;; [unrolled: 1-line block ×4, first 2 shown]
	s_and_saveexec_b32 s1, s4
	s_xor_b32 s1, exec_lo, s1
; %bb.13:
	s_mov_b32 s2, 0
                                        ; implicit-def: $vgpr19
                                        ; implicit-def: $vgpr29
                                        ; implicit-def: $vgpr21
	v_mov_b32_e32 v0, s2
	v_mov_b32_e32 v1, s2
	;; [unrolled: 1-line block ×6, first 2 shown]
                                        ; implicit-def: $vgpr0_vgpr1_vgpr2_vgpr3
; %bb.14:
	s_or_saveexec_b32 s3, s1
	v_mov_b32_e32 v4, 0
	s_xor_b32 s4, s6, -1
	s_mov_b32 s2, 0
	v_mov_b32_e32 v5, v4
	v_mov_b32_e32 v6, v4
	;; [unrolled: 1-line block ×3, first 2 shown]
	s_xor_b32 exec_lo, exec_lo, s3
	s_cbranch_execz .LBB681_20
; %bb.15:
	global_load_ubyte v4, v[14:15], off
	v_mov_b32_e32 v11, v3
	v_mov_b32_e32 v9, v1
	;; [unrolled: 1-line block ×6, first 2 shown]
	s_waitcnt vmcnt(0)
	v_and_b32_e32 v4, 1, v4
	v_cmp_eq_u32_e64 s1, 1, v4
                                        ; implicit-def: $vgpr4_vgpr5_vgpr6_vgpr7
	s_xor_b32 s1, s1, -1
	s_and_saveexec_b32 s2, s1
	s_xor_b32 s5, exec_lo, s2
	s_cbranch_execz .LBB681_17
; %bb.16:
	s_waitcnt lgkmcnt(3)
	v_mov_b32_e32 v22, v29
	s_mov_b32 s8, 0x652b82fe
	s_mov_b32 s9, 0x3ff71547
	;; [unrolled: 1-line block ×4, first 2 shown]
	s_waitcnt lgkmcnt(2)
	v_cmp_lt_f64_e64 s1, v[19:20], v[21:22]
	v_cndmask_b32_e64 v5, v20, v29, s1
	v_cndmask_b32_e64 v4, v19, v21, s1
	v_add_f64 v[0:1], v[0:1], -v[4:5]
	v_mul_f64 v[4:5], v[0:1], s[8:9]
	s_mov_b32 s8, 0xfefa39ef
	s_mov_b32 s9, 0xbfe62e42
	v_cmp_nlt_f64_e64 s1, 0x40900000, v[0:1]
	v_cmp_ngt_f64_e64 s2, 0xc090cc00, v[0:1]
	v_rndne_f64_e32 v[4:5], v[4:5]
	v_fma_f64 v[6:7], v[4:5], s[8:9], v[0:1]
	s_mov_b32 s8, 0x3b39803f
	s_mov_b32 s9, 0xbc7abc9e
	v_cvt_i32_f64_e32 v10, v[4:5]
	v_fma_f64 v[6:7], v[4:5], s[8:9], v[6:7]
	s_mov_b32 s8, 0xfca7ab0c
	s_mov_b32 s9, 0x3e928af3
	v_fma_f64 v[8:9], v[6:7], s[14:15], s[8:9]
	s_mov_b32 s8, 0x623fde64
	s_mov_b32 s9, 0x3ec71dee
	;; [unrolled: 3-line block ×9, first 2 shown]
	v_fma_f64 v[8:9], v[6:7], v[8:9], s[8:9]
	v_fma_f64 v[8:9], v[6:7], v[8:9], 1.0
	v_fma_f64 v[4:5], v[6:7], v[8:9], 1.0
	v_mov_b32_e32 v6, 0
	v_mov_b32_e32 v7, v6
	v_ldexp_f64 v[4:5], v[4:5], v10
	v_cndmask_b32_e64 v5, 0x7ff00000, v5, s1
	s_and_b32 s1, s2, s1
	v_cndmask_b32_e64 v0, 0, v4, s1
	v_cndmask_b32_e64 v1, 0, v5, s2
	v_mov_b32_e32 v11, v3
	v_mov_b32_e32 v10, v2
	;; [unrolled: 1-line block ×3, first 2 shown]
	v_add_f64 v[4:5], v[0:1], 0
	v_mov_b32_e32 v9, v1
.LBB681_17:
	s_andn2_saveexec_b32 s1, s5
; %bb.18:
	v_mov_b32_e32 v4, 0
	v_mov_b32_e32 v5, v4
	;; [unrolled: 1-line block ×4, first 2 shown]
; %bb.19:
	s_or_b32 exec_lo, exec_lo, s1
.LBB681_20:
	s_or_b32 exec_lo, exec_lo, s3
                                        ; implicit-def: $vgpr0_vgpr1_vgpr2_vgpr3
	s_and_saveexec_b32 s1, s4
	s_xor_b32 s1, exec_lo, s1
	s_cbranch_execz .LBB681_22
; %bb.21:
	s_mov_b32 s2, 0
                                        ; implicit-def: $vgpr14
                                        ; implicit-def: $vgpr16
                                        ; implicit-def: $vgpr28
                                        ; implicit-def: $vgpr18
	v_mov_b32_e32 v10, s2
	v_mov_b32_e32 v11, s2
	;; [unrolled: 1-line block ×6, first 2 shown]
                                        ; implicit-def: $vgpr8_vgpr9_vgpr10_vgpr11
	s_andn2_saveexec_b32 s3, s1
	s_cbranch_execz .LBB681_26
	s_branch .LBB681_23
.LBB681_22:
	s_andn2_saveexec_b32 s3, s1
	s_cbranch_execz .LBB681_26
.LBB681_23:
	s_and_b32 s1, s7, exec_lo
	s_cselect_b32 s1, 0, s10
	s_cselect_b32 s2, 0, 0
	v_add_co_u32 v0, s1, v14, s1
	v_add_co_ci_u32_e64 v1, null, s2, v15, s1
	s_mov_b32 s2, 0
	global_load_ubyte v0, v[0:1], off
	s_waitcnt vmcnt(0)
	v_and_b32_e32 v0, 1, v0
	v_cmp_eq_u32_e64 s1, 1, v0
	v_mov_b32_e32 v0, v8
	v_mov_b32_e32 v2, v10
	;; [unrolled: 1-line block ×6, first 2 shown]
	s_xor_b32 s1, s1, -1
	s_and_saveexec_b32 s2, s1
	s_xor_b32 s4, exec_lo, s2
	s_cbranch_execz .LBB681_25
; %bb.24:
	s_waitcnt lgkmcnt(1)
	v_mov_b32_e32 v19, v28
	s_mov_b32 s6, 0x652b82fe
	s_mov_b32 s7, 0x3ff71547
	;; [unrolled: 1-line block ×4, first 2 shown]
	s_waitcnt lgkmcnt(0)
	v_cmp_lt_f64_e64 s1, v[16:17], v[18:19]
	v_cndmask_b32_e64 v1, v17, v28, s1
	v_cndmask_b32_e64 v0, v16, v18, s1
	v_add_f64 v[0:1], v[10:11], -v[0:1]
	v_mul_f64 v[2:3], v[0:1], s[6:7]
	s_mov_b32 s6, 0xfefa39ef
	s_mov_b32 s7, 0xbfe62e42
	v_cmp_nlt_f64_e64 s1, 0x40900000, v[0:1]
	v_cmp_ngt_f64_e64 s2, 0xc090cc00, v[0:1]
	v_rndne_f64_e32 v[2:3], v[2:3]
	v_fma_f64 v[10:11], v[2:3], s[6:7], v[0:1]
	s_mov_b32 s6, 0x3b39803f
	s_mov_b32 s7, 0xbc7abc9e
	v_cvt_i32_f64_e32 v16, v[2:3]
	v_fma_f64 v[10:11], v[2:3], s[6:7], v[10:11]
	s_mov_b32 s6, 0xfca7ab0c
	s_mov_b32 s7, 0x3e928af3
	v_fma_f64 v[14:15], v[10:11], s[8:9], s[6:7]
	s_mov_b32 s6, 0x623fde64
	s_mov_b32 s7, 0x3ec71dee
	;; [unrolled: 3-line block ×9, first 2 shown]
	v_fma_f64 v[14:15], v[10:11], v[14:15], s[6:7]
	v_fma_f64 v[14:15], v[10:11], v[14:15], 1.0
	v_fma_f64 v[2:3], v[10:11], v[14:15], 1.0
	v_ldexp_f64 v[2:3], v[2:3], v16
	v_cndmask_b32_e64 v3, 0x7ff00000, v3, s1
	s_and_b32 s1, s2, s1
	v_cndmask_b32_e64 v10, 0, v2, s1
	v_cndmask_b32_e64 v11, 0, v3, s2
	v_mov_b32_e32 v0, v8
	v_mov_b32_e32 v1, v9
	v_mov_b32_e32 v2, v10
	v_add_f64 v[6:7], v[6:7], v[10:11]
	v_mov_b32_e32 v3, v11
.LBB681_25:
	s_andn2_saveexec_b32 s1, s4
	s_or_b32 exec_lo, exec_lo, s1
.LBB681_26:
	s_or_b32 exec_lo, exec_lo, s3
	ds_bpermute_b32 v8, v24, v4
	ds_bpermute_b32 v9, v24, v5
	ds_bpermute_b32 v10, v24, v6
	ds_bpermute_b32 v11, v24, v7
	s_waitcnt lgkmcnt(2)
	v_add_f64 v[4:5], v[4:5], v[8:9]
	s_waitcnt lgkmcnt(0)
	v_add_f64 v[6:7], v[6:7], v[10:11]
	ds_bpermute_b32 v8, v25, v4
	ds_bpermute_b32 v9, v25, v5
	ds_bpermute_b32 v10, v25, v6
	ds_bpermute_b32 v11, v25, v7
	s_waitcnt lgkmcnt(2)
	v_add_f64 v[4:5], v[4:5], v[8:9]
	s_waitcnt lgkmcnt(0)
	v_add_f64 v[6:7], v[6:7], v[10:11]
	;; [unrolled: 8-line block ×3, first 2 shown]
	ds_bpermute_b32 v14, v27, v10
	ds_bpermute_b32 v15, v27, v11
	ds_bpermute_b32 v8, v27, v6
	ds_bpermute_b32 v9, v27, v7
	s_and_saveexec_b32 s1, vcc_lo
	s_cbranch_execz .LBB681_35
; %bb.27:
	v_add_co_u32 v4, vcc_lo, s12, v12
	v_add_co_ci_u32_e64 v5, null, s13, v13, vcc_lo
	s_and_saveexec_b32 s1, s0
	s_cbranch_execz .LBB681_31
; %bb.28:
	s_waitcnt lgkmcnt(2)
	v_add_f64 v[10:11], v[10:11], v[14:15]
	v_mov_b32_e32 v12, 0
	v_mov_b32_e32 v13, 0x7ff80000
	s_mov_b32 s2, exec_lo
	v_cmpx_neq_f64_e32 0, v[10:11]
	s_cbranch_execz .LBB681_30
; %bb.29:
	v_div_scale_f64 v[12:13], null, v[10:11], v[10:11], v[0:1]
	v_rcp_f64_e32 v[14:15], v[12:13]
	v_fma_f64 v[16:17], -v[12:13], v[14:15], 1.0
	v_fma_f64 v[14:15], v[14:15], v[16:17], v[14:15]
	v_fma_f64 v[16:17], -v[12:13], v[14:15], 1.0
	v_fma_f64 v[14:15], v[14:15], v[16:17], v[14:15]
	v_div_scale_f64 v[16:17], vcc_lo, v[0:1], v[10:11], v[0:1]
	v_mul_f64 v[18:19], v[16:17], v[14:15]
	v_fma_f64 v[12:13], -v[12:13], v[18:19], v[16:17]
	v_div_fmas_f64 v[12:13], v[12:13], v[14:15], v[18:19]
	v_div_fixup_f64 v[12:13], v[12:13], v[10:11], v[0:1]
.LBB681_30:
	s_or_b32 exec_lo, exec_lo, s2
	global_store_dwordx2 v[4:5], v[12:13], off
.LBB681_31:
	s_or_b32 exec_lo, exec_lo, s1
	v_cmp_ne_u32_e32 vcc_lo, 1, v23
	s_and_b32 s0, vcc_lo, s0
	s_and_b32 exec_lo, exec_lo, s0
	s_cbranch_execz .LBB681_35
; %bb.32:
	s_waitcnt lgkmcnt(0)
	v_add_f64 v[0:1], v[6:7], v[8:9]
	v_mov_b32_e32 v6, 0
	v_mov_b32_e32 v7, 0x7ff80000
	s_mov_b32 s0, exec_lo
	v_cmpx_neq_f64_e32 0, v[0:1]
	s_cbranch_execz .LBB681_34
; %bb.33:
	v_div_scale_f64 v[6:7], null, v[0:1], v[0:1], v[2:3]
	v_rcp_f64_e32 v[8:9], v[6:7]
	v_fma_f64 v[10:11], -v[6:7], v[8:9], 1.0
	v_fma_f64 v[8:9], v[8:9], v[10:11], v[8:9]
	v_fma_f64 v[10:11], -v[6:7], v[8:9], 1.0
	v_fma_f64 v[8:9], v[8:9], v[10:11], v[8:9]
	v_div_scale_f64 v[10:11], vcc_lo, v[2:3], v[0:1], v[2:3]
	v_mul_f64 v[12:13], v[10:11], v[8:9]
	v_fma_f64 v[6:7], -v[6:7], v[12:13], v[10:11]
	v_div_fmas_f64 v[6:7], v[6:7], v[8:9], v[12:13]
	v_div_fixup_f64 v[6:7], v[6:7], v[0:1], v[2:3]
.LBB681_34:
	s_or_b32 exec_lo, exec_lo, s0
	s_mov_b32 s11, 0
	s_lshl_b64 s[0:1], s[10:11], 3
	v_add_co_u32 v0, vcc_lo, v4, s0
	v_add_co_ci_u32_e64 v1, null, s1, v5, vcc_lo
	global_store_dwordx2 v[0:1], v[6:7], off
.LBB681_35:
	s_endpgm
	.section	.rodata,"a",@progbits
	.p2align	6, 0x0
	.amdhsa_kernel _ZN12_GLOBAL__N_120softmax_warp_forwardIdddLi4ELb0ELb1ELi32EEEvPT0_PKT_iiiPKbib
		.amdhsa_group_segment_fixed_size 0
		.amdhsa_private_segment_fixed_size 0
		.amdhsa_kernarg_size 304
		.amdhsa_user_sgpr_count 6
		.amdhsa_user_sgpr_private_segment_buffer 1
		.amdhsa_user_sgpr_dispatch_ptr 0
		.amdhsa_user_sgpr_queue_ptr 0
		.amdhsa_user_sgpr_kernarg_segment_ptr 1
		.amdhsa_user_sgpr_dispatch_id 0
		.amdhsa_user_sgpr_flat_scratch_init 0
		.amdhsa_user_sgpr_private_segment_size 0
		.amdhsa_wavefront_size32 1
		.amdhsa_uses_dynamic_stack 0
		.amdhsa_system_sgpr_private_segment_wavefront_offset 0
		.amdhsa_system_sgpr_workgroup_id_x 1
		.amdhsa_system_sgpr_workgroup_id_y 0
		.amdhsa_system_sgpr_workgroup_id_z 0
		.amdhsa_system_sgpr_workgroup_info 0
		.amdhsa_system_vgpr_workitem_id 1
		.amdhsa_next_free_vgpr 30
		.amdhsa_next_free_sgpr 16
		.amdhsa_reserve_vcc 1
		.amdhsa_reserve_flat_scratch 0
		.amdhsa_float_round_mode_32 0
		.amdhsa_float_round_mode_16_64 0
		.amdhsa_float_denorm_mode_32 3
		.amdhsa_float_denorm_mode_16_64 3
		.amdhsa_dx10_clamp 1
		.amdhsa_ieee_mode 1
		.amdhsa_fp16_overflow 0
		.amdhsa_workgroup_processor_mode 1
		.amdhsa_memory_ordered 1
		.amdhsa_forward_progress 1
		.amdhsa_shared_vgpr_count 0
		.amdhsa_exception_fp_ieee_invalid_op 0
		.amdhsa_exception_fp_denorm_src 0
		.amdhsa_exception_fp_ieee_div_zero 0
		.amdhsa_exception_fp_ieee_overflow 0
		.amdhsa_exception_fp_ieee_underflow 0
		.amdhsa_exception_fp_ieee_inexact 0
		.amdhsa_exception_int_div_zero 0
	.end_amdhsa_kernel
	.section	.text._ZN12_GLOBAL__N_120softmax_warp_forwardIdddLi4ELb0ELb1ELi32EEEvPT0_PKT_iiiPKbib,"axG",@progbits,_ZN12_GLOBAL__N_120softmax_warp_forwardIdddLi4ELb0ELb1ELi32EEEvPT0_PKT_iiiPKbib,comdat
.Lfunc_end681:
	.size	_ZN12_GLOBAL__N_120softmax_warp_forwardIdddLi4ELb0ELb1ELi32EEEvPT0_PKT_iiiPKbib, .Lfunc_end681-_ZN12_GLOBAL__N_120softmax_warp_forwardIdddLi4ELb0ELb1ELi32EEEvPT0_PKT_iiiPKbib
                                        ; -- End function
	.set _ZN12_GLOBAL__N_120softmax_warp_forwardIdddLi4ELb0ELb1ELi32EEEvPT0_PKT_iiiPKbib.num_vgpr, 30
	.set _ZN12_GLOBAL__N_120softmax_warp_forwardIdddLi4ELb0ELb1ELi32EEEvPT0_PKT_iiiPKbib.num_agpr, 0
	.set _ZN12_GLOBAL__N_120softmax_warp_forwardIdddLi4ELb0ELb1ELi32EEEvPT0_PKT_iiiPKbib.numbered_sgpr, 16
	.set _ZN12_GLOBAL__N_120softmax_warp_forwardIdddLi4ELb0ELb1ELi32EEEvPT0_PKT_iiiPKbib.num_named_barrier, 0
	.set _ZN12_GLOBAL__N_120softmax_warp_forwardIdddLi4ELb0ELb1ELi32EEEvPT0_PKT_iiiPKbib.private_seg_size, 0
	.set _ZN12_GLOBAL__N_120softmax_warp_forwardIdddLi4ELb0ELb1ELi32EEEvPT0_PKT_iiiPKbib.uses_vcc, 1
	.set _ZN12_GLOBAL__N_120softmax_warp_forwardIdddLi4ELb0ELb1ELi32EEEvPT0_PKT_iiiPKbib.uses_flat_scratch, 0
	.set _ZN12_GLOBAL__N_120softmax_warp_forwardIdddLi4ELb0ELb1ELi32EEEvPT0_PKT_iiiPKbib.has_dyn_sized_stack, 0
	.set _ZN12_GLOBAL__N_120softmax_warp_forwardIdddLi4ELb0ELb1ELi32EEEvPT0_PKT_iiiPKbib.has_recursion, 0
	.set _ZN12_GLOBAL__N_120softmax_warp_forwardIdddLi4ELb0ELb1ELi32EEEvPT0_PKT_iiiPKbib.has_indirect_call, 0
	.section	.AMDGPU.csdata,"",@progbits
; Kernel info:
; codeLenInByte = 2808
; TotalNumSgprs: 18
; NumVgprs: 30
; ScratchSize: 0
; MemoryBound: 1
; FloatMode: 240
; IeeeMode: 1
; LDSByteSize: 0 bytes/workgroup (compile time only)
; SGPRBlocks: 0
; VGPRBlocks: 3
; NumSGPRsForWavesPerEU: 18
; NumVGPRsForWavesPerEU: 30
; Occupancy: 16
; WaveLimiterHint : 0
; COMPUTE_PGM_RSRC2:SCRATCH_EN: 0
; COMPUTE_PGM_RSRC2:USER_SGPR: 6
; COMPUTE_PGM_RSRC2:TRAP_HANDLER: 0
; COMPUTE_PGM_RSRC2:TGID_X_EN: 1
; COMPUTE_PGM_RSRC2:TGID_Y_EN: 0
; COMPUTE_PGM_RSRC2:TGID_Z_EN: 0
; COMPUTE_PGM_RSRC2:TIDIG_COMP_CNT: 1
	.section	.text._ZN12_GLOBAL__N_120softmax_warp_forwardIdddLi5ELb0ELb1ELi64EEEvPT0_PKT_iiiPKbib,"axG",@progbits,_ZN12_GLOBAL__N_120softmax_warp_forwardIdddLi5ELb0ELb1ELi64EEEvPT0_PKT_iiiPKbib,comdat
	.globl	_ZN12_GLOBAL__N_120softmax_warp_forwardIdddLi5ELb0ELb1ELi64EEEvPT0_PKT_iiiPKbib ; -- Begin function _ZN12_GLOBAL__N_120softmax_warp_forwardIdddLi5ELb0ELb1ELi64EEEvPT0_PKT_iiiPKbib
	.p2align	8
	.type	_ZN12_GLOBAL__N_120softmax_warp_forwardIdddLi5ELb0ELb1ELi64EEEvPT0_PKT_iiiPKbib,@function
_ZN12_GLOBAL__N_120softmax_warp_forwardIdddLi5ELb0ELb1ELi64EEEvPT0_PKT_iiiPKbib: ; @_ZN12_GLOBAL__N_120softmax_warp_forwardIdddLi5ELb0ELb1ELi64EEEvPT0_PKT_iiiPKbib
; %bb.0:
	s_clause 0x2
	s_load_dwordx2 s[0:1], s[4:5], 0x28
	s_load_dword s2, s[4:5], 0x3c
	s_load_dwordx4 s[8:11], s[4:5], 0x10
	s_waitcnt lgkmcnt(0)
	s_bitcmp1_b32 s1, 0
	s_cselect_b32 s7, -1, 0
	s_lshr_b32 s2, s2, 16
	s_and_b32 s2, s2, 0xffff
	s_bitcmp0_b32 s1, 0
	s_mul_i32 s6, s6, s2
	v_add_lshl_u32 v3, s6, v1, 1
	v_mul_lo_u32 v4, v3, s9
	v_add_nc_u32_e32 v1, v4, v0
	v_ashrrev_i32_e32 v2, 31, v1
	v_mov_b32_e32 v7, v2
	v_mov_b32_e32 v6, v1
	s_cbranch_scc1 .LBB682_2
; %bb.1:
	s_abs_i32 s1, s0
	v_sub_nc_u32_e32 v7, 0, v4
	v_cvt_f32_u32_e32 v5, s1
	s_sub_i32 s2, 0, s1
	v_max_i32_e32 v7, v4, v7
	v_rcp_iflag_f32_e32 v5, v5
	v_xor_b32_e32 v4, s0, v4
	v_ashrrev_i32_e32 v4, 31, v4
	v_mul_f32_e32 v5, 0x4f7ffffe, v5
	v_cvt_u32_f32_e32 v5, v5
	v_mul_lo_u32 v6, s2, v5
	v_mul_hi_u32 v6, v5, v6
	v_add_nc_u32_e32 v5, v5, v6
	v_mul_hi_u32 v5, v7, v5
	v_mul_lo_u32 v6, v5, s1
	v_sub_nc_u32_e32 v6, v7, v6
	v_add_nc_u32_e32 v7, 1, v5
	v_subrev_nc_u32_e32 v8, s1, v6
	v_cmp_le_u32_e32 vcc_lo, s1, v6
	v_cndmask_b32_e32 v5, v5, v7, vcc_lo
	v_cndmask_b32_e32 v6, v6, v8, vcc_lo
	v_add_nc_u32_e32 v7, 1, v5
	v_cmp_le_u32_e32 vcc_lo, s1, v6
	v_cndmask_b32_e32 v5, v5, v7, vcc_lo
	v_xor_b32_e32 v5, v5, v4
	v_sub_nc_u32_e32 v4, v5, v4
	v_mad_u64_u32 v[6:7], null, v4, s9, v[0:1]
	v_ashrrev_i32_e32 v7, 31, v6
.LBB682_2:
	s_load_dwordx4 s[12:15], s[4:5], 0x0
	v_lshlrev_b64 v[12:13], 3, v[1:2]
	v_sub_nc_u32_e32 v23, s8, v3
	v_cmp_gt_i32_e64 s0, s10, v0
	v_mov_b32_e32 v2, 0
	v_mov_b32_e32 v0, 0
	;; [unrolled: 1-line block ×3, first 2 shown]
	v_cmp_lt_i32_e32 vcc_lo, 0, v23
	v_mov_b32_e32 v1, 0xfff00000
	s_and_b32 s2, s0, vcc_lo
	s_waitcnt lgkmcnt(0)
	v_add_co_u32 v4, s1, s14, v12
	v_add_co_ci_u32_e64 v5, null, s15, v13, s1
	s_and_saveexec_b32 s1, s2
	s_cbranch_execz .LBB682_4
; %bb.3:
	global_load_dwordx2 v[0:1], v[4:5], off
.LBB682_4:
	s_or_b32 exec_lo, exec_lo, s1
	v_cmp_lt_i32_e64 s1, 1, v23
	s_and_b32 s6, s0, s1
	s_and_saveexec_b32 s3, s6
	s_cbranch_execz .LBB682_6
; %bb.5:
	s_mov_b32 s11, 0
	s_lshl_b64 s[8:9], s[10:11], 3
	v_add_co_u32 v2, s1, v4, s8
	v_add_co_ci_u32_e64 v3, null, s9, v5, s1
	global_load_dwordx2 v[2:3], v[2:3], off
.LBB682_6:
	s_or_b32 exec_lo, exec_lo, s3
	s_load_dwordx2 s[4:5], s[4:5], 0x20
	v_mov_b32_e32 v4, 0
	v_mov_b32_e32 v5, 0xfff00000
	s_waitcnt lgkmcnt(0)
	v_add_co_u32 v14, s1, s4, v6
	v_add_co_ci_u32_e64 v15, null, s5, v7, s1
	s_and_saveexec_b32 s3, s2
	s_cbranch_execz .LBB682_8
; %bb.7:
	global_load_ubyte v4, v[14:15], off
	s_waitcnt vmcnt(0)
	v_and_b32_e32 v4, 1, v4
	v_cmp_eq_u32_e64 s1, 1, v4
	v_cndmask_b32_e64 v5, v1, 0xfff00000, s1
	v_cndmask_b32_e64 v4, v0, 0, s1
.LBB682_8:
	s_or_b32 exec_lo, exec_lo, s3
	s_xor_b32 s4, s2, -1
	s_mov_b32 s3, 0
	s_and_saveexec_b32 s2, s6
	s_cbranch_execz .LBB682_12
; %bb.9:
	s_and_b32 s1, s7, exec_lo
	s_cselect_b32 s1, 0, s10
	s_cselect_b32 s3, 0, 0
	v_add_co_u32 v6, s1, v14, s1
	v_add_co_ci_u32_e64 v7, null, s3, v15, s1
	s_mov_b32 s3, 0
	global_load_ubyte v6, v[6:7], off
	s_waitcnt vmcnt(0)
	v_and_b32_e32 v6, 1, v6
	v_cmp_eq_u32_e64 s1, 1, v6
	s_xor_b32 s5, s1, -1
	s_and_saveexec_b32 s1, s5
; %bb.10:
	s_mov_b32 s3, exec_lo
; %bb.11:
	s_or_b32 exec_lo, exec_lo, s1
	s_and_b32 s3, s3, exec_lo
.LBB682_12:
	s_or_b32 exec_lo, exec_lo, s2
	v_mbcnt_lo_u32_b32 v16, -1, 0
	s_waitcnt vmcnt(0)
	v_cndmask_b32_e64 v7, 0xfff00000, v3, s3
	v_xor_b32_e32 v6, 16, v16
	v_xor_b32_e32 v17, 8, v16
	v_cmp_gt_i32_e64 s1, 32, v6
	v_cndmask_b32_e64 v6, v16, v6, s1
	v_lshlrev_b32_e32 v24, 2, v6
	v_cndmask_b32_e64 v6, 0, v2, s3
	v_cmp_gt_i32_e64 s3, 32, v17
	ds_bpermute_b32 v8, v24, v4
	ds_bpermute_b32 v9, v24, v5
	ds_bpermute_b32 v10, v24, v6
	ds_bpermute_b32 v11, v24, v7
	v_cndmask_b32_e64 v17, v16, v17, s3
	v_lshlrev_b32_e32 v25, 2, v17
	v_xor_b32_e32 v17, 4, v16
	v_cmp_gt_i32_e64 s3, 32, v17
	v_cndmask_b32_e64 v17, v16, v17, s3
	s_waitcnt lgkmcnt(2)
	v_cmp_lt_f64_e64 s1, v[4:5], v[8:9]
	s_waitcnt lgkmcnt(0)
	v_cmp_lt_f64_e64 s2, v[6:7], v[10:11]
	v_lshlrev_b32_e32 v26, 2, v17
	v_xor_b32_e32 v17, 2, v16
	v_cmp_gt_i32_e64 s3, 32, v17
	v_cndmask_b32_e64 v17, v16, v17, s3
	v_lshlrev_b32_e32 v27, 2, v17
	v_xor_b32_e32 v17, 1, v16
	v_cndmask_b32_e64 v5, v5, v9, s1
	v_cndmask_b32_e64 v4, v4, v8, s1
	;; [unrolled: 1-line block ×4, first 2 shown]
	v_cmp_gt_i32_e64 s3, 32, v17
	ds_bpermute_b32 v9, v25, v5
	ds_bpermute_b32 v8, v25, v4
	;; [unrolled: 1-line block ×4, first 2 shown]
	v_cndmask_b32_e64 v16, v16, v17, s3
	v_lshlrev_b32_e32 v28, 2, v16
	s_waitcnt lgkmcnt(2)
	v_cmp_lt_f64_e64 s1, v[4:5], v[8:9]
	s_waitcnt lgkmcnt(0)
	v_cmp_lt_f64_e64 s2, v[6:7], v[10:11]
	v_cndmask_b32_e64 v5, v5, v9, s1
	v_cndmask_b32_e64 v4, v4, v8, s1
	;; [unrolled: 1-line block ×4, first 2 shown]
	ds_bpermute_b32 v9, v26, v5
	ds_bpermute_b32 v8, v26, v4
	;; [unrolled: 1-line block ×4, first 2 shown]
	s_waitcnt lgkmcnt(2)
	v_cmp_lt_f64_e64 s1, v[4:5], v[8:9]
	s_waitcnt lgkmcnt(0)
	v_cmp_lt_f64_e64 s2, v[6:7], v[10:11]
	v_cndmask_b32_e64 v5, v5, v9, s1
	v_cndmask_b32_e64 v4, v4, v8, s1
	;; [unrolled: 1-line block ×4, first 2 shown]
	ds_bpermute_b32 v9, v27, v5
	ds_bpermute_b32 v8, v27, v4
	;; [unrolled: 1-line block ×4, first 2 shown]
	s_waitcnt lgkmcnt(2)
	v_cmp_lt_f64_e64 s1, v[4:5], v[8:9]
	s_waitcnt lgkmcnt(0)
	v_cmp_lt_f64_e64 s2, v[6:7], v[10:11]
	v_cndmask_b32_e64 v20, v5, v9, s1
	v_cndmask_b32_e64 v19, v4, v8, s1
	;; [unrolled: 1-line block ×4, first 2 shown]
                                        ; implicit-def: $vgpr8_vgpr9_vgpr10_vgpr11
	ds_bpermute_b32 v30, v28, v20
	ds_bpermute_b32 v21, v28, v19
	;; [unrolled: 1-line block ×4, first 2 shown]
	s_and_saveexec_b32 s1, s4
	s_xor_b32 s1, exec_lo, s1
; %bb.13:
	s_mov_b32 s2, 0
                                        ; implicit-def: $vgpr19
                                        ; implicit-def: $vgpr30
                                        ; implicit-def: $vgpr21
	v_mov_b32_e32 v0, s2
	v_mov_b32_e32 v1, s2
	;; [unrolled: 1-line block ×6, first 2 shown]
                                        ; implicit-def: $vgpr0_vgpr1_vgpr2_vgpr3
; %bb.14:
	s_or_saveexec_b32 s3, s1
	v_mov_b32_e32 v4, 0
	s_xor_b32 s4, s6, -1
	s_mov_b32 s2, 0
	v_mov_b32_e32 v5, v4
	v_mov_b32_e32 v6, v4
	;; [unrolled: 1-line block ×3, first 2 shown]
	s_xor_b32 exec_lo, exec_lo, s3
	s_cbranch_execz .LBB682_20
; %bb.15:
	global_load_ubyte v4, v[14:15], off
	v_mov_b32_e32 v11, v3
	v_mov_b32_e32 v9, v1
	;; [unrolled: 1-line block ×6, first 2 shown]
	s_waitcnt vmcnt(0)
	v_and_b32_e32 v4, 1, v4
	v_cmp_eq_u32_e64 s1, 1, v4
                                        ; implicit-def: $vgpr4_vgpr5_vgpr6_vgpr7
	s_xor_b32 s1, s1, -1
	s_and_saveexec_b32 s2, s1
	s_xor_b32 s5, exec_lo, s2
	s_cbranch_execz .LBB682_17
; %bb.16:
	s_waitcnt lgkmcnt(3)
	v_mov_b32_e32 v22, v30
	s_mov_b32 s8, 0x652b82fe
	s_mov_b32 s9, 0x3ff71547
	s_mov_b32 s14, 0x6a5dcb37
	s_mov_b32 s15, 0x3e5ade15
	s_waitcnt lgkmcnt(2)
	v_cmp_lt_f64_e64 s1, v[19:20], v[21:22]
	v_cndmask_b32_e64 v5, v20, v30, s1
	v_cndmask_b32_e64 v4, v19, v21, s1
	v_add_f64 v[0:1], v[0:1], -v[4:5]
	v_mul_f64 v[4:5], v[0:1], s[8:9]
	s_mov_b32 s8, 0xfefa39ef
	s_mov_b32 s9, 0xbfe62e42
	v_cmp_nlt_f64_e64 s1, 0x40900000, v[0:1]
	v_cmp_ngt_f64_e64 s2, 0xc090cc00, v[0:1]
	v_rndne_f64_e32 v[4:5], v[4:5]
	v_fma_f64 v[6:7], v[4:5], s[8:9], v[0:1]
	s_mov_b32 s8, 0x3b39803f
	s_mov_b32 s9, 0xbc7abc9e
	v_cvt_i32_f64_e32 v10, v[4:5]
	v_fma_f64 v[6:7], v[4:5], s[8:9], v[6:7]
	s_mov_b32 s8, 0xfca7ab0c
	s_mov_b32 s9, 0x3e928af3
	v_fma_f64 v[8:9], v[6:7], s[14:15], s[8:9]
	s_mov_b32 s8, 0x623fde64
	s_mov_b32 s9, 0x3ec71dee
	;; [unrolled: 3-line block ×9, first 2 shown]
	v_fma_f64 v[8:9], v[6:7], v[8:9], s[8:9]
	v_fma_f64 v[8:9], v[6:7], v[8:9], 1.0
	v_fma_f64 v[4:5], v[6:7], v[8:9], 1.0
	v_mov_b32_e32 v6, 0
	v_mov_b32_e32 v7, v6
	v_ldexp_f64 v[4:5], v[4:5], v10
	v_cndmask_b32_e64 v5, 0x7ff00000, v5, s1
	s_and_b32 s1, s2, s1
	v_cndmask_b32_e64 v0, 0, v4, s1
	v_cndmask_b32_e64 v1, 0, v5, s2
	v_mov_b32_e32 v11, v3
	v_mov_b32_e32 v10, v2
	;; [unrolled: 1-line block ×3, first 2 shown]
	v_add_f64 v[4:5], v[0:1], 0
	v_mov_b32_e32 v9, v1
.LBB682_17:
	s_andn2_saveexec_b32 s1, s5
; %bb.18:
	v_mov_b32_e32 v4, 0
	v_mov_b32_e32 v5, v4
	;; [unrolled: 1-line block ×4, first 2 shown]
; %bb.19:
	s_or_b32 exec_lo, exec_lo, s1
.LBB682_20:
	s_or_b32 exec_lo, exec_lo, s3
                                        ; implicit-def: $vgpr0_vgpr1_vgpr2_vgpr3
	s_and_saveexec_b32 s1, s4
	s_xor_b32 s1, exec_lo, s1
	s_cbranch_execz .LBB682_22
; %bb.21:
	s_mov_b32 s2, 0
                                        ; implicit-def: $vgpr14
                                        ; implicit-def: $vgpr16
                                        ; implicit-def: $vgpr29
                                        ; implicit-def: $vgpr18
	v_mov_b32_e32 v10, s2
	v_mov_b32_e32 v11, s2
	;; [unrolled: 1-line block ×6, first 2 shown]
                                        ; implicit-def: $vgpr8_vgpr9_vgpr10_vgpr11
	s_andn2_saveexec_b32 s3, s1
	s_cbranch_execz .LBB682_26
	s_branch .LBB682_23
.LBB682_22:
	s_andn2_saveexec_b32 s3, s1
	s_cbranch_execz .LBB682_26
.LBB682_23:
	s_and_b32 s1, s7, exec_lo
	s_cselect_b32 s1, 0, s10
	s_cselect_b32 s2, 0, 0
	v_add_co_u32 v0, s1, v14, s1
	v_add_co_ci_u32_e64 v1, null, s2, v15, s1
	s_mov_b32 s2, 0
	global_load_ubyte v0, v[0:1], off
	s_waitcnt vmcnt(0)
	v_and_b32_e32 v0, 1, v0
	v_cmp_eq_u32_e64 s1, 1, v0
	v_mov_b32_e32 v0, v8
	v_mov_b32_e32 v2, v10
	;; [unrolled: 1-line block ×6, first 2 shown]
	s_xor_b32 s1, s1, -1
	s_and_saveexec_b32 s2, s1
	s_xor_b32 s4, exec_lo, s2
	s_cbranch_execz .LBB682_25
; %bb.24:
	s_waitcnt lgkmcnt(1)
	v_mov_b32_e32 v19, v29
	s_mov_b32 s6, 0x652b82fe
	s_mov_b32 s7, 0x3ff71547
	;; [unrolled: 1-line block ×4, first 2 shown]
	s_waitcnt lgkmcnt(0)
	v_cmp_lt_f64_e64 s1, v[16:17], v[18:19]
	v_cndmask_b32_e64 v1, v17, v29, s1
	v_cndmask_b32_e64 v0, v16, v18, s1
	v_add_f64 v[0:1], v[10:11], -v[0:1]
	v_mul_f64 v[2:3], v[0:1], s[6:7]
	s_mov_b32 s6, 0xfefa39ef
	s_mov_b32 s7, 0xbfe62e42
	v_cmp_nlt_f64_e64 s1, 0x40900000, v[0:1]
	v_cmp_ngt_f64_e64 s2, 0xc090cc00, v[0:1]
	v_rndne_f64_e32 v[2:3], v[2:3]
	v_fma_f64 v[10:11], v[2:3], s[6:7], v[0:1]
	s_mov_b32 s6, 0x3b39803f
	s_mov_b32 s7, 0xbc7abc9e
	v_cvt_i32_f64_e32 v16, v[2:3]
	v_fma_f64 v[10:11], v[2:3], s[6:7], v[10:11]
	s_mov_b32 s6, 0xfca7ab0c
	s_mov_b32 s7, 0x3e928af3
	v_fma_f64 v[14:15], v[10:11], s[8:9], s[6:7]
	s_mov_b32 s6, 0x623fde64
	s_mov_b32 s7, 0x3ec71dee
	v_fma_f64 v[14:15], v[10:11], v[14:15], s[6:7]
	s_mov_b32 s6, 0x7c89e6b0
	s_mov_b32 s7, 0x3efa0199
	v_fma_f64 v[14:15], v[10:11], v[14:15], s[6:7]
	s_mov_b32 s6, 0x14761f6e
	s_mov_b32 s7, 0x3f2a01a0
	v_fma_f64 v[14:15], v[10:11], v[14:15], s[6:7]
	s_mov_b32 s6, 0x1852b7b0
	s_mov_b32 s7, 0x3f56c16c
	v_fma_f64 v[14:15], v[10:11], v[14:15], s[6:7]
	s_mov_b32 s6, 0x11122322
	s_mov_b32 s7, 0x3f811111
	v_fma_f64 v[14:15], v[10:11], v[14:15], s[6:7]
	s_mov_b32 s6, 0x555502a1
	s_mov_b32 s7, 0x3fa55555
	v_fma_f64 v[14:15], v[10:11], v[14:15], s[6:7]
	s_mov_b32 s6, 0x55555511
	s_mov_b32 s7, 0x3fc55555
	v_fma_f64 v[14:15], v[10:11], v[14:15], s[6:7]
	s_mov_b32 s6, 11
	s_mov_b32 s7, 0x3fe00000
	v_fma_f64 v[14:15], v[10:11], v[14:15], s[6:7]
	v_fma_f64 v[14:15], v[10:11], v[14:15], 1.0
	v_fma_f64 v[2:3], v[10:11], v[14:15], 1.0
	v_ldexp_f64 v[2:3], v[2:3], v16
	v_cndmask_b32_e64 v3, 0x7ff00000, v3, s1
	s_and_b32 s1, s2, s1
	v_cndmask_b32_e64 v10, 0, v2, s1
	v_cndmask_b32_e64 v11, 0, v3, s2
	v_mov_b32_e32 v0, v8
	v_mov_b32_e32 v1, v9
	;; [unrolled: 1-line block ×3, first 2 shown]
	v_add_f64 v[6:7], v[6:7], v[10:11]
	v_mov_b32_e32 v3, v11
.LBB682_25:
	s_andn2_saveexec_b32 s1, s4
	s_or_b32 exec_lo, exec_lo, s1
.LBB682_26:
	s_or_b32 exec_lo, exec_lo, s3
	ds_bpermute_b32 v8, v24, v4
	ds_bpermute_b32 v9, v24, v5
	ds_bpermute_b32 v10, v24, v6
	ds_bpermute_b32 v11, v24, v7
	s_waitcnt lgkmcnt(2)
	v_add_f64 v[4:5], v[4:5], v[8:9]
	s_waitcnt lgkmcnt(0)
	v_add_f64 v[6:7], v[6:7], v[10:11]
	ds_bpermute_b32 v8, v25, v4
	ds_bpermute_b32 v9, v25, v5
	ds_bpermute_b32 v10, v25, v6
	ds_bpermute_b32 v11, v25, v7
	s_waitcnt lgkmcnt(2)
	v_add_f64 v[4:5], v[4:5], v[8:9]
	s_waitcnt lgkmcnt(0)
	v_add_f64 v[6:7], v[6:7], v[10:11]
	;; [unrolled: 8-line block ×4, first 2 shown]
	ds_bpermute_b32 v14, v28, v10
	ds_bpermute_b32 v15, v28, v11
	;; [unrolled: 1-line block ×4, first 2 shown]
	s_and_saveexec_b32 s1, vcc_lo
	s_cbranch_execz .LBB682_35
; %bb.27:
	v_add_co_u32 v4, vcc_lo, s12, v12
	v_add_co_ci_u32_e64 v5, null, s13, v13, vcc_lo
	s_and_saveexec_b32 s1, s0
	s_cbranch_execz .LBB682_31
; %bb.28:
	s_waitcnt lgkmcnt(2)
	v_add_f64 v[10:11], v[10:11], v[14:15]
	v_mov_b32_e32 v12, 0
	v_mov_b32_e32 v13, 0x7ff80000
	s_mov_b32 s2, exec_lo
	v_cmpx_neq_f64_e32 0, v[10:11]
	s_cbranch_execz .LBB682_30
; %bb.29:
	v_div_scale_f64 v[12:13], null, v[10:11], v[10:11], v[0:1]
	v_rcp_f64_e32 v[14:15], v[12:13]
	v_fma_f64 v[16:17], -v[12:13], v[14:15], 1.0
	v_fma_f64 v[14:15], v[14:15], v[16:17], v[14:15]
	v_fma_f64 v[16:17], -v[12:13], v[14:15], 1.0
	v_fma_f64 v[14:15], v[14:15], v[16:17], v[14:15]
	v_div_scale_f64 v[16:17], vcc_lo, v[0:1], v[10:11], v[0:1]
	v_mul_f64 v[18:19], v[16:17], v[14:15]
	v_fma_f64 v[12:13], -v[12:13], v[18:19], v[16:17]
	v_div_fmas_f64 v[12:13], v[12:13], v[14:15], v[18:19]
	v_div_fixup_f64 v[12:13], v[12:13], v[10:11], v[0:1]
.LBB682_30:
	s_or_b32 exec_lo, exec_lo, s2
	global_store_dwordx2 v[4:5], v[12:13], off
.LBB682_31:
	s_or_b32 exec_lo, exec_lo, s1
	v_cmp_ne_u32_e32 vcc_lo, 1, v23
	s_and_b32 s0, vcc_lo, s0
	s_and_b32 exec_lo, exec_lo, s0
	s_cbranch_execz .LBB682_35
; %bb.32:
	s_waitcnt lgkmcnt(0)
	v_add_f64 v[0:1], v[6:7], v[8:9]
	v_mov_b32_e32 v6, 0
	v_mov_b32_e32 v7, 0x7ff80000
	s_mov_b32 s0, exec_lo
	v_cmpx_neq_f64_e32 0, v[0:1]
	s_cbranch_execz .LBB682_34
; %bb.33:
	v_div_scale_f64 v[6:7], null, v[0:1], v[0:1], v[2:3]
	v_rcp_f64_e32 v[8:9], v[6:7]
	v_fma_f64 v[10:11], -v[6:7], v[8:9], 1.0
	v_fma_f64 v[8:9], v[8:9], v[10:11], v[8:9]
	v_fma_f64 v[10:11], -v[6:7], v[8:9], 1.0
	v_fma_f64 v[8:9], v[8:9], v[10:11], v[8:9]
	v_div_scale_f64 v[10:11], vcc_lo, v[2:3], v[0:1], v[2:3]
	v_mul_f64 v[12:13], v[10:11], v[8:9]
	v_fma_f64 v[6:7], -v[6:7], v[12:13], v[10:11]
	v_div_fmas_f64 v[6:7], v[6:7], v[8:9], v[12:13]
	v_div_fixup_f64 v[6:7], v[6:7], v[0:1], v[2:3]
.LBB682_34:
	s_or_b32 exec_lo, exec_lo, s0
	s_mov_b32 s11, 0
	s_lshl_b64 s[0:1], s[10:11], 3
	v_add_co_u32 v0, vcc_lo, v4, s0
	v_add_co_ci_u32_e64 v1, null, s1, v5, vcc_lo
	global_store_dwordx2 v[0:1], v[6:7], off
.LBB682_35:
	s_endpgm
	.section	.rodata,"a",@progbits
	.p2align	6, 0x0
	.amdhsa_kernel _ZN12_GLOBAL__N_120softmax_warp_forwardIdddLi5ELb0ELb1ELi64EEEvPT0_PKT_iiiPKbib
		.amdhsa_group_segment_fixed_size 0
		.amdhsa_private_segment_fixed_size 0
		.amdhsa_kernarg_size 304
		.amdhsa_user_sgpr_count 6
		.amdhsa_user_sgpr_private_segment_buffer 1
		.amdhsa_user_sgpr_dispatch_ptr 0
		.amdhsa_user_sgpr_queue_ptr 0
		.amdhsa_user_sgpr_kernarg_segment_ptr 1
		.amdhsa_user_sgpr_dispatch_id 0
		.amdhsa_user_sgpr_flat_scratch_init 0
		.amdhsa_user_sgpr_private_segment_size 0
		.amdhsa_wavefront_size32 1
		.amdhsa_uses_dynamic_stack 0
		.amdhsa_system_sgpr_private_segment_wavefront_offset 0
		.amdhsa_system_sgpr_workgroup_id_x 1
		.amdhsa_system_sgpr_workgroup_id_y 0
		.amdhsa_system_sgpr_workgroup_id_z 0
		.amdhsa_system_sgpr_workgroup_info 0
		.amdhsa_system_vgpr_workitem_id 1
		.amdhsa_next_free_vgpr 31
		.amdhsa_next_free_sgpr 16
		.amdhsa_reserve_vcc 1
		.amdhsa_reserve_flat_scratch 0
		.amdhsa_float_round_mode_32 0
		.amdhsa_float_round_mode_16_64 0
		.amdhsa_float_denorm_mode_32 3
		.amdhsa_float_denorm_mode_16_64 3
		.amdhsa_dx10_clamp 1
		.amdhsa_ieee_mode 1
		.amdhsa_fp16_overflow 0
		.amdhsa_workgroup_processor_mode 1
		.amdhsa_memory_ordered 1
		.amdhsa_forward_progress 1
		.amdhsa_shared_vgpr_count 0
		.amdhsa_exception_fp_ieee_invalid_op 0
		.amdhsa_exception_fp_denorm_src 0
		.amdhsa_exception_fp_ieee_div_zero 0
		.amdhsa_exception_fp_ieee_overflow 0
		.amdhsa_exception_fp_ieee_underflow 0
		.amdhsa_exception_fp_ieee_inexact 0
		.amdhsa_exception_int_div_zero 0
	.end_amdhsa_kernel
	.section	.text._ZN12_GLOBAL__N_120softmax_warp_forwardIdddLi5ELb0ELb1ELi64EEEvPT0_PKT_iiiPKbib,"axG",@progbits,_ZN12_GLOBAL__N_120softmax_warp_forwardIdddLi5ELb0ELb1ELi64EEEvPT0_PKT_iiiPKbib,comdat
.Lfunc_end682:
	.size	_ZN12_GLOBAL__N_120softmax_warp_forwardIdddLi5ELb0ELb1ELi64EEEvPT0_PKT_iiiPKbib, .Lfunc_end682-_ZN12_GLOBAL__N_120softmax_warp_forwardIdddLi5ELb0ELb1ELi64EEEvPT0_PKT_iiiPKbib
                                        ; -- End function
	.set _ZN12_GLOBAL__N_120softmax_warp_forwardIdddLi5ELb0ELb1ELi64EEEvPT0_PKT_iiiPKbib.num_vgpr, 31
	.set _ZN12_GLOBAL__N_120softmax_warp_forwardIdddLi5ELb0ELb1ELi64EEEvPT0_PKT_iiiPKbib.num_agpr, 0
	.set _ZN12_GLOBAL__N_120softmax_warp_forwardIdddLi5ELb0ELb1ELi64EEEvPT0_PKT_iiiPKbib.numbered_sgpr, 16
	.set _ZN12_GLOBAL__N_120softmax_warp_forwardIdddLi5ELb0ELb1ELi64EEEvPT0_PKT_iiiPKbib.num_named_barrier, 0
	.set _ZN12_GLOBAL__N_120softmax_warp_forwardIdddLi5ELb0ELb1ELi64EEEvPT0_PKT_iiiPKbib.private_seg_size, 0
	.set _ZN12_GLOBAL__N_120softmax_warp_forwardIdddLi5ELb0ELb1ELi64EEEvPT0_PKT_iiiPKbib.uses_vcc, 1
	.set _ZN12_GLOBAL__N_120softmax_warp_forwardIdddLi5ELb0ELb1ELi64EEEvPT0_PKT_iiiPKbib.uses_flat_scratch, 0
	.set _ZN12_GLOBAL__N_120softmax_warp_forwardIdddLi5ELb0ELb1ELi64EEEvPT0_PKT_iiiPKbib.has_dyn_sized_stack, 0
	.set _ZN12_GLOBAL__N_120softmax_warp_forwardIdddLi5ELb0ELb1ELi64EEEvPT0_PKT_iiiPKbib.has_recursion, 0
	.set _ZN12_GLOBAL__N_120softmax_warp_forwardIdddLi5ELb0ELb1ELi64EEEvPT0_PKT_iiiPKbib.has_indirect_call, 0
	.section	.AMDGPU.csdata,"",@progbits
; Kernel info:
; codeLenInByte = 2968
; TotalNumSgprs: 18
; NumVgprs: 31
; ScratchSize: 0
; MemoryBound: 1
; FloatMode: 240
; IeeeMode: 1
; LDSByteSize: 0 bytes/workgroup (compile time only)
; SGPRBlocks: 0
; VGPRBlocks: 3
; NumSGPRsForWavesPerEU: 18
; NumVGPRsForWavesPerEU: 31
; Occupancy: 16
; WaveLimiterHint : 0
; COMPUTE_PGM_RSRC2:SCRATCH_EN: 0
; COMPUTE_PGM_RSRC2:USER_SGPR: 6
; COMPUTE_PGM_RSRC2:TRAP_HANDLER: 0
; COMPUTE_PGM_RSRC2:TGID_X_EN: 1
; COMPUTE_PGM_RSRC2:TGID_Y_EN: 0
; COMPUTE_PGM_RSRC2:TGID_Z_EN: 0
; COMPUTE_PGM_RSRC2:TIDIG_COMP_CNT: 1
	.section	.text._ZN12_GLOBAL__N_120softmax_warp_forwardIdddLi5ELb0ELb1ELi32EEEvPT0_PKT_iiiPKbib,"axG",@progbits,_ZN12_GLOBAL__N_120softmax_warp_forwardIdddLi5ELb0ELb1ELi32EEEvPT0_PKT_iiiPKbib,comdat
	.globl	_ZN12_GLOBAL__N_120softmax_warp_forwardIdddLi5ELb0ELb1ELi32EEEvPT0_PKT_iiiPKbib ; -- Begin function _ZN12_GLOBAL__N_120softmax_warp_forwardIdddLi5ELb0ELb1ELi32EEEvPT0_PKT_iiiPKbib
	.p2align	8
	.type	_ZN12_GLOBAL__N_120softmax_warp_forwardIdddLi5ELb0ELb1ELi32EEEvPT0_PKT_iiiPKbib,@function
_ZN12_GLOBAL__N_120softmax_warp_forwardIdddLi5ELb0ELb1ELi32EEEvPT0_PKT_iiiPKbib: ; @_ZN12_GLOBAL__N_120softmax_warp_forwardIdddLi5ELb0ELb1ELi32EEEvPT0_PKT_iiiPKbib
; %bb.0:
	s_clause 0x2
	s_load_dwordx2 s[0:1], s[4:5], 0x28
	s_load_dword s2, s[4:5], 0x3c
	s_load_dwordx4 s[8:11], s[4:5], 0x10
	s_waitcnt lgkmcnt(0)
	s_bitcmp1_b32 s1, 0
	s_cselect_b32 s7, -1, 0
	s_lshr_b32 s2, s2, 16
	s_and_b32 s2, s2, 0xffff
	s_bitcmp0_b32 s1, 0
	s_mul_i32 s6, s6, s2
	v_add_lshl_u32 v3, s6, v1, 1
	v_mul_lo_u32 v4, v3, s9
	v_add_nc_u32_e32 v1, v4, v0
	v_ashrrev_i32_e32 v2, 31, v1
	v_mov_b32_e32 v7, v2
	v_mov_b32_e32 v6, v1
	s_cbranch_scc1 .LBB683_2
; %bb.1:
	s_abs_i32 s1, s0
	v_sub_nc_u32_e32 v7, 0, v4
	v_cvt_f32_u32_e32 v5, s1
	s_sub_i32 s2, 0, s1
	v_max_i32_e32 v7, v4, v7
	v_rcp_iflag_f32_e32 v5, v5
	v_xor_b32_e32 v4, s0, v4
	v_ashrrev_i32_e32 v4, 31, v4
	v_mul_f32_e32 v5, 0x4f7ffffe, v5
	v_cvt_u32_f32_e32 v5, v5
	v_mul_lo_u32 v6, s2, v5
	v_mul_hi_u32 v6, v5, v6
	v_add_nc_u32_e32 v5, v5, v6
	v_mul_hi_u32 v5, v7, v5
	v_mul_lo_u32 v6, v5, s1
	v_sub_nc_u32_e32 v6, v7, v6
	v_add_nc_u32_e32 v7, 1, v5
	v_subrev_nc_u32_e32 v8, s1, v6
	v_cmp_le_u32_e32 vcc_lo, s1, v6
	v_cndmask_b32_e32 v5, v5, v7, vcc_lo
	v_cndmask_b32_e32 v6, v6, v8, vcc_lo
	v_add_nc_u32_e32 v7, 1, v5
	v_cmp_le_u32_e32 vcc_lo, s1, v6
	v_cndmask_b32_e32 v5, v5, v7, vcc_lo
	v_xor_b32_e32 v5, v5, v4
	v_sub_nc_u32_e32 v4, v5, v4
	v_mad_u64_u32 v[6:7], null, v4, s9, v[0:1]
	v_ashrrev_i32_e32 v7, 31, v6
.LBB683_2:
	s_load_dwordx4 s[12:15], s[4:5], 0x0
	v_lshlrev_b64 v[12:13], 3, v[1:2]
	v_sub_nc_u32_e32 v23, s8, v3
	v_cmp_gt_i32_e64 s0, s10, v0
	v_mov_b32_e32 v2, 0
	v_mov_b32_e32 v0, 0
	;; [unrolled: 1-line block ×3, first 2 shown]
	v_cmp_lt_i32_e32 vcc_lo, 0, v23
	v_mov_b32_e32 v1, 0xfff00000
	s_and_b32 s2, s0, vcc_lo
	s_waitcnt lgkmcnt(0)
	v_add_co_u32 v4, s1, s14, v12
	v_add_co_ci_u32_e64 v5, null, s15, v13, s1
	s_and_saveexec_b32 s1, s2
	s_cbranch_execz .LBB683_4
; %bb.3:
	global_load_dwordx2 v[0:1], v[4:5], off
.LBB683_4:
	s_or_b32 exec_lo, exec_lo, s1
	v_cmp_lt_i32_e64 s1, 1, v23
	s_and_b32 s6, s0, s1
	s_and_saveexec_b32 s3, s6
	s_cbranch_execz .LBB683_6
; %bb.5:
	s_mov_b32 s11, 0
	s_lshl_b64 s[8:9], s[10:11], 3
	v_add_co_u32 v2, s1, v4, s8
	v_add_co_ci_u32_e64 v3, null, s9, v5, s1
	global_load_dwordx2 v[2:3], v[2:3], off
.LBB683_6:
	s_or_b32 exec_lo, exec_lo, s3
	s_load_dwordx2 s[4:5], s[4:5], 0x20
	v_mov_b32_e32 v4, 0
	v_mov_b32_e32 v5, 0xfff00000
	s_waitcnt lgkmcnt(0)
	v_add_co_u32 v14, s1, s4, v6
	v_add_co_ci_u32_e64 v15, null, s5, v7, s1
	s_and_saveexec_b32 s3, s2
	s_cbranch_execz .LBB683_8
; %bb.7:
	global_load_ubyte v4, v[14:15], off
	s_waitcnt vmcnt(0)
	v_and_b32_e32 v4, 1, v4
	v_cmp_eq_u32_e64 s1, 1, v4
	v_cndmask_b32_e64 v5, v1, 0xfff00000, s1
	v_cndmask_b32_e64 v4, v0, 0, s1
.LBB683_8:
	s_or_b32 exec_lo, exec_lo, s3
	s_xor_b32 s4, s2, -1
	s_mov_b32 s3, 0
	s_and_saveexec_b32 s2, s6
	s_cbranch_execz .LBB683_12
; %bb.9:
	s_and_b32 s1, s7, exec_lo
	s_cselect_b32 s1, 0, s10
	s_cselect_b32 s3, 0, 0
	v_add_co_u32 v6, s1, v14, s1
	v_add_co_ci_u32_e64 v7, null, s3, v15, s1
	s_mov_b32 s3, 0
	global_load_ubyte v6, v[6:7], off
	s_waitcnt vmcnt(0)
	v_and_b32_e32 v6, 1, v6
	v_cmp_eq_u32_e64 s1, 1, v6
	s_xor_b32 s5, s1, -1
	s_and_saveexec_b32 s1, s5
; %bb.10:
	s_mov_b32 s3, exec_lo
; %bb.11:
	s_or_b32 exec_lo, exec_lo, s1
	s_and_b32 s3, s3, exec_lo
.LBB683_12:
	s_or_b32 exec_lo, exec_lo, s2
	v_mbcnt_lo_u32_b32 v16, -1, 0
	s_waitcnt vmcnt(0)
	v_cndmask_b32_e64 v7, 0xfff00000, v3, s3
	v_xor_b32_e32 v6, 16, v16
	v_xor_b32_e32 v17, 8, v16
	v_cmp_gt_i32_e64 s1, 32, v6
	v_cndmask_b32_e64 v6, v16, v6, s1
	v_lshlrev_b32_e32 v24, 2, v6
	v_cndmask_b32_e64 v6, 0, v2, s3
	v_cmp_gt_i32_e64 s3, 32, v17
	ds_bpermute_b32 v8, v24, v4
	ds_bpermute_b32 v9, v24, v5
	;; [unrolled: 1-line block ×4, first 2 shown]
	v_cndmask_b32_e64 v17, v16, v17, s3
	v_lshlrev_b32_e32 v25, 2, v17
	v_xor_b32_e32 v17, 4, v16
	v_cmp_gt_i32_e64 s3, 32, v17
	v_cndmask_b32_e64 v17, v16, v17, s3
	s_waitcnt lgkmcnt(2)
	v_cmp_lt_f64_e64 s1, v[4:5], v[8:9]
	s_waitcnt lgkmcnt(0)
	v_cmp_lt_f64_e64 s2, v[6:7], v[10:11]
	v_lshlrev_b32_e32 v26, 2, v17
	v_xor_b32_e32 v17, 2, v16
	v_cmp_gt_i32_e64 s3, 32, v17
	v_cndmask_b32_e64 v17, v16, v17, s3
	v_lshlrev_b32_e32 v27, 2, v17
	v_xor_b32_e32 v17, 1, v16
	v_cndmask_b32_e64 v5, v5, v9, s1
	v_cndmask_b32_e64 v4, v4, v8, s1
	;; [unrolled: 1-line block ×4, first 2 shown]
	v_cmp_gt_i32_e64 s3, 32, v17
	ds_bpermute_b32 v9, v25, v5
	ds_bpermute_b32 v8, v25, v4
	;; [unrolled: 1-line block ×4, first 2 shown]
	v_cndmask_b32_e64 v16, v16, v17, s3
	v_lshlrev_b32_e32 v28, 2, v16
	s_waitcnt lgkmcnt(2)
	v_cmp_lt_f64_e64 s1, v[4:5], v[8:9]
	s_waitcnt lgkmcnt(0)
	v_cmp_lt_f64_e64 s2, v[6:7], v[10:11]
	v_cndmask_b32_e64 v5, v5, v9, s1
	v_cndmask_b32_e64 v4, v4, v8, s1
	;; [unrolled: 1-line block ×4, first 2 shown]
	ds_bpermute_b32 v9, v26, v5
	ds_bpermute_b32 v8, v26, v4
	;; [unrolled: 1-line block ×4, first 2 shown]
	s_waitcnt lgkmcnt(2)
	v_cmp_lt_f64_e64 s1, v[4:5], v[8:9]
	s_waitcnt lgkmcnt(0)
	v_cmp_lt_f64_e64 s2, v[6:7], v[10:11]
	v_cndmask_b32_e64 v5, v5, v9, s1
	v_cndmask_b32_e64 v4, v4, v8, s1
	;; [unrolled: 1-line block ×4, first 2 shown]
	ds_bpermute_b32 v9, v27, v5
	ds_bpermute_b32 v8, v27, v4
	ds_bpermute_b32 v11, v27, v7
	ds_bpermute_b32 v10, v27, v6
	s_waitcnt lgkmcnt(2)
	v_cmp_lt_f64_e64 s1, v[4:5], v[8:9]
	s_waitcnt lgkmcnt(0)
	v_cmp_lt_f64_e64 s2, v[6:7], v[10:11]
	v_cndmask_b32_e64 v20, v5, v9, s1
	v_cndmask_b32_e64 v19, v4, v8, s1
	;; [unrolled: 1-line block ×4, first 2 shown]
                                        ; implicit-def: $vgpr8_vgpr9_vgpr10_vgpr11
	ds_bpermute_b32 v30, v28, v20
	ds_bpermute_b32 v21, v28, v19
	ds_bpermute_b32 v29, v28, v17
	ds_bpermute_b32 v18, v28, v16
	s_and_saveexec_b32 s1, s4
	s_xor_b32 s1, exec_lo, s1
; %bb.13:
	s_mov_b32 s2, 0
                                        ; implicit-def: $vgpr19
                                        ; implicit-def: $vgpr30
                                        ; implicit-def: $vgpr21
	v_mov_b32_e32 v0, s2
	v_mov_b32_e32 v1, s2
	;; [unrolled: 1-line block ×6, first 2 shown]
                                        ; implicit-def: $vgpr0_vgpr1_vgpr2_vgpr3
; %bb.14:
	s_or_saveexec_b32 s3, s1
	v_mov_b32_e32 v4, 0
	s_xor_b32 s4, s6, -1
	s_mov_b32 s2, 0
	v_mov_b32_e32 v5, v4
	v_mov_b32_e32 v6, v4
	;; [unrolled: 1-line block ×3, first 2 shown]
	s_xor_b32 exec_lo, exec_lo, s3
	s_cbranch_execz .LBB683_20
; %bb.15:
	global_load_ubyte v4, v[14:15], off
	v_mov_b32_e32 v11, v3
	v_mov_b32_e32 v9, v1
	;; [unrolled: 1-line block ×6, first 2 shown]
	s_waitcnt vmcnt(0)
	v_and_b32_e32 v4, 1, v4
	v_cmp_eq_u32_e64 s1, 1, v4
                                        ; implicit-def: $vgpr4_vgpr5_vgpr6_vgpr7
	s_xor_b32 s1, s1, -1
	s_and_saveexec_b32 s2, s1
	s_xor_b32 s5, exec_lo, s2
	s_cbranch_execz .LBB683_17
; %bb.16:
	s_waitcnt lgkmcnt(3)
	v_mov_b32_e32 v22, v30
	s_mov_b32 s8, 0x652b82fe
	s_mov_b32 s9, 0x3ff71547
	;; [unrolled: 1-line block ×4, first 2 shown]
	s_waitcnt lgkmcnt(2)
	v_cmp_lt_f64_e64 s1, v[19:20], v[21:22]
	v_cndmask_b32_e64 v5, v20, v30, s1
	v_cndmask_b32_e64 v4, v19, v21, s1
	v_add_f64 v[0:1], v[0:1], -v[4:5]
	v_mul_f64 v[4:5], v[0:1], s[8:9]
	s_mov_b32 s8, 0xfefa39ef
	s_mov_b32 s9, 0xbfe62e42
	v_cmp_nlt_f64_e64 s1, 0x40900000, v[0:1]
	v_cmp_ngt_f64_e64 s2, 0xc090cc00, v[0:1]
	v_rndne_f64_e32 v[4:5], v[4:5]
	v_fma_f64 v[6:7], v[4:5], s[8:9], v[0:1]
	s_mov_b32 s8, 0x3b39803f
	s_mov_b32 s9, 0xbc7abc9e
	v_cvt_i32_f64_e32 v10, v[4:5]
	v_fma_f64 v[6:7], v[4:5], s[8:9], v[6:7]
	s_mov_b32 s8, 0xfca7ab0c
	s_mov_b32 s9, 0x3e928af3
	v_fma_f64 v[8:9], v[6:7], s[14:15], s[8:9]
	s_mov_b32 s8, 0x623fde64
	s_mov_b32 s9, 0x3ec71dee
	;; [unrolled: 3-line block ×9, first 2 shown]
	v_fma_f64 v[8:9], v[6:7], v[8:9], s[8:9]
	v_fma_f64 v[8:9], v[6:7], v[8:9], 1.0
	v_fma_f64 v[4:5], v[6:7], v[8:9], 1.0
	v_mov_b32_e32 v6, 0
	v_mov_b32_e32 v7, v6
	v_ldexp_f64 v[4:5], v[4:5], v10
	v_cndmask_b32_e64 v5, 0x7ff00000, v5, s1
	s_and_b32 s1, s2, s1
	v_cndmask_b32_e64 v0, 0, v4, s1
	v_cndmask_b32_e64 v1, 0, v5, s2
	v_mov_b32_e32 v11, v3
	v_mov_b32_e32 v10, v2
	;; [unrolled: 1-line block ×3, first 2 shown]
	v_add_f64 v[4:5], v[0:1], 0
	v_mov_b32_e32 v9, v1
.LBB683_17:
	s_andn2_saveexec_b32 s1, s5
; %bb.18:
	v_mov_b32_e32 v4, 0
	v_mov_b32_e32 v5, v4
	;; [unrolled: 1-line block ×4, first 2 shown]
; %bb.19:
	s_or_b32 exec_lo, exec_lo, s1
.LBB683_20:
	s_or_b32 exec_lo, exec_lo, s3
                                        ; implicit-def: $vgpr0_vgpr1_vgpr2_vgpr3
	s_and_saveexec_b32 s1, s4
	s_xor_b32 s1, exec_lo, s1
	s_cbranch_execz .LBB683_22
; %bb.21:
	s_mov_b32 s2, 0
                                        ; implicit-def: $vgpr14
                                        ; implicit-def: $vgpr16
                                        ; implicit-def: $vgpr29
                                        ; implicit-def: $vgpr18
	v_mov_b32_e32 v10, s2
	v_mov_b32_e32 v11, s2
	;; [unrolled: 1-line block ×6, first 2 shown]
                                        ; implicit-def: $vgpr8_vgpr9_vgpr10_vgpr11
	s_andn2_saveexec_b32 s3, s1
	s_cbranch_execz .LBB683_26
	s_branch .LBB683_23
.LBB683_22:
	s_andn2_saveexec_b32 s3, s1
	s_cbranch_execz .LBB683_26
.LBB683_23:
	s_and_b32 s1, s7, exec_lo
	s_cselect_b32 s1, 0, s10
	s_cselect_b32 s2, 0, 0
	v_add_co_u32 v0, s1, v14, s1
	v_add_co_ci_u32_e64 v1, null, s2, v15, s1
	s_mov_b32 s2, 0
	global_load_ubyte v0, v[0:1], off
	s_waitcnt vmcnt(0)
	v_and_b32_e32 v0, 1, v0
	v_cmp_eq_u32_e64 s1, 1, v0
	v_mov_b32_e32 v0, v8
	v_mov_b32_e32 v2, v10
	;; [unrolled: 1-line block ×6, first 2 shown]
	s_xor_b32 s1, s1, -1
	s_and_saveexec_b32 s2, s1
	s_xor_b32 s4, exec_lo, s2
	s_cbranch_execz .LBB683_25
; %bb.24:
	s_waitcnt lgkmcnt(1)
	v_mov_b32_e32 v19, v29
	s_mov_b32 s6, 0x652b82fe
	s_mov_b32 s7, 0x3ff71547
	;; [unrolled: 1-line block ×4, first 2 shown]
	s_waitcnt lgkmcnt(0)
	v_cmp_lt_f64_e64 s1, v[16:17], v[18:19]
	v_cndmask_b32_e64 v1, v17, v29, s1
	v_cndmask_b32_e64 v0, v16, v18, s1
	v_add_f64 v[0:1], v[10:11], -v[0:1]
	v_mul_f64 v[2:3], v[0:1], s[6:7]
	s_mov_b32 s6, 0xfefa39ef
	s_mov_b32 s7, 0xbfe62e42
	v_cmp_nlt_f64_e64 s1, 0x40900000, v[0:1]
	v_cmp_ngt_f64_e64 s2, 0xc090cc00, v[0:1]
	v_rndne_f64_e32 v[2:3], v[2:3]
	v_fma_f64 v[10:11], v[2:3], s[6:7], v[0:1]
	s_mov_b32 s6, 0x3b39803f
	s_mov_b32 s7, 0xbc7abc9e
	v_cvt_i32_f64_e32 v16, v[2:3]
	v_fma_f64 v[10:11], v[2:3], s[6:7], v[10:11]
	s_mov_b32 s6, 0xfca7ab0c
	s_mov_b32 s7, 0x3e928af3
	v_fma_f64 v[14:15], v[10:11], s[8:9], s[6:7]
	s_mov_b32 s6, 0x623fde64
	s_mov_b32 s7, 0x3ec71dee
	;; [unrolled: 3-line block ×9, first 2 shown]
	v_fma_f64 v[14:15], v[10:11], v[14:15], s[6:7]
	v_fma_f64 v[14:15], v[10:11], v[14:15], 1.0
	v_fma_f64 v[2:3], v[10:11], v[14:15], 1.0
	v_ldexp_f64 v[2:3], v[2:3], v16
	v_cndmask_b32_e64 v3, 0x7ff00000, v3, s1
	s_and_b32 s1, s2, s1
	v_cndmask_b32_e64 v10, 0, v2, s1
	v_cndmask_b32_e64 v11, 0, v3, s2
	v_mov_b32_e32 v0, v8
	v_mov_b32_e32 v1, v9
	;; [unrolled: 1-line block ×3, first 2 shown]
	v_add_f64 v[6:7], v[6:7], v[10:11]
	v_mov_b32_e32 v3, v11
.LBB683_25:
	s_andn2_saveexec_b32 s1, s4
	s_or_b32 exec_lo, exec_lo, s1
.LBB683_26:
	s_or_b32 exec_lo, exec_lo, s3
	ds_bpermute_b32 v8, v24, v4
	ds_bpermute_b32 v9, v24, v5
	ds_bpermute_b32 v10, v24, v6
	ds_bpermute_b32 v11, v24, v7
	s_waitcnt lgkmcnt(2)
	v_add_f64 v[4:5], v[4:5], v[8:9]
	s_waitcnt lgkmcnt(0)
	v_add_f64 v[6:7], v[6:7], v[10:11]
	ds_bpermute_b32 v8, v25, v4
	ds_bpermute_b32 v9, v25, v5
	ds_bpermute_b32 v10, v25, v6
	ds_bpermute_b32 v11, v25, v7
	s_waitcnt lgkmcnt(2)
	v_add_f64 v[4:5], v[4:5], v[8:9]
	s_waitcnt lgkmcnt(0)
	v_add_f64 v[6:7], v[6:7], v[10:11]
	;; [unrolled: 8-line block ×4, first 2 shown]
	ds_bpermute_b32 v14, v28, v10
	ds_bpermute_b32 v15, v28, v11
	;; [unrolled: 1-line block ×4, first 2 shown]
	s_and_saveexec_b32 s1, vcc_lo
	s_cbranch_execz .LBB683_35
; %bb.27:
	v_add_co_u32 v4, vcc_lo, s12, v12
	v_add_co_ci_u32_e64 v5, null, s13, v13, vcc_lo
	s_and_saveexec_b32 s1, s0
	s_cbranch_execz .LBB683_31
; %bb.28:
	s_waitcnt lgkmcnt(2)
	v_add_f64 v[10:11], v[10:11], v[14:15]
	v_mov_b32_e32 v12, 0
	v_mov_b32_e32 v13, 0x7ff80000
	s_mov_b32 s2, exec_lo
	v_cmpx_neq_f64_e32 0, v[10:11]
	s_cbranch_execz .LBB683_30
; %bb.29:
	v_div_scale_f64 v[12:13], null, v[10:11], v[10:11], v[0:1]
	v_rcp_f64_e32 v[14:15], v[12:13]
	v_fma_f64 v[16:17], -v[12:13], v[14:15], 1.0
	v_fma_f64 v[14:15], v[14:15], v[16:17], v[14:15]
	v_fma_f64 v[16:17], -v[12:13], v[14:15], 1.0
	v_fma_f64 v[14:15], v[14:15], v[16:17], v[14:15]
	v_div_scale_f64 v[16:17], vcc_lo, v[0:1], v[10:11], v[0:1]
	v_mul_f64 v[18:19], v[16:17], v[14:15]
	v_fma_f64 v[12:13], -v[12:13], v[18:19], v[16:17]
	v_div_fmas_f64 v[12:13], v[12:13], v[14:15], v[18:19]
	v_div_fixup_f64 v[12:13], v[12:13], v[10:11], v[0:1]
.LBB683_30:
	s_or_b32 exec_lo, exec_lo, s2
	global_store_dwordx2 v[4:5], v[12:13], off
.LBB683_31:
	s_or_b32 exec_lo, exec_lo, s1
	v_cmp_ne_u32_e32 vcc_lo, 1, v23
	s_and_b32 s0, vcc_lo, s0
	s_and_b32 exec_lo, exec_lo, s0
	s_cbranch_execz .LBB683_35
; %bb.32:
	s_waitcnt lgkmcnt(0)
	v_add_f64 v[0:1], v[6:7], v[8:9]
	v_mov_b32_e32 v6, 0
	v_mov_b32_e32 v7, 0x7ff80000
	s_mov_b32 s0, exec_lo
	v_cmpx_neq_f64_e32 0, v[0:1]
	s_cbranch_execz .LBB683_34
; %bb.33:
	v_div_scale_f64 v[6:7], null, v[0:1], v[0:1], v[2:3]
	v_rcp_f64_e32 v[8:9], v[6:7]
	v_fma_f64 v[10:11], -v[6:7], v[8:9], 1.0
	v_fma_f64 v[8:9], v[8:9], v[10:11], v[8:9]
	v_fma_f64 v[10:11], -v[6:7], v[8:9], 1.0
	v_fma_f64 v[8:9], v[8:9], v[10:11], v[8:9]
	v_div_scale_f64 v[10:11], vcc_lo, v[2:3], v[0:1], v[2:3]
	v_mul_f64 v[12:13], v[10:11], v[8:9]
	v_fma_f64 v[6:7], -v[6:7], v[12:13], v[10:11]
	v_div_fmas_f64 v[6:7], v[6:7], v[8:9], v[12:13]
	v_div_fixup_f64 v[6:7], v[6:7], v[0:1], v[2:3]
.LBB683_34:
	s_or_b32 exec_lo, exec_lo, s0
	s_mov_b32 s11, 0
	s_lshl_b64 s[0:1], s[10:11], 3
	v_add_co_u32 v0, vcc_lo, v4, s0
	v_add_co_ci_u32_e64 v1, null, s1, v5, vcc_lo
	global_store_dwordx2 v[0:1], v[6:7], off
.LBB683_35:
	s_endpgm
	.section	.rodata,"a",@progbits
	.p2align	6, 0x0
	.amdhsa_kernel _ZN12_GLOBAL__N_120softmax_warp_forwardIdddLi5ELb0ELb1ELi32EEEvPT0_PKT_iiiPKbib
		.amdhsa_group_segment_fixed_size 0
		.amdhsa_private_segment_fixed_size 0
		.amdhsa_kernarg_size 304
		.amdhsa_user_sgpr_count 6
		.amdhsa_user_sgpr_private_segment_buffer 1
		.amdhsa_user_sgpr_dispatch_ptr 0
		.amdhsa_user_sgpr_queue_ptr 0
		.amdhsa_user_sgpr_kernarg_segment_ptr 1
		.amdhsa_user_sgpr_dispatch_id 0
		.amdhsa_user_sgpr_flat_scratch_init 0
		.amdhsa_user_sgpr_private_segment_size 0
		.amdhsa_wavefront_size32 1
		.amdhsa_uses_dynamic_stack 0
		.amdhsa_system_sgpr_private_segment_wavefront_offset 0
		.amdhsa_system_sgpr_workgroup_id_x 1
		.amdhsa_system_sgpr_workgroup_id_y 0
		.amdhsa_system_sgpr_workgroup_id_z 0
		.amdhsa_system_sgpr_workgroup_info 0
		.amdhsa_system_vgpr_workitem_id 1
		.amdhsa_next_free_vgpr 31
		.amdhsa_next_free_sgpr 16
		.amdhsa_reserve_vcc 1
		.amdhsa_reserve_flat_scratch 0
		.amdhsa_float_round_mode_32 0
		.amdhsa_float_round_mode_16_64 0
		.amdhsa_float_denorm_mode_32 3
		.amdhsa_float_denorm_mode_16_64 3
		.amdhsa_dx10_clamp 1
		.amdhsa_ieee_mode 1
		.amdhsa_fp16_overflow 0
		.amdhsa_workgroup_processor_mode 1
		.amdhsa_memory_ordered 1
		.amdhsa_forward_progress 1
		.amdhsa_shared_vgpr_count 0
		.amdhsa_exception_fp_ieee_invalid_op 0
		.amdhsa_exception_fp_denorm_src 0
		.amdhsa_exception_fp_ieee_div_zero 0
		.amdhsa_exception_fp_ieee_overflow 0
		.amdhsa_exception_fp_ieee_underflow 0
		.amdhsa_exception_fp_ieee_inexact 0
		.amdhsa_exception_int_div_zero 0
	.end_amdhsa_kernel
	.section	.text._ZN12_GLOBAL__N_120softmax_warp_forwardIdddLi5ELb0ELb1ELi32EEEvPT0_PKT_iiiPKbib,"axG",@progbits,_ZN12_GLOBAL__N_120softmax_warp_forwardIdddLi5ELb0ELb1ELi32EEEvPT0_PKT_iiiPKbib,comdat
.Lfunc_end683:
	.size	_ZN12_GLOBAL__N_120softmax_warp_forwardIdddLi5ELb0ELb1ELi32EEEvPT0_PKT_iiiPKbib, .Lfunc_end683-_ZN12_GLOBAL__N_120softmax_warp_forwardIdddLi5ELb0ELb1ELi32EEEvPT0_PKT_iiiPKbib
                                        ; -- End function
	.set _ZN12_GLOBAL__N_120softmax_warp_forwardIdddLi5ELb0ELb1ELi32EEEvPT0_PKT_iiiPKbib.num_vgpr, 31
	.set _ZN12_GLOBAL__N_120softmax_warp_forwardIdddLi5ELb0ELb1ELi32EEEvPT0_PKT_iiiPKbib.num_agpr, 0
	.set _ZN12_GLOBAL__N_120softmax_warp_forwardIdddLi5ELb0ELb1ELi32EEEvPT0_PKT_iiiPKbib.numbered_sgpr, 16
	.set _ZN12_GLOBAL__N_120softmax_warp_forwardIdddLi5ELb0ELb1ELi32EEEvPT0_PKT_iiiPKbib.num_named_barrier, 0
	.set _ZN12_GLOBAL__N_120softmax_warp_forwardIdddLi5ELb0ELb1ELi32EEEvPT0_PKT_iiiPKbib.private_seg_size, 0
	.set _ZN12_GLOBAL__N_120softmax_warp_forwardIdddLi5ELb0ELb1ELi32EEEvPT0_PKT_iiiPKbib.uses_vcc, 1
	.set _ZN12_GLOBAL__N_120softmax_warp_forwardIdddLi5ELb0ELb1ELi32EEEvPT0_PKT_iiiPKbib.uses_flat_scratch, 0
	.set _ZN12_GLOBAL__N_120softmax_warp_forwardIdddLi5ELb0ELb1ELi32EEEvPT0_PKT_iiiPKbib.has_dyn_sized_stack, 0
	.set _ZN12_GLOBAL__N_120softmax_warp_forwardIdddLi5ELb0ELb1ELi32EEEvPT0_PKT_iiiPKbib.has_recursion, 0
	.set _ZN12_GLOBAL__N_120softmax_warp_forwardIdddLi5ELb0ELb1ELi32EEEvPT0_PKT_iiiPKbib.has_indirect_call, 0
	.section	.AMDGPU.csdata,"",@progbits
; Kernel info:
; codeLenInByte = 2968
; TotalNumSgprs: 18
; NumVgprs: 31
; ScratchSize: 0
; MemoryBound: 1
; FloatMode: 240
; IeeeMode: 1
; LDSByteSize: 0 bytes/workgroup (compile time only)
; SGPRBlocks: 0
; VGPRBlocks: 3
; NumSGPRsForWavesPerEU: 18
; NumVGPRsForWavesPerEU: 31
; Occupancy: 16
; WaveLimiterHint : 0
; COMPUTE_PGM_RSRC2:SCRATCH_EN: 0
; COMPUTE_PGM_RSRC2:USER_SGPR: 6
; COMPUTE_PGM_RSRC2:TRAP_HANDLER: 0
; COMPUTE_PGM_RSRC2:TGID_X_EN: 1
; COMPUTE_PGM_RSRC2:TGID_Y_EN: 0
; COMPUTE_PGM_RSRC2:TGID_Z_EN: 0
; COMPUTE_PGM_RSRC2:TIDIG_COMP_CNT: 1
	.section	.text._ZN12_GLOBAL__N_120softmax_warp_forwardIdddLi6ELb0ELb1ELi64EEEvPT0_PKT_iiiPKbib,"axG",@progbits,_ZN12_GLOBAL__N_120softmax_warp_forwardIdddLi6ELb0ELb1ELi64EEEvPT0_PKT_iiiPKbib,comdat
	.globl	_ZN12_GLOBAL__N_120softmax_warp_forwardIdddLi6ELb0ELb1ELi64EEEvPT0_PKT_iiiPKbib ; -- Begin function _ZN12_GLOBAL__N_120softmax_warp_forwardIdddLi6ELb0ELb1ELi64EEEvPT0_PKT_iiiPKbib
	.p2align	8
	.type	_ZN12_GLOBAL__N_120softmax_warp_forwardIdddLi6ELb0ELb1ELi64EEEvPT0_PKT_iiiPKbib,@function
_ZN12_GLOBAL__N_120softmax_warp_forwardIdddLi6ELb0ELb1ELi64EEEvPT0_PKT_iiiPKbib: ; @_ZN12_GLOBAL__N_120softmax_warp_forwardIdddLi6ELb0ELb1ELi64EEEvPT0_PKT_iiiPKbib
; %bb.0:
	s_clause 0x2
	s_load_dwordx2 s[0:1], s[4:5], 0x28
	s_load_dword s2, s[4:5], 0x3c
	s_load_dwordx4 s[8:11], s[4:5], 0x10
	s_waitcnt lgkmcnt(0)
	s_bitcmp1_b32 s1, 0
	s_cselect_b32 s7, -1, 0
	s_lshr_b32 s2, s2, 16
	s_and_b32 s2, s2, 0xffff
	s_bitcmp0_b32 s1, 0
	s_mul_i32 s6, s6, s2
	v_add_lshl_u32 v3, s6, v1, 1
	v_mul_lo_u32 v4, v3, s9
	v_add_nc_u32_e32 v1, v4, v0
	v_ashrrev_i32_e32 v2, 31, v1
	v_mov_b32_e32 v7, v2
	v_mov_b32_e32 v6, v1
	s_cbranch_scc1 .LBB684_2
; %bb.1:
	s_abs_i32 s1, s0
	v_sub_nc_u32_e32 v7, 0, v4
	v_cvt_f32_u32_e32 v5, s1
	s_sub_i32 s2, 0, s1
	v_max_i32_e32 v7, v4, v7
	v_rcp_iflag_f32_e32 v5, v5
	v_xor_b32_e32 v4, s0, v4
	v_ashrrev_i32_e32 v4, 31, v4
	v_mul_f32_e32 v5, 0x4f7ffffe, v5
	v_cvt_u32_f32_e32 v5, v5
	v_mul_lo_u32 v6, s2, v5
	v_mul_hi_u32 v6, v5, v6
	v_add_nc_u32_e32 v5, v5, v6
	v_mul_hi_u32 v5, v7, v5
	v_mul_lo_u32 v6, v5, s1
	v_sub_nc_u32_e32 v6, v7, v6
	v_add_nc_u32_e32 v7, 1, v5
	v_subrev_nc_u32_e32 v8, s1, v6
	v_cmp_le_u32_e32 vcc_lo, s1, v6
	v_cndmask_b32_e32 v5, v5, v7, vcc_lo
	v_cndmask_b32_e32 v6, v6, v8, vcc_lo
	v_add_nc_u32_e32 v7, 1, v5
	v_cmp_le_u32_e32 vcc_lo, s1, v6
	v_cndmask_b32_e32 v5, v5, v7, vcc_lo
	v_xor_b32_e32 v5, v5, v4
	v_sub_nc_u32_e32 v4, v5, v4
	v_mad_u64_u32 v[6:7], null, v4, s9, v[0:1]
	v_ashrrev_i32_e32 v7, 31, v6
.LBB684_2:
	s_load_dwordx4 s[12:15], s[4:5], 0x0
	v_lshlrev_b64 v[12:13], 3, v[1:2]
	v_sub_nc_u32_e32 v23, s8, v3
	v_cmp_gt_i32_e64 s0, s10, v0
	v_mov_b32_e32 v2, 0
	v_mov_b32_e32 v0, 0
	;; [unrolled: 1-line block ×3, first 2 shown]
	v_cmp_lt_i32_e32 vcc_lo, 0, v23
	v_mov_b32_e32 v1, 0xfff00000
	s_and_b32 s2, s0, vcc_lo
	s_waitcnt lgkmcnt(0)
	v_add_co_u32 v4, s1, s14, v12
	v_add_co_ci_u32_e64 v5, null, s15, v13, s1
	s_and_saveexec_b32 s1, s2
	s_cbranch_execz .LBB684_4
; %bb.3:
	global_load_dwordx2 v[0:1], v[4:5], off
.LBB684_4:
	s_or_b32 exec_lo, exec_lo, s1
	v_cmp_lt_i32_e64 s1, 1, v23
	s_and_b32 s6, s0, s1
	s_and_saveexec_b32 s3, s6
	s_cbranch_execz .LBB684_6
; %bb.5:
	s_mov_b32 s11, 0
	s_lshl_b64 s[8:9], s[10:11], 3
	v_add_co_u32 v2, s1, v4, s8
	v_add_co_ci_u32_e64 v3, null, s9, v5, s1
	global_load_dwordx2 v[2:3], v[2:3], off
.LBB684_6:
	s_or_b32 exec_lo, exec_lo, s3
	s_load_dwordx2 s[4:5], s[4:5], 0x20
	v_mov_b32_e32 v4, 0
	v_mov_b32_e32 v5, 0xfff00000
	s_waitcnt lgkmcnt(0)
	v_add_co_u32 v14, s1, s4, v6
	v_add_co_ci_u32_e64 v15, null, s5, v7, s1
	s_and_saveexec_b32 s3, s2
	s_cbranch_execz .LBB684_8
; %bb.7:
	global_load_ubyte v4, v[14:15], off
	s_waitcnt vmcnt(0)
	v_and_b32_e32 v4, 1, v4
	v_cmp_eq_u32_e64 s1, 1, v4
	v_cndmask_b32_e64 v5, v1, 0xfff00000, s1
	v_cndmask_b32_e64 v4, v0, 0, s1
.LBB684_8:
	s_or_b32 exec_lo, exec_lo, s3
	s_xor_b32 s4, s2, -1
	s_mov_b32 s3, 0
	s_and_saveexec_b32 s2, s6
	s_cbranch_execz .LBB684_12
; %bb.9:
	s_and_b32 s1, s7, exec_lo
	s_cselect_b32 s1, 0, s10
	s_cselect_b32 s3, 0, 0
	v_add_co_u32 v6, s1, v14, s1
	v_add_co_ci_u32_e64 v7, null, s3, v15, s1
	s_mov_b32 s3, 0
	global_load_ubyte v6, v[6:7], off
	s_waitcnt vmcnt(0)
	v_and_b32_e32 v6, 1, v6
	v_cmp_eq_u32_e64 s1, 1, v6
	s_xor_b32 s5, s1, -1
	s_and_saveexec_b32 s1, s5
; %bb.10:
	s_mov_b32 s3, exec_lo
; %bb.11:
	s_or_b32 exec_lo, exec_lo, s1
	s_and_b32 s3, s3, exec_lo
.LBB684_12:
	s_or_b32 exec_lo, exec_lo, s2
	v_mbcnt_lo_u32_b32 v16, -1, 0
	s_waitcnt vmcnt(0)
	v_cndmask_b32_e64 v7, 0xfff00000, v3, s3
	v_or_b32_e32 v6, 32, v16
	v_xor_b32_e32 v17, 16, v16
	v_cmp_gt_i32_e64 s1, 64, v6
	v_cndmask_b32_e64 v6, v16, v6, s1
	v_lshlrev_b32_e32 v24, 2, v6
	v_cndmask_b32_e64 v6, 0, v2, s3
	v_cmp_gt_i32_e64 s3, 64, v17
	ds_bpermute_b32 v8, v24, v4
	ds_bpermute_b32 v9, v24, v5
	;; [unrolled: 1-line block ×4, first 2 shown]
	v_cndmask_b32_e64 v17, v16, v17, s3
	v_lshlrev_b32_e32 v25, 2, v17
	v_xor_b32_e32 v17, 8, v16
	v_cmp_gt_i32_e64 s3, 64, v17
	v_cndmask_b32_e64 v17, v16, v17, s3
	s_waitcnt lgkmcnt(2)
	v_cmp_lt_f64_e64 s1, v[4:5], v[8:9]
	s_waitcnt lgkmcnt(0)
	v_cmp_lt_f64_e64 s2, v[6:7], v[10:11]
	v_lshlrev_b32_e32 v26, 2, v17
	v_xor_b32_e32 v17, 4, v16
	v_cmp_gt_i32_e64 s3, 64, v17
	v_cndmask_b32_e64 v17, v16, v17, s3
	v_lshlrev_b32_e32 v27, 2, v17
	v_xor_b32_e32 v17, 2, v16
	v_cndmask_b32_e64 v5, v5, v9, s1
	v_cndmask_b32_e64 v4, v4, v8, s1
	;; [unrolled: 1-line block ×4, first 2 shown]
	v_cmp_gt_i32_e64 s3, 64, v17
	ds_bpermute_b32 v9, v25, v5
	ds_bpermute_b32 v8, v25, v4
	;; [unrolled: 1-line block ×4, first 2 shown]
	v_cndmask_b32_e64 v17, v16, v17, s3
	v_lshlrev_b32_e32 v28, 2, v17
	v_xor_b32_e32 v17, 1, v16
	v_cmp_gt_i32_e64 s3, 64, v17
	v_cndmask_b32_e64 v16, v16, v17, s3
	s_waitcnt lgkmcnt(2)
	v_cmp_lt_f64_e64 s1, v[4:5], v[8:9]
	s_waitcnt lgkmcnt(0)
	v_cmp_lt_f64_e64 s2, v[6:7], v[10:11]
	v_lshlrev_b32_e32 v29, 2, v16
	v_cndmask_b32_e64 v5, v5, v9, s1
	v_cndmask_b32_e64 v4, v4, v8, s1
	v_cndmask_b32_e64 v7, v7, v11, s2
	v_cndmask_b32_e64 v6, v6, v10, s2
	ds_bpermute_b32 v9, v26, v5
	ds_bpermute_b32 v8, v26, v4
	ds_bpermute_b32 v11, v26, v7
	ds_bpermute_b32 v10, v26, v6
	s_waitcnt lgkmcnt(2)
	v_cmp_lt_f64_e64 s1, v[4:5], v[8:9]
	s_waitcnt lgkmcnt(0)
	v_cmp_lt_f64_e64 s2, v[6:7], v[10:11]
	v_cndmask_b32_e64 v5, v5, v9, s1
	v_cndmask_b32_e64 v4, v4, v8, s1
	v_cndmask_b32_e64 v7, v7, v11, s2
	v_cndmask_b32_e64 v6, v6, v10, s2
	ds_bpermute_b32 v9, v27, v5
	ds_bpermute_b32 v8, v27, v4
	ds_bpermute_b32 v11, v27, v7
	ds_bpermute_b32 v10, v27, v6
	s_waitcnt lgkmcnt(2)
	v_cmp_lt_f64_e64 s1, v[4:5], v[8:9]
	s_waitcnt lgkmcnt(0)
	v_cmp_lt_f64_e64 s2, v[6:7], v[10:11]
	;; [unrolled: 12-line block ×3, first 2 shown]
	v_cndmask_b32_e64 v20, v5, v9, s1
	v_cndmask_b32_e64 v19, v4, v8, s1
	;; [unrolled: 1-line block ×4, first 2 shown]
                                        ; implicit-def: $vgpr8_vgpr9_vgpr10_vgpr11
	ds_bpermute_b32 v31, v29, v20
	ds_bpermute_b32 v21, v29, v19
	;; [unrolled: 1-line block ×4, first 2 shown]
	s_and_saveexec_b32 s1, s4
	s_xor_b32 s1, exec_lo, s1
; %bb.13:
	s_mov_b32 s2, 0
                                        ; implicit-def: $vgpr19
                                        ; implicit-def: $vgpr31
                                        ; implicit-def: $vgpr21
	v_mov_b32_e32 v0, s2
	v_mov_b32_e32 v1, s2
	;; [unrolled: 1-line block ×6, first 2 shown]
                                        ; implicit-def: $vgpr0_vgpr1_vgpr2_vgpr3
; %bb.14:
	s_or_saveexec_b32 s3, s1
	v_mov_b32_e32 v4, 0
	s_xor_b32 s4, s6, -1
	s_mov_b32 s2, 0
	v_mov_b32_e32 v5, v4
	v_mov_b32_e32 v6, v4
	;; [unrolled: 1-line block ×3, first 2 shown]
	s_xor_b32 exec_lo, exec_lo, s3
	s_cbranch_execz .LBB684_20
; %bb.15:
	global_load_ubyte v4, v[14:15], off
	v_mov_b32_e32 v11, v3
	v_mov_b32_e32 v9, v1
	;; [unrolled: 1-line block ×6, first 2 shown]
	s_waitcnt vmcnt(0)
	v_and_b32_e32 v4, 1, v4
	v_cmp_eq_u32_e64 s1, 1, v4
                                        ; implicit-def: $vgpr4_vgpr5_vgpr6_vgpr7
	s_xor_b32 s1, s1, -1
	s_and_saveexec_b32 s2, s1
	s_xor_b32 s5, exec_lo, s2
	s_cbranch_execz .LBB684_17
; %bb.16:
	s_waitcnt lgkmcnt(3)
	v_mov_b32_e32 v22, v31
	s_mov_b32 s8, 0x652b82fe
	s_mov_b32 s9, 0x3ff71547
	;; [unrolled: 1-line block ×4, first 2 shown]
	s_waitcnt lgkmcnt(2)
	v_cmp_lt_f64_e64 s1, v[19:20], v[21:22]
	v_cndmask_b32_e64 v5, v20, v31, s1
	v_cndmask_b32_e64 v4, v19, v21, s1
	v_add_f64 v[0:1], v[0:1], -v[4:5]
	v_mul_f64 v[4:5], v[0:1], s[8:9]
	s_mov_b32 s8, 0xfefa39ef
	s_mov_b32 s9, 0xbfe62e42
	v_cmp_nlt_f64_e64 s1, 0x40900000, v[0:1]
	v_cmp_ngt_f64_e64 s2, 0xc090cc00, v[0:1]
	v_rndne_f64_e32 v[4:5], v[4:5]
	v_fma_f64 v[6:7], v[4:5], s[8:9], v[0:1]
	s_mov_b32 s8, 0x3b39803f
	s_mov_b32 s9, 0xbc7abc9e
	v_cvt_i32_f64_e32 v10, v[4:5]
	v_fma_f64 v[6:7], v[4:5], s[8:9], v[6:7]
	s_mov_b32 s8, 0xfca7ab0c
	s_mov_b32 s9, 0x3e928af3
	v_fma_f64 v[8:9], v[6:7], s[14:15], s[8:9]
	s_mov_b32 s8, 0x623fde64
	s_mov_b32 s9, 0x3ec71dee
	;; [unrolled: 3-line block ×9, first 2 shown]
	v_fma_f64 v[8:9], v[6:7], v[8:9], s[8:9]
	v_fma_f64 v[8:9], v[6:7], v[8:9], 1.0
	v_fma_f64 v[4:5], v[6:7], v[8:9], 1.0
	v_mov_b32_e32 v6, 0
	v_mov_b32_e32 v7, v6
	v_ldexp_f64 v[4:5], v[4:5], v10
	v_cndmask_b32_e64 v5, 0x7ff00000, v5, s1
	s_and_b32 s1, s2, s1
	v_cndmask_b32_e64 v0, 0, v4, s1
	v_cndmask_b32_e64 v1, 0, v5, s2
	v_mov_b32_e32 v11, v3
	v_mov_b32_e32 v10, v2
	;; [unrolled: 1-line block ×3, first 2 shown]
	v_add_f64 v[4:5], v[0:1], 0
	v_mov_b32_e32 v9, v1
.LBB684_17:
	s_andn2_saveexec_b32 s1, s5
; %bb.18:
	v_mov_b32_e32 v4, 0
	v_mov_b32_e32 v5, v4
	;; [unrolled: 1-line block ×4, first 2 shown]
; %bb.19:
	s_or_b32 exec_lo, exec_lo, s1
.LBB684_20:
	s_or_b32 exec_lo, exec_lo, s3
                                        ; implicit-def: $vgpr0_vgpr1_vgpr2_vgpr3
	s_and_saveexec_b32 s1, s4
	s_xor_b32 s1, exec_lo, s1
	s_cbranch_execz .LBB684_22
; %bb.21:
	s_mov_b32 s2, 0
                                        ; implicit-def: $vgpr14
                                        ; implicit-def: $vgpr16
                                        ; implicit-def: $vgpr30
                                        ; implicit-def: $vgpr18
	v_mov_b32_e32 v10, s2
	v_mov_b32_e32 v11, s2
	;; [unrolled: 1-line block ×6, first 2 shown]
                                        ; implicit-def: $vgpr8_vgpr9_vgpr10_vgpr11
	s_andn2_saveexec_b32 s3, s1
	s_cbranch_execz .LBB684_26
	s_branch .LBB684_23
.LBB684_22:
	s_andn2_saveexec_b32 s3, s1
	s_cbranch_execz .LBB684_26
.LBB684_23:
	s_and_b32 s1, s7, exec_lo
	s_cselect_b32 s1, 0, s10
	s_cselect_b32 s2, 0, 0
	v_add_co_u32 v0, s1, v14, s1
	v_add_co_ci_u32_e64 v1, null, s2, v15, s1
	s_mov_b32 s2, 0
	global_load_ubyte v0, v[0:1], off
	s_waitcnt vmcnt(0)
	v_and_b32_e32 v0, 1, v0
	v_cmp_eq_u32_e64 s1, 1, v0
	v_mov_b32_e32 v0, v8
	v_mov_b32_e32 v2, v10
	;; [unrolled: 1-line block ×6, first 2 shown]
	s_xor_b32 s1, s1, -1
	s_and_saveexec_b32 s2, s1
	s_xor_b32 s4, exec_lo, s2
	s_cbranch_execz .LBB684_25
; %bb.24:
	s_waitcnt lgkmcnt(1)
	v_mov_b32_e32 v19, v30
	s_mov_b32 s6, 0x652b82fe
	s_mov_b32 s7, 0x3ff71547
	;; [unrolled: 1-line block ×4, first 2 shown]
	s_waitcnt lgkmcnt(0)
	v_cmp_lt_f64_e64 s1, v[16:17], v[18:19]
	v_cndmask_b32_e64 v1, v17, v30, s1
	v_cndmask_b32_e64 v0, v16, v18, s1
	v_add_f64 v[0:1], v[10:11], -v[0:1]
	v_mul_f64 v[2:3], v[0:1], s[6:7]
	s_mov_b32 s6, 0xfefa39ef
	s_mov_b32 s7, 0xbfe62e42
	v_cmp_nlt_f64_e64 s1, 0x40900000, v[0:1]
	v_cmp_ngt_f64_e64 s2, 0xc090cc00, v[0:1]
	v_rndne_f64_e32 v[2:3], v[2:3]
	v_fma_f64 v[10:11], v[2:3], s[6:7], v[0:1]
	s_mov_b32 s6, 0x3b39803f
	s_mov_b32 s7, 0xbc7abc9e
	v_cvt_i32_f64_e32 v16, v[2:3]
	v_fma_f64 v[10:11], v[2:3], s[6:7], v[10:11]
	s_mov_b32 s6, 0xfca7ab0c
	s_mov_b32 s7, 0x3e928af3
	v_fma_f64 v[14:15], v[10:11], s[8:9], s[6:7]
	s_mov_b32 s6, 0x623fde64
	s_mov_b32 s7, 0x3ec71dee
	;; [unrolled: 3-line block ×9, first 2 shown]
	v_fma_f64 v[14:15], v[10:11], v[14:15], s[6:7]
	v_fma_f64 v[14:15], v[10:11], v[14:15], 1.0
	v_fma_f64 v[2:3], v[10:11], v[14:15], 1.0
	v_ldexp_f64 v[2:3], v[2:3], v16
	v_cndmask_b32_e64 v3, 0x7ff00000, v3, s1
	s_and_b32 s1, s2, s1
	v_cndmask_b32_e64 v10, 0, v2, s1
	v_cndmask_b32_e64 v11, 0, v3, s2
	v_mov_b32_e32 v0, v8
	v_mov_b32_e32 v1, v9
	;; [unrolled: 1-line block ×3, first 2 shown]
	v_add_f64 v[6:7], v[6:7], v[10:11]
	v_mov_b32_e32 v3, v11
.LBB684_25:
	s_andn2_saveexec_b32 s1, s4
	s_or_b32 exec_lo, exec_lo, s1
.LBB684_26:
	s_or_b32 exec_lo, exec_lo, s3
	ds_bpermute_b32 v8, v24, v4
	ds_bpermute_b32 v9, v24, v5
	ds_bpermute_b32 v10, v24, v6
	ds_bpermute_b32 v11, v24, v7
	s_waitcnt lgkmcnt(2)
	v_add_f64 v[4:5], v[4:5], v[8:9]
	s_waitcnt lgkmcnt(0)
	v_add_f64 v[6:7], v[6:7], v[10:11]
	ds_bpermute_b32 v8, v25, v4
	ds_bpermute_b32 v9, v25, v5
	ds_bpermute_b32 v10, v25, v6
	ds_bpermute_b32 v11, v25, v7
	s_waitcnt lgkmcnt(2)
	v_add_f64 v[4:5], v[4:5], v[8:9]
	s_waitcnt lgkmcnt(0)
	v_add_f64 v[6:7], v[6:7], v[10:11]
	;; [unrolled: 8-line block ×5, first 2 shown]
	ds_bpermute_b32 v14, v29, v10
	ds_bpermute_b32 v15, v29, v11
	;; [unrolled: 1-line block ×4, first 2 shown]
	s_and_saveexec_b32 s1, vcc_lo
	s_cbranch_execz .LBB684_35
; %bb.27:
	v_add_co_u32 v4, vcc_lo, s12, v12
	v_add_co_ci_u32_e64 v5, null, s13, v13, vcc_lo
	s_and_saveexec_b32 s1, s0
	s_cbranch_execz .LBB684_31
; %bb.28:
	s_waitcnt lgkmcnt(2)
	v_add_f64 v[10:11], v[10:11], v[14:15]
	v_mov_b32_e32 v12, 0
	v_mov_b32_e32 v13, 0x7ff80000
	s_mov_b32 s2, exec_lo
	v_cmpx_neq_f64_e32 0, v[10:11]
	s_cbranch_execz .LBB684_30
; %bb.29:
	v_div_scale_f64 v[12:13], null, v[10:11], v[10:11], v[0:1]
	v_rcp_f64_e32 v[14:15], v[12:13]
	v_fma_f64 v[16:17], -v[12:13], v[14:15], 1.0
	v_fma_f64 v[14:15], v[14:15], v[16:17], v[14:15]
	v_fma_f64 v[16:17], -v[12:13], v[14:15], 1.0
	v_fma_f64 v[14:15], v[14:15], v[16:17], v[14:15]
	v_div_scale_f64 v[16:17], vcc_lo, v[0:1], v[10:11], v[0:1]
	v_mul_f64 v[18:19], v[16:17], v[14:15]
	v_fma_f64 v[12:13], -v[12:13], v[18:19], v[16:17]
	v_div_fmas_f64 v[12:13], v[12:13], v[14:15], v[18:19]
	v_div_fixup_f64 v[12:13], v[12:13], v[10:11], v[0:1]
.LBB684_30:
	s_or_b32 exec_lo, exec_lo, s2
	global_store_dwordx2 v[4:5], v[12:13], off
.LBB684_31:
	s_or_b32 exec_lo, exec_lo, s1
	v_cmp_ne_u32_e32 vcc_lo, 1, v23
	s_and_b32 s0, vcc_lo, s0
	s_and_b32 exec_lo, exec_lo, s0
	s_cbranch_execz .LBB684_35
; %bb.32:
	s_waitcnt lgkmcnt(0)
	v_add_f64 v[0:1], v[6:7], v[8:9]
	v_mov_b32_e32 v6, 0
	v_mov_b32_e32 v7, 0x7ff80000
	s_mov_b32 s0, exec_lo
	v_cmpx_neq_f64_e32 0, v[0:1]
	s_cbranch_execz .LBB684_34
; %bb.33:
	v_div_scale_f64 v[6:7], null, v[0:1], v[0:1], v[2:3]
	v_rcp_f64_e32 v[8:9], v[6:7]
	v_fma_f64 v[10:11], -v[6:7], v[8:9], 1.0
	v_fma_f64 v[8:9], v[8:9], v[10:11], v[8:9]
	v_fma_f64 v[10:11], -v[6:7], v[8:9], 1.0
	v_fma_f64 v[8:9], v[8:9], v[10:11], v[8:9]
	v_div_scale_f64 v[10:11], vcc_lo, v[2:3], v[0:1], v[2:3]
	v_mul_f64 v[12:13], v[10:11], v[8:9]
	v_fma_f64 v[6:7], -v[6:7], v[12:13], v[10:11]
	v_div_fmas_f64 v[6:7], v[6:7], v[8:9], v[12:13]
	v_div_fixup_f64 v[6:7], v[6:7], v[0:1], v[2:3]
.LBB684_34:
	s_or_b32 exec_lo, exec_lo, s0
	s_mov_b32 s11, 0
	s_lshl_b64 s[0:1], s[10:11], 3
	v_add_co_u32 v0, vcc_lo, v4, s0
	v_add_co_ci_u32_e64 v1, null, s1, v5, vcc_lo
	global_store_dwordx2 v[0:1], v[6:7], off
.LBB684_35:
	s_endpgm
	.section	.rodata,"a",@progbits
	.p2align	6, 0x0
	.amdhsa_kernel _ZN12_GLOBAL__N_120softmax_warp_forwardIdddLi6ELb0ELb1ELi64EEEvPT0_PKT_iiiPKbib
		.amdhsa_group_segment_fixed_size 0
		.amdhsa_private_segment_fixed_size 0
		.amdhsa_kernarg_size 304
		.amdhsa_user_sgpr_count 6
		.amdhsa_user_sgpr_private_segment_buffer 1
		.amdhsa_user_sgpr_dispatch_ptr 0
		.amdhsa_user_sgpr_queue_ptr 0
		.amdhsa_user_sgpr_kernarg_segment_ptr 1
		.amdhsa_user_sgpr_dispatch_id 0
		.amdhsa_user_sgpr_flat_scratch_init 0
		.amdhsa_user_sgpr_private_segment_size 0
		.amdhsa_wavefront_size32 1
		.amdhsa_uses_dynamic_stack 0
		.amdhsa_system_sgpr_private_segment_wavefront_offset 0
		.amdhsa_system_sgpr_workgroup_id_x 1
		.amdhsa_system_sgpr_workgroup_id_y 0
		.amdhsa_system_sgpr_workgroup_id_z 0
		.amdhsa_system_sgpr_workgroup_info 0
		.amdhsa_system_vgpr_workitem_id 1
		.amdhsa_next_free_vgpr 32
		.amdhsa_next_free_sgpr 16
		.amdhsa_reserve_vcc 1
		.amdhsa_reserve_flat_scratch 0
		.amdhsa_float_round_mode_32 0
		.amdhsa_float_round_mode_16_64 0
		.amdhsa_float_denorm_mode_32 3
		.amdhsa_float_denorm_mode_16_64 3
		.amdhsa_dx10_clamp 1
		.amdhsa_ieee_mode 1
		.amdhsa_fp16_overflow 0
		.amdhsa_workgroup_processor_mode 1
		.amdhsa_memory_ordered 1
		.amdhsa_forward_progress 1
		.amdhsa_shared_vgpr_count 0
		.amdhsa_exception_fp_ieee_invalid_op 0
		.amdhsa_exception_fp_denorm_src 0
		.amdhsa_exception_fp_ieee_div_zero 0
		.amdhsa_exception_fp_ieee_overflow 0
		.amdhsa_exception_fp_ieee_underflow 0
		.amdhsa_exception_fp_ieee_inexact 0
		.amdhsa_exception_int_div_zero 0
	.end_amdhsa_kernel
	.section	.text._ZN12_GLOBAL__N_120softmax_warp_forwardIdddLi6ELb0ELb1ELi64EEEvPT0_PKT_iiiPKbib,"axG",@progbits,_ZN12_GLOBAL__N_120softmax_warp_forwardIdddLi6ELb0ELb1ELi64EEEvPT0_PKT_iiiPKbib,comdat
.Lfunc_end684:
	.size	_ZN12_GLOBAL__N_120softmax_warp_forwardIdddLi6ELb0ELb1ELi64EEEvPT0_PKT_iiiPKbib, .Lfunc_end684-_ZN12_GLOBAL__N_120softmax_warp_forwardIdddLi6ELb0ELb1ELi64EEEvPT0_PKT_iiiPKbib
                                        ; -- End function
	.set _ZN12_GLOBAL__N_120softmax_warp_forwardIdddLi6ELb0ELb1ELi64EEEvPT0_PKT_iiiPKbib.num_vgpr, 32
	.set _ZN12_GLOBAL__N_120softmax_warp_forwardIdddLi6ELb0ELb1ELi64EEEvPT0_PKT_iiiPKbib.num_agpr, 0
	.set _ZN12_GLOBAL__N_120softmax_warp_forwardIdddLi6ELb0ELb1ELi64EEEvPT0_PKT_iiiPKbib.numbered_sgpr, 16
	.set _ZN12_GLOBAL__N_120softmax_warp_forwardIdddLi6ELb0ELb1ELi64EEEvPT0_PKT_iiiPKbib.num_named_barrier, 0
	.set _ZN12_GLOBAL__N_120softmax_warp_forwardIdddLi6ELb0ELb1ELi64EEEvPT0_PKT_iiiPKbib.private_seg_size, 0
	.set _ZN12_GLOBAL__N_120softmax_warp_forwardIdddLi6ELb0ELb1ELi64EEEvPT0_PKT_iiiPKbib.uses_vcc, 1
	.set _ZN12_GLOBAL__N_120softmax_warp_forwardIdddLi6ELb0ELb1ELi64EEEvPT0_PKT_iiiPKbib.uses_flat_scratch, 0
	.set _ZN12_GLOBAL__N_120softmax_warp_forwardIdddLi6ELb0ELb1ELi64EEEvPT0_PKT_iiiPKbib.has_dyn_sized_stack, 0
	.set _ZN12_GLOBAL__N_120softmax_warp_forwardIdddLi6ELb0ELb1ELi64EEEvPT0_PKT_iiiPKbib.has_recursion, 0
	.set _ZN12_GLOBAL__N_120softmax_warp_forwardIdddLi6ELb0ELb1ELi64EEEvPT0_PKT_iiiPKbib.has_indirect_call, 0
	.section	.AMDGPU.csdata,"",@progbits
; Kernel info:
; codeLenInByte = 3136
; TotalNumSgprs: 18
; NumVgprs: 32
; ScratchSize: 0
; MemoryBound: 1
; FloatMode: 240
; IeeeMode: 1
; LDSByteSize: 0 bytes/workgroup (compile time only)
; SGPRBlocks: 0
; VGPRBlocks: 3
; NumSGPRsForWavesPerEU: 18
; NumVGPRsForWavesPerEU: 32
; Occupancy: 16
; WaveLimiterHint : 0
; COMPUTE_PGM_RSRC2:SCRATCH_EN: 0
; COMPUTE_PGM_RSRC2:USER_SGPR: 6
; COMPUTE_PGM_RSRC2:TRAP_HANDLER: 0
; COMPUTE_PGM_RSRC2:TGID_X_EN: 1
; COMPUTE_PGM_RSRC2:TGID_Y_EN: 0
; COMPUTE_PGM_RSRC2:TGID_Z_EN: 0
; COMPUTE_PGM_RSRC2:TIDIG_COMP_CNT: 1
	.section	.text._ZN12_GLOBAL__N_120softmax_warp_forwardIdddLi6ELb0ELb1ELi32EEEvPT0_PKT_iiiPKbib,"axG",@progbits,_ZN12_GLOBAL__N_120softmax_warp_forwardIdddLi6ELb0ELb1ELi32EEEvPT0_PKT_iiiPKbib,comdat
	.globl	_ZN12_GLOBAL__N_120softmax_warp_forwardIdddLi6ELb0ELb1ELi32EEEvPT0_PKT_iiiPKbib ; -- Begin function _ZN12_GLOBAL__N_120softmax_warp_forwardIdddLi6ELb0ELb1ELi32EEEvPT0_PKT_iiiPKbib
	.p2align	8
	.type	_ZN12_GLOBAL__N_120softmax_warp_forwardIdddLi6ELb0ELb1ELi32EEEvPT0_PKT_iiiPKbib,@function
_ZN12_GLOBAL__N_120softmax_warp_forwardIdddLi6ELb0ELb1ELi32EEEvPT0_PKT_iiiPKbib: ; @_ZN12_GLOBAL__N_120softmax_warp_forwardIdddLi6ELb0ELb1ELi32EEEvPT0_PKT_iiiPKbib
; %bb.0:
	s_clause 0x2
	s_load_dwordx2 s[0:1], s[4:5], 0x28
	s_load_dword s2, s[4:5], 0x3c
	s_load_dwordx4 s[8:11], s[4:5], 0x10
	s_waitcnt lgkmcnt(0)
	s_bitcmp1_b32 s1, 0
	s_cselect_b32 s16, -1, 0
	s_lshr_b32 s2, s2, 16
	s_and_b32 s2, s2, 0xffff
	s_bitcmp0_b32 s1, 0
	s_mul_i32 s6, s6, s2
	v_add_lshl_u32 v3, s6, v1, 1
	v_mul_lo_u32 v4, v3, s9
	v_add_nc_u32_e32 v1, v4, v0
	v_ashrrev_i32_e32 v2, 31, v1
	v_mov_b32_e32 v7, v2
	v_mov_b32_e32 v6, v1
	s_cbranch_scc1 .LBB685_2
; %bb.1:
	s_abs_i32 s1, s0
	v_sub_nc_u32_e32 v7, 0, v4
	v_cvt_f32_u32_e32 v5, s1
	s_sub_i32 s2, 0, s1
	v_max_i32_e32 v7, v4, v7
	v_rcp_iflag_f32_e32 v5, v5
	v_xor_b32_e32 v4, s0, v4
	v_ashrrev_i32_e32 v4, 31, v4
	v_mul_f32_e32 v5, 0x4f7ffffe, v5
	v_cvt_u32_f32_e32 v5, v5
	v_mul_lo_u32 v6, s2, v5
	v_mul_hi_u32 v6, v5, v6
	v_add_nc_u32_e32 v5, v5, v6
	v_mul_hi_u32 v5, v7, v5
	v_mul_lo_u32 v6, v5, s1
	v_sub_nc_u32_e32 v6, v7, v6
	v_add_nc_u32_e32 v7, 1, v5
	v_subrev_nc_u32_e32 v8, s1, v6
	v_cmp_le_u32_e32 vcc_lo, s1, v6
	v_cndmask_b32_e32 v5, v5, v7, vcc_lo
	v_cndmask_b32_e32 v6, v6, v8, vcc_lo
	v_add_nc_u32_e32 v7, 1, v5
	v_cmp_le_u32_e32 vcc_lo, s1, v6
	v_cndmask_b32_e32 v5, v5, v7, vcc_lo
	v_xor_b32_e32 v5, v5, v4
	v_sub_nc_u32_e32 v4, v5, v4
	v_mad_u64_u32 v[6:7], null, v4, s9, v[0:1]
	v_ashrrev_i32_e32 v7, 31, v6
.LBB685_2:
	s_load_dwordx4 s[12:15], s[4:5], 0x0
	v_lshlrev_b64 v[10:11], 3, v[1:2]
	v_sub_nc_u32_e32 v26, s8, v3
	v_cmp_gt_i32_e64 s1, s10, v0
	v_mov_b32_e32 v16, 0
	v_mov_b32_e32 v4, 0
	;; [unrolled: 1-line block ×3, first 2 shown]
	v_cmp_lt_i32_e32 vcc_lo, 0, v26
	v_mov_b32_e32 v5, 0xfff00000
	s_and_b32 s9, vcc_lo, s1
	s_waitcnt lgkmcnt(0)
	v_add_co_u32 v8, s0, s14, v10
	v_add_co_ci_u32_e64 v9, null, s15, v11, s0
	s_and_saveexec_b32 s0, s9
	s_cbranch_execz .LBB685_4
; %bb.3:
	global_load_dwordx2 v[4:5], v[8:9], off
.LBB685_4:
	s_or_b32 exec_lo, exec_lo, s0
	v_add_nc_u32_e32 v0, 32, v0
	v_cmp_gt_i32_e64 s0, s10, v0
	s_and_b32 s8, vcc_lo, s0
	s_and_saveexec_b32 s2, s8
	s_cbranch_execz .LBB685_6
; %bb.5:
	global_load_dwordx2 v[16:17], v[8:9], off offset:256
.LBB685_6:
	s_or_b32 exec_lo, exec_lo, s2
	v_cmp_lt_i32_e64 s2, 1, v26
	v_mov_b32_e32 v12, 0
	v_mov_b32_e32 v2, 0
	;; [unrolled: 1-line block ×4, first 2 shown]
	s_and_b32 s7, s2, s1
	s_and_saveexec_b32 s6, s7
	s_cbranch_execz .LBB685_8
; %bb.7:
	s_mov_b32 s11, 0
	s_lshl_b64 s[14:15], s[10:11], 3
	v_add_co_u32 v0, s3, v8, s14
	v_add_co_ci_u32_e64 v1, null, s15, v9, s3
	global_load_dwordx2 v[2:3], v[0:1], off
.LBB685_8:
	s_or_b32 exec_lo, exec_lo, s6
	s_and_b32 s6, s2, s0
	s_and_saveexec_b32 s3, s6
	s_cbranch_execz .LBB685_10
; %bb.9:
	s_mov_b32 s11, 0
	s_lshl_b64 s[14:15], s[10:11], 3
	v_add_co_u32 v0, s2, v8, s14
	v_add_co_ci_u32_e64 v1, null, s15, v9, s2
	global_load_dwordx2 v[12:13], v[0:1], off offset:256
.LBB685_10:
	s_or_b32 exec_lo, exec_lo, s3
	s_load_dwordx2 s[2:3], s[4:5], 0x20
	s_waitcnt lgkmcnt(0)
	v_add_co_u32 v14, s2, s2, v6
	v_add_co_ci_u32_e64 v15, null, s3, v7, s2
	s_waitcnt vmcnt(0)
	v_mov_b32_e32 v9, v7
	v_mov_b32_e32 v8, v6
	;; [unrolled: 1-line block ×4, first 2 shown]
	s_mov_b32 s3, 0
	s_and_saveexec_b32 s4, s9
	s_cbranch_execz .LBB685_14
; %bb.11:
	global_load_ubyte v0, v[14:15], off
	s_waitcnt vmcnt(0)
	v_and_b32_e32 v0, 1, v0
	v_cmp_eq_u32_e64 s2, 1, v0
	s_xor_b32 s5, s2, -1
	s_mov_b32 s2, 0
	s_and_saveexec_b32 s3, s5
; %bb.12:
	v_mov_b32_e32 v9, v7
	v_mov_b32_e32 v8, v6
	;; [unrolled: 1-line block ×4, first 2 shown]
	s_mov_b32 s2, exec_lo
; %bb.13:
	s_or_b32 exec_lo, exec_lo, s3
	s_and_b32 s3, s2, exec_lo
.LBB685_14:
	s_or_b32 exec_lo, exec_lo, s4
	s_and_saveexec_b32 s4, s8
	s_cbranch_execz .LBB685_18
; %bb.15:
	global_load_ubyte v0, v[14:15], off offset:32
	s_waitcnt vmcnt(0)
	v_and_b32_e32 v0, 1, v0
	v_cmp_eq_u32_e64 s2, 1, v0
	s_xor_b32 s11, s2, -1
	s_mov_b32 s2, s3
	s_and_saveexec_b32 s5, s11
	s_cbranch_execz .LBB685_17
; %bb.16:
	v_cmp_gt_f64_e64 s2, v[6:7], v[16:17]
	s_and_b32 s2, s3, s2
	v_cndmask_b32_e64 v7, v17, v7, s2
	v_cndmask_b32_e64 v6, v16, v6, s2
	s_or_b32 s2, s3, exec_lo
.LBB685_17:
	s_or_b32 exec_lo, exec_lo, s5
	s_andn2_b32 s3, s3, exec_lo
	s_and_b32 s2, s2, exec_lo
	s_or_b32 s3, s3, s2
.LBB685_18:
	s_or_b32 exec_lo, exec_lo, s4
	v_cndmask_b32_e64 v1, 0xfff00000, v7, s3
	v_cndmask_b32_e64 v0, 0, v6, s3
	v_mov_b32_e32 v9, v3
	v_mov_b32_e32 v8, v2
	s_and_b32 s2, s16, exec_lo
	v_mov_b32_e32 v7, v1
	v_mov_b32_e32 v6, v0
	s_mov_b32 s3, 0
	s_cselect_b32 s4, 0, s10
	s_and_saveexec_b32 s5, s7
	s_cbranch_execz .LBB685_22
; %bb.19:
	s_ashr_i32 s3, s4, 31
	v_add_co_u32 v6, s2, v14, s4
	v_add_co_ci_u32_e64 v7, null, s3, v15, s2
	s_mov_b32 s3, 0
	global_load_ubyte v6, v[6:7], off
	s_waitcnt vmcnt(0)
	v_and_b32_e32 v6, 1, v6
	v_cmp_eq_u32_e64 s2, 1, v6
	v_mov_b32_e32 v9, v3
	v_mov_b32_e32 v8, v2
	;; [unrolled: 1-line block ×4, first 2 shown]
	s_xor_b32 s11, s2, -1
	s_and_saveexec_b32 s2, s11
; %bb.20:
	v_mov_b32_e32 v9, v3
	v_mov_b32_e32 v8, v2
	;; [unrolled: 1-line block ×4, first 2 shown]
	s_mov_b32 s3, exec_lo
; %bb.21:
	s_or_b32 exec_lo, exec_lo, s2
	s_and_b32 s3, s3, exec_lo
.LBB685_22:
	s_or_b32 exec_lo, exec_lo, s5
	s_and_saveexec_b32 s5, s6
	s_cbranch_execz .LBB685_26
; %bb.23:
	s_ashr_i32 s11, s4, 31
	v_add_co_u32 v0, s2, v14, s4
	v_add_co_ci_u32_e64 v1, null, s11, v15, s2
	global_load_ubyte v0, v[0:1], off offset:32
	s_waitcnt vmcnt(0)
	v_and_b32_e32 v0, 1, v0
	v_cmp_eq_u32_e64 s2, 1, v0
	s_xor_b32 s14, s2, -1
	s_mov_b32 s2, s3
	s_and_saveexec_b32 s11, s14
	s_cbranch_execz .LBB685_25
; %bb.24:
	v_cmp_gt_f64_e64 s2, v[8:9], v[12:13]
	s_and_b32 s2, s3, s2
	v_cndmask_b32_e64 v9, v13, v9, s2
	v_cndmask_b32_e64 v8, v12, v8, s2
	s_or_b32 s2, s3, exec_lo
.LBB685_25:
	s_or_b32 exec_lo, exec_lo, s11
	s_andn2_b32 s3, s3, exec_lo
	s_and_b32 s2, s2, exec_lo
	s_or_b32 s3, s3, s2
.LBB685_26:
	s_or_b32 exec_lo, exec_lo, s5
	v_mbcnt_lo_u32_b32 v20, -1, 0
	v_cndmask_b32_e64 v8, 0, v8, s3
	v_cndmask_b32_e64 v9, 0xfff00000, v9, s3
	v_xor_b32_e32 v0, 16, v20
	v_xor_b32_e32 v21, 8, v20
	v_cmp_gt_i32_e64 s2, 32, v0
	v_cmp_gt_i32_e64 s3, 32, v21
	v_cndmask_b32_e64 v0, v20, v0, s2
	v_cndmask_b32_e64 v21, v20, v21, s3
	v_lshlrev_b32_e32 v27, 2, v0
	v_lshlrev_b32_e32 v28, 2, v21
	v_xor_b32_e32 v21, 4, v20
	ds_bpermute_b32 v0, v27, v6
	ds_bpermute_b32 v1, v27, v7
	;; [unrolled: 1-line block ×4, first 2 shown]
	s_waitcnt lgkmcnt(2)
	v_cmp_lt_f64_e64 s2, v[6:7], v[0:1]
	v_cndmask_b32_e64 v1, v7, v1, s2
	v_cndmask_b32_e64 v0, v6, v0, s2
	s_waitcnt lgkmcnt(0)
	v_cmp_lt_f64_e64 s2, v[8:9], v[18:19]
	ds_bpermute_b32 v7, v28, v1
	ds_bpermute_b32 v6, v28, v0
	v_cndmask_b32_e64 v9, v9, v19, s2
	v_cndmask_b32_e64 v8, v8, v18, s2
	s_waitcnt lgkmcnt(0)
	v_cmp_lt_f64_e64 s3, v[0:1], v[6:7]
	v_cmp_gt_i32_e64 s2, 32, v21
	ds_bpermute_b32 v19, v28, v9
	ds_bpermute_b32 v18, v28, v8
	v_cndmask_b32_e64 v21, v20, v21, s2
	v_lshlrev_b32_e32 v29, 2, v21
	v_xor_b32_e32 v21, 2, v20
	v_cndmask_b32_e64 v1, v1, v7, s3
	v_cndmask_b32_e64 v0, v0, v6, s3
	s_waitcnt lgkmcnt(0)
	v_cmp_lt_f64_e64 s2, v[8:9], v[18:19]
	ds_bpermute_b32 v7, v29, v1
	ds_bpermute_b32 v6, v29, v0
	v_cndmask_b32_e64 v9, v9, v19, s2
	v_cndmask_b32_e64 v8, v8, v18, s2
	s_waitcnt lgkmcnt(0)
	v_cmp_lt_f64_e64 s3, v[0:1], v[6:7]
	v_cmp_gt_i32_e64 s2, 32, v21
	ds_bpermute_b32 v19, v29, v9
	ds_bpermute_b32 v18, v29, v8
	v_cndmask_b32_e64 v21, v20, v21, s2
	v_lshlrev_b32_e32 v30, 2, v21
	v_xor_b32_e32 v21, 1, v20
	v_cndmask_b32_e64 v1, v1, v7, s3
	v_cndmask_b32_e64 v0, v0, v6, s3
	s_waitcnt lgkmcnt(0)
	v_cmp_lt_f64_e64 s2, v[8:9], v[18:19]
	ds_bpermute_b32 v7, v30, v1
	ds_bpermute_b32 v6, v30, v0
	v_cndmask_b32_e64 v9, v9, v19, s2
	v_cndmask_b32_e64 v8, v8, v18, s2
	s_waitcnt lgkmcnt(0)
	v_cmp_lt_f64_e64 s3, v[0:1], v[6:7]
	v_cmp_gt_i32_e64 s2, 32, v21
	ds_bpermute_b32 v19, v30, v9
	ds_bpermute_b32 v18, v30, v8
	v_cndmask_b32_e64 v20, v20, v21, s2
	v_lshlrev_b32_e32 v31, 2, v20
	v_cndmask_b32_e64 v25, v1, v7, s3
	v_cndmask_b32_e64 v24, v0, v6, s3
	s_waitcnt lgkmcnt(0)
	v_cmp_lt_f64_e64 s2, v[8:9], v[18:19]
	v_mov_b32_e32 v0, 0
	v_mov_b32_e32 v6, 0
	ds_bpermute_b32 v33, v31, v25
	ds_bpermute_b32 v32, v31, v24
	v_mov_b32_e32 v1, 0
	v_mov_b32_e32 v7, 0
	v_cndmask_b32_e64 v21, v9, v19, s2
	v_cndmask_b32_e64 v20, v8, v18, s2
	s_waitcnt lgkmcnt(0)
	v_cmp_lt_f64_e64 s3, v[24:25], v[32:33]
	v_mov_b32_e32 v8, 0
	ds_bpermute_b32 v23, v31, v21
	ds_bpermute_b32 v22, v31, v20
	v_mov_b32_e32 v9, v8
	v_mov_b32_e32 v18, v8
	;; [unrolled: 1-line block ×3, first 2 shown]
	v_cndmask_b32_e64 v25, v25, v33, s3
	v_cndmask_b32_e64 v24, v24, v32, s3
	s_and_saveexec_b32 s5, s9
	s_cbranch_execz .LBB685_30
; %bb.27:
	global_load_ubyte v6, v[14:15], off
	v_mov_b32_e32 v9, v8
	v_mov_b32_e32 v18, v8
	;; [unrolled: 1-line block ×3, first 2 shown]
	s_waitcnt vmcnt(0)
	v_and_b32_e32 v6, 1, v6
	v_cmp_eq_u32_e64 s2, 1, v6
	v_mov_b32_e32 v6, 0
	v_mov_b32_e32 v7, 0
	s_xor_b32 s2, s2, -1
	s_and_saveexec_b32 s9, s2
	s_cbranch_execz .LBB685_29
; %bb.28:
	v_add_f64 v[4:5], v[4:5], -v[24:25]
	s_mov_b32 s2, 0x652b82fe
	s_mov_b32 s3, 0x3ff71547
	s_mov_b32 s14, 0x6a5dcb37
	s_mov_b32 s15, 0x3e5ade15
	v_mul_f64 v[6:7], v[4:5], s[2:3]
	s_mov_b32 s2, 0xfefa39ef
	s_mov_b32 s3, 0xbfe62e42
	v_rndne_f64_e32 v[6:7], v[6:7]
	v_fma_f64 v[8:9], v[6:7], s[2:3], v[4:5]
	s_mov_b32 s2, 0x3b39803f
	s_mov_b32 s3, 0xbc7abc9e
	v_cvt_i32_f64_e32 v32, v[6:7]
	v_fma_f64 v[8:9], v[6:7], s[2:3], v[8:9]
	s_mov_b32 s2, 0xfca7ab0c
	s_mov_b32 s3, 0x3e928af3
	v_fma_f64 v[18:19], v[8:9], s[14:15], s[2:3]
	s_mov_b32 s2, 0x623fde64
	s_mov_b32 s3, 0x3ec71dee
	;; [unrolled: 3-line block ×9, first 2 shown]
	v_fma_f64 v[18:19], v[8:9], v[18:19], s[2:3]
	v_cmp_nlt_f64_e64 s2, 0x40900000, v[4:5]
	v_cmp_ngt_f64_e64 s3, 0xc090cc00, v[4:5]
	v_fma_f64 v[18:19], v[8:9], v[18:19], 1.0
	v_fma_f64 v[6:7], v[8:9], v[18:19], 1.0
	v_mov_b32_e32 v18, 0
	v_mov_b32_e32 v19, v18
	v_ldexp_f64 v[6:7], v[6:7], v32
	v_cndmask_b32_e64 v7, 0x7ff00000, v7, s2
	s_and_b32 s2, s3, s2
	v_cndmask_b32_e64 v6, 0, v6, s2
	v_cndmask_b32_e64 v7, 0, v7, s3
	v_add_f64 v[8:9], v[6:7], 0
.LBB685_29:
	s_or_b32 exec_lo, exec_lo, s9
.LBB685_30:
	s_or_b32 exec_lo, exec_lo, s5
	s_and_saveexec_b32 s5, s8
	s_cbranch_execz .LBB685_34
; %bb.31:
	global_load_ubyte v0, v[14:15], off offset:32
	s_waitcnt vmcnt(0)
	v_and_b32_e32 v0, 1, v0
	v_cmp_eq_u32_e64 s2, 1, v0
	v_mov_b32_e32 v0, 0
	v_mov_b32_e32 v1, 0
	s_xor_b32 s2, s2, -1
	s_and_saveexec_b32 s8, s2
	s_cbranch_execz .LBB685_33
; %bb.32:
	v_add_f64 v[0:1], v[16:17], -v[24:25]
	s_mov_b32 s2, 0x652b82fe
	s_mov_b32 s3, 0x3ff71547
	;; [unrolled: 1-line block ×4, first 2 shown]
	v_mul_f64 v[4:5], v[0:1], s[2:3]
	s_mov_b32 s2, 0xfefa39ef
	s_mov_b32 s3, 0xbfe62e42
	v_rndne_f64_e32 v[4:5], v[4:5]
	v_fma_f64 v[16:17], v[4:5], s[2:3], v[0:1]
	s_mov_b32 s2, 0x3b39803f
	s_mov_b32 s3, 0xbc7abc9e
	v_cvt_i32_f64_e32 v32, v[4:5]
	v_fma_f64 v[16:17], v[4:5], s[2:3], v[16:17]
	s_mov_b32 s2, 0xfca7ab0c
	s_mov_b32 s3, 0x3e928af3
	v_fma_f64 v[24:25], v[16:17], s[14:15], s[2:3]
	s_mov_b32 s2, 0x623fde64
	s_mov_b32 s3, 0x3ec71dee
	;; [unrolled: 3-line block ×9, first 2 shown]
	v_fma_f64 v[24:25], v[16:17], v[24:25], s[2:3]
	v_cmp_nlt_f64_e64 s2, 0x40900000, v[0:1]
	v_cmp_ngt_f64_e64 s3, 0xc090cc00, v[0:1]
	v_fma_f64 v[24:25], v[16:17], v[24:25], 1.0
	v_fma_f64 v[4:5], v[16:17], v[24:25], 1.0
	v_ldexp_f64 v[4:5], v[4:5], v32
	v_cndmask_b32_e64 v5, 0x7ff00000, v5, s2
	s_and_b32 s2, s3, s2
	v_cndmask_b32_e64 v0, 0, v4, s2
	v_cndmask_b32_e64 v1, 0, v5, s3
	v_add_f64 v[8:9], v[8:9], v[0:1]
.LBB685_33:
	s_or_b32 exec_lo, exec_lo, s8
.LBB685_34:
	s_or_b32 exec_lo, exec_lo, s5
	s_waitcnt lgkmcnt(0)
	v_cmp_lt_f64_e64 s2, v[20:21], v[22:23]
	v_mov_b32_e32 v4, 0
	v_mov_b32_e32 v16, 0
	;; [unrolled: 1-line block ×4, first 2 shown]
	v_cndmask_b32_e64 v21, v21, v23, s2
	v_cndmask_b32_e64 v20, v20, v22, s2
	s_and_saveexec_b32 s5, s7
	s_cbranch_execz .LBB685_38
; %bb.35:
	s_ashr_i32 s3, s4, 31
	v_add_co_u32 v16, s2, v14, s4
	v_add_co_ci_u32_e64 v17, null, s3, v15, s2
	global_load_ubyte v16, v[16:17], off
	s_waitcnt vmcnt(0)
	v_and_b32_e32 v16, 1, v16
	v_cmp_eq_u32_e64 s2, 1, v16
	v_mov_b32_e32 v16, 0
	v_mov_b32_e32 v17, 0
	s_xor_b32 s2, s2, -1
	s_and_saveexec_b32 s7, s2
	s_cbranch_execz .LBB685_37
; %bb.36:
	v_add_f64 v[2:3], v[2:3], -v[20:21]
	s_mov_b32 s2, 0x652b82fe
	s_mov_b32 s3, 0x3ff71547
	;; [unrolled: 1-line block ×4, first 2 shown]
	v_mul_f64 v[16:17], v[2:3], s[2:3]
	s_mov_b32 s2, 0xfefa39ef
	s_mov_b32 s3, 0xbfe62e42
	v_rndne_f64_e32 v[16:17], v[16:17]
	v_fma_f64 v[22:23], v[16:17], s[2:3], v[2:3]
	s_mov_b32 s2, 0x3b39803f
	s_mov_b32 s3, 0xbc7abc9e
	v_cvt_i32_f64_e32 v32, v[16:17]
	v_fma_f64 v[22:23], v[16:17], s[2:3], v[22:23]
	s_mov_b32 s2, 0xfca7ab0c
	s_mov_b32 s3, 0x3e928af3
	v_fma_f64 v[24:25], v[22:23], s[8:9], s[2:3]
	s_mov_b32 s2, 0x623fde64
	s_mov_b32 s3, 0x3ec71dee
	;; [unrolled: 3-line block ×9, first 2 shown]
	v_fma_f64 v[24:25], v[22:23], v[24:25], s[2:3]
	v_cmp_nlt_f64_e64 s2, 0x40900000, v[2:3]
	v_cmp_ngt_f64_e64 s3, 0xc090cc00, v[2:3]
	v_fma_f64 v[24:25], v[22:23], v[24:25], 1.0
	v_fma_f64 v[16:17], v[22:23], v[24:25], 1.0
	v_ldexp_f64 v[16:17], v[16:17], v32
	v_cndmask_b32_e64 v17, 0x7ff00000, v17, s2
	s_and_b32 s2, s3, s2
	v_cndmask_b32_e64 v16, 0, v16, s2
	v_cndmask_b32_e64 v17, 0, v17, s3
	v_add_f64 v[18:19], v[18:19], v[16:17]
.LBB685_37:
	s_or_b32 exec_lo, exec_lo, s7
.LBB685_38:
	s_or_b32 exec_lo, exec_lo, s5
	s_and_saveexec_b32 s5, s6
	s_cbranch_execz .LBB685_42
; %bb.39:
	s_ashr_i32 s3, s4, 31
	v_add_co_u32 v2, s2, v14, s4
	v_add_co_ci_u32_e64 v3, null, s3, v15, s2
	v_mov_b32_e32 v4, 0
	v_mov_b32_e32 v5, 0
	global_load_ubyte v2, v[2:3], off offset:32
	s_waitcnt vmcnt(0)
	v_and_b32_e32 v2, 1, v2
	v_cmp_eq_u32_e64 s2, 1, v2
	s_xor_b32 s2, s2, -1
	s_and_saveexec_b32 s4, s2
	s_cbranch_execz .LBB685_41
; %bb.40:
	v_add_f64 v[2:3], v[12:13], -v[20:21]
	s_mov_b32 s2, 0x652b82fe
	s_mov_b32 s3, 0x3ff71547
	;; [unrolled: 1-line block ×4, first 2 shown]
	v_mul_f64 v[4:5], v[2:3], s[2:3]
	s_mov_b32 s2, 0xfefa39ef
	s_mov_b32 s3, 0xbfe62e42
	v_rndne_f64_e32 v[4:5], v[4:5]
	v_fma_f64 v[12:13], v[4:5], s[2:3], v[2:3]
	s_mov_b32 s2, 0x3b39803f
	s_mov_b32 s3, 0xbc7abc9e
	v_cvt_i32_f64_e32 v20, v[4:5]
	v_fma_f64 v[12:13], v[4:5], s[2:3], v[12:13]
	s_mov_b32 s2, 0xfca7ab0c
	s_mov_b32 s3, 0x3e928af3
	v_fma_f64 v[14:15], v[12:13], s[6:7], s[2:3]
	s_mov_b32 s2, 0x623fde64
	s_mov_b32 s3, 0x3ec71dee
	;; [unrolled: 3-line block ×9, first 2 shown]
	v_fma_f64 v[14:15], v[12:13], v[14:15], s[2:3]
	v_cmp_nlt_f64_e64 s2, 0x40900000, v[2:3]
	v_cmp_ngt_f64_e64 s3, 0xc090cc00, v[2:3]
	v_fma_f64 v[14:15], v[12:13], v[14:15], 1.0
	v_fma_f64 v[4:5], v[12:13], v[14:15], 1.0
	v_ldexp_f64 v[4:5], v[4:5], v20
	v_cndmask_b32_e64 v5, 0x7ff00000, v5, s2
	s_and_b32 s2, s3, s2
	v_cndmask_b32_e64 v4, 0, v4, s2
	v_cndmask_b32_e64 v5, 0, v5, s3
	v_add_f64 v[18:19], v[18:19], v[4:5]
.LBB685_41:
	s_or_b32 exec_lo, exec_lo, s4
.LBB685_42:
	s_or_b32 exec_lo, exec_lo, s5
	ds_bpermute_b32 v2, v27, v8
	ds_bpermute_b32 v3, v27, v9
	ds_bpermute_b32 v12, v27, v18
	ds_bpermute_b32 v13, v27, v19
	s_waitcnt lgkmcnt(2)
	v_add_f64 v[2:3], v[8:9], v[2:3]
	s_waitcnt lgkmcnt(0)
	v_add_f64 v[8:9], v[18:19], v[12:13]
	ds_bpermute_b32 v12, v28, v2
	ds_bpermute_b32 v13, v28, v3
	ds_bpermute_b32 v14, v28, v8
	ds_bpermute_b32 v15, v28, v9
	s_waitcnt lgkmcnt(2)
	v_add_f64 v[2:3], v[2:3], v[12:13]
	s_waitcnt lgkmcnt(0)
	v_add_f64 v[8:9], v[8:9], v[14:15]
	;; [unrolled: 8-line block ×4, first 2 shown]
	ds_bpermute_b32 v18, v31, v14
	ds_bpermute_b32 v19, v31, v15
	;; [unrolled: 1-line block ×4, first 2 shown]
	s_and_saveexec_b32 s2, vcc_lo
	s_cbranch_execz .LBB685_50
; %bb.43:
	v_add_co_u32 v2, vcc_lo, s12, v10
	v_add_co_ci_u32_e64 v3, null, s13, v11, vcc_lo
	s_and_saveexec_b32 s3, s1
	s_cbranch_execz .LBB685_46
; %bb.44:
	s_waitcnt lgkmcnt(2)
	v_add_f64 v[10:11], v[14:15], v[18:19]
	v_div_scale_f64 v[14:15], null, v[10:11], v[10:11], v[6:7]
	v_div_scale_f64 v[22:23], vcc_lo, v[6:7], v[10:11], v[6:7]
	v_cmp_eq_f64_e64 s2, 0, v[10:11]
	v_rcp_f64_e32 v[18:19], v[14:15]
	v_fma_f64 v[20:21], -v[14:15], v[18:19], 1.0
	v_fma_f64 v[18:19], v[18:19], v[20:21], v[18:19]
	v_fma_f64 v[20:21], -v[14:15], v[18:19], 1.0
	v_fma_f64 v[18:19], v[18:19], v[20:21], v[18:19]
	v_mul_f64 v[20:21], v[22:23], v[18:19]
	v_fma_f64 v[14:15], -v[14:15], v[20:21], v[22:23]
	v_div_fmas_f64 v[14:15], v[14:15], v[18:19], v[20:21]
	v_div_fixup_f64 v[6:7], v[14:15], v[10:11], v[6:7]
	v_cndmask_b32_e64 v7, v7, 0x7ff80000, s2
	v_cndmask_b32_e64 v6, v6, 0, s2
	global_store_dwordx2 v[2:3], v[6:7], off
	s_and_b32 exec_lo, exec_lo, s0
	s_cbranch_execz .LBB685_46
; %bb.45:
	v_div_scale_f64 v[6:7], null, v[10:11], v[10:11], v[0:1]
	v_div_scale_f64 v[20:21], vcc_lo, v[0:1], v[10:11], v[0:1]
	v_rcp_f64_e32 v[14:15], v[6:7]
	v_fma_f64 v[18:19], -v[6:7], v[14:15], 1.0
	v_fma_f64 v[14:15], v[14:15], v[18:19], v[14:15]
	v_fma_f64 v[18:19], -v[6:7], v[14:15], 1.0
	v_fma_f64 v[14:15], v[14:15], v[18:19], v[14:15]
	v_mul_f64 v[18:19], v[20:21], v[14:15]
	v_fma_f64 v[6:7], -v[6:7], v[18:19], v[20:21]
	v_div_fmas_f64 v[6:7], v[6:7], v[14:15], v[18:19]
	v_div_fixup_f64 v[0:1], v[6:7], v[10:11], v[0:1]
	v_cndmask_b32_e64 v1, v1, 0x7ff80000, s2
	v_cndmask_b32_e64 v0, v0, 0, s2
	global_store_dwordx2 v[2:3], v[0:1], off offset:256
.LBB685_46:
	s_or_b32 exec_lo, exec_lo, s3
	v_cmp_ne_u32_e32 vcc_lo, 1, v26
	s_and_b32 exec_lo, exec_lo, vcc_lo
	s_cbranch_execz .LBB685_50
; %bb.47:
	s_and_b32 exec_lo, exec_lo, s1
	s_cbranch_execz .LBB685_50
; %bb.48:
	s_waitcnt lgkmcnt(0)
	v_add_f64 v[0:1], v[8:9], v[12:13]
	s_mov_b32 s11, 0
	s_lshl_b64 s[2:3], s[10:11], 3
	v_div_scale_f64 v[6:7], null, v[0:1], v[0:1], v[16:17]
	v_div_scale_f64 v[12:13], vcc_lo, v[16:17], v[0:1], v[16:17]
	v_cmp_eq_f64_e64 s1, 0, v[0:1]
	v_rcp_f64_e32 v[8:9], v[6:7]
	v_fma_f64 v[10:11], -v[6:7], v[8:9], 1.0
	v_fma_f64 v[8:9], v[8:9], v[10:11], v[8:9]
	v_fma_f64 v[10:11], -v[6:7], v[8:9], 1.0
	v_fma_f64 v[8:9], v[8:9], v[10:11], v[8:9]
	v_mul_f64 v[10:11], v[12:13], v[8:9]
	v_fma_f64 v[6:7], -v[6:7], v[10:11], v[12:13]
	v_div_fmas_f64 v[6:7], v[6:7], v[8:9], v[10:11]
	v_add_co_u32 v2, vcc_lo, v2, s2
	v_add_co_ci_u32_e64 v3, null, s3, v3, vcc_lo
	v_div_fixup_f64 v[6:7], v[6:7], v[0:1], v[16:17]
	v_cndmask_b32_e64 v7, v7, 0x7ff80000, s1
	v_cndmask_b32_e64 v6, v6, 0, s1
	global_store_dwordx2 v[2:3], v[6:7], off
	s_and_b32 exec_lo, exec_lo, s0
	s_cbranch_execz .LBB685_50
; %bb.49:
	v_div_scale_f64 v[6:7], null, v[0:1], v[0:1], v[4:5]
	v_div_scale_f64 v[12:13], vcc_lo, v[4:5], v[0:1], v[4:5]
	v_rcp_f64_e32 v[8:9], v[6:7]
	v_fma_f64 v[10:11], -v[6:7], v[8:9], 1.0
	v_fma_f64 v[8:9], v[8:9], v[10:11], v[8:9]
	v_fma_f64 v[10:11], -v[6:7], v[8:9], 1.0
	v_fma_f64 v[8:9], v[8:9], v[10:11], v[8:9]
	v_mul_f64 v[10:11], v[12:13], v[8:9]
	v_fma_f64 v[6:7], -v[6:7], v[10:11], v[12:13]
	v_div_fmas_f64 v[6:7], v[6:7], v[8:9], v[10:11]
	v_div_fixup_f64 v[0:1], v[6:7], v[0:1], v[4:5]
	v_cndmask_b32_e64 v1, v1, 0x7ff80000, s1
	v_cndmask_b32_e64 v0, v0, 0, s1
	global_store_dwordx2 v[2:3], v[0:1], off offset:256
.LBB685_50:
	s_endpgm
	.section	.rodata,"a",@progbits
	.p2align	6, 0x0
	.amdhsa_kernel _ZN12_GLOBAL__N_120softmax_warp_forwardIdddLi6ELb0ELb1ELi32EEEvPT0_PKT_iiiPKbib
		.amdhsa_group_segment_fixed_size 0
		.amdhsa_private_segment_fixed_size 0
		.amdhsa_kernarg_size 304
		.amdhsa_user_sgpr_count 6
		.amdhsa_user_sgpr_private_segment_buffer 1
		.amdhsa_user_sgpr_dispatch_ptr 0
		.amdhsa_user_sgpr_queue_ptr 0
		.amdhsa_user_sgpr_kernarg_segment_ptr 1
		.amdhsa_user_sgpr_dispatch_id 0
		.amdhsa_user_sgpr_flat_scratch_init 0
		.amdhsa_user_sgpr_private_segment_size 0
		.amdhsa_wavefront_size32 1
		.amdhsa_uses_dynamic_stack 0
		.amdhsa_system_sgpr_private_segment_wavefront_offset 0
		.amdhsa_system_sgpr_workgroup_id_x 1
		.amdhsa_system_sgpr_workgroup_id_y 0
		.amdhsa_system_sgpr_workgroup_id_z 0
		.amdhsa_system_sgpr_workgroup_info 0
		.amdhsa_system_vgpr_workitem_id 1
		.amdhsa_next_free_vgpr 34
		.amdhsa_next_free_sgpr 17
		.amdhsa_reserve_vcc 1
		.amdhsa_reserve_flat_scratch 0
		.amdhsa_float_round_mode_32 0
		.amdhsa_float_round_mode_16_64 0
		.amdhsa_float_denorm_mode_32 3
		.amdhsa_float_denorm_mode_16_64 3
		.amdhsa_dx10_clamp 1
		.amdhsa_ieee_mode 1
		.amdhsa_fp16_overflow 0
		.amdhsa_workgroup_processor_mode 1
		.amdhsa_memory_ordered 1
		.amdhsa_forward_progress 1
		.amdhsa_shared_vgpr_count 0
		.amdhsa_exception_fp_ieee_invalid_op 0
		.amdhsa_exception_fp_denorm_src 0
		.amdhsa_exception_fp_ieee_div_zero 0
		.amdhsa_exception_fp_ieee_overflow 0
		.amdhsa_exception_fp_ieee_underflow 0
		.amdhsa_exception_fp_ieee_inexact 0
		.amdhsa_exception_int_div_zero 0
	.end_amdhsa_kernel
	.section	.text._ZN12_GLOBAL__N_120softmax_warp_forwardIdddLi6ELb0ELb1ELi32EEEvPT0_PKT_iiiPKbib,"axG",@progbits,_ZN12_GLOBAL__N_120softmax_warp_forwardIdddLi6ELb0ELb1ELi32EEEvPT0_PKT_iiiPKbib,comdat
.Lfunc_end685:
	.size	_ZN12_GLOBAL__N_120softmax_warp_forwardIdddLi6ELb0ELb1ELi32EEEvPT0_PKT_iiiPKbib, .Lfunc_end685-_ZN12_GLOBAL__N_120softmax_warp_forwardIdddLi6ELb0ELb1ELi32EEEvPT0_PKT_iiiPKbib
                                        ; -- End function
	.set _ZN12_GLOBAL__N_120softmax_warp_forwardIdddLi6ELb0ELb1ELi32EEEvPT0_PKT_iiiPKbib.num_vgpr, 34
	.set _ZN12_GLOBAL__N_120softmax_warp_forwardIdddLi6ELb0ELb1ELi32EEEvPT0_PKT_iiiPKbib.num_agpr, 0
	.set _ZN12_GLOBAL__N_120softmax_warp_forwardIdddLi6ELb0ELb1ELi32EEEvPT0_PKT_iiiPKbib.numbered_sgpr, 17
	.set _ZN12_GLOBAL__N_120softmax_warp_forwardIdddLi6ELb0ELb1ELi32EEEvPT0_PKT_iiiPKbib.num_named_barrier, 0
	.set _ZN12_GLOBAL__N_120softmax_warp_forwardIdddLi6ELb0ELb1ELi32EEEvPT0_PKT_iiiPKbib.private_seg_size, 0
	.set _ZN12_GLOBAL__N_120softmax_warp_forwardIdddLi6ELb0ELb1ELi32EEEvPT0_PKT_iiiPKbib.uses_vcc, 1
	.set _ZN12_GLOBAL__N_120softmax_warp_forwardIdddLi6ELb0ELb1ELi32EEEvPT0_PKT_iiiPKbib.uses_flat_scratch, 0
	.set _ZN12_GLOBAL__N_120softmax_warp_forwardIdddLi6ELb0ELb1ELi32EEEvPT0_PKT_iiiPKbib.has_dyn_sized_stack, 0
	.set _ZN12_GLOBAL__N_120softmax_warp_forwardIdddLi6ELb0ELb1ELi32EEEvPT0_PKT_iiiPKbib.has_recursion, 0
	.set _ZN12_GLOBAL__N_120softmax_warp_forwardIdddLi6ELb0ELb1ELi32EEEvPT0_PKT_iiiPKbib.has_indirect_call, 0
	.section	.AMDGPU.csdata,"",@progbits
; Kernel info:
; codeLenInByte = 4400
; TotalNumSgprs: 19
; NumVgprs: 34
; ScratchSize: 0
; MemoryBound: 0
; FloatMode: 240
; IeeeMode: 1
; LDSByteSize: 0 bytes/workgroup (compile time only)
; SGPRBlocks: 0
; VGPRBlocks: 4
; NumSGPRsForWavesPerEU: 19
; NumVGPRsForWavesPerEU: 34
; Occupancy: 16
; WaveLimiterHint : 0
; COMPUTE_PGM_RSRC2:SCRATCH_EN: 0
; COMPUTE_PGM_RSRC2:USER_SGPR: 6
; COMPUTE_PGM_RSRC2:TRAP_HANDLER: 0
; COMPUTE_PGM_RSRC2:TGID_X_EN: 1
; COMPUTE_PGM_RSRC2:TGID_Y_EN: 0
; COMPUTE_PGM_RSRC2:TGID_Z_EN: 0
; COMPUTE_PGM_RSRC2:TIDIG_COMP_CNT: 1
	.section	.text._ZN12_GLOBAL__N_120softmax_warp_forwardIdddLi7ELb0ELb1ELi64EEEvPT0_PKT_iiiPKbib,"axG",@progbits,_ZN12_GLOBAL__N_120softmax_warp_forwardIdddLi7ELb0ELb1ELi64EEEvPT0_PKT_iiiPKbib,comdat
	.globl	_ZN12_GLOBAL__N_120softmax_warp_forwardIdddLi7ELb0ELb1ELi64EEEvPT0_PKT_iiiPKbib ; -- Begin function _ZN12_GLOBAL__N_120softmax_warp_forwardIdddLi7ELb0ELb1ELi64EEEvPT0_PKT_iiiPKbib
	.p2align	8
	.type	_ZN12_GLOBAL__N_120softmax_warp_forwardIdddLi7ELb0ELb1ELi64EEEvPT0_PKT_iiiPKbib,@function
_ZN12_GLOBAL__N_120softmax_warp_forwardIdddLi7ELb0ELb1ELi64EEEvPT0_PKT_iiiPKbib: ; @_ZN12_GLOBAL__N_120softmax_warp_forwardIdddLi7ELb0ELb1ELi64EEEvPT0_PKT_iiiPKbib
; %bb.0:
	s_clause 0x2
	s_load_dwordx2 s[0:1], s[4:5], 0x28
	s_load_dword s2, s[4:5], 0x3c
	s_load_dwordx4 s[8:11], s[4:5], 0x10
	s_waitcnt lgkmcnt(0)
	s_bitcmp1_b32 s1, 0
	s_cselect_b32 s16, -1, 0
	s_lshr_b32 s2, s2, 16
	s_and_b32 s2, s2, 0xffff
	s_bitcmp0_b32 s1, 0
	s_mul_i32 s6, s6, s2
	v_add_lshl_u32 v3, s6, v1, 1
	v_mul_lo_u32 v4, v3, s9
	v_add_nc_u32_e32 v1, v4, v0
	v_ashrrev_i32_e32 v2, 31, v1
	v_mov_b32_e32 v7, v2
	v_mov_b32_e32 v6, v1
	s_cbranch_scc1 .LBB686_2
; %bb.1:
	s_abs_i32 s1, s0
	v_sub_nc_u32_e32 v7, 0, v4
	v_cvt_f32_u32_e32 v5, s1
	s_sub_i32 s2, 0, s1
	v_max_i32_e32 v7, v4, v7
	v_rcp_iflag_f32_e32 v5, v5
	v_xor_b32_e32 v4, s0, v4
	v_ashrrev_i32_e32 v4, 31, v4
	v_mul_f32_e32 v5, 0x4f7ffffe, v5
	v_cvt_u32_f32_e32 v5, v5
	v_mul_lo_u32 v6, s2, v5
	v_mul_hi_u32 v6, v5, v6
	v_add_nc_u32_e32 v5, v5, v6
	v_mul_hi_u32 v5, v7, v5
	v_mul_lo_u32 v6, v5, s1
	v_sub_nc_u32_e32 v6, v7, v6
	v_add_nc_u32_e32 v7, 1, v5
	v_subrev_nc_u32_e32 v8, s1, v6
	v_cmp_le_u32_e32 vcc_lo, s1, v6
	v_cndmask_b32_e32 v5, v5, v7, vcc_lo
	v_cndmask_b32_e32 v6, v6, v8, vcc_lo
	v_add_nc_u32_e32 v7, 1, v5
	v_cmp_le_u32_e32 vcc_lo, s1, v6
	v_cndmask_b32_e32 v5, v5, v7, vcc_lo
	v_xor_b32_e32 v5, v5, v4
	v_sub_nc_u32_e32 v4, v5, v4
	v_mad_u64_u32 v[6:7], null, v4, s9, v[0:1]
	v_ashrrev_i32_e32 v7, 31, v6
.LBB686_2:
	s_load_dwordx4 s[12:15], s[4:5], 0x0
	v_lshlrev_b64 v[10:11], 3, v[1:2]
	v_sub_nc_u32_e32 v26, s8, v3
	v_cmp_gt_i32_e64 s1, s10, v0
	v_mov_b32_e32 v16, 0
	v_mov_b32_e32 v4, 0
	;; [unrolled: 1-line block ×3, first 2 shown]
	v_cmp_lt_i32_e32 vcc_lo, 0, v26
	v_mov_b32_e32 v5, 0xfff00000
	s_and_b32 s9, vcc_lo, s1
	s_waitcnt lgkmcnt(0)
	v_add_co_u32 v8, s0, s14, v10
	v_add_co_ci_u32_e64 v9, null, s15, v11, s0
	s_and_saveexec_b32 s0, s9
	s_cbranch_execz .LBB686_4
; %bb.3:
	global_load_dwordx2 v[4:5], v[8:9], off
.LBB686_4:
	s_or_b32 exec_lo, exec_lo, s0
	v_add_nc_u32_e32 v0, 64, v0
	v_cmp_gt_i32_e64 s0, s10, v0
	s_and_b32 s8, vcc_lo, s0
	s_and_saveexec_b32 s2, s8
	s_cbranch_execz .LBB686_6
; %bb.5:
	global_load_dwordx2 v[16:17], v[8:9], off offset:512
.LBB686_6:
	s_or_b32 exec_lo, exec_lo, s2
	v_cmp_lt_i32_e64 s2, 1, v26
	v_mov_b32_e32 v12, 0
	v_mov_b32_e32 v2, 0
	;; [unrolled: 1-line block ×4, first 2 shown]
	s_and_b32 s7, s2, s1
	s_and_saveexec_b32 s6, s7
	s_cbranch_execz .LBB686_8
; %bb.7:
	s_mov_b32 s11, 0
	s_lshl_b64 s[14:15], s[10:11], 3
	v_add_co_u32 v0, s3, v8, s14
	v_add_co_ci_u32_e64 v1, null, s15, v9, s3
	global_load_dwordx2 v[2:3], v[0:1], off
.LBB686_8:
	s_or_b32 exec_lo, exec_lo, s6
	s_and_b32 s6, s2, s0
	s_and_saveexec_b32 s3, s6
	s_cbranch_execz .LBB686_10
; %bb.9:
	s_mov_b32 s11, 0
	s_lshl_b64 s[14:15], s[10:11], 3
	v_add_co_u32 v0, s2, v8, s14
	v_add_co_ci_u32_e64 v1, null, s15, v9, s2
	global_load_dwordx2 v[12:13], v[0:1], off offset:512
.LBB686_10:
	s_or_b32 exec_lo, exec_lo, s3
	s_load_dwordx2 s[2:3], s[4:5], 0x20
	s_waitcnt lgkmcnt(0)
	v_add_co_u32 v14, s2, s2, v6
	v_add_co_ci_u32_e64 v15, null, s3, v7, s2
	s_waitcnt vmcnt(0)
	v_mov_b32_e32 v9, v7
	v_mov_b32_e32 v8, v6
	v_mov_b32_e32 v7, v5
	v_mov_b32_e32 v6, v4
	s_mov_b32 s3, 0
	s_and_saveexec_b32 s4, s9
	s_cbranch_execz .LBB686_14
; %bb.11:
	global_load_ubyte v0, v[14:15], off
	s_waitcnt vmcnt(0)
	v_and_b32_e32 v0, 1, v0
	v_cmp_eq_u32_e64 s2, 1, v0
	s_xor_b32 s5, s2, -1
	s_mov_b32 s2, 0
	s_and_saveexec_b32 s3, s5
; %bb.12:
	v_mov_b32_e32 v9, v7
	v_mov_b32_e32 v8, v6
	;; [unrolled: 1-line block ×4, first 2 shown]
	s_mov_b32 s2, exec_lo
; %bb.13:
	s_or_b32 exec_lo, exec_lo, s3
	s_and_b32 s3, s2, exec_lo
.LBB686_14:
	s_or_b32 exec_lo, exec_lo, s4
	s_and_saveexec_b32 s4, s8
	s_cbranch_execz .LBB686_18
; %bb.15:
	global_load_ubyte v0, v[14:15], off offset:64
	s_waitcnt vmcnt(0)
	v_and_b32_e32 v0, 1, v0
	v_cmp_eq_u32_e64 s2, 1, v0
	s_xor_b32 s11, s2, -1
	s_mov_b32 s2, s3
	s_and_saveexec_b32 s5, s11
	s_cbranch_execz .LBB686_17
; %bb.16:
	v_cmp_gt_f64_e64 s2, v[6:7], v[16:17]
	s_and_b32 s2, s3, s2
	v_cndmask_b32_e64 v7, v17, v7, s2
	v_cndmask_b32_e64 v6, v16, v6, s2
	s_or_b32 s2, s3, exec_lo
.LBB686_17:
	s_or_b32 exec_lo, exec_lo, s5
	s_andn2_b32 s3, s3, exec_lo
	s_and_b32 s2, s2, exec_lo
	s_or_b32 s3, s3, s2
.LBB686_18:
	s_or_b32 exec_lo, exec_lo, s4
	v_cndmask_b32_e64 v1, 0xfff00000, v7, s3
	v_cndmask_b32_e64 v0, 0, v6, s3
	v_mov_b32_e32 v9, v3
	v_mov_b32_e32 v8, v2
	s_and_b32 s2, s16, exec_lo
	v_mov_b32_e32 v7, v1
	v_mov_b32_e32 v6, v0
	s_mov_b32 s3, 0
	s_cselect_b32 s4, 0, s10
	s_and_saveexec_b32 s5, s7
	s_cbranch_execz .LBB686_22
; %bb.19:
	s_ashr_i32 s3, s4, 31
	v_add_co_u32 v6, s2, v14, s4
	v_add_co_ci_u32_e64 v7, null, s3, v15, s2
	s_mov_b32 s3, 0
	global_load_ubyte v6, v[6:7], off
	s_waitcnt vmcnt(0)
	v_and_b32_e32 v6, 1, v6
	v_cmp_eq_u32_e64 s2, 1, v6
	v_mov_b32_e32 v9, v3
	v_mov_b32_e32 v8, v2
	;; [unrolled: 1-line block ×4, first 2 shown]
	s_xor_b32 s11, s2, -1
	s_and_saveexec_b32 s2, s11
; %bb.20:
	v_mov_b32_e32 v9, v3
	v_mov_b32_e32 v8, v2
	;; [unrolled: 1-line block ×4, first 2 shown]
	s_mov_b32 s3, exec_lo
; %bb.21:
	s_or_b32 exec_lo, exec_lo, s2
	s_and_b32 s3, s3, exec_lo
.LBB686_22:
	s_or_b32 exec_lo, exec_lo, s5
	s_and_saveexec_b32 s5, s6
	s_cbranch_execz .LBB686_26
; %bb.23:
	s_ashr_i32 s11, s4, 31
	v_add_co_u32 v0, s2, v14, s4
	v_add_co_ci_u32_e64 v1, null, s11, v15, s2
	global_load_ubyte v0, v[0:1], off offset:64
	s_waitcnt vmcnt(0)
	v_and_b32_e32 v0, 1, v0
	v_cmp_eq_u32_e64 s2, 1, v0
	s_xor_b32 s14, s2, -1
	s_mov_b32 s2, s3
	s_and_saveexec_b32 s11, s14
	s_cbranch_execz .LBB686_25
; %bb.24:
	v_cmp_gt_f64_e64 s2, v[8:9], v[12:13]
	s_and_b32 s2, s3, s2
	v_cndmask_b32_e64 v9, v13, v9, s2
	v_cndmask_b32_e64 v8, v12, v8, s2
	s_or_b32 s2, s3, exec_lo
.LBB686_25:
	s_or_b32 exec_lo, exec_lo, s11
	s_andn2_b32 s3, s3, exec_lo
	s_and_b32 s2, s2, exec_lo
	s_or_b32 s3, s3, s2
.LBB686_26:
	s_or_b32 exec_lo, exec_lo, s5
	v_mbcnt_lo_u32_b32 v20, -1, 0
	v_cndmask_b32_e64 v8, 0, v8, s3
	v_cndmask_b32_e64 v9, 0xfff00000, v9, s3
	v_or_b32_e32 v0, 32, v20
	v_xor_b32_e32 v21, 16, v20
	v_cmp_gt_i32_e64 s2, 64, v0
	v_cmp_gt_i32_e64 s3, 64, v21
	v_cndmask_b32_e64 v0, v20, v0, s2
	v_cndmask_b32_e64 v21, v20, v21, s3
	v_lshlrev_b32_e32 v27, 2, v0
	v_lshlrev_b32_e32 v28, 2, v21
	v_xor_b32_e32 v21, 8, v20
	ds_bpermute_b32 v0, v27, v6
	ds_bpermute_b32 v1, v27, v7
	;; [unrolled: 1-line block ×4, first 2 shown]
	s_waitcnt lgkmcnt(2)
	v_cmp_lt_f64_e64 s2, v[6:7], v[0:1]
	v_cndmask_b32_e64 v1, v7, v1, s2
	v_cndmask_b32_e64 v0, v6, v0, s2
	s_waitcnt lgkmcnt(0)
	v_cmp_lt_f64_e64 s2, v[8:9], v[18:19]
	ds_bpermute_b32 v7, v28, v1
	ds_bpermute_b32 v6, v28, v0
	v_cndmask_b32_e64 v9, v9, v19, s2
	v_cndmask_b32_e64 v8, v8, v18, s2
	s_waitcnt lgkmcnt(0)
	v_cmp_lt_f64_e64 s3, v[0:1], v[6:7]
	v_cmp_gt_i32_e64 s2, 64, v21
	ds_bpermute_b32 v19, v28, v9
	ds_bpermute_b32 v18, v28, v8
	v_cndmask_b32_e64 v21, v20, v21, s2
	v_lshlrev_b32_e32 v29, 2, v21
	v_xor_b32_e32 v21, 4, v20
	v_cndmask_b32_e64 v1, v1, v7, s3
	v_cndmask_b32_e64 v0, v0, v6, s3
	s_waitcnt lgkmcnt(0)
	v_cmp_lt_f64_e64 s2, v[8:9], v[18:19]
	ds_bpermute_b32 v7, v29, v1
	ds_bpermute_b32 v6, v29, v0
	v_cndmask_b32_e64 v9, v9, v19, s2
	v_cndmask_b32_e64 v8, v8, v18, s2
	s_waitcnt lgkmcnt(0)
	v_cmp_lt_f64_e64 s3, v[0:1], v[6:7]
	v_cmp_gt_i32_e64 s2, 64, v21
	ds_bpermute_b32 v19, v29, v9
	ds_bpermute_b32 v18, v29, v8
	v_cndmask_b32_e64 v21, v20, v21, s2
	v_lshlrev_b32_e32 v30, 2, v21
	v_xor_b32_e32 v21, 2, v20
	;; [unrolled: 16-line block ×3, first 2 shown]
	v_cndmask_b32_e64 v1, v1, v7, s3
	v_cndmask_b32_e64 v0, v0, v6, s3
	s_waitcnt lgkmcnt(0)
	v_cmp_lt_f64_e64 s2, v[8:9], v[18:19]
	ds_bpermute_b32 v7, v31, v1
	ds_bpermute_b32 v6, v31, v0
	v_cndmask_b32_e64 v9, v9, v19, s2
	v_cndmask_b32_e64 v8, v8, v18, s2
	s_waitcnt lgkmcnt(0)
	v_cmp_lt_f64_e64 s3, v[0:1], v[6:7]
	v_cmp_gt_i32_e64 s2, 64, v21
	ds_bpermute_b32 v19, v31, v9
	ds_bpermute_b32 v18, v31, v8
	v_cndmask_b32_e64 v20, v20, v21, s2
	v_lshlrev_b32_e32 v32, 2, v20
	v_cndmask_b32_e64 v25, v1, v7, s3
	v_cndmask_b32_e64 v24, v0, v6, s3
	s_waitcnt lgkmcnt(0)
	v_cmp_lt_f64_e64 s2, v[8:9], v[18:19]
	v_mov_b32_e32 v0, 0
	v_mov_b32_e32 v6, 0
	ds_bpermute_b32 v34, v32, v25
	ds_bpermute_b32 v33, v32, v24
	v_mov_b32_e32 v1, 0
	v_mov_b32_e32 v7, 0
	v_cndmask_b32_e64 v21, v9, v19, s2
	v_cndmask_b32_e64 v20, v8, v18, s2
	s_waitcnt lgkmcnt(0)
	v_cmp_lt_f64_e64 s3, v[24:25], v[33:34]
	v_mov_b32_e32 v8, 0
	ds_bpermute_b32 v23, v32, v21
	ds_bpermute_b32 v22, v32, v20
	v_mov_b32_e32 v9, v8
	v_mov_b32_e32 v18, v8
	;; [unrolled: 1-line block ×3, first 2 shown]
	v_cndmask_b32_e64 v25, v25, v34, s3
	v_cndmask_b32_e64 v24, v24, v33, s3
	s_and_saveexec_b32 s5, s9
	s_cbranch_execz .LBB686_30
; %bb.27:
	global_load_ubyte v6, v[14:15], off
	v_mov_b32_e32 v9, v8
	v_mov_b32_e32 v18, v8
	;; [unrolled: 1-line block ×3, first 2 shown]
	s_waitcnt vmcnt(0)
	v_and_b32_e32 v6, 1, v6
	v_cmp_eq_u32_e64 s2, 1, v6
	v_mov_b32_e32 v6, 0
	v_mov_b32_e32 v7, 0
	s_xor_b32 s2, s2, -1
	s_and_saveexec_b32 s9, s2
	s_cbranch_execz .LBB686_29
; %bb.28:
	v_add_f64 v[4:5], v[4:5], -v[24:25]
	s_mov_b32 s2, 0x652b82fe
	s_mov_b32 s3, 0x3ff71547
	;; [unrolled: 1-line block ×4, first 2 shown]
	v_mul_f64 v[6:7], v[4:5], s[2:3]
	s_mov_b32 s2, 0xfefa39ef
	s_mov_b32 s3, 0xbfe62e42
	v_rndne_f64_e32 v[6:7], v[6:7]
	v_fma_f64 v[8:9], v[6:7], s[2:3], v[4:5]
	s_mov_b32 s2, 0x3b39803f
	s_mov_b32 s3, 0xbc7abc9e
	v_cvt_i32_f64_e32 v33, v[6:7]
	v_fma_f64 v[8:9], v[6:7], s[2:3], v[8:9]
	s_mov_b32 s2, 0xfca7ab0c
	s_mov_b32 s3, 0x3e928af3
	v_fma_f64 v[18:19], v[8:9], s[14:15], s[2:3]
	s_mov_b32 s2, 0x623fde64
	s_mov_b32 s3, 0x3ec71dee
	;; [unrolled: 3-line block ×9, first 2 shown]
	v_fma_f64 v[18:19], v[8:9], v[18:19], s[2:3]
	v_cmp_nlt_f64_e64 s2, 0x40900000, v[4:5]
	v_cmp_ngt_f64_e64 s3, 0xc090cc00, v[4:5]
	v_fma_f64 v[18:19], v[8:9], v[18:19], 1.0
	v_fma_f64 v[6:7], v[8:9], v[18:19], 1.0
	v_mov_b32_e32 v18, 0
	v_mov_b32_e32 v19, v18
	v_ldexp_f64 v[6:7], v[6:7], v33
	v_cndmask_b32_e64 v7, 0x7ff00000, v7, s2
	s_and_b32 s2, s3, s2
	v_cndmask_b32_e64 v6, 0, v6, s2
	v_cndmask_b32_e64 v7, 0, v7, s3
	v_add_f64 v[8:9], v[6:7], 0
.LBB686_29:
	s_or_b32 exec_lo, exec_lo, s9
.LBB686_30:
	s_or_b32 exec_lo, exec_lo, s5
	s_and_saveexec_b32 s5, s8
	s_cbranch_execz .LBB686_34
; %bb.31:
	global_load_ubyte v0, v[14:15], off offset:64
	s_waitcnt vmcnt(0)
	v_and_b32_e32 v0, 1, v0
	v_cmp_eq_u32_e64 s2, 1, v0
	v_mov_b32_e32 v0, 0
	v_mov_b32_e32 v1, 0
	s_xor_b32 s2, s2, -1
	s_and_saveexec_b32 s8, s2
	s_cbranch_execz .LBB686_33
; %bb.32:
	v_add_f64 v[0:1], v[16:17], -v[24:25]
	s_mov_b32 s2, 0x652b82fe
	s_mov_b32 s3, 0x3ff71547
	;; [unrolled: 1-line block ×4, first 2 shown]
	v_mul_f64 v[4:5], v[0:1], s[2:3]
	s_mov_b32 s2, 0xfefa39ef
	s_mov_b32 s3, 0xbfe62e42
	v_rndne_f64_e32 v[4:5], v[4:5]
	v_fma_f64 v[16:17], v[4:5], s[2:3], v[0:1]
	s_mov_b32 s2, 0x3b39803f
	s_mov_b32 s3, 0xbc7abc9e
	v_cvt_i32_f64_e32 v33, v[4:5]
	v_fma_f64 v[16:17], v[4:5], s[2:3], v[16:17]
	s_mov_b32 s2, 0xfca7ab0c
	s_mov_b32 s3, 0x3e928af3
	v_fma_f64 v[24:25], v[16:17], s[14:15], s[2:3]
	s_mov_b32 s2, 0x623fde64
	s_mov_b32 s3, 0x3ec71dee
	;; [unrolled: 3-line block ×9, first 2 shown]
	v_fma_f64 v[24:25], v[16:17], v[24:25], s[2:3]
	v_cmp_nlt_f64_e64 s2, 0x40900000, v[0:1]
	v_cmp_ngt_f64_e64 s3, 0xc090cc00, v[0:1]
	v_fma_f64 v[24:25], v[16:17], v[24:25], 1.0
	v_fma_f64 v[4:5], v[16:17], v[24:25], 1.0
	v_ldexp_f64 v[4:5], v[4:5], v33
	v_cndmask_b32_e64 v5, 0x7ff00000, v5, s2
	s_and_b32 s2, s3, s2
	v_cndmask_b32_e64 v0, 0, v4, s2
	v_cndmask_b32_e64 v1, 0, v5, s3
	v_add_f64 v[8:9], v[8:9], v[0:1]
.LBB686_33:
	s_or_b32 exec_lo, exec_lo, s8
.LBB686_34:
	s_or_b32 exec_lo, exec_lo, s5
	s_waitcnt lgkmcnt(0)
	v_cmp_lt_f64_e64 s2, v[20:21], v[22:23]
	v_mov_b32_e32 v4, 0
	v_mov_b32_e32 v16, 0
	;; [unrolled: 1-line block ×4, first 2 shown]
	v_cndmask_b32_e64 v21, v21, v23, s2
	v_cndmask_b32_e64 v20, v20, v22, s2
	s_and_saveexec_b32 s5, s7
	s_cbranch_execz .LBB686_38
; %bb.35:
	s_ashr_i32 s3, s4, 31
	v_add_co_u32 v16, s2, v14, s4
	v_add_co_ci_u32_e64 v17, null, s3, v15, s2
	global_load_ubyte v16, v[16:17], off
	s_waitcnt vmcnt(0)
	v_and_b32_e32 v16, 1, v16
	v_cmp_eq_u32_e64 s2, 1, v16
	v_mov_b32_e32 v16, 0
	v_mov_b32_e32 v17, 0
	s_xor_b32 s2, s2, -1
	s_and_saveexec_b32 s7, s2
	s_cbranch_execz .LBB686_37
; %bb.36:
	v_add_f64 v[2:3], v[2:3], -v[20:21]
	s_mov_b32 s2, 0x652b82fe
	s_mov_b32 s3, 0x3ff71547
	;; [unrolled: 1-line block ×4, first 2 shown]
	v_mul_f64 v[16:17], v[2:3], s[2:3]
	s_mov_b32 s2, 0xfefa39ef
	s_mov_b32 s3, 0xbfe62e42
	v_rndne_f64_e32 v[16:17], v[16:17]
	v_fma_f64 v[22:23], v[16:17], s[2:3], v[2:3]
	s_mov_b32 s2, 0x3b39803f
	s_mov_b32 s3, 0xbc7abc9e
	v_cvt_i32_f64_e32 v33, v[16:17]
	v_fma_f64 v[22:23], v[16:17], s[2:3], v[22:23]
	s_mov_b32 s2, 0xfca7ab0c
	s_mov_b32 s3, 0x3e928af3
	v_fma_f64 v[24:25], v[22:23], s[8:9], s[2:3]
	s_mov_b32 s2, 0x623fde64
	s_mov_b32 s3, 0x3ec71dee
	;; [unrolled: 3-line block ×9, first 2 shown]
	v_fma_f64 v[24:25], v[22:23], v[24:25], s[2:3]
	v_cmp_nlt_f64_e64 s2, 0x40900000, v[2:3]
	v_cmp_ngt_f64_e64 s3, 0xc090cc00, v[2:3]
	v_fma_f64 v[24:25], v[22:23], v[24:25], 1.0
	v_fma_f64 v[16:17], v[22:23], v[24:25], 1.0
	v_ldexp_f64 v[16:17], v[16:17], v33
	v_cndmask_b32_e64 v17, 0x7ff00000, v17, s2
	s_and_b32 s2, s3, s2
	v_cndmask_b32_e64 v16, 0, v16, s2
	v_cndmask_b32_e64 v17, 0, v17, s3
	v_add_f64 v[18:19], v[18:19], v[16:17]
.LBB686_37:
	s_or_b32 exec_lo, exec_lo, s7
.LBB686_38:
	s_or_b32 exec_lo, exec_lo, s5
	s_and_saveexec_b32 s5, s6
	s_cbranch_execz .LBB686_42
; %bb.39:
	s_ashr_i32 s3, s4, 31
	v_add_co_u32 v2, s2, v14, s4
	v_add_co_ci_u32_e64 v3, null, s3, v15, s2
	v_mov_b32_e32 v4, 0
	v_mov_b32_e32 v5, 0
	global_load_ubyte v2, v[2:3], off offset:64
	s_waitcnt vmcnt(0)
	v_and_b32_e32 v2, 1, v2
	v_cmp_eq_u32_e64 s2, 1, v2
	s_xor_b32 s2, s2, -1
	s_and_saveexec_b32 s4, s2
	s_cbranch_execz .LBB686_41
; %bb.40:
	v_add_f64 v[2:3], v[12:13], -v[20:21]
	s_mov_b32 s2, 0x652b82fe
	s_mov_b32 s3, 0x3ff71547
	s_mov_b32 s6, 0x6a5dcb37
	s_mov_b32 s7, 0x3e5ade15
	v_mul_f64 v[4:5], v[2:3], s[2:3]
	s_mov_b32 s2, 0xfefa39ef
	s_mov_b32 s3, 0xbfe62e42
	v_rndne_f64_e32 v[4:5], v[4:5]
	v_fma_f64 v[12:13], v[4:5], s[2:3], v[2:3]
	s_mov_b32 s2, 0x3b39803f
	s_mov_b32 s3, 0xbc7abc9e
	v_cvt_i32_f64_e32 v20, v[4:5]
	v_fma_f64 v[12:13], v[4:5], s[2:3], v[12:13]
	s_mov_b32 s2, 0xfca7ab0c
	s_mov_b32 s3, 0x3e928af3
	v_fma_f64 v[14:15], v[12:13], s[6:7], s[2:3]
	s_mov_b32 s2, 0x623fde64
	s_mov_b32 s3, 0x3ec71dee
	;; [unrolled: 3-line block ×9, first 2 shown]
	v_fma_f64 v[14:15], v[12:13], v[14:15], s[2:3]
	v_cmp_nlt_f64_e64 s2, 0x40900000, v[2:3]
	v_cmp_ngt_f64_e64 s3, 0xc090cc00, v[2:3]
	v_fma_f64 v[14:15], v[12:13], v[14:15], 1.0
	v_fma_f64 v[4:5], v[12:13], v[14:15], 1.0
	v_ldexp_f64 v[4:5], v[4:5], v20
	v_cndmask_b32_e64 v5, 0x7ff00000, v5, s2
	s_and_b32 s2, s3, s2
	v_cndmask_b32_e64 v4, 0, v4, s2
	v_cndmask_b32_e64 v5, 0, v5, s3
	v_add_f64 v[18:19], v[18:19], v[4:5]
.LBB686_41:
	s_or_b32 exec_lo, exec_lo, s4
.LBB686_42:
	s_or_b32 exec_lo, exec_lo, s5
	ds_bpermute_b32 v2, v27, v8
	ds_bpermute_b32 v3, v27, v9
	ds_bpermute_b32 v12, v27, v18
	ds_bpermute_b32 v13, v27, v19
	s_waitcnt lgkmcnt(2)
	v_add_f64 v[2:3], v[8:9], v[2:3]
	s_waitcnt lgkmcnt(0)
	v_add_f64 v[8:9], v[18:19], v[12:13]
	ds_bpermute_b32 v12, v28, v2
	ds_bpermute_b32 v13, v28, v3
	ds_bpermute_b32 v14, v28, v8
	ds_bpermute_b32 v15, v28, v9
	s_waitcnt lgkmcnt(2)
	v_add_f64 v[2:3], v[2:3], v[12:13]
	s_waitcnt lgkmcnt(0)
	v_add_f64 v[8:9], v[8:9], v[14:15]
	;; [unrolled: 8-line block ×5, first 2 shown]
	ds_bpermute_b32 v18, v32, v14
	ds_bpermute_b32 v19, v32, v15
	;; [unrolled: 1-line block ×4, first 2 shown]
	s_and_saveexec_b32 s2, vcc_lo
	s_cbranch_execz .LBB686_50
; %bb.43:
	v_add_co_u32 v2, vcc_lo, s12, v10
	v_add_co_ci_u32_e64 v3, null, s13, v11, vcc_lo
	s_and_saveexec_b32 s3, s1
	s_cbranch_execz .LBB686_46
; %bb.44:
	s_waitcnt lgkmcnt(2)
	v_add_f64 v[10:11], v[14:15], v[18:19]
	v_div_scale_f64 v[14:15], null, v[10:11], v[10:11], v[6:7]
	v_div_scale_f64 v[22:23], vcc_lo, v[6:7], v[10:11], v[6:7]
	v_cmp_eq_f64_e64 s2, 0, v[10:11]
	v_rcp_f64_e32 v[18:19], v[14:15]
	v_fma_f64 v[20:21], -v[14:15], v[18:19], 1.0
	v_fma_f64 v[18:19], v[18:19], v[20:21], v[18:19]
	v_fma_f64 v[20:21], -v[14:15], v[18:19], 1.0
	v_fma_f64 v[18:19], v[18:19], v[20:21], v[18:19]
	v_mul_f64 v[20:21], v[22:23], v[18:19]
	v_fma_f64 v[14:15], -v[14:15], v[20:21], v[22:23]
	v_div_fmas_f64 v[14:15], v[14:15], v[18:19], v[20:21]
	v_div_fixup_f64 v[6:7], v[14:15], v[10:11], v[6:7]
	v_cndmask_b32_e64 v7, v7, 0x7ff80000, s2
	v_cndmask_b32_e64 v6, v6, 0, s2
	global_store_dwordx2 v[2:3], v[6:7], off
	s_and_b32 exec_lo, exec_lo, s0
	s_cbranch_execz .LBB686_46
; %bb.45:
	v_div_scale_f64 v[6:7], null, v[10:11], v[10:11], v[0:1]
	v_div_scale_f64 v[20:21], vcc_lo, v[0:1], v[10:11], v[0:1]
	v_rcp_f64_e32 v[14:15], v[6:7]
	v_fma_f64 v[18:19], -v[6:7], v[14:15], 1.0
	v_fma_f64 v[14:15], v[14:15], v[18:19], v[14:15]
	v_fma_f64 v[18:19], -v[6:7], v[14:15], 1.0
	v_fma_f64 v[14:15], v[14:15], v[18:19], v[14:15]
	v_mul_f64 v[18:19], v[20:21], v[14:15]
	v_fma_f64 v[6:7], -v[6:7], v[18:19], v[20:21]
	v_div_fmas_f64 v[6:7], v[6:7], v[14:15], v[18:19]
	v_div_fixup_f64 v[0:1], v[6:7], v[10:11], v[0:1]
	v_cndmask_b32_e64 v1, v1, 0x7ff80000, s2
	v_cndmask_b32_e64 v0, v0, 0, s2
	global_store_dwordx2 v[2:3], v[0:1], off offset:512
.LBB686_46:
	s_or_b32 exec_lo, exec_lo, s3
	v_cmp_ne_u32_e32 vcc_lo, 1, v26
	s_and_b32 exec_lo, exec_lo, vcc_lo
	s_cbranch_execz .LBB686_50
; %bb.47:
	s_and_b32 exec_lo, exec_lo, s1
	s_cbranch_execz .LBB686_50
; %bb.48:
	s_waitcnt lgkmcnt(0)
	v_add_f64 v[0:1], v[8:9], v[12:13]
	s_mov_b32 s11, 0
	s_lshl_b64 s[2:3], s[10:11], 3
	v_div_scale_f64 v[6:7], null, v[0:1], v[0:1], v[16:17]
	v_div_scale_f64 v[12:13], vcc_lo, v[16:17], v[0:1], v[16:17]
	v_cmp_eq_f64_e64 s1, 0, v[0:1]
	v_rcp_f64_e32 v[8:9], v[6:7]
	v_fma_f64 v[10:11], -v[6:7], v[8:9], 1.0
	v_fma_f64 v[8:9], v[8:9], v[10:11], v[8:9]
	v_fma_f64 v[10:11], -v[6:7], v[8:9], 1.0
	v_fma_f64 v[8:9], v[8:9], v[10:11], v[8:9]
	v_mul_f64 v[10:11], v[12:13], v[8:9]
	v_fma_f64 v[6:7], -v[6:7], v[10:11], v[12:13]
	v_div_fmas_f64 v[6:7], v[6:7], v[8:9], v[10:11]
	v_add_co_u32 v2, vcc_lo, v2, s2
	v_add_co_ci_u32_e64 v3, null, s3, v3, vcc_lo
	v_div_fixup_f64 v[6:7], v[6:7], v[0:1], v[16:17]
	v_cndmask_b32_e64 v7, v7, 0x7ff80000, s1
	v_cndmask_b32_e64 v6, v6, 0, s1
	global_store_dwordx2 v[2:3], v[6:7], off
	s_and_b32 exec_lo, exec_lo, s0
	s_cbranch_execz .LBB686_50
; %bb.49:
	v_div_scale_f64 v[6:7], null, v[0:1], v[0:1], v[4:5]
	v_div_scale_f64 v[12:13], vcc_lo, v[4:5], v[0:1], v[4:5]
	v_rcp_f64_e32 v[8:9], v[6:7]
	v_fma_f64 v[10:11], -v[6:7], v[8:9], 1.0
	v_fma_f64 v[8:9], v[8:9], v[10:11], v[8:9]
	v_fma_f64 v[10:11], -v[6:7], v[8:9], 1.0
	v_fma_f64 v[8:9], v[8:9], v[10:11], v[8:9]
	v_mul_f64 v[10:11], v[12:13], v[8:9]
	v_fma_f64 v[6:7], -v[6:7], v[10:11], v[12:13]
	v_div_fmas_f64 v[6:7], v[6:7], v[8:9], v[10:11]
	v_div_fixup_f64 v[0:1], v[6:7], v[0:1], v[4:5]
	v_cndmask_b32_e64 v1, v1, 0x7ff80000, s1
	v_cndmask_b32_e64 v0, v0, 0, s1
	global_store_dwordx2 v[2:3], v[0:1], off offset:512
.LBB686_50:
	s_endpgm
	.section	.rodata,"a",@progbits
	.p2align	6, 0x0
	.amdhsa_kernel _ZN12_GLOBAL__N_120softmax_warp_forwardIdddLi7ELb0ELb1ELi64EEEvPT0_PKT_iiiPKbib
		.amdhsa_group_segment_fixed_size 0
		.amdhsa_private_segment_fixed_size 0
		.amdhsa_kernarg_size 304
		.amdhsa_user_sgpr_count 6
		.amdhsa_user_sgpr_private_segment_buffer 1
		.amdhsa_user_sgpr_dispatch_ptr 0
		.amdhsa_user_sgpr_queue_ptr 0
		.amdhsa_user_sgpr_kernarg_segment_ptr 1
		.amdhsa_user_sgpr_dispatch_id 0
		.amdhsa_user_sgpr_flat_scratch_init 0
		.amdhsa_user_sgpr_private_segment_size 0
		.amdhsa_wavefront_size32 1
		.amdhsa_uses_dynamic_stack 0
		.amdhsa_system_sgpr_private_segment_wavefront_offset 0
		.amdhsa_system_sgpr_workgroup_id_x 1
		.amdhsa_system_sgpr_workgroup_id_y 0
		.amdhsa_system_sgpr_workgroup_id_z 0
		.amdhsa_system_sgpr_workgroup_info 0
		.amdhsa_system_vgpr_workitem_id 1
		.amdhsa_next_free_vgpr 35
		.amdhsa_next_free_sgpr 17
		.amdhsa_reserve_vcc 1
		.amdhsa_reserve_flat_scratch 0
		.amdhsa_float_round_mode_32 0
		.amdhsa_float_round_mode_16_64 0
		.amdhsa_float_denorm_mode_32 3
		.amdhsa_float_denorm_mode_16_64 3
		.amdhsa_dx10_clamp 1
		.amdhsa_ieee_mode 1
		.amdhsa_fp16_overflow 0
		.amdhsa_workgroup_processor_mode 1
		.amdhsa_memory_ordered 1
		.amdhsa_forward_progress 1
		.amdhsa_shared_vgpr_count 0
		.amdhsa_exception_fp_ieee_invalid_op 0
		.amdhsa_exception_fp_denorm_src 0
		.amdhsa_exception_fp_ieee_div_zero 0
		.amdhsa_exception_fp_ieee_overflow 0
		.amdhsa_exception_fp_ieee_underflow 0
		.amdhsa_exception_fp_ieee_inexact 0
		.amdhsa_exception_int_div_zero 0
	.end_amdhsa_kernel
	.section	.text._ZN12_GLOBAL__N_120softmax_warp_forwardIdddLi7ELb0ELb1ELi64EEEvPT0_PKT_iiiPKbib,"axG",@progbits,_ZN12_GLOBAL__N_120softmax_warp_forwardIdddLi7ELb0ELb1ELi64EEEvPT0_PKT_iiiPKbib,comdat
.Lfunc_end686:
	.size	_ZN12_GLOBAL__N_120softmax_warp_forwardIdddLi7ELb0ELb1ELi64EEEvPT0_PKT_iiiPKbib, .Lfunc_end686-_ZN12_GLOBAL__N_120softmax_warp_forwardIdddLi7ELb0ELb1ELi64EEEvPT0_PKT_iiiPKbib
                                        ; -- End function
	.set _ZN12_GLOBAL__N_120softmax_warp_forwardIdddLi7ELb0ELb1ELi64EEEvPT0_PKT_iiiPKbib.num_vgpr, 35
	.set _ZN12_GLOBAL__N_120softmax_warp_forwardIdddLi7ELb0ELb1ELi64EEEvPT0_PKT_iiiPKbib.num_agpr, 0
	.set _ZN12_GLOBAL__N_120softmax_warp_forwardIdddLi7ELb0ELb1ELi64EEEvPT0_PKT_iiiPKbib.numbered_sgpr, 17
	.set _ZN12_GLOBAL__N_120softmax_warp_forwardIdddLi7ELb0ELb1ELi64EEEvPT0_PKT_iiiPKbib.num_named_barrier, 0
	.set _ZN12_GLOBAL__N_120softmax_warp_forwardIdddLi7ELb0ELb1ELi64EEEvPT0_PKT_iiiPKbib.private_seg_size, 0
	.set _ZN12_GLOBAL__N_120softmax_warp_forwardIdddLi7ELb0ELb1ELi64EEEvPT0_PKT_iiiPKbib.uses_vcc, 1
	.set _ZN12_GLOBAL__N_120softmax_warp_forwardIdddLi7ELb0ELb1ELi64EEEvPT0_PKT_iiiPKbib.uses_flat_scratch, 0
	.set _ZN12_GLOBAL__N_120softmax_warp_forwardIdddLi7ELb0ELb1ELi64EEEvPT0_PKT_iiiPKbib.has_dyn_sized_stack, 0
	.set _ZN12_GLOBAL__N_120softmax_warp_forwardIdddLi7ELb0ELb1ELi64EEEvPT0_PKT_iiiPKbib.has_recursion, 0
	.set _ZN12_GLOBAL__N_120softmax_warp_forwardIdddLi7ELb0ELb1ELi64EEEvPT0_PKT_iiiPKbib.has_indirect_call, 0
	.section	.AMDGPU.csdata,"",@progbits
; Kernel info:
; codeLenInByte = 4568
; TotalNumSgprs: 19
; NumVgprs: 35
; ScratchSize: 0
; MemoryBound: 0
; FloatMode: 240
; IeeeMode: 1
; LDSByteSize: 0 bytes/workgroup (compile time only)
; SGPRBlocks: 0
; VGPRBlocks: 4
; NumSGPRsForWavesPerEU: 19
; NumVGPRsForWavesPerEU: 35
; Occupancy: 16
; WaveLimiterHint : 0
; COMPUTE_PGM_RSRC2:SCRATCH_EN: 0
; COMPUTE_PGM_RSRC2:USER_SGPR: 6
; COMPUTE_PGM_RSRC2:TRAP_HANDLER: 0
; COMPUTE_PGM_RSRC2:TGID_X_EN: 1
; COMPUTE_PGM_RSRC2:TGID_Y_EN: 0
; COMPUTE_PGM_RSRC2:TGID_Z_EN: 0
; COMPUTE_PGM_RSRC2:TIDIG_COMP_CNT: 1
	.section	.text._ZN12_GLOBAL__N_120softmax_warp_forwardIdddLi7ELb0ELb1ELi32EEEvPT0_PKT_iiiPKbib,"axG",@progbits,_ZN12_GLOBAL__N_120softmax_warp_forwardIdddLi7ELb0ELb1ELi32EEEvPT0_PKT_iiiPKbib,comdat
	.globl	_ZN12_GLOBAL__N_120softmax_warp_forwardIdddLi7ELb0ELb1ELi32EEEvPT0_PKT_iiiPKbib ; -- Begin function _ZN12_GLOBAL__N_120softmax_warp_forwardIdddLi7ELb0ELb1ELi32EEEvPT0_PKT_iiiPKbib
	.p2align	8
	.type	_ZN12_GLOBAL__N_120softmax_warp_forwardIdddLi7ELb0ELb1ELi32EEEvPT0_PKT_iiiPKbib,@function
_ZN12_GLOBAL__N_120softmax_warp_forwardIdddLi7ELb0ELb1ELi32EEEvPT0_PKT_iiiPKbib: ; @_ZN12_GLOBAL__N_120softmax_warp_forwardIdddLi7ELb0ELb1ELi32EEEvPT0_PKT_iiiPKbib
; %bb.0:
	s_clause 0x2
	s_load_dwordx2 s[0:1], s[4:5], 0x28
	s_load_dword s2, s[4:5], 0x3c
	s_load_dwordx4 s[8:11], s[4:5], 0x10
	s_waitcnt lgkmcnt(0)
	s_bitcmp1_b32 s1, 0
	s_cselect_b32 s19, -1, 0
	s_lshr_b32 s2, s2, 16
	s_and_b32 s2, s2, 0xffff
	s_bitcmp0_b32 s1, 0
	s_mul_i32 s6, s6, s2
	v_add_lshl_u32 v3, s6, v1, 1
	v_mul_lo_u32 v4, v3, s9
	v_add_nc_u32_e32 v1, v4, v0
	v_ashrrev_i32_e32 v2, 31, v1
	v_mov_b32_e32 v7, v2
	v_mov_b32_e32 v6, v1
	s_cbranch_scc1 .LBB687_2
; %bb.1:
	s_abs_i32 s1, s0
	v_sub_nc_u32_e32 v7, 0, v4
	v_cvt_f32_u32_e32 v5, s1
	s_sub_i32 s2, 0, s1
	v_max_i32_e32 v7, v4, v7
	v_rcp_iflag_f32_e32 v5, v5
	v_xor_b32_e32 v4, s0, v4
	v_ashrrev_i32_e32 v4, 31, v4
	v_mul_f32_e32 v5, 0x4f7ffffe, v5
	v_cvt_u32_f32_e32 v5, v5
	v_mul_lo_u32 v6, s2, v5
	v_mul_hi_u32 v6, v5, v6
	v_add_nc_u32_e32 v5, v5, v6
	v_mul_hi_u32 v5, v7, v5
	v_mul_lo_u32 v6, v5, s1
	v_sub_nc_u32_e32 v6, v7, v6
	v_add_nc_u32_e32 v7, 1, v5
	v_subrev_nc_u32_e32 v8, s1, v6
	v_cmp_le_u32_e32 vcc_lo, s1, v6
	v_cndmask_b32_e32 v5, v5, v7, vcc_lo
	v_cndmask_b32_e32 v6, v6, v8, vcc_lo
	v_add_nc_u32_e32 v7, 1, v5
	v_cmp_le_u32_e32 vcc_lo, s1, v6
	v_cndmask_b32_e32 v5, v5, v7, vcc_lo
	v_xor_b32_e32 v5, v5, v4
	v_sub_nc_u32_e32 v4, v5, v4
	v_mad_u64_u32 v[6:7], null, v4, s9, v[0:1]
	v_ashrrev_i32_e32 v7, 31, v6
.LBB687_2:
	s_load_dwordx4 s[12:15], s[4:5], 0x0
	v_lshlrev_b64 v[10:11], 3, v[1:2]
	v_sub_nc_u32_e32 v34, s8, v3
	v_cmp_gt_i32_e64 s3, s10, v0
	v_mov_b32_e32 v26, 0
	v_mov_b32_e32 v4, 0
	;; [unrolled: 1-line block ×3, first 2 shown]
	v_cmp_lt_i32_e32 vcc_lo, 0, v34
	v_mov_b32_e32 v5, 0xfff00000
	s_and_b32 s18, vcc_lo, s3
	s_waitcnt lgkmcnt(0)
	v_add_co_u32 v8, s0, s14, v10
	v_add_co_ci_u32_e64 v9, null, s15, v11, s0
	s_and_saveexec_b32 s0, s18
	s_cbranch_execz .LBB687_4
; %bb.3:
	global_load_dwordx2 v[4:5], v[8:9], off
.LBB687_4:
	s_or_b32 exec_lo, exec_lo, s0
	v_add_nc_u32_e32 v1, 32, v0
	v_cmp_gt_i32_e64 s2, s10, v1
	s_and_b32 s17, vcc_lo, s2
	s_and_saveexec_b32 s0, s17
	s_cbranch_execz .LBB687_6
; %bb.5:
	global_load_dwordx2 v[26:27], v[8:9], off offset:256
.LBB687_6:
	s_or_b32 exec_lo, exec_lo, s0
	v_add_nc_u32_e32 v1, 64, v0
	v_mov_b32_e32 v20, 0
	v_mov_b32_e32 v24, 0
	;; [unrolled: 1-line block ×4, first 2 shown]
	v_cmp_gt_i32_e64 s1, s10, v1
	s_and_b32 s16, vcc_lo, s1
	s_and_saveexec_b32 s0, s16
	s_cbranch_execz .LBB687_8
; %bb.7:
	global_load_dwordx2 v[24:25], v[8:9], off offset:512
.LBB687_8:
	s_or_b32 exec_lo, exec_lo, s0
	v_add_nc_u32_e32 v0, 0x60, v0
	v_cmp_gt_i32_e64 s0, s10, v0
	s_and_b32 s15, vcc_lo, s0
	s_and_saveexec_b32 s6, s15
	s_cbranch_execz .LBB687_10
; %bb.9:
	global_load_dwordx2 v[20:21], v[8:9], off offset:768
.LBB687_10:
	s_or_b32 exec_lo, exec_lo, s6
	v_cmp_lt_i32_e64 s6, 1, v34
	v_mov_b32_e32 v18, 0
	v_mov_b32_e32 v2, 0
	v_mov_b32_e32 v19, 0xfff00000
	v_mov_b32_e32 v3, 0xfff00000
	s_and_b32 s14, s6, s3
	s_and_saveexec_b32 s8, s14
	s_cbranch_execz .LBB687_12
; %bb.11:
	s_mov_b32 s11, 0
	s_lshl_b64 s[20:21], s[10:11], 3
	v_add_co_u32 v0, s7, v8, s20
	v_add_co_ci_u32_e64 v1, null, s21, v9, s7
	global_load_dwordx2 v[2:3], v[0:1], off
.LBB687_12:
	s_or_b32 exec_lo, exec_lo, s8
	s_and_b32 s9, s6, s2
	s_and_saveexec_b32 s8, s9
	s_cbranch_execz .LBB687_14
; %bb.13:
	s_mov_b32 s11, 0
	s_lshl_b64 s[20:21], s[10:11], 3
	v_add_co_u32 v0, s7, v8, s20
	v_add_co_ci_u32_e64 v1, null, s21, v9, s7
	global_load_dwordx2 v[18:19], v[0:1], off offset:256
.LBB687_14:
	s_or_b32 exec_lo, exec_lo, s8
	v_mov_b32_e32 v12, 0
	v_mov_b32_e32 v16, 0
	;; [unrolled: 1-line block ×4, first 2 shown]
	s_and_b32 s8, s6, s1
	s_and_saveexec_b32 s20, s8
	s_cbranch_execz .LBB687_16
; %bb.15:
	s_mov_b32 s11, 0
	s_lshl_b64 s[22:23], s[10:11], 3
	v_add_co_u32 v0, s7, v8, s22
	v_add_co_ci_u32_e64 v1, null, s23, v9, s7
	global_load_dwordx2 v[16:17], v[0:1], off offset:512
.LBB687_16:
	s_or_b32 exec_lo, exec_lo, s20
	s_and_b32 s7, s6, s0
	s_and_saveexec_b32 s20, s7
	s_cbranch_execz .LBB687_18
; %bb.17:
	s_mov_b32 s11, 0
	s_lshl_b64 s[22:23], s[10:11], 3
	v_add_co_u32 v0, s6, v8, s22
	v_add_co_ci_u32_e64 v1, null, s23, v9, s6
	global_load_dwordx2 v[12:13], v[0:1], off offset:768
.LBB687_18:
	s_or_b32 exec_lo, exec_lo, s20
	s_load_dwordx2 s[4:5], s[4:5], 0x20
	s_waitcnt lgkmcnt(0)
	v_add_co_u32 v14, s4, s4, v6
	v_add_co_ci_u32_e64 v15, null, s5, v7, s4
	s_waitcnt vmcnt(0)
	v_mov_b32_e32 v9, v7
	v_mov_b32_e32 v8, v6
	;; [unrolled: 1-line block ×4, first 2 shown]
	s_mov_b32 s5, 0
	s_and_saveexec_b32 s6, s18
	s_cbranch_execnz .LBB687_22
; %bb.19:
	s_or_b32 exec_lo, exec_lo, s6
	s_and_saveexec_b32 s6, s17
	s_cbranch_execnz .LBB687_25
.LBB687_20:
	s_or_b32 exec_lo, exec_lo, s6
	s_and_saveexec_b32 s6, s16
	s_cbranch_execnz .LBB687_28
.LBB687_21:
	s_or_b32 exec_lo, exec_lo, s6
	s_and_saveexec_b32 s6, s15
	s_cbranch_execnz .LBB687_31
	s_branch .LBB687_34
.LBB687_22:
	global_load_ubyte v0, v[14:15], off
	s_waitcnt vmcnt(0)
	v_and_b32_e32 v0, 1, v0
	v_cmp_eq_u32_e64 s4, 1, v0
	s_xor_b32 s11, s4, -1
	s_mov_b32 s4, 0
	s_and_saveexec_b32 s5, s11
; %bb.23:
	v_mov_b32_e32 v9, v7
	v_mov_b32_e32 v8, v6
	v_mov_b32_e32 v7, v5
	v_mov_b32_e32 v6, v4
	s_mov_b32 s4, exec_lo
; %bb.24:
	s_or_b32 exec_lo, exec_lo, s5
	s_and_b32 s5, s4, exec_lo
	s_or_b32 exec_lo, exec_lo, s6
	s_and_saveexec_b32 s6, s17
	s_cbranch_execz .LBB687_20
.LBB687_25:
	global_load_ubyte v0, v[14:15], off offset:32
	s_waitcnt vmcnt(0)
	v_and_b32_e32 v0, 1, v0
	v_cmp_eq_u32_e64 s4, 1, v0
	s_xor_b32 s20, s4, -1
	s_mov_b32 s4, s5
	s_and_saveexec_b32 s11, s20
	s_cbranch_execz .LBB687_27
; %bb.26:
	v_cmp_gt_f64_e64 s4, v[6:7], v[26:27]
	s_and_b32 s4, s5, s4
	v_cndmask_b32_e64 v7, v27, v7, s4
	v_cndmask_b32_e64 v6, v26, v6, s4
	s_or_b32 s4, s5, exec_lo
.LBB687_27:
	s_or_b32 exec_lo, exec_lo, s11
	s_andn2_b32 s5, s5, exec_lo
	s_and_b32 s4, s4, exec_lo
	s_or_b32 s5, s5, s4
	s_or_b32 exec_lo, exec_lo, s6
	s_and_saveexec_b32 s6, s16
	s_cbranch_execz .LBB687_21
.LBB687_28:
	global_load_ubyte v0, v[14:15], off offset:64
	s_waitcnt vmcnt(0)
	v_and_b32_e32 v0, 1, v0
	v_cmp_eq_u32_e64 s4, 1, v0
	s_xor_b32 s20, s4, -1
	s_mov_b32 s4, s5
	s_and_saveexec_b32 s11, s20
	s_cbranch_execz .LBB687_30
; %bb.29:
	v_cmp_gt_f64_e64 s4, v[6:7], v[24:25]
	s_and_b32 s4, s5, s4
	v_cndmask_b32_e64 v7, v25, v7, s4
	v_cndmask_b32_e64 v6, v24, v6, s4
	s_or_b32 s4, s5, exec_lo
.LBB687_30:
	s_or_b32 exec_lo, exec_lo, s11
	s_andn2_b32 s5, s5, exec_lo
	s_and_b32 s4, s4, exec_lo
	s_or_b32 s5, s5, s4
	s_or_b32 exec_lo, exec_lo, s6
	s_and_saveexec_b32 s6, s15
	s_cbranch_execz .LBB687_34
.LBB687_31:
	global_load_ubyte v0, v[14:15], off offset:96
	s_waitcnt vmcnt(0)
	v_and_b32_e32 v0, 1, v0
	v_cmp_eq_u32_e64 s4, 1, v0
	s_xor_b32 s20, s4, -1
	s_mov_b32 s4, s5
	s_and_saveexec_b32 s11, s20
	s_cbranch_execz .LBB687_33
; %bb.32:
	v_cmp_gt_f64_e64 s4, v[6:7], v[20:21]
	s_and_b32 s4, s5, s4
	v_cndmask_b32_e64 v7, v21, v7, s4
	v_cndmask_b32_e64 v6, v20, v6, s4
	s_or_b32 s4, s5, exec_lo
.LBB687_33:
	s_or_b32 exec_lo, exec_lo, s11
	s_andn2_b32 s5, s5, exec_lo
	s_and_b32 s4, s4, exec_lo
	s_or_b32 s5, s5, s4
.LBB687_34:
	s_or_b32 exec_lo, exec_lo, s6
	v_cndmask_b32_e64 v1, 0xfff00000, v7, s5
	v_cndmask_b32_e64 v0, 0, v6, s5
	v_mov_b32_e32 v9, v3
	v_mov_b32_e32 v8, v2
	s_and_b32 s4, s19, exec_lo
	v_mov_b32_e32 v7, v1
	v_mov_b32_e32 v6, v0
	s_mov_b32 s5, 0
	s_cselect_b32 s6, 0, s10
	s_and_saveexec_b32 s11, s14
	s_cbranch_execnz .LBB687_38
; %bb.35:
	s_or_b32 exec_lo, exec_lo, s11
	s_and_saveexec_b32 s11, s9
	s_cbranch_execnz .LBB687_41
.LBB687_36:
	s_or_b32 exec_lo, exec_lo, s11
	s_and_saveexec_b32 s11, s8
	s_cbranch_execnz .LBB687_44
.LBB687_37:
	s_or_b32 exec_lo, exec_lo, s11
	s_and_saveexec_b32 s11, s7
	s_cbranch_execnz .LBB687_47
	s_branch .LBB687_50
.LBB687_38:
	s_ashr_i32 s5, s6, 31
	v_add_co_u32 v6, s4, v14, s6
	v_add_co_ci_u32_e64 v7, null, s5, v15, s4
	s_mov_b32 s5, 0
	global_load_ubyte v6, v[6:7], off
	s_waitcnt vmcnt(0)
	v_and_b32_e32 v6, 1, v6
	v_cmp_eq_u32_e64 s4, 1, v6
	v_mov_b32_e32 v9, v3
	v_mov_b32_e32 v8, v2
	;; [unrolled: 1-line block ×4, first 2 shown]
	s_xor_b32 s19, s4, -1
	s_and_saveexec_b32 s4, s19
; %bb.39:
	v_mov_b32_e32 v9, v3
	v_mov_b32_e32 v8, v2
	;; [unrolled: 1-line block ×4, first 2 shown]
	s_mov_b32 s5, exec_lo
; %bb.40:
	s_or_b32 exec_lo, exec_lo, s4
	s_and_b32 s5, s5, exec_lo
	s_or_b32 exec_lo, exec_lo, s11
	s_and_saveexec_b32 s11, s9
	s_cbranch_execz .LBB687_36
.LBB687_41:
	s_ashr_i32 s19, s6, 31
	v_add_co_u32 v0, s4, v14, s6
	v_add_co_ci_u32_e64 v1, null, s19, v15, s4
	global_load_ubyte v0, v[0:1], off offset:32
	s_waitcnt vmcnt(0)
	v_and_b32_e32 v0, 1, v0
	v_cmp_eq_u32_e64 s4, 1, v0
	s_xor_b32 s20, s4, -1
	s_mov_b32 s4, s5
	s_and_saveexec_b32 s19, s20
	s_cbranch_execz .LBB687_43
; %bb.42:
	v_cmp_gt_f64_e64 s4, v[8:9], v[18:19]
	s_and_b32 s4, s5, s4
	v_cndmask_b32_e64 v9, v19, v9, s4
	v_cndmask_b32_e64 v8, v18, v8, s4
	s_or_b32 s4, s5, exec_lo
.LBB687_43:
	s_or_b32 exec_lo, exec_lo, s19
	s_andn2_b32 s5, s5, exec_lo
	s_and_b32 s4, s4, exec_lo
	s_or_b32 s5, s5, s4
	s_or_b32 exec_lo, exec_lo, s11
	s_and_saveexec_b32 s11, s8
	s_cbranch_execz .LBB687_37
.LBB687_44:
	s_ashr_i32 s19, s6, 31
	v_add_co_u32 v0, s4, v14, s6
	v_add_co_ci_u32_e64 v1, null, s19, v15, s4
	global_load_ubyte v0, v[0:1], off offset:64
	s_waitcnt vmcnt(0)
	v_and_b32_e32 v0, 1, v0
	v_cmp_eq_u32_e64 s4, 1, v0
	s_xor_b32 s20, s4, -1
	s_mov_b32 s4, s5
	s_and_saveexec_b32 s19, s20
	s_cbranch_execz .LBB687_46
; %bb.45:
	v_cmp_gt_f64_e64 s4, v[8:9], v[16:17]
	s_and_b32 s4, s5, s4
	v_cndmask_b32_e64 v9, v17, v9, s4
	v_cndmask_b32_e64 v8, v16, v8, s4
	s_or_b32 s4, s5, exec_lo
.LBB687_46:
	s_or_b32 exec_lo, exec_lo, s19
	s_andn2_b32 s5, s5, exec_lo
	s_and_b32 s4, s4, exec_lo
	s_or_b32 s5, s5, s4
	s_or_b32 exec_lo, exec_lo, s11
	s_and_saveexec_b32 s11, s7
	s_cbranch_execz .LBB687_50
.LBB687_47:
	s_ashr_i32 s19, s6, 31
	v_add_co_u32 v0, s4, v14, s6
	v_add_co_ci_u32_e64 v1, null, s19, v15, s4
	global_load_ubyte v0, v[0:1], off offset:96
	s_waitcnt vmcnt(0)
	v_and_b32_e32 v0, 1, v0
	v_cmp_eq_u32_e64 s4, 1, v0
	s_xor_b32 s20, s4, -1
	s_mov_b32 s4, s5
	s_and_saveexec_b32 s19, s20
	s_cbranch_execz .LBB687_49
; %bb.48:
	v_cmp_gt_f64_e64 s4, v[8:9], v[12:13]
	s_and_b32 s4, s5, s4
	v_cndmask_b32_e64 v9, v13, v9, s4
	v_cndmask_b32_e64 v8, v12, v8, s4
	s_or_b32 s4, s5, exec_lo
.LBB687_49:
	s_or_b32 exec_lo, exec_lo, s19
	s_andn2_b32 s5, s5, exec_lo
	s_and_b32 s4, s4, exec_lo
	s_or_b32 s5, s5, s4
.LBB687_50:
	s_or_b32 exec_lo, exec_lo, s11
	v_mbcnt_lo_u32_b32 v28, -1, 0
	v_cndmask_b32_e64 v8, 0, v8, s5
	v_cndmask_b32_e64 v9, 0xfff00000, v9, s5
	v_xor_b32_e32 v0, 16, v28
	v_xor_b32_e32 v29, 8, v28
	v_cmp_gt_i32_e64 s4, 32, v0
	v_cmp_gt_i32_e64 s5, 32, v29
	v_cndmask_b32_e64 v0, v28, v0, s4
	v_cndmask_b32_e64 v29, v28, v29, s5
	v_lshlrev_b32_e32 v35, 2, v0
	v_lshlrev_b32_e32 v36, 2, v29
	v_xor_b32_e32 v29, 4, v28
	ds_bpermute_b32 v0, v35, v6
	ds_bpermute_b32 v1, v35, v7
	;; [unrolled: 1-line block ×4, first 2 shown]
	s_waitcnt lgkmcnt(2)
	v_cmp_lt_f64_e64 s4, v[6:7], v[0:1]
	v_cndmask_b32_e64 v1, v7, v1, s4
	v_cndmask_b32_e64 v0, v6, v0, s4
	s_waitcnt lgkmcnt(0)
	v_cmp_lt_f64_e64 s4, v[8:9], v[22:23]
	ds_bpermute_b32 v7, v36, v1
	ds_bpermute_b32 v6, v36, v0
	v_cndmask_b32_e64 v9, v9, v23, s4
	v_cndmask_b32_e64 v8, v8, v22, s4
	s_waitcnt lgkmcnt(0)
	v_cmp_lt_f64_e64 s5, v[0:1], v[6:7]
	v_cmp_gt_i32_e64 s4, 32, v29
	ds_bpermute_b32 v23, v36, v9
	ds_bpermute_b32 v22, v36, v8
	v_cndmask_b32_e64 v29, v28, v29, s4
	v_lshlrev_b32_e32 v37, 2, v29
	v_xor_b32_e32 v29, 2, v28
	v_cndmask_b32_e64 v1, v1, v7, s5
	v_cndmask_b32_e64 v0, v0, v6, s5
	s_waitcnt lgkmcnt(0)
	v_cmp_lt_f64_e64 s4, v[8:9], v[22:23]
	ds_bpermute_b32 v7, v37, v1
	ds_bpermute_b32 v6, v37, v0
	v_cndmask_b32_e64 v9, v9, v23, s4
	v_cndmask_b32_e64 v8, v8, v22, s4
	s_waitcnt lgkmcnt(0)
	v_cmp_lt_f64_e64 s5, v[0:1], v[6:7]
	v_cmp_gt_i32_e64 s4, 32, v29
	ds_bpermute_b32 v23, v37, v9
	ds_bpermute_b32 v22, v37, v8
	v_cndmask_b32_e64 v29, v28, v29, s4
	v_lshlrev_b32_e32 v38, 2, v29
	v_xor_b32_e32 v29, 1, v28
	v_cndmask_b32_e64 v1, v1, v7, s5
	v_cndmask_b32_e64 v0, v0, v6, s5
	s_waitcnt lgkmcnt(0)
	v_cmp_lt_f64_e64 s4, v[8:9], v[22:23]
	ds_bpermute_b32 v7, v38, v1
	ds_bpermute_b32 v6, v38, v0
	v_cndmask_b32_e64 v9, v9, v23, s4
	v_cndmask_b32_e64 v8, v8, v22, s4
	s_waitcnt lgkmcnt(0)
	v_cmp_lt_f64_e64 s5, v[0:1], v[6:7]
	v_cmp_gt_i32_e64 s4, 32, v29
	ds_bpermute_b32 v23, v38, v9
	ds_bpermute_b32 v22, v38, v8
	v_cndmask_b32_e64 v28, v28, v29, s4
	v_lshlrev_b32_e32 v39, 2, v28
	v_cndmask_b32_e64 v33, v1, v7, s5
	v_cndmask_b32_e64 v32, v0, v6, s5
	s_waitcnt lgkmcnt(0)
	v_cmp_lt_f64_e64 s4, v[8:9], v[22:23]
	v_mov_b32_e32 v0, 0
	v_mov_b32_e32 v6, 0
	ds_bpermute_b32 v41, v39, v33
	ds_bpermute_b32 v40, v39, v32
	v_mov_b32_e32 v1, 0
	v_mov_b32_e32 v7, 0
	v_cndmask_b32_e64 v29, v9, v23, s4
	v_cndmask_b32_e64 v28, v8, v22, s4
	s_waitcnt lgkmcnt(0)
	v_cmp_lt_f64_e64 s5, v[32:33], v[40:41]
	v_mov_b32_e32 v8, 0
	ds_bpermute_b32 v31, v39, v29
	ds_bpermute_b32 v30, v39, v28
	v_mov_b32_e32 v9, v8
	v_mov_b32_e32 v22, v8
	;; [unrolled: 1-line block ×3, first 2 shown]
	v_cndmask_b32_e64 v33, v33, v41, s5
	v_cndmask_b32_e64 v32, v32, v40, s5
	s_and_saveexec_b32 s11, s18
	s_cbranch_execz .LBB687_54
; %bb.51:
	global_load_ubyte v6, v[14:15], off
	v_mov_b32_e32 v9, v8
	v_mov_b32_e32 v22, v8
	;; [unrolled: 1-line block ×3, first 2 shown]
	s_waitcnt vmcnt(0)
	v_and_b32_e32 v6, 1, v6
	v_cmp_eq_u32_e64 s4, 1, v6
	v_mov_b32_e32 v6, 0
	v_mov_b32_e32 v7, 0
	s_xor_b32 s4, s4, -1
	s_and_saveexec_b32 s18, s4
	s_cbranch_execz .LBB687_53
; %bb.52:
	v_add_f64 v[4:5], v[4:5], -v[32:33]
	s_mov_b32 s4, 0x652b82fe
	s_mov_b32 s5, 0x3ff71547
	;; [unrolled: 1-line block ×4, first 2 shown]
	v_mul_f64 v[6:7], v[4:5], s[4:5]
	s_mov_b32 s4, 0xfefa39ef
	s_mov_b32 s5, 0xbfe62e42
	v_rndne_f64_e32 v[6:7], v[6:7]
	v_fma_f64 v[8:9], v[6:7], s[4:5], v[4:5]
	s_mov_b32 s4, 0x3b39803f
	s_mov_b32 s5, 0xbc7abc9e
	v_cvt_i32_f64_e32 v40, v[6:7]
	v_fma_f64 v[8:9], v[6:7], s[4:5], v[8:9]
	s_mov_b32 s4, 0xfca7ab0c
	s_mov_b32 s5, 0x3e928af3
	v_fma_f64 v[22:23], v[8:9], s[20:21], s[4:5]
	s_mov_b32 s4, 0x623fde64
	s_mov_b32 s5, 0x3ec71dee
	;; [unrolled: 3-line block ×9, first 2 shown]
	v_fma_f64 v[22:23], v[8:9], v[22:23], s[4:5]
	v_cmp_nlt_f64_e64 s4, 0x40900000, v[4:5]
	v_cmp_ngt_f64_e64 s5, 0xc090cc00, v[4:5]
	v_fma_f64 v[22:23], v[8:9], v[22:23], 1.0
	v_fma_f64 v[6:7], v[8:9], v[22:23], 1.0
	v_mov_b32_e32 v22, 0
	v_mov_b32_e32 v23, v22
	v_ldexp_f64 v[6:7], v[6:7], v40
	v_cndmask_b32_e64 v7, 0x7ff00000, v7, s4
	s_and_b32 s4, s5, s4
	v_cndmask_b32_e64 v6, 0, v6, s4
	v_cndmask_b32_e64 v7, 0, v7, s5
	v_add_f64 v[8:9], v[6:7], 0
.LBB687_53:
	s_or_b32 exec_lo, exec_lo, s18
.LBB687_54:
	s_or_b32 exec_lo, exec_lo, s11
	s_and_saveexec_b32 s11, s17
	s_cbranch_execz .LBB687_58
; %bb.55:
	global_load_ubyte v0, v[14:15], off offset:32
	s_waitcnt vmcnt(0)
	v_and_b32_e32 v0, 1, v0
	v_cmp_eq_u32_e64 s4, 1, v0
	v_mov_b32_e32 v0, 0
	v_mov_b32_e32 v1, 0
	s_xor_b32 s4, s4, -1
	s_and_saveexec_b32 s17, s4
	s_cbranch_execz .LBB687_57
; %bb.56:
	v_add_f64 v[0:1], v[26:27], -v[32:33]
	s_mov_b32 s4, 0x652b82fe
	s_mov_b32 s5, 0x3ff71547
	;; [unrolled: 1-line block ×4, first 2 shown]
	v_mul_f64 v[4:5], v[0:1], s[4:5]
	s_mov_b32 s4, 0xfefa39ef
	s_mov_b32 s5, 0xbfe62e42
	v_rndne_f64_e32 v[4:5], v[4:5]
	v_fma_f64 v[26:27], v[4:5], s[4:5], v[0:1]
	s_mov_b32 s4, 0x3b39803f
	s_mov_b32 s5, 0xbc7abc9e
	v_cvt_i32_f64_e32 v42, v[4:5]
	v_fma_f64 v[26:27], v[4:5], s[4:5], v[26:27]
	s_mov_b32 s4, 0xfca7ab0c
	s_mov_b32 s5, 0x3e928af3
	v_fma_f64 v[40:41], v[26:27], s[18:19], s[4:5]
	s_mov_b32 s4, 0x623fde64
	s_mov_b32 s5, 0x3ec71dee
	;; [unrolled: 3-line block ×9, first 2 shown]
	v_fma_f64 v[40:41], v[26:27], v[40:41], s[4:5]
	v_cmp_nlt_f64_e64 s4, 0x40900000, v[0:1]
	v_cmp_ngt_f64_e64 s5, 0xc090cc00, v[0:1]
	v_fma_f64 v[40:41], v[26:27], v[40:41], 1.0
	v_fma_f64 v[4:5], v[26:27], v[40:41], 1.0
	v_ldexp_f64 v[4:5], v[4:5], v42
	v_cndmask_b32_e64 v5, 0x7ff00000, v5, s4
	s_and_b32 s4, s5, s4
	v_cndmask_b32_e64 v0, 0, v4, s4
	v_cndmask_b32_e64 v1, 0, v5, s5
	v_add_f64 v[8:9], v[8:9], v[0:1]
.LBB687_57:
	s_or_b32 exec_lo, exec_lo, s17
.LBB687_58:
	s_or_b32 exec_lo, exec_lo, s11
	v_mov_b32_e32 v4, 0
	v_mov_b32_e32 v26, 0
	;; [unrolled: 1-line block ×4, first 2 shown]
	s_and_saveexec_b32 s11, s16
	s_cbranch_execz .LBB687_62
; %bb.59:
	global_load_ubyte v26, v[14:15], off offset:64
	s_waitcnt vmcnt(0)
	v_and_b32_e32 v26, 1, v26
	v_cmp_eq_u32_e64 s4, 1, v26
	v_mov_b32_e32 v26, 0
	v_mov_b32_e32 v27, 0
	s_xor_b32 s4, s4, -1
	s_and_saveexec_b32 s16, s4
	s_cbranch_execz .LBB687_61
; %bb.60:
	v_add_f64 v[24:25], v[24:25], -v[32:33]
	s_mov_b32 s4, 0x652b82fe
	s_mov_b32 s5, 0x3ff71547
	s_mov_b32 s18, 0x6a5dcb37
	s_mov_b32 s19, 0x3e5ade15
	v_mul_f64 v[26:27], v[24:25], s[4:5]
	s_mov_b32 s4, 0xfefa39ef
	s_mov_b32 s5, 0xbfe62e42
	v_rndne_f64_e32 v[26:27], v[26:27]
	v_fma_f64 v[40:41], v[26:27], s[4:5], v[24:25]
	s_mov_b32 s4, 0x3b39803f
	s_mov_b32 s5, 0xbc7abc9e
	v_cvt_i32_f64_e32 v44, v[26:27]
	v_fma_f64 v[40:41], v[26:27], s[4:5], v[40:41]
	s_mov_b32 s4, 0xfca7ab0c
	s_mov_b32 s5, 0x3e928af3
	v_fma_f64 v[42:43], v[40:41], s[18:19], s[4:5]
	s_mov_b32 s4, 0x623fde64
	s_mov_b32 s5, 0x3ec71dee
	;; [unrolled: 3-line block ×9, first 2 shown]
	v_fma_f64 v[42:43], v[40:41], v[42:43], s[4:5]
	v_cmp_nlt_f64_e64 s4, 0x40900000, v[24:25]
	v_cmp_ngt_f64_e64 s5, 0xc090cc00, v[24:25]
	v_fma_f64 v[42:43], v[40:41], v[42:43], 1.0
	v_fma_f64 v[26:27], v[40:41], v[42:43], 1.0
	v_ldexp_f64 v[26:27], v[26:27], v44
	v_cndmask_b32_e64 v27, 0x7ff00000, v27, s4
	s_and_b32 s4, s5, s4
	v_cndmask_b32_e64 v26, 0, v26, s4
	v_cndmask_b32_e64 v27, 0, v27, s5
	v_add_f64 v[8:9], v[8:9], v[26:27]
.LBB687_61:
	s_or_b32 exec_lo, exec_lo, s16
.LBB687_62:
	s_or_b32 exec_lo, exec_lo, s11
	s_and_saveexec_b32 s11, s15
	s_cbranch_execz .LBB687_66
; %bb.63:
	global_load_ubyte v4, v[14:15], off offset:96
	s_waitcnt vmcnt(0)
	v_and_b32_e32 v4, 1, v4
	v_cmp_eq_u32_e64 s4, 1, v4
	v_mov_b32_e32 v4, 0
	v_mov_b32_e32 v5, 0
	s_xor_b32 s4, s4, -1
	s_and_saveexec_b32 s15, s4
	s_cbranch_execz .LBB687_65
; %bb.64:
	v_add_f64 v[4:5], v[20:21], -v[32:33]
	s_mov_b32 s4, 0x652b82fe
	s_mov_b32 s5, 0x3ff71547
	;; [unrolled: 1-line block ×4, first 2 shown]
	v_mul_f64 v[20:21], v[4:5], s[4:5]
	s_mov_b32 s4, 0xfefa39ef
	s_mov_b32 s5, 0xbfe62e42
	v_rndne_f64_e32 v[20:21], v[20:21]
	v_fma_f64 v[24:25], v[20:21], s[4:5], v[4:5]
	s_mov_b32 s4, 0x3b39803f
	s_mov_b32 s5, 0xbc7abc9e
	v_cvt_i32_f64_e32 v40, v[20:21]
	v_fma_f64 v[24:25], v[20:21], s[4:5], v[24:25]
	s_mov_b32 s4, 0xfca7ab0c
	s_mov_b32 s5, 0x3e928af3
	v_fma_f64 v[32:33], v[24:25], s[16:17], s[4:5]
	s_mov_b32 s4, 0x623fde64
	s_mov_b32 s5, 0x3ec71dee
	;; [unrolled: 3-line block ×9, first 2 shown]
	v_fma_f64 v[32:33], v[24:25], v[32:33], s[4:5]
	v_cmp_nlt_f64_e64 s4, 0x40900000, v[4:5]
	v_cmp_ngt_f64_e64 s5, 0xc090cc00, v[4:5]
	v_fma_f64 v[32:33], v[24:25], v[32:33], 1.0
	v_fma_f64 v[20:21], v[24:25], v[32:33], 1.0
	v_ldexp_f64 v[20:21], v[20:21], v40
	v_cndmask_b32_e64 v21, 0x7ff00000, v21, s4
	s_and_b32 s4, s5, s4
	v_cndmask_b32_e64 v4, 0, v20, s4
	v_cndmask_b32_e64 v5, 0, v21, s5
	v_add_f64 v[8:9], v[8:9], v[4:5]
.LBB687_65:
	s_or_b32 exec_lo, exec_lo, s15
.LBB687_66:
	s_or_b32 exec_lo, exec_lo, s11
	s_waitcnt lgkmcnt(0)
	v_cmp_lt_f64_e64 s4, v[28:29], v[30:31]
	v_mov_b32_e32 v20, 0
	v_mov_b32_e32 v24, 0
	;; [unrolled: 1-line block ×4, first 2 shown]
	v_cndmask_b32_e64 v29, v29, v31, s4
	v_cndmask_b32_e64 v28, v28, v30, s4
	s_and_saveexec_b32 s11, s14
	s_cbranch_execz .LBB687_70
; %bb.67:
	s_ashr_i32 s5, s6, 31
	v_add_co_u32 v24, s4, v14, s6
	v_add_co_ci_u32_e64 v25, null, s5, v15, s4
	global_load_ubyte v24, v[24:25], off
	s_waitcnt vmcnt(0)
	v_and_b32_e32 v24, 1, v24
	v_cmp_eq_u32_e64 s4, 1, v24
	v_mov_b32_e32 v24, 0
	v_mov_b32_e32 v25, 0
	s_xor_b32 s4, s4, -1
	s_and_saveexec_b32 s14, s4
	s_cbranch_execz .LBB687_69
; %bb.68:
	v_add_f64 v[2:3], v[2:3], -v[28:29]
	s_mov_b32 s4, 0x652b82fe
	s_mov_b32 s5, 0x3ff71547
	;; [unrolled: 1-line block ×4, first 2 shown]
	v_mul_f64 v[24:25], v[2:3], s[4:5]
	s_mov_b32 s4, 0xfefa39ef
	s_mov_b32 s5, 0xbfe62e42
	v_rndne_f64_e32 v[24:25], v[24:25]
	v_fma_f64 v[30:31], v[24:25], s[4:5], v[2:3]
	s_mov_b32 s4, 0x3b39803f
	s_mov_b32 s5, 0xbc7abc9e
	v_cvt_i32_f64_e32 v40, v[24:25]
	v_fma_f64 v[30:31], v[24:25], s[4:5], v[30:31]
	s_mov_b32 s4, 0xfca7ab0c
	s_mov_b32 s5, 0x3e928af3
	v_fma_f64 v[32:33], v[30:31], s[16:17], s[4:5]
	s_mov_b32 s4, 0x623fde64
	s_mov_b32 s5, 0x3ec71dee
	;; [unrolled: 3-line block ×9, first 2 shown]
	v_fma_f64 v[32:33], v[30:31], v[32:33], s[4:5]
	v_cmp_nlt_f64_e64 s4, 0x40900000, v[2:3]
	v_cmp_ngt_f64_e64 s5, 0xc090cc00, v[2:3]
	v_fma_f64 v[32:33], v[30:31], v[32:33], 1.0
	v_fma_f64 v[24:25], v[30:31], v[32:33], 1.0
	v_ldexp_f64 v[24:25], v[24:25], v40
	v_cndmask_b32_e64 v25, 0x7ff00000, v25, s4
	s_and_b32 s4, s5, s4
	v_cndmask_b32_e64 v24, 0, v24, s4
	v_cndmask_b32_e64 v25, 0, v25, s5
	v_add_f64 v[22:23], v[22:23], v[24:25]
.LBB687_69:
	s_or_b32 exec_lo, exec_lo, s14
.LBB687_70:
	s_or_b32 exec_lo, exec_lo, s11
	s_and_saveexec_b32 s11, s9
	s_cbranch_execz .LBB687_74
; %bb.71:
	s_ashr_i32 s5, s6, 31
	v_add_co_u32 v2, s4, v14, s6
	v_add_co_ci_u32_e64 v3, null, s5, v15, s4
	v_mov_b32_e32 v20, 0
	v_mov_b32_e32 v21, 0
	global_load_ubyte v2, v[2:3], off offset:32
	s_waitcnt vmcnt(0)
	v_and_b32_e32 v2, 1, v2
	v_cmp_eq_u32_e64 s4, 1, v2
	s_xor_b32 s4, s4, -1
	s_and_saveexec_b32 s9, s4
	s_cbranch_execz .LBB687_73
; %bb.72:
	v_add_f64 v[2:3], v[18:19], -v[28:29]
	s_mov_b32 s4, 0x652b82fe
	s_mov_b32 s5, 0x3ff71547
	;; [unrolled: 1-line block ×4, first 2 shown]
	v_mul_f64 v[18:19], v[2:3], s[4:5]
	s_mov_b32 s4, 0xfefa39ef
	s_mov_b32 s5, 0xbfe62e42
	v_rndne_f64_e32 v[18:19], v[18:19]
	v_fma_f64 v[20:21], v[18:19], s[4:5], v[2:3]
	s_mov_b32 s4, 0x3b39803f
	s_mov_b32 s5, 0xbc7abc9e
	v_cvt_i32_f64_e32 v32, v[18:19]
	v_fma_f64 v[20:21], v[18:19], s[4:5], v[20:21]
	s_mov_b32 s4, 0xfca7ab0c
	s_mov_b32 s5, 0x3e928af3
	v_fma_f64 v[30:31], v[20:21], s[14:15], s[4:5]
	s_mov_b32 s4, 0x623fde64
	s_mov_b32 s5, 0x3ec71dee
	;; [unrolled: 3-line block ×9, first 2 shown]
	v_fma_f64 v[30:31], v[20:21], v[30:31], s[4:5]
	v_cmp_nlt_f64_e64 s4, 0x40900000, v[2:3]
	v_cmp_ngt_f64_e64 s5, 0xc090cc00, v[2:3]
	v_fma_f64 v[30:31], v[20:21], v[30:31], 1.0
	v_fma_f64 v[18:19], v[20:21], v[30:31], 1.0
	v_ldexp_f64 v[18:19], v[18:19], v32
	v_cndmask_b32_e64 v19, 0x7ff00000, v19, s4
	s_and_b32 s4, s5, s4
	v_cndmask_b32_e64 v20, 0, v18, s4
	v_cndmask_b32_e64 v21, 0, v19, s5
	v_add_f64 v[22:23], v[22:23], v[20:21]
.LBB687_73:
	s_or_b32 exec_lo, exec_lo, s9
.LBB687_74:
	s_or_b32 exec_lo, exec_lo, s11
	v_mov_b32_e32 v2, 0
	v_mov_b32_e32 v18, 0
	;; [unrolled: 1-line block ×4, first 2 shown]
	s_and_saveexec_b32 s9, s8
	s_cbranch_execz .LBB687_78
; %bb.75:
	s_ashr_i32 s5, s6, 31
	v_add_co_u32 v18, s4, v14, s6
	v_add_co_ci_u32_e64 v19, null, s5, v15, s4
	global_load_ubyte v18, v[18:19], off offset:64
	s_waitcnt vmcnt(0)
	v_and_b32_e32 v18, 1, v18
	v_cmp_eq_u32_e64 s4, 1, v18
	v_mov_b32_e32 v18, 0
	v_mov_b32_e32 v19, 0
	s_xor_b32 s4, s4, -1
	s_and_saveexec_b32 s8, s4
	s_cbranch_execz .LBB687_77
; %bb.76:
	v_add_f64 v[16:17], v[16:17], -v[28:29]
	s_mov_b32 s4, 0x652b82fe
	s_mov_b32 s5, 0x3ff71547
	;; [unrolled: 1-line block ×4, first 2 shown]
	v_mul_f64 v[18:19], v[16:17], s[4:5]
	s_mov_b32 s4, 0xfefa39ef
	s_mov_b32 s5, 0xbfe62e42
	v_rndne_f64_e32 v[18:19], v[18:19]
	v_fma_f64 v[30:31], v[18:19], s[4:5], v[16:17]
	s_mov_b32 s4, 0x3b39803f
	s_mov_b32 s5, 0xbc7abc9e
	v_cvt_i32_f64_e32 v40, v[18:19]
	v_fma_f64 v[30:31], v[18:19], s[4:5], v[30:31]
	s_mov_b32 s4, 0xfca7ab0c
	s_mov_b32 s5, 0x3e928af3
	v_fma_f64 v[32:33], v[30:31], s[14:15], s[4:5]
	s_mov_b32 s4, 0x623fde64
	s_mov_b32 s5, 0x3ec71dee
	;; [unrolled: 3-line block ×9, first 2 shown]
	v_fma_f64 v[32:33], v[30:31], v[32:33], s[4:5]
	v_cmp_nlt_f64_e64 s4, 0x40900000, v[16:17]
	v_cmp_ngt_f64_e64 s5, 0xc090cc00, v[16:17]
	v_fma_f64 v[32:33], v[30:31], v[32:33], 1.0
	v_fma_f64 v[18:19], v[30:31], v[32:33], 1.0
	v_ldexp_f64 v[18:19], v[18:19], v40
	v_cndmask_b32_e64 v19, 0x7ff00000, v19, s4
	s_and_b32 s4, s5, s4
	v_cndmask_b32_e64 v18, 0, v18, s4
	v_cndmask_b32_e64 v19, 0, v19, s5
	v_add_f64 v[22:23], v[22:23], v[18:19]
.LBB687_77:
	s_or_b32 exec_lo, exec_lo, s8
.LBB687_78:
	s_or_b32 exec_lo, exec_lo, s9
	s_and_saveexec_b32 s8, s7
	s_cbranch_execz .LBB687_82
; %bb.79:
	s_ashr_i32 s5, s6, 31
	v_add_co_u32 v2, s4, v14, s6
	v_add_co_ci_u32_e64 v3, null, s5, v15, s4
	global_load_ubyte v2, v[2:3], off offset:96
	s_waitcnt vmcnt(0)
	v_and_b32_e32 v2, 1, v2
	v_cmp_eq_u32_e64 s4, 1, v2
	v_mov_b32_e32 v2, 0
	v_mov_b32_e32 v3, 0
	s_xor_b32 s4, s4, -1
	s_and_saveexec_b32 s6, s4
	s_cbranch_execz .LBB687_81
; %bb.80:
	v_add_f64 v[2:3], v[12:13], -v[28:29]
	s_mov_b32 s4, 0x652b82fe
	s_mov_b32 s5, 0x3ff71547
	;; [unrolled: 1-line block ×4, first 2 shown]
	v_mul_f64 v[12:13], v[2:3], s[4:5]
	s_mov_b32 s4, 0xfefa39ef
	s_mov_b32 s5, 0xbfe62e42
	v_rndne_f64_e32 v[12:13], v[12:13]
	v_fma_f64 v[14:15], v[12:13], s[4:5], v[2:3]
	s_mov_b32 s4, 0x3b39803f
	s_mov_b32 s5, 0xbc7abc9e
	v_cvt_i32_f64_e32 v28, v[12:13]
	v_fma_f64 v[14:15], v[12:13], s[4:5], v[14:15]
	s_mov_b32 s4, 0xfca7ab0c
	s_mov_b32 s5, 0x3e928af3
	v_fma_f64 v[16:17], v[14:15], s[14:15], s[4:5]
	s_mov_b32 s4, 0x623fde64
	s_mov_b32 s5, 0x3ec71dee
	;; [unrolled: 3-line block ×9, first 2 shown]
	v_fma_f64 v[16:17], v[14:15], v[16:17], s[4:5]
	v_cmp_nlt_f64_e64 s4, 0x40900000, v[2:3]
	v_cmp_ngt_f64_e64 s5, 0xc090cc00, v[2:3]
	v_fma_f64 v[16:17], v[14:15], v[16:17], 1.0
	v_fma_f64 v[12:13], v[14:15], v[16:17], 1.0
	v_ldexp_f64 v[12:13], v[12:13], v28
	v_cndmask_b32_e64 v13, 0x7ff00000, v13, s4
	s_and_b32 s4, s5, s4
	v_cndmask_b32_e64 v2, 0, v12, s4
	v_cndmask_b32_e64 v3, 0, v13, s5
	v_add_f64 v[22:23], v[22:23], v[2:3]
.LBB687_81:
	s_or_b32 exec_lo, exec_lo, s6
.LBB687_82:
	s_or_b32 exec_lo, exec_lo, s8
	ds_bpermute_b32 v12, v35, v8
	ds_bpermute_b32 v13, v35, v9
	ds_bpermute_b32 v14, v35, v22
	ds_bpermute_b32 v15, v35, v23
	s_waitcnt lgkmcnt(2)
	v_add_f64 v[8:9], v[8:9], v[12:13]
	s_waitcnt lgkmcnt(0)
	v_add_f64 v[12:13], v[22:23], v[14:15]
	ds_bpermute_b32 v14, v36, v8
	ds_bpermute_b32 v15, v36, v9
	ds_bpermute_b32 v16, v36, v12
	ds_bpermute_b32 v17, v36, v13
	s_waitcnt lgkmcnt(2)
	v_add_f64 v[8:9], v[8:9], v[14:15]
	s_waitcnt lgkmcnt(0)
	v_add_f64 v[12:13], v[12:13], v[16:17]
	;; [unrolled: 8-line block ×4, first 2 shown]
	ds_bpermute_b32 v22, v39, v16
	ds_bpermute_b32 v23, v39, v17
	;; [unrolled: 1-line block ×4, first 2 shown]
	s_and_saveexec_b32 s4, vcc_lo
	s_cbranch_execz .LBB687_94
; %bb.83:
	v_add_co_u32 v8, vcc_lo, s12, v10
	v_add_co_ci_u32_e64 v9, null, s13, v11, vcc_lo
	s_and_saveexec_b32 s5, s3
	s_cbranch_execz .LBB687_88
; %bb.84:
	s_waitcnt lgkmcnt(2)
	v_add_f64 v[10:11], v[16:17], v[22:23]
	v_div_scale_f64 v[16:17], null, v[10:11], v[10:11], v[6:7]
	v_div_scale_f64 v[30:31], vcc_lo, v[6:7], v[10:11], v[6:7]
	v_cmp_eq_f64_e64 s4, 0, v[10:11]
	v_rcp_f64_e32 v[22:23], v[16:17]
	v_fma_f64 v[28:29], -v[16:17], v[22:23], 1.0
	v_fma_f64 v[22:23], v[22:23], v[28:29], v[22:23]
	v_fma_f64 v[28:29], -v[16:17], v[22:23], 1.0
	v_fma_f64 v[22:23], v[22:23], v[28:29], v[22:23]
	v_mul_f64 v[28:29], v[30:31], v[22:23]
	v_fma_f64 v[16:17], -v[16:17], v[28:29], v[30:31]
	v_div_fmas_f64 v[16:17], v[16:17], v[22:23], v[28:29]
	v_div_fixup_f64 v[6:7], v[16:17], v[10:11], v[6:7]
	v_cndmask_b32_e64 v7, v7, 0x7ff80000, s4
	v_cndmask_b32_e64 v6, v6, 0, s4
	global_store_dwordx2 v[8:9], v[6:7], off
	s_and_b32 exec_lo, exec_lo, s2
	s_cbranch_execz .LBB687_88
; %bb.85:
	v_div_scale_f64 v[6:7], null, v[10:11], v[10:11], v[0:1]
	v_div_scale_f64 v[28:29], vcc_lo, v[0:1], v[10:11], v[0:1]
	v_rcp_f64_e32 v[16:17], v[6:7]
	v_fma_f64 v[22:23], -v[6:7], v[16:17], 1.0
	v_fma_f64 v[16:17], v[16:17], v[22:23], v[16:17]
	v_fma_f64 v[22:23], -v[6:7], v[16:17], 1.0
	v_fma_f64 v[16:17], v[16:17], v[22:23], v[16:17]
	v_mul_f64 v[22:23], v[28:29], v[16:17]
	v_fma_f64 v[6:7], -v[6:7], v[22:23], v[28:29]
	v_div_fmas_f64 v[6:7], v[6:7], v[16:17], v[22:23]
	v_div_fixup_f64 v[0:1], v[6:7], v[10:11], v[0:1]
	v_cndmask_b32_e64 v1, v1, 0x7ff80000, s4
	v_cndmask_b32_e64 v0, v0, 0, s4
	global_store_dwordx2 v[8:9], v[0:1], off offset:256
	s_and_b32 exec_lo, exec_lo, s1
	s_cbranch_execz .LBB687_88
; %bb.86:
	v_div_scale_f64 v[0:1], null, v[10:11], v[10:11], v[26:27]
	v_div_scale_f64 v[22:23], vcc_lo, v[26:27], v[10:11], v[26:27]
	v_rcp_f64_e32 v[6:7], v[0:1]
	v_fma_f64 v[16:17], -v[0:1], v[6:7], 1.0
	v_fma_f64 v[6:7], v[6:7], v[16:17], v[6:7]
	v_fma_f64 v[16:17], -v[0:1], v[6:7], 1.0
	v_fma_f64 v[6:7], v[6:7], v[16:17], v[6:7]
	v_mul_f64 v[16:17], v[22:23], v[6:7]
	v_fma_f64 v[0:1], -v[0:1], v[16:17], v[22:23]
	v_div_fmas_f64 v[0:1], v[0:1], v[6:7], v[16:17]
	v_div_fixup_f64 v[0:1], v[0:1], v[10:11], v[26:27]
	v_cndmask_b32_e64 v1, v1, 0x7ff80000, s4
	v_cndmask_b32_e64 v0, v0, 0, s4
	global_store_dwordx2 v[8:9], v[0:1], off offset:512
	s_and_b32 exec_lo, exec_lo, s0
	s_cbranch_execz .LBB687_88
; %bb.87:
	v_div_scale_f64 v[0:1], null, v[10:11], v[10:11], v[4:5]
	v_div_scale_f64 v[22:23], vcc_lo, v[4:5], v[10:11], v[4:5]
	v_rcp_f64_e32 v[6:7], v[0:1]
	v_fma_f64 v[16:17], -v[0:1], v[6:7], 1.0
	v_fma_f64 v[6:7], v[6:7], v[16:17], v[6:7]
	v_fma_f64 v[16:17], -v[0:1], v[6:7], 1.0
	v_fma_f64 v[6:7], v[6:7], v[16:17], v[6:7]
	v_mul_f64 v[16:17], v[22:23], v[6:7]
	v_fma_f64 v[0:1], -v[0:1], v[16:17], v[22:23]
	v_div_fmas_f64 v[0:1], v[0:1], v[6:7], v[16:17]
	v_div_fixup_f64 v[0:1], v[0:1], v[10:11], v[4:5]
	v_cndmask_b32_e64 v1, v1, 0x7ff80000, s4
	v_cndmask_b32_e64 v0, v0, 0, s4
	global_store_dwordx2 v[8:9], v[0:1], off offset:768
.LBB687_88:
	s_or_b32 exec_lo, exec_lo, s5
	v_cmp_ne_u32_e32 vcc_lo, 1, v34
	s_and_b32 exec_lo, exec_lo, vcc_lo
	s_cbranch_execz .LBB687_94
; %bb.89:
	s_and_b32 exec_lo, exec_lo, s3
	s_cbranch_execz .LBB687_94
; %bb.90:
	s_waitcnt lgkmcnt(0)
	v_add_f64 v[0:1], v[12:13], v[14:15]
	s_mov_b32 s11, 0
	s_lshl_b64 s[4:5], s[10:11], 3
	v_div_scale_f64 v[4:5], null, v[0:1], v[0:1], v[24:25]
	v_div_scale_f64 v[12:13], vcc_lo, v[24:25], v[0:1], v[24:25]
	v_cmp_eq_f64_e64 s3, 0, v[0:1]
	v_rcp_f64_e32 v[6:7], v[4:5]
	v_fma_f64 v[10:11], -v[4:5], v[6:7], 1.0
	v_fma_f64 v[6:7], v[6:7], v[10:11], v[6:7]
	v_fma_f64 v[10:11], -v[4:5], v[6:7], 1.0
	v_fma_f64 v[6:7], v[6:7], v[10:11], v[6:7]
	v_mul_f64 v[10:11], v[12:13], v[6:7]
	v_fma_f64 v[4:5], -v[4:5], v[10:11], v[12:13]
	v_div_fmas_f64 v[4:5], v[4:5], v[6:7], v[10:11]
	v_div_fixup_f64 v[4:5], v[4:5], v[0:1], v[24:25]
	v_cndmask_b32_e64 v6, v4, 0, s3
	v_add_co_u32 v4, vcc_lo, v8, s4
	v_cndmask_b32_e64 v7, v5, 0x7ff80000, s3
	v_add_co_ci_u32_e64 v5, null, s5, v9, vcc_lo
	global_store_dwordx2 v[4:5], v[6:7], off
	s_and_b32 exec_lo, exec_lo, s2
	s_cbranch_execz .LBB687_94
; %bb.91:
	v_div_scale_f64 v[6:7], null, v[0:1], v[0:1], v[20:21]
	v_div_scale_f64 v[12:13], vcc_lo, v[20:21], v[0:1], v[20:21]
	v_rcp_f64_e32 v[8:9], v[6:7]
	v_fma_f64 v[10:11], -v[6:7], v[8:9], 1.0
	v_fma_f64 v[8:9], v[8:9], v[10:11], v[8:9]
	v_fma_f64 v[10:11], -v[6:7], v[8:9], 1.0
	v_fma_f64 v[8:9], v[8:9], v[10:11], v[8:9]
	v_mul_f64 v[10:11], v[12:13], v[8:9]
	v_fma_f64 v[6:7], -v[6:7], v[10:11], v[12:13]
	v_div_fmas_f64 v[6:7], v[6:7], v[8:9], v[10:11]
	v_div_fixup_f64 v[6:7], v[6:7], v[0:1], v[20:21]
	v_cndmask_b32_e64 v7, v7, 0x7ff80000, s3
	v_cndmask_b32_e64 v6, v6, 0, s3
	global_store_dwordx2 v[4:5], v[6:7], off offset:256
	s_and_b32 exec_lo, exec_lo, s1
	s_cbranch_execz .LBB687_94
; %bb.92:
	v_div_scale_f64 v[6:7], null, v[0:1], v[0:1], v[18:19]
	v_div_scale_f64 v[12:13], vcc_lo, v[18:19], v[0:1], v[18:19]
	v_rcp_f64_e32 v[8:9], v[6:7]
	v_fma_f64 v[10:11], -v[6:7], v[8:9], 1.0
	v_fma_f64 v[8:9], v[8:9], v[10:11], v[8:9]
	v_fma_f64 v[10:11], -v[6:7], v[8:9], 1.0
	v_fma_f64 v[8:9], v[8:9], v[10:11], v[8:9]
	v_mul_f64 v[10:11], v[12:13], v[8:9]
	v_fma_f64 v[6:7], -v[6:7], v[10:11], v[12:13]
	v_div_fmas_f64 v[6:7], v[6:7], v[8:9], v[10:11]
	v_div_fixup_f64 v[6:7], v[6:7], v[0:1], v[18:19]
	v_cndmask_b32_e64 v7, v7, 0x7ff80000, s3
	v_cndmask_b32_e64 v6, v6, 0, s3
	global_store_dwordx2 v[4:5], v[6:7], off offset:512
	;; [unrolled: 17-line block ×3, first 2 shown]
.LBB687_94:
	s_endpgm
	.section	.rodata,"a",@progbits
	.p2align	6, 0x0
	.amdhsa_kernel _ZN12_GLOBAL__N_120softmax_warp_forwardIdddLi7ELb0ELb1ELi32EEEvPT0_PKT_iiiPKbib
		.amdhsa_group_segment_fixed_size 0
		.amdhsa_private_segment_fixed_size 0
		.amdhsa_kernarg_size 304
		.amdhsa_user_sgpr_count 6
		.amdhsa_user_sgpr_private_segment_buffer 1
		.amdhsa_user_sgpr_dispatch_ptr 0
		.amdhsa_user_sgpr_queue_ptr 0
		.amdhsa_user_sgpr_kernarg_segment_ptr 1
		.amdhsa_user_sgpr_dispatch_id 0
		.amdhsa_user_sgpr_flat_scratch_init 0
		.amdhsa_user_sgpr_private_segment_size 0
		.amdhsa_wavefront_size32 1
		.amdhsa_uses_dynamic_stack 0
		.amdhsa_system_sgpr_private_segment_wavefront_offset 0
		.amdhsa_system_sgpr_workgroup_id_x 1
		.amdhsa_system_sgpr_workgroup_id_y 0
		.amdhsa_system_sgpr_workgroup_id_z 0
		.amdhsa_system_sgpr_workgroup_info 0
		.amdhsa_system_vgpr_workitem_id 1
		.amdhsa_next_free_vgpr 45
		.amdhsa_next_free_sgpr 24
		.amdhsa_reserve_vcc 1
		.amdhsa_reserve_flat_scratch 0
		.amdhsa_float_round_mode_32 0
		.amdhsa_float_round_mode_16_64 0
		.amdhsa_float_denorm_mode_32 3
		.amdhsa_float_denorm_mode_16_64 3
		.amdhsa_dx10_clamp 1
		.amdhsa_ieee_mode 1
		.amdhsa_fp16_overflow 0
		.amdhsa_workgroup_processor_mode 1
		.amdhsa_memory_ordered 1
		.amdhsa_forward_progress 1
		.amdhsa_shared_vgpr_count 0
		.amdhsa_exception_fp_ieee_invalid_op 0
		.amdhsa_exception_fp_denorm_src 0
		.amdhsa_exception_fp_ieee_div_zero 0
		.amdhsa_exception_fp_ieee_overflow 0
		.amdhsa_exception_fp_ieee_underflow 0
		.amdhsa_exception_fp_ieee_inexact 0
		.amdhsa_exception_int_div_zero 0
	.end_amdhsa_kernel
	.section	.text._ZN12_GLOBAL__N_120softmax_warp_forwardIdddLi7ELb0ELb1ELi32EEEvPT0_PKT_iiiPKbib,"axG",@progbits,_ZN12_GLOBAL__N_120softmax_warp_forwardIdddLi7ELb0ELb1ELi32EEEvPT0_PKT_iiiPKbib,comdat
.Lfunc_end687:
	.size	_ZN12_GLOBAL__N_120softmax_warp_forwardIdddLi7ELb0ELb1ELi32EEEvPT0_PKT_iiiPKbib, .Lfunc_end687-_ZN12_GLOBAL__N_120softmax_warp_forwardIdddLi7ELb0ELb1ELi32EEEvPT0_PKT_iiiPKbib
                                        ; -- End function
	.set _ZN12_GLOBAL__N_120softmax_warp_forwardIdddLi7ELb0ELb1ELi32EEEvPT0_PKT_iiiPKbib.num_vgpr, 45
	.set _ZN12_GLOBAL__N_120softmax_warp_forwardIdddLi7ELb0ELb1ELi32EEEvPT0_PKT_iiiPKbib.num_agpr, 0
	.set _ZN12_GLOBAL__N_120softmax_warp_forwardIdddLi7ELb0ELb1ELi32EEEvPT0_PKT_iiiPKbib.numbered_sgpr, 24
	.set _ZN12_GLOBAL__N_120softmax_warp_forwardIdddLi7ELb0ELb1ELi32EEEvPT0_PKT_iiiPKbib.num_named_barrier, 0
	.set _ZN12_GLOBAL__N_120softmax_warp_forwardIdddLi7ELb0ELb1ELi32EEEvPT0_PKT_iiiPKbib.private_seg_size, 0
	.set _ZN12_GLOBAL__N_120softmax_warp_forwardIdddLi7ELb0ELb1ELi32EEEvPT0_PKT_iiiPKbib.uses_vcc, 1
	.set _ZN12_GLOBAL__N_120softmax_warp_forwardIdddLi7ELb0ELb1ELi32EEEvPT0_PKT_iiiPKbib.uses_flat_scratch, 0
	.set _ZN12_GLOBAL__N_120softmax_warp_forwardIdddLi7ELb0ELb1ELi32EEEvPT0_PKT_iiiPKbib.has_dyn_sized_stack, 0
	.set _ZN12_GLOBAL__N_120softmax_warp_forwardIdddLi7ELb0ELb1ELi32EEEvPT0_PKT_iiiPKbib.has_recursion, 0
	.set _ZN12_GLOBAL__N_120softmax_warp_forwardIdddLi7ELb0ELb1ELi32EEEvPT0_PKT_iiiPKbib.has_indirect_call, 0
	.section	.AMDGPU.csdata,"",@progbits
; Kernel info:
; codeLenInByte = 7548
; TotalNumSgprs: 26
; NumVgprs: 45
; ScratchSize: 0
; MemoryBound: 0
; FloatMode: 240
; IeeeMode: 1
; LDSByteSize: 0 bytes/workgroup (compile time only)
; SGPRBlocks: 0
; VGPRBlocks: 5
; NumSGPRsForWavesPerEU: 26
; NumVGPRsForWavesPerEU: 45
; Occupancy: 16
; WaveLimiterHint : 0
; COMPUTE_PGM_RSRC2:SCRATCH_EN: 0
; COMPUTE_PGM_RSRC2:USER_SGPR: 6
; COMPUTE_PGM_RSRC2:TRAP_HANDLER: 0
; COMPUTE_PGM_RSRC2:TGID_X_EN: 1
; COMPUTE_PGM_RSRC2:TGID_Y_EN: 0
; COMPUTE_PGM_RSRC2:TGID_Z_EN: 0
; COMPUTE_PGM_RSRC2:TIDIG_COMP_CNT: 1
	.section	.text._ZN12_GLOBAL__N_120softmax_warp_forwardIdddLi8ELb0ELb1ELi64EEEvPT0_PKT_iiiPKbib,"axG",@progbits,_ZN12_GLOBAL__N_120softmax_warp_forwardIdddLi8ELb0ELb1ELi64EEEvPT0_PKT_iiiPKbib,comdat
	.globl	_ZN12_GLOBAL__N_120softmax_warp_forwardIdddLi8ELb0ELb1ELi64EEEvPT0_PKT_iiiPKbib ; -- Begin function _ZN12_GLOBAL__N_120softmax_warp_forwardIdddLi8ELb0ELb1ELi64EEEvPT0_PKT_iiiPKbib
	.p2align	8
	.type	_ZN12_GLOBAL__N_120softmax_warp_forwardIdddLi8ELb0ELb1ELi64EEEvPT0_PKT_iiiPKbib,@function
_ZN12_GLOBAL__N_120softmax_warp_forwardIdddLi8ELb0ELb1ELi64EEEvPT0_PKT_iiiPKbib: ; @_ZN12_GLOBAL__N_120softmax_warp_forwardIdddLi8ELb0ELb1ELi64EEEvPT0_PKT_iiiPKbib
; %bb.0:
	s_clause 0x1
	s_load_dword s0, s[4:5], 0x3c
	s_load_dwordx4 s[12:15], s[4:5], 0x10
	s_waitcnt lgkmcnt(0)
	s_lshr_b32 s0, s0, 16
	v_mad_u64_u32 v[1:2], null, s6, s0, v[1:2]
	s_load_dwordx2 s[0:1], s[4:5], 0x28
	v_mul_lo_u32 v4, v1, s13
	v_add_nc_u32_e32 v2, v4, v0
	v_ashrrev_i32_e32 v3, 31, v2
	s_waitcnt lgkmcnt(0)
	s_bitcmp0_b32 s1, 0
	v_mov_b32_e32 v11, v3
	v_mov_b32_e32 v10, v2
	s_cbranch_scc1 .LBB688_2
; %bb.1:
	s_abs_i32 s1, s0
	v_sub_nc_u32_e32 v7, 0, v4
	v_cvt_f32_u32_e32 v5, s1
	s_sub_i32 s2, 0, s1
	v_max_i32_e32 v7, v4, v7
	v_rcp_iflag_f32_e32 v5, v5
	v_xor_b32_e32 v4, s0, v4
	v_ashrrev_i32_e32 v4, 31, v4
	v_mul_f32_e32 v5, 0x4f7ffffe, v5
	v_cvt_u32_f32_e32 v5, v5
	v_mul_lo_u32 v6, s2, v5
	v_mul_hi_u32 v6, v5, v6
	v_add_nc_u32_e32 v5, v5, v6
	v_mul_hi_u32 v5, v7, v5
	v_mul_lo_u32 v6, v5, s1
	v_sub_nc_u32_e32 v6, v7, v6
	v_add_nc_u32_e32 v7, 1, v5
	v_subrev_nc_u32_e32 v8, s1, v6
	v_cmp_le_u32_e32 vcc_lo, s1, v6
	v_cndmask_b32_e32 v5, v5, v7, vcc_lo
	v_cndmask_b32_e32 v6, v6, v8, vcc_lo
	v_add_nc_u32_e32 v7, 1, v5
	v_cmp_le_u32_e32 vcc_lo, s1, v6
	v_cndmask_b32_e32 v5, v5, v7, vcc_lo
	v_xor_b32_e32 v5, v5, v4
	v_sub_nc_u32_e32 v4, v5, v4
	v_mad_u64_u32 v[10:11], null, v4, s13, v[0:1]
	v_ashrrev_i32_e32 v11, 31, v10
.LBB688_2:
	s_load_dwordx4 s[8:11], s[4:5], 0x0
	v_lshlrev_b64 v[24:25], 3, v[2:3]
	v_sub_nc_u32_e32 v32, s12, v1
	v_cmp_gt_i32_e32 vcc_lo, s14, v0
	v_mov_b32_e32 v2, 0
	v_mov_b32_e32 v8, 0
	;; [unrolled: 1-line block ×3, first 2 shown]
	v_cmp_lt_i32_e64 s3, 0, v32
	v_mov_b32_e32 v9, 0xfff00000
	s_waitcnt lgkmcnt(0)
	v_add_co_u32 v12, s0, s10, v24
	v_add_co_ci_u32_e64 v13, null, s11, v25, s0
	s_and_b32 s11, s3, vcc_lo
	s_and_saveexec_b32 s0, s11
	s_cbranch_execz .LBB688_4
; %bb.3:
	global_load_dwordx2 v[8:9], v[12:13], off
.LBB688_4:
	s_or_b32 exec_lo, exec_lo, s0
	v_add_nc_u32_e32 v1, 64, v0
	v_cmp_gt_i32_e64 s2, s14, v1
	s_and_b32 s10, s3, s2
	s_and_saveexec_b32 s0, s10
	s_cbranch_execz .LBB688_6
; %bb.5:
	global_load_dwordx2 v[2:3], v[12:13], off offset:512
.LBB688_6:
	s_or_b32 exec_lo, exec_lo, s0
	v_add_nc_u32_e32 v1, 0x80, v0
	v_mov_b32_e32 v6, 0
	v_mov_b32_e32 v4, 0
	;; [unrolled: 1-line block ×4, first 2 shown]
	v_cmp_gt_i32_e64 s1, s14, v1
	s_and_b32 s7, s3, s1
	s_and_saveexec_b32 s0, s7
	s_cbranch_execz .LBB688_8
; %bb.7:
	global_load_dwordx2 v[4:5], v[12:13], off offset:1024
.LBB688_8:
	s_or_b32 exec_lo, exec_lo, s0
	v_add_nc_u32_e32 v0, 0xc0, v0
	v_cmp_gt_i32_e64 s0, s14, v0
	s_and_b32 s6, s3, s0
	s_and_saveexec_b32 s3, s6
	s_cbranch_execz .LBB688_10
; %bb.9:
	global_load_dwordx2 v[6:7], v[12:13], off offset:1536
.LBB688_10:
	s_or_b32 exec_lo, exec_lo, s3
	s_load_dwordx2 s[4:5], s[4:5], 0x20
	s_waitcnt lgkmcnt(0)
	v_add_co_u32 v26, s3, s4, v10
	v_add_co_ci_u32_e64 v27, null, s5, v11, s3
	s_mov_b32 s4, 0
	s_and_saveexec_b32 s5, s11
	s_cbranch_execz .LBB688_12
; %bb.11:
	global_load_ubyte v0, v[26:27], off
	s_waitcnt vmcnt(0)
	v_and_b32_e32 v0, 1, v0
	v_cmp_eq_u32_e64 s3, 1, v0
	s_xor_b32 s3, s3, -1
	s_and_b32 s4, s3, exec_lo
.LBB688_12:
	s_or_b32 exec_lo, exec_lo, s5
	s_waitcnt vmcnt(0)
	v_mov_b32_e32 v0, v8
	v_mov_b32_e32 v1, v9
	s_and_saveexec_b32 s5, s10
	s_cbranch_execz .LBB688_17
; %bb.13:
	global_load_ubyte v0, v[26:27], off offset:64
	s_waitcnt vmcnt(0)
	v_and_b32_e32 v0, 1, v0
	v_cmp_eq_u32_e64 s3, 1, v0
	v_mov_b32_e32 v0, v8
	v_mov_b32_e32 v1, v9
	s_xor_b32 s13, s3, -1
	s_mov_b32 s3, s4
	s_and_saveexec_b32 s12, s13
	s_cbranch_execz .LBB688_15
; %bb.14:
	v_cmp_gt_f64_e64 s3, v[8:9], v[2:3]
	s_and_b32 s3, s4, s3
	v_cndmask_b32_e64 v1, v3, v9, s3
	v_cndmask_b32_e64 v0, v2, v8, s3
	s_or_b32 s3, s4, exec_lo
.LBB688_15:
	s_or_b32 exec_lo, exec_lo, s12
	s_andn2_b32 s4, s4, exec_lo
	s_and_b32 s3, s3, exec_lo
	s_or_b32 s4, s4, s3
	s_or_b32 exec_lo, exec_lo, s5
	s_and_saveexec_b32 s5, s7
	s_cbranch_execnz .LBB688_18
.LBB688_16:
	s_or_b32 exec_lo, exec_lo, s5
	s_xor_b32 s5, s11, -1
	s_and_saveexec_b32 s11, s6
	s_cbranch_execnz .LBB688_21
	s_branch .LBB688_24
.LBB688_17:
	s_or_b32 exec_lo, exec_lo, s5
	s_and_saveexec_b32 s5, s7
	s_cbranch_execz .LBB688_16
.LBB688_18:
	global_load_ubyte v10, v[26:27], off offset:128
	s_waitcnt vmcnt(0)
	v_and_b32_e32 v10, 1, v10
	v_cmp_eq_u32_e64 s3, 1, v10
	s_xor_b32 s13, s3, -1
	s_mov_b32 s3, s4
	s_and_saveexec_b32 s12, s13
	s_cbranch_execz .LBB688_20
; %bb.19:
	v_cmp_gt_f64_e64 s3, v[0:1], v[4:5]
	s_and_b32 s3, s4, s3
	v_cndmask_b32_e64 v1, v5, v1, s3
	v_cndmask_b32_e64 v0, v4, v0, s3
	s_or_b32 s3, s4, exec_lo
.LBB688_20:
	s_or_b32 exec_lo, exec_lo, s12
	s_andn2_b32 s4, s4, exec_lo
	s_and_b32 s3, s3, exec_lo
	s_or_b32 s4, s4, s3
	s_or_b32 exec_lo, exec_lo, s5
	s_xor_b32 s5, s11, -1
	s_and_saveexec_b32 s11, s6
	s_cbranch_execz .LBB688_24
.LBB688_21:
	global_load_ubyte v10, v[26:27], off offset:192
	s_waitcnt vmcnt(0)
	v_and_b32_e32 v10, 1, v10
	v_cmp_eq_u32_e64 s3, 1, v10
	s_xor_b32 s13, s3, -1
	s_mov_b32 s3, s4
	s_and_saveexec_b32 s12, s13
	s_cbranch_execz .LBB688_23
; %bb.22:
	v_cmp_gt_f64_e64 s3, v[0:1], v[6:7]
	s_and_b32 s3, s4, s3
	v_cndmask_b32_e64 v1, v7, v1, s3
	v_cndmask_b32_e64 v0, v6, v0, s3
	s_or_b32 s3, s4, exec_lo
.LBB688_23:
	s_or_b32 exec_lo, exec_lo, s12
	s_andn2_b32 s4, s4, exec_lo
	s_and_b32 s3, s3, exec_lo
	s_or_b32 s4, s4, s3
.LBB688_24:
	s_or_b32 exec_lo, exec_lo, s11
	v_mbcnt_lo_u32_b32 v12, -1, 0
	v_cndmask_b32_e64 v0, 0, v0, s4
	v_cndmask_b32_e64 v1, 0xfff00000, v1, s4
	v_or_b32_e32 v10, 32, v12
	v_xor_b32_e32 v13, 16, v12
	v_cmp_gt_i32_e64 s3, 64, v10
	v_cmp_gt_i32_e64 s4, 64, v13
	v_cndmask_b32_e64 v10, v12, v10, s3
	v_cndmask_b32_e64 v13, v12, v13, s4
	v_lshlrev_b32_e32 v33, 2, v10
	v_lshlrev_b32_e32 v34, 2, v13
	v_xor_b32_e32 v13, 8, v12
	ds_bpermute_b32 v10, v33, v0
	ds_bpermute_b32 v11, v33, v1
	v_cmp_gt_i32_e64 s4, 64, v13
	v_cndmask_b32_e64 v13, v12, v13, s4
	v_lshlrev_b32_e32 v35, 2, v13
	v_xor_b32_e32 v13, 4, v12
	v_cmp_gt_i32_e64 s4, 64, v13
	s_waitcnt lgkmcnt(0)
	v_cmp_lt_f64_e64 s3, v[0:1], v[10:11]
	v_cndmask_b32_e64 v13, v12, v13, s4
	v_lshlrev_b32_e32 v36, 2, v13
	v_xor_b32_e32 v13, 2, v12
	v_cmp_gt_i32_e64 s4, 64, v13
	v_cndmask_b32_e64 v13, v12, v13, s4
	v_cndmask_b32_e64 v1, v1, v11, s3
	;; [unrolled: 1-line block ×3, first 2 shown]
	v_lshlrev_b32_e32 v37, 2, v13
	v_xor_b32_e32 v13, 1, v12
	ds_bpermute_b32 v11, v34, v1
	ds_bpermute_b32 v10, v34, v0
	v_cmp_gt_i32_e64 s4, 64, v13
	v_cndmask_b32_e64 v12, v12, v13, s4
	s_mov_b32 s4, 0
	v_lshlrev_b32_e32 v38, 2, v12
	s_waitcnt lgkmcnt(0)
	v_cmp_lt_f64_e64 s3, v[0:1], v[10:11]
	v_cndmask_b32_e64 v1, v1, v11, s3
	v_cndmask_b32_e64 v0, v0, v10, s3
	ds_bpermute_b32 v11, v35, v1
	ds_bpermute_b32 v10, v35, v0
	s_waitcnt lgkmcnt(0)
	v_cmp_lt_f64_e64 s3, v[0:1], v[10:11]
	v_cndmask_b32_e64 v1, v1, v11, s3
	v_cndmask_b32_e64 v0, v0, v10, s3
	ds_bpermute_b32 v11, v36, v1
	ds_bpermute_b32 v10, v36, v0
	;; [unrolled: 6-line block ×4, first 2 shown]
	s_waitcnt lgkmcnt(0)
	v_cmp_lt_f64_e64 s3, v[0:1], v[10:11]
	v_cndmask_b32_e64 v29, v1, v11, s3
	v_cndmask_b32_e64 v28, v0, v10, s3
	s_and_saveexec_b32 s3, s5
	s_xor_b32 s3, exec_lo, s3
; %bb.25:
	v_mov_b32_e32 v0, s4
	v_mov_b32_e32 v1, s4
                                        ; implicit-def: $vgpr8_vgpr9
; %bb.26:
	s_or_saveexec_b32 s5, s3
	v_mov_b32_e32 v30, 0
	v_mov_b32_e32 v31, 0
	s_xor_b32 s10, s10, -1
	s_xor_b32 exec_lo, exec_lo, s5
	s_cbranch_execz .LBB688_32
; %bb.27:
	global_load_ubyte v0, v[26:27], off
	v_mov_b32_e32 v1, s4
                                        ; implicit-def: $vgpr30_vgpr31
	s_waitcnt vmcnt(0)
	v_and_b32_e32 v0, 1, v0
	v_cmp_eq_u32_e64 s3, 1, v0
	v_mov_b32_e32 v0, s4
	s_xor_b32 s3, s3, -1
	s_and_saveexec_b32 s4, s3
	s_xor_b32 s11, exec_lo, s4
	s_cbranch_execz .LBB688_29
; %bb.28:
	v_add_f64 v[0:1], v[8:9], -v[28:29]
	s_mov_b32 s12, 0x652b82fe
	s_mov_b32 s13, 0x3ff71547
	;; [unrolled: 1-line block ×4, first 2 shown]
	v_mul_f64 v[8:9], v[0:1], s[12:13]
	s_mov_b32 s12, 0xfefa39ef
	s_mov_b32 s13, 0xbfe62e42
	v_cmp_nlt_f64_e64 s3, 0x40900000, v[0:1]
	v_cmp_ngt_f64_e64 s4, 0xc090cc00, v[0:1]
	v_rndne_f64_e32 v[8:9], v[8:9]
	v_fma_f64 v[10:11], v[8:9], s[12:13], v[0:1]
	s_mov_b32 s12, 0x3b39803f
	s_mov_b32 s13, 0xbc7abc9e
	v_cvt_i32_f64_e32 v14, v[8:9]
	v_fma_f64 v[10:11], v[8:9], s[12:13], v[10:11]
	s_mov_b32 s12, 0xfca7ab0c
	s_mov_b32 s13, 0x3e928af3
	v_fma_f64 v[12:13], v[10:11], s[14:15], s[12:13]
	s_mov_b32 s12, 0x623fde64
	s_mov_b32 s13, 0x3ec71dee
	v_fma_f64 v[12:13], v[10:11], v[12:13], s[12:13]
	s_mov_b32 s12, 0x7c89e6b0
	s_mov_b32 s13, 0x3efa0199
	v_fma_f64 v[12:13], v[10:11], v[12:13], s[12:13]
	s_mov_b32 s12, 0x14761f6e
	s_mov_b32 s13, 0x3f2a01a0
	v_fma_f64 v[12:13], v[10:11], v[12:13], s[12:13]
	s_mov_b32 s12, 0x1852b7b0
	s_mov_b32 s13, 0x3f56c16c
	v_fma_f64 v[12:13], v[10:11], v[12:13], s[12:13]
	s_mov_b32 s12, 0x11122322
	s_mov_b32 s13, 0x3f811111
	v_fma_f64 v[12:13], v[10:11], v[12:13], s[12:13]
	s_mov_b32 s12, 0x555502a1
	s_mov_b32 s13, 0x3fa55555
	v_fma_f64 v[12:13], v[10:11], v[12:13], s[12:13]
	s_mov_b32 s12, 0x55555511
	s_mov_b32 s13, 0x3fc55555
	v_fma_f64 v[12:13], v[10:11], v[12:13], s[12:13]
	s_mov_b32 s12, 11
	s_mov_b32 s13, 0x3fe00000
	v_fma_f64 v[12:13], v[10:11], v[12:13], s[12:13]
	v_fma_f64 v[12:13], v[10:11], v[12:13], 1.0
	v_fma_f64 v[8:9], v[10:11], v[12:13], 1.0
	v_ldexp_f64 v[8:9], v[8:9], v14
	v_cndmask_b32_e64 v9, 0x7ff00000, v9, s3
	s_and_b32 s3, s4, s3
	v_cndmask_b32_e64 v0, 0, v8, s3
	v_cndmask_b32_e64 v1, 0, v9, s4
	v_add_f64 v[30:31], v[0:1], 0
.LBB688_29:
	s_andn2_saveexec_b32 s3, s11
; %bb.30:
	v_mov_b32_e32 v30, 0
	v_mov_b32_e32 v31, 0
; %bb.31:
	s_or_b32 exec_lo, exec_lo, s3
.LBB688_32:
	s_or_b32 exec_lo, exec_lo, s5
                                        ; implicit-def: $vgpr16_vgpr17_vgpr18_vgpr19_vgpr20_vgpr21_vgpr22_vgpr23
	s_and_saveexec_b32 s3, s10
	s_xor_b32 s3, exec_lo, s3
	s_cbranch_execz .LBB688_38
; %bb.33:
	s_mov_b32 s4, 0
	v_mov_b32_e32 v2, s4
	v_mov_b32_e32 v3, s4
	;; [unrolled: 1-line block ×10, first 2 shown]
                                        ; implicit-def: $vgpr0_vgpr1_vgpr2_vgpr3_vgpr4_vgpr5_vgpr6_vgpr7
	s_or_saveexec_b32 s10, s3
	s_xor_b32 s5, s7, -1
	s_xor_b32 exec_lo, exec_lo, s10
	s_cbranch_execnz .LBB688_39
.LBB688_34:
	s_or_b32 exec_lo, exec_lo, s10
                                        ; implicit-def: $vgpr8_vgpr9_vgpr10_vgpr11_vgpr12_vgpr13_vgpr14_vgpr15
	s_and_saveexec_b32 s3, s5
	s_xor_b32 s3, exec_lo, s3
	s_cbranch_execz .LBB688_42
.LBB688_35:
	s_mov_b32 s4, 0
	v_mov_b32_e32 v20, s4
	v_mov_b32_e32 v21, s4
	;; [unrolled: 1-line block ×10, first 2 shown]
                                        ; implicit-def: $vgpr16_vgpr17_vgpr18_vgpr19_vgpr20_vgpr21_vgpr22_vgpr23
	s_or_saveexec_b32 s7, s3
	s_xor_b32 s5, s6, -1
	s_xor_b32 exec_lo, exec_lo, s7
	s_cbranch_execnz .LBB688_43
.LBB688_36:
	s_or_b32 exec_lo, exec_lo, s7
                                        ; implicit-def: $vgpr0_vgpr1_vgpr2_vgpr3_vgpr4_vgpr5_vgpr6_vgpr7
	s_and_saveexec_b32 s3, s5
	s_xor_b32 s3, exec_lo, s3
	s_cbranch_execz .LBB688_46
.LBB688_37:
	s_mov_b32 s4, 0
                                        ; implicit-def: $vgpr26_vgpr27
                                        ; implicit-def: $vgpr28_vgpr29
	v_mov_b32_e32 v14, s4
	v_mov_b32_e32 v15, s4
	;; [unrolled: 1-line block ×10, first 2 shown]
                                        ; implicit-def: $vgpr8_vgpr9_vgpr10_vgpr11_vgpr12_vgpr13_vgpr14_vgpr15
	s_andn2_saveexec_b32 s5, s3
	s_cbranch_execz .LBB688_50
	s_branch .LBB688_47
.LBB688_38:
	s_or_saveexec_b32 s10, s3
	s_xor_b32 s5, s7, -1
	s_xor_b32 exec_lo, exec_lo, s10
	s_cbranch_execz .LBB688_34
.LBB688_39:
	global_load_ubyte v8, v[26:27], off offset:64
	s_mov_b32 s4, 0
	v_mov_b32_e32 v23, v7
	v_mov_b32_e32 v19, v3
	;; [unrolled: 1-line block ×10, first 2 shown]
	s_waitcnt vmcnt(0)
	v_and_b32_e32 v8, 1, v8
	v_cmp_eq_u32_e64 s3, 1, v8
	s_xor_b32 s3, s3, -1
	s_and_saveexec_b32 s4, s3
	s_xor_b32 s7, exec_lo, s4
	s_cbranch_execz .LBB688_41
; %bb.40:
	v_add_f64 v[2:3], v[2:3], -v[28:29]
	s_mov_b32 s12, 0x652b82fe
	s_mov_b32 s13, 0x3ff71547
	;; [unrolled: 1-line block ×4, first 2 shown]
	v_mul_f64 v[8:9], v[2:3], s[12:13]
	s_mov_b32 s12, 0xfefa39ef
	s_mov_b32 s13, 0xbfe62e42
	v_cmp_nlt_f64_e64 s3, 0x40900000, v[2:3]
	v_cmp_ngt_f64_e64 s4, 0xc090cc00, v[2:3]
	v_rndne_f64_e32 v[8:9], v[8:9]
	v_fma_f64 v[10:11], v[8:9], s[12:13], v[2:3]
	s_mov_b32 s12, 0x3b39803f
	s_mov_b32 s13, 0xbc7abc9e
	v_cvt_i32_f64_e32 v14, v[8:9]
	v_fma_f64 v[10:11], v[8:9], s[12:13], v[10:11]
	s_mov_b32 s12, 0xfca7ab0c
	s_mov_b32 s13, 0x3e928af3
	v_fma_f64 v[12:13], v[10:11], s[14:15], s[12:13]
	s_mov_b32 s12, 0x623fde64
	s_mov_b32 s13, 0x3ec71dee
	;; [unrolled: 3-line block ×9, first 2 shown]
	v_fma_f64 v[12:13], v[10:11], v[12:13], s[12:13]
	v_fma_f64 v[12:13], v[10:11], v[12:13], 1.0
	v_fma_f64 v[8:9], v[10:11], v[12:13], 1.0
	v_ldexp_f64 v[8:9], v[8:9], v14
	v_cndmask_b32_e64 v9, 0x7ff00000, v9, s3
	s_and_b32 s3, s4, s3
	v_cndmask_b32_e64 v2, 0, v8, s3
	v_cndmask_b32_e64 v3, 0, v9, s4
	v_mov_b32_e32 v23, v7
	v_mov_b32_e32 v22, v6
	;; [unrolled: 1-line block ×4, first 2 shown]
	v_add_f64 v[30:31], v[30:31], v[2:3]
	v_mov_b32_e32 v19, v3
	v_mov_b32_e32 v18, v2
	;; [unrolled: 1-line block ×4, first 2 shown]
.LBB688_41:
	s_andn2_saveexec_b32 s3, s7
	s_or_b32 exec_lo, exec_lo, s3
	s_or_b32 exec_lo, exec_lo, s10
                                        ; implicit-def: $vgpr8_vgpr9_vgpr10_vgpr11_vgpr12_vgpr13_vgpr14_vgpr15
	s_and_saveexec_b32 s3, s5
	s_xor_b32 s3, exec_lo, s3
	s_cbranch_execnz .LBB688_35
.LBB688_42:
	s_or_saveexec_b32 s7, s3
	s_xor_b32 s5, s6, -1
	s_xor_b32 exec_lo, exec_lo, s7
	s_cbranch_execz .LBB688_36
.LBB688_43:
	global_load_ubyte v0, v[26:27], off offset:128
	s_mov_b32 s4, 0
	v_mov_b32_e32 v8, v16
	v_mov_b32_e32 v12, v20
	;; [unrolled: 1-line block ×10, first 2 shown]
	s_waitcnt vmcnt(0)
	v_and_b32_e32 v0, 1, v0
	v_cmp_eq_u32_e64 s3, 1, v0
	s_xor_b32 s3, s3, -1
	s_and_saveexec_b32 s4, s3
	s_xor_b32 s6, exec_lo, s4
	s_cbranch_execz .LBB688_45
; %bb.44:
	v_add_f64 v[0:1], v[20:21], -v[28:29]
	s_mov_b32 s10, 0x652b82fe
	s_mov_b32 s11, 0x3ff71547
	s_mov_b32 s12, 0x6a5dcb37
	s_mov_b32 s13, 0x3e5ade15
	v_mul_f64 v[2:3], v[0:1], s[10:11]
	s_mov_b32 s10, 0xfefa39ef
	s_mov_b32 s11, 0xbfe62e42
	v_cmp_nlt_f64_e64 s3, 0x40900000, v[0:1]
	v_cmp_ngt_f64_e64 s4, 0xc090cc00, v[0:1]
	v_rndne_f64_e32 v[2:3], v[2:3]
	v_fma_f64 v[4:5], v[2:3], s[10:11], v[0:1]
	s_mov_b32 s10, 0x3b39803f
	s_mov_b32 s11, 0xbc7abc9e
	v_cvt_i32_f64_e32 v8, v[2:3]
	v_fma_f64 v[4:5], v[2:3], s[10:11], v[4:5]
	s_mov_b32 s10, 0xfca7ab0c
	s_mov_b32 s11, 0x3e928af3
	v_fma_f64 v[6:7], v[4:5], s[12:13], s[10:11]
	s_mov_b32 s10, 0x623fde64
	s_mov_b32 s11, 0x3ec71dee
	v_fma_f64 v[6:7], v[4:5], v[6:7], s[10:11]
	s_mov_b32 s10, 0x7c89e6b0
	s_mov_b32 s11, 0x3efa0199
	v_fma_f64 v[6:7], v[4:5], v[6:7], s[10:11]
	s_mov_b32 s10, 0x14761f6e
	s_mov_b32 s11, 0x3f2a01a0
	v_fma_f64 v[6:7], v[4:5], v[6:7], s[10:11]
	s_mov_b32 s10, 0x1852b7b0
	s_mov_b32 s11, 0x3f56c16c
	v_fma_f64 v[6:7], v[4:5], v[6:7], s[10:11]
	s_mov_b32 s10, 0x11122322
	s_mov_b32 s11, 0x3f811111
	v_fma_f64 v[6:7], v[4:5], v[6:7], s[10:11]
	s_mov_b32 s10, 0x555502a1
	s_mov_b32 s11, 0x3fa55555
	v_fma_f64 v[6:7], v[4:5], v[6:7], s[10:11]
	s_mov_b32 s10, 0x55555511
	s_mov_b32 s11, 0x3fc55555
	v_fma_f64 v[6:7], v[4:5], v[6:7], s[10:11]
	s_mov_b32 s10, 11
	s_mov_b32 s11, 0x3fe00000
	v_fma_f64 v[6:7], v[4:5], v[6:7], s[10:11]
	v_fma_f64 v[6:7], v[4:5], v[6:7], 1.0
	v_fma_f64 v[2:3], v[4:5], v[6:7], 1.0
	v_ldexp_f64 v[2:3], v[2:3], v8
	v_cndmask_b32_e64 v3, 0x7ff00000, v3, s3
	s_and_b32 s3, s4, s3
	v_cndmask_b32_e64 v20, 0, v2, s3
	v_cndmask_b32_e64 v21, 0, v3, s4
	v_mov_b32_e32 v8, v16
	v_mov_b32_e32 v9, v17
	;; [unrolled: 1-line block ×4, first 2 shown]
	v_add_f64 v[30:31], v[30:31], v[20:21]
	v_mov_b32_e32 v12, v20
	v_mov_b32_e32 v13, v21
	;; [unrolled: 1-line block ×4, first 2 shown]
.LBB688_45:
	s_andn2_saveexec_b32 s3, s6
	s_or_b32 exec_lo, exec_lo, s3
	s_or_b32 exec_lo, exec_lo, s7
                                        ; implicit-def: $vgpr0_vgpr1_vgpr2_vgpr3_vgpr4_vgpr5_vgpr6_vgpr7
	s_and_saveexec_b32 s3, s5
	s_xor_b32 s3, exec_lo, s3
	s_cbranch_execnz .LBB688_37
.LBB688_46:
	s_andn2_saveexec_b32 s5, s3
	s_cbranch_execz .LBB688_50
.LBB688_47:
	global_load_ubyte v0, v[26:27], off offset:192
	s_mov_b32 s4, 0
	s_waitcnt vmcnt(0)
	v_and_b32_e32 v0, 1, v0
	v_cmp_eq_u32_e64 s3, 1, v0
	v_mov_b32_e32 v0, v8
	v_mov_b32_e32 v6, v14
	;; [unrolled: 1-line block ×10, first 2 shown]
	s_xor_b32 s3, s3, -1
	s_and_saveexec_b32 s4, s3
	s_xor_b32 s6, exec_lo, s4
	s_cbranch_execz .LBB688_49
; %bb.48:
	v_add_f64 v[0:1], v[14:15], -v[28:29]
	s_mov_b32 s10, 0x652b82fe
	s_mov_b32 s11, 0x3ff71547
	;; [unrolled: 1-line block ×4, first 2 shown]
	v_mul_f64 v[2:3], v[0:1], s[10:11]
	s_mov_b32 s10, 0xfefa39ef
	s_mov_b32 s11, 0xbfe62e42
	v_cmp_nlt_f64_e64 s3, 0x40900000, v[0:1]
	v_cmp_ngt_f64_e64 s4, 0xc090cc00, v[0:1]
	v_rndne_f64_e32 v[2:3], v[2:3]
	v_fma_f64 v[4:5], v[2:3], s[10:11], v[0:1]
	s_mov_b32 s10, 0x3b39803f
	s_mov_b32 s11, 0xbc7abc9e
	v_cvt_i32_f64_e32 v14, v[2:3]
	v_fma_f64 v[4:5], v[2:3], s[10:11], v[4:5]
	s_mov_b32 s10, 0xfca7ab0c
	s_mov_b32 s11, 0x3e928af3
	v_fma_f64 v[6:7], v[4:5], s[12:13], s[10:11]
	s_mov_b32 s10, 0x623fde64
	s_mov_b32 s11, 0x3ec71dee
	;; [unrolled: 3-line block ×9, first 2 shown]
	v_fma_f64 v[6:7], v[4:5], v[6:7], s[10:11]
	v_fma_f64 v[6:7], v[4:5], v[6:7], 1.0
	v_fma_f64 v[2:3], v[4:5], v[6:7], 1.0
	v_ldexp_f64 v[2:3], v[2:3], v14
	v_cndmask_b32_e64 v3, 0x7ff00000, v3, s3
	s_and_b32 s3, s4, s3
	v_cndmask_b32_e64 v14, 0, v2, s3
	v_cndmask_b32_e64 v15, 0, v3, s4
	v_mov_b32_e32 v0, v8
	v_mov_b32_e32 v1, v9
	;; [unrolled: 1-line block ×4, first 2 shown]
	v_add_f64 v[30:31], v[30:31], v[14:15]
	v_mov_b32_e32 v4, v12
	v_mov_b32_e32 v5, v13
	;; [unrolled: 1-line block ×4, first 2 shown]
.LBB688_49:
	s_andn2_saveexec_b32 s3, s6
	s_or_b32 exec_lo, exec_lo, s3
.LBB688_50:
	s_or_b32 exec_lo, exec_lo, s5
	ds_bpermute_b32 v8, v33, v30
	ds_bpermute_b32 v9, v33, v31
	s_mov_b32 s4, exec_lo
	s_waitcnt lgkmcnt(0)
	v_add_f64 v[8:9], v[30:31], v[8:9]
	ds_bpermute_b32 v10, v34, v8
	ds_bpermute_b32 v11, v34, v9
	s_waitcnt lgkmcnt(0)
	v_add_f64 v[8:9], v[8:9], v[10:11]
	ds_bpermute_b32 v10, v35, v8
	ds_bpermute_b32 v11, v35, v9
	;; [unrolled: 4-line block ×5, first 2 shown]
	v_cmpx_lt_i32_e32 0, v32
	s_cbranch_execz .LBB688_64
; %bb.51:
	s_and_b32 exec_lo, exec_lo, vcc_lo
	s_cbranch_execz .LBB688_64
; %bb.52:
	s_waitcnt lgkmcnt(0)
	v_add_f64 v[8:9], v[8:9], v[10:11]
	v_mov_b32_e32 v10, 0
	v_mov_b32_e32 v11, 0x7ff80000
	v_cmp_neq_f64_e64 s3, 0, v[8:9]
	s_and_saveexec_b32 s4, s3
	s_cbranch_execz .LBB688_54
; %bb.53:
	v_div_scale_f64 v[10:11], null, v[8:9], v[8:9], v[0:1]
	v_rcp_f64_e32 v[12:13], v[10:11]
	v_fma_f64 v[14:15], -v[10:11], v[12:13], 1.0
	v_fma_f64 v[12:13], v[12:13], v[14:15], v[12:13]
	v_fma_f64 v[14:15], -v[10:11], v[12:13], 1.0
	v_fma_f64 v[12:13], v[12:13], v[14:15], v[12:13]
	v_div_scale_f64 v[14:15], vcc_lo, v[0:1], v[8:9], v[0:1]
	v_mul_f64 v[16:17], v[14:15], v[12:13]
	v_fma_f64 v[10:11], -v[10:11], v[16:17], v[14:15]
	v_div_fmas_f64 v[10:11], v[10:11], v[12:13], v[16:17]
	v_div_fixup_f64 v[10:11], v[10:11], v[8:9], v[0:1]
.LBB688_54:
	s_or_b32 exec_lo, exec_lo, s4
	v_add_co_u32 v0, vcc_lo, s8, v24
	v_add_co_ci_u32_e64 v1, null, s9, v25, vcc_lo
	global_store_dwordx2 v[0:1], v[10:11], off
	s_and_b32 exec_lo, exec_lo, s2
	s_cbranch_execz .LBB688_64
; %bb.55:
	v_mov_b32_e32 v10, 0
	v_mov_b32_e32 v11, 0x7ff80000
	s_and_saveexec_b32 s2, s3
	s_cbranch_execz .LBB688_57
; %bb.56:
	v_div_scale_f64 v[10:11], null, v[8:9], v[8:9], v[2:3]
	v_rcp_f64_e32 v[12:13], v[10:11]
	v_fma_f64 v[14:15], -v[10:11], v[12:13], 1.0
	v_fma_f64 v[12:13], v[12:13], v[14:15], v[12:13]
	v_fma_f64 v[14:15], -v[10:11], v[12:13], 1.0
	v_fma_f64 v[12:13], v[12:13], v[14:15], v[12:13]
	v_div_scale_f64 v[14:15], vcc_lo, v[2:3], v[8:9], v[2:3]
	v_mul_f64 v[16:17], v[14:15], v[12:13]
	v_fma_f64 v[10:11], -v[10:11], v[16:17], v[14:15]
	v_div_fmas_f64 v[10:11], v[10:11], v[12:13], v[16:17]
	v_div_fixup_f64 v[10:11], v[10:11], v[8:9], v[2:3]
.LBB688_57:
	s_or_b32 exec_lo, exec_lo, s2
	global_store_dwordx2 v[0:1], v[10:11], off offset:512
	s_and_b32 exec_lo, exec_lo, s1
	s_cbranch_execz .LBB688_64
; %bb.58:
	v_mov_b32_e32 v2, 0
	v_mov_b32_e32 v3, 0x7ff80000
	s_and_saveexec_b32 s1, s3
	s_cbranch_execz .LBB688_60
; %bb.59:
	v_div_scale_f64 v[2:3], null, v[8:9], v[8:9], v[4:5]
	v_rcp_f64_e32 v[10:11], v[2:3]
	v_fma_f64 v[12:13], -v[2:3], v[10:11], 1.0
	v_fma_f64 v[10:11], v[10:11], v[12:13], v[10:11]
	v_fma_f64 v[12:13], -v[2:3], v[10:11], 1.0
	v_fma_f64 v[10:11], v[10:11], v[12:13], v[10:11]
	v_div_scale_f64 v[12:13], vcc_lo, v[4:5], v[8:9], v[4:5]
	v_mul_f64 v[14:15], v[12:13], v[10:11]
	v_fma_f64 v[2:3], -v[2:3], v[14:15], v[12:13]
	v_div_fmas_f64 v[2:3], v[2:3], v[10:11], v[14:15]
	v_div_fixup_f64 v[2:3], v[2:3], v[8:9], v[4:5]
.LBB688_60:
	s_or_b32 exec_lo, exec_lo, s1
	global_store_dwordx2 v[0:1], v[2:3], off offset:1024
	;; [unrolled: 22-line block ×3, first 2 shown]
.LBB688_64:
	s_endpgm
	.section	.rodata,"a",@progbits
	.p2align	6, 0x0
	.amdhsa_kernel _ZN12_GLOBAL__N_120softmax_warp_forwardIdddLi8ELb0ELb1ELi64EEEvPT0_PKT_iiiPKbib
		.amdhsa_group_segment_fixed_size 0
		.amdhsa_private_segment_fixed_size 0
		.amdhsa_kernarg_size 304
		.amdhsa_user_sgpr_count 6
		.amdhsa_user_sgpr_private_segment_buffer 1
		.amdhsa_user_sgpr_dispatch_ptr 0
		.amdhsa_user_sgpr_queue_ptr 0
		.amdhsa_user_sgpr_kernarg_segment_ptr 1
		.amdhsa_user_sgpr_dispatch_id 0
		.amdhsa_user_sgpr_flat_scratch_init 0
		.amdhsa_user_sgpr_private_segment_size 0
		.amdhsa_wavefront_size32 1
		.amdhsa_uses_dynamic_stack 0
		.amdhsa_system_sgpr_private_segment_wavefront_offset 0
		.amdhsa_system_sgpr_workgroup_id_x 1
		.amdhsa_system_sgpr_workgroup_id_y 0
		.amdhsa_system_sgpr_workgroup_id_z 0
		.amdhsa_system_sgpr_workgroup_info 0
		.amdhsa_system_vgpr_workitem_id 1
		.amdhsa_next_free_vgpr 39
		.amdhsa_next_free_sgpr 16
		.amdhsa_reserve_vcc 1
		.amdhsa_reserve_flat_scratch 0
		.amdhsa_float_round_mode_32 0
		.amdhsa_float_round_mode_16_64 0
		.amdhsa_float_denorm_mode_32 3
		.amdhsa_float_denorm_mode_16_64 3
		.amdhsa_dx10_clamp 1
		.amdhsa_ieee_mode 1
		.amdhsa_fp16_overflow 0
		.amdhsa_workgroup_processor_mode 1
		.amdhsa_memory_ordered 1
		.amdhsa_forward_progress 1
		.amdhsa_shared_vgpr_count 0
		.amdhsa_exception_fp_ieee_invalid_op 0
		.amdhsa_exception_fp_denorm_src 0
		.amdhsa_exception_fp_ieee_div_zero 0
		.amdhsa_exception_fp_ieee_overflow 0
		.amdhsa_exception_fp_ieee_underflow 0
		.amdhsa_exception_fp_ieee_inexact 0
		.amdhsa_exception_int_div_zero 0
	.end_amdhsa_kernel
	.section	.text._ZN12_GLOBAL__N_120softmax_warp_forwardIdddLi8ELb0ELb1ELi64EEEvPT0_PKT_iiiPKbib,"axG",@progbits,_ZN12_GLOBAL__N_120softmax_warp_forwardIdddLi8ELb0ELb1ELi64EEEvPT0_PKT_iiiPKbib,comdat
.Lfunc_end688:
	.size	_ZN12_GLOBAL__N_120softmax_warp_forwardIdddLi8ELb0ELb1ELi64EEEvPT0_PKT_iiiPKbib, .Lfunc_end688-_ZN12_GLOBAL__N_120softmax_warp_forwardIdddLi8ELb0ELb1ELi64EEEvPT0_PKT_iiiPKbib
                                        ; -- End function
	.set _ZN12_GLOBAL__N_120softmax_warp_forwardIdddLi8ELb0ELb1ELi64EEEvPT0_PKT_iiiPKbib.num_vgpr, 39
	.set _ZN12_GLOBAL__N_120softmax_warp_forwardIdddLi8ELb0ELb1ELi64EEEvPT0_PKT_iiiPKbib.num_agpr, 0
	.set _ZN12_GLOBAL__N_120softmax_warp_forwardIdddLi8ELb0ELb1ELi64EEEvPT0_PKT_iiiPKbib.numbered_sgpr, 16
	.set _ZN12_GLOBAL__N_120softmax_warp_forwardIdddLi8ELb0ELb1ELi64EEEvPT0_PKT_iiiPKbib.num_named_barrier, 0
	.set _ZN12_GLOBAL__N_120softmax_warp_forwardIdddLi8ELb0ELb1ELi64EEEvPT0_PKT_iiiPKbib.private_seg_size, 0
	.set _ZN12_GLOBAL__N_120softmax_warp_forwardIdddLi8ELb0ELb1ELi64EEEvPT0_PKT_iiiPKbib.uses_vcc, 1
	.set _ZN12_GLOBAL__N_120softmax_warp_forwardIdddLi8ELb0ELb1ELi64EEEvPT0_PKT_iiiPKbib.uses_flat_scratch, 0
	.set _ZN12_GLOBAL__N_120softmax_warp_forwardIdddLi8ELb0ELb1ELi64EEEvPT0_PKT_iiiPKbib.has_dyn_sized_stack, 0
	.set _ZN12_GLOBAL__N_120softmax_warp_forwardIdddLi8ELb0ELb1ELi64EEEvPT0_PKT_iiiPKbib.has_recursion, 0
	.set _ZN12_GLOBAL__N_120softmax_warp_forwardIdddLi8ELb0ELb1ELi64EEEvPT0_PKT_iiiPKbib.has_indirect_call, 0
	.section	.AMDGPU.csdata,"",@progbits
; Kernel info:
; codeLenInByte = 4424
; TotalNumSgprs: 18
; NumVgprs: 39
; ScratchSize: 0
; MemoryBound: 1
; FloatMode: 240
; IeeeMode: 1
; LDSByteSize: 0 bytes/workgroup (compile time only)
; SGPRBlocks: 0
; VGPRBlocks: 4
; NumSGPRsForWavesPerEU: 18
; NumVGPRsForWavesPerEU: 39
; Occupancy: 16
; WaveLimiterHint : 0
; COMPUTE_PGM_RSRC2:SCRATCH_EN: 0
; COMPUTE_PGM_RSRC2:USER_SGPR: 6
; COMPUTE_PGM_RSRC2:TRAP_HANDLER: 0
; COMPUTE_PGM_RSRC2:TGID_X_EN: 1
; COMPUTE_PGM_RSRC2:TGID_Y_EN: 0
; COMPUTE_PGM_RSRC2:TGID_Z_EN: 0
; COMPUTE_PGM_RSRC2:TIDIG_COMP_CNT: 1
	.section	.text._ZN12_GLOBAL__N_120softmax_warp_forwardIdddLi8ELb0ELb1ELi32EEEvPT0_PKT_iiiPKbib,"axG",@progbits,_ZN12_GLOBAL__N_120softmax_warp_forwardIdddLi8ELb0ELb1ELi32EEEvPT0_PKT_iiiPKbib,comdat
	.globl	_ZN12_GLOBAL__N_120softmax_warp_forwardIdddLi8ELb0ELb1ELi32EEEvPT0_PKT_iiiPKbib ; -- Begin function _ZN12_GLOBAL__N_120softmax_warp_forwardIdddLi8ELb0ELb1ELi32EEEvPT0_PKT_iiiPKbib
	.p2align	8
	.type	_ZN12_GLOBAL__N_120softmax_warp_forwardIdddLi8ELb0ELb1ELi32EEEvPT0_PKT_iiiPKbib,@function
_ZN12_GLOBAL__N_120softmax_warp_forwardIdddLi8ELb0ELb1ELi32EEEvPT0_PKT_iiiPKbib: ; @_ZN12_GLOBAL__N_120softmax_warp_forwardIdddLi8ELb0ELb1ELi32EEEvPT0_PKT_iiiPKbib
; %bb.0:
	s_clause 0x1
	s_load_dword s0, s[4:5], 0x3c
	s_load_dwordx4 s[8:11], s[4:5], 0x10
	s_waitcnt lgkmcnt(0)
	s_lshr_b32 s0, s0, 16
	v_mad_u64_u32 v[1:2], null, s6, s0, v[1:2]
	s_load_dwordx2 s[0:1], s[4:5], 0x28
	v_mul_lo_u32 v4, v1, s9
	v_add_nc_u32_e32 v2, v4, v0
	v_ashrrev_i32_e32 v3, 31, v2
	s_waitcnt lgkmcnt(0)
	s_bitcmp0_b32 s1, 0
	v_mov_b32_e32 v19, v3
	v_mov_b32_e32 v18, v2
	s_cbranch_scc1 .LBB689_2
; %bb.1:
	s_abs_i32 s1, s0
	v_sub_nc_u32_e32 v7, 0, v4
	v_cvt_f32_u32_e32 v5, s1
	s_sub_i32 s2, 0, s1
	v_max_i32_e32 v7, v4, v7
	v_rcp_iflag_f32_e32 v5, v5
	v_xor_b32_e32 v4, s0, v4
	v_ashrrev_i32_e32 v4, 31, v4
	v_mul_f32_e32 v5, 0x4f7ffffe, v5
	v_cvt_u32_f32_e32 v5, v5
	v_mul_lo_u32 v6, s2, v5
	v_mul_hi_u32 v6, v5, v6
	v_add_nc_u32_e32 v5, v5, v6
	v_mul_hi_u32 v5, v7, v5
	v_mul_lo_u32 v6, v5, s1
	v_sub_nc_u32_e32 v6, v7, v6
	v_add_nc_u32_e32 v7, 1, v5
	v_subrev_nc_u32_e32 v8, s1, v6
	v_cmp_le_u32_e32 vcc_lo, s1, v6
	v_cndmask_b32_e32 v5, v5, v7, vcc_lo
	v_cndmask_b32_e32 v6, v6, v8, vcc_lo
	v_add_nc_u32_e32 v7, 1, v5
	v_cmp_le_u32_e32 vcc_lo, s1, v6
	v_cndmask_b32_e32 v5, v5, v7, vcc_lo
	v_xor_b32_e32 v5, v5, v4
	v_sub_nc_u32_e32 v4, v5, v4
	v_mad_u64_u32 v[18:19], null, v4, s9, v[0:1]
	v_ashrrev_i32_e32 v19, 31, v18
.LBB689_2:
	s_load_dwordx4 s[12:15], s[4:5], 0x0
	v_lshlrev_b64 v[48:49], 3, v[2:3]
	v_sub_nc_u32_e32 v56, s8, v1
	v_cmp_gt_i32_e32 vcc_lo, s10, v0
	v_mov_b32_e32 v2, 0
	v_mov_b32_e32 v16, 0
	;; [unrolled: 1-line block ×3, first 2 shown]
	v_cmp_lt_i32_e64 s9, 0, v56
	v_mov_b32_e32 v17, 0xfff00000
	s_and_b32 s19, s9, vcc_lo
	s_waitcnt lgkmcnt(0)
	v_add_co_u32 v20, s0, s14, v48
	v_add_co_ci_u32_e64 v21, null, s15, v49, s0
	s_and_saveexec_b32 s0, s19
	s_cbranch_execz .LBB689_4
; %bb.3:
	global_load_dwordx2 v[16:17], v[20:21], off
.LBB689_4:
	s_or_b32 exec_lo, exec_lo, s0
	v_add_nc_u32_e32 v1, 32, v0
	v_cmp_gt_i32_e64 s8, s10, v1
	s_and_b32 s18, s9, s8
	s_and_saveexec_b32 s0, s18
	s_cbranch_execz .LBB689_6
; %bb.5:
	global_load_dwordx2 v[2:3], v[20:21], off offset:256
.LBB689_6:
	s_or_b32 exec_lo, exec_lo, s0
	v_add_nc_u32_e32 v1, 64, v0
	v_mov_b32_e32 v6, 0
	v_mov_b32_e32 v4, 0
	v_mov_b32_e32 v7, 0xfff00000
	v_mov_b32_e32 v5, 0xfff00000
	v_cmp_gt_i32_e64 s7, s10, v1
	s_and_b32 s17, s9, s7
	s_and_saveexec_b32 s0, s17
	s_cbranch_execz .LBB689_8
; %bb.7:
	global_load_dwordx2 v[4:5], v[20:21], off offset:512
.LBB689_8:
	s_or_b32 exec_lo, exec_lo, s0
	v_add_nc_u32_e32 v1, 0x60, v0
	v_cmp_gt_i32_e64 s6, s10, v1
	s_and_b32 s16, s9, s6
	s_and_saveexec_b32 s0, s16
	s_cbranch_execz .LBB689_10
; %bb.9:
	global_load_dwordx2 v[6:7], v[20:21], off offset:768
.LBB689_10:
	s_or_b32 exec_lo, exec_lo, s0
	v_add_nc_u32_e32 v1, 0x80, v0
	v_mov_b32_e32 v10, 0
	v_mov_b32_e32 v8, 0
	v_mov_b32_e32 v11, 0xfff00000
	v_mov_b32_e32 v9, 0xfff00000
	v_cmp_gt_i32_e64 s3, s10, v1
	s_and_b32 s15, s9, s3
	s_and_saveexec_b32 s0, s15
	s_cbranch_execz .LBB689_12
; %bb.11:
	global_load_dwordx2 v[8:9], v[20:21], off offset:1024
.LBB689_12:
	;; [unrolled: 22-line block ×3, first 2 shown]
	s_or_b32 exec_lo, exec_lo, s0
	v_add_nc_u32_e32 v0, 0xe0, v0
	v_cmp_gt_i32_e64 s0, s10, v0
	s_and_b32 s9, s9, s0
	s_and_saveexec_b32 s10, s9
	s_cbranch_execz .LBB689_18
; %bb.17:
	global_load_dwordx2 v[14:15], v[20:21], off offset:1792
.LBB689_18:
	s_or_b32 exec_lo, exec_lo, s10
	s_load_dwordx2 s[4:5], s[4:5], 0x20
	s_waitcnt lgkmcnt(0)
	v_add_co_u32 v50, s4, s4, v18
	v_add_co_ci_u32_e64 v51, null, s5, v19, s4
	s_mov_b32 s5, 0
	s_and_saveexec_b32 s10, s19
	s_cbranch_execz .LBB689_20
; %bb.19:
	global_load_ubyte v0, v[50:51], off
	s_waitcnt vmcnt(0)
	v_and_b32_e32 v0, 1, v0
	v_cmp_eq_u32_e64 s4, 1, v0
	s_xor_b32 s4, s4, -1
	s_and_b32 s5, s4, exec_lo
.LBB689_20:
	s_or_b32 exec_lo, exec_lo, s10
	s_waitcnt vmcnt(0)
	v_mov_b32_e32 v0, v16
	v_mov_b32_e32 v1, v17
	s_and_saveexec_b32 s10, s18
	s_cbranch_execz .LBB689_33
; %bb.21:
	global_load_ubyte v0, v[50:51], off offset:32
	s_waitcnt vmcnt(0)
	v_and_b32_e32 v0, 1, v0
	v_cmp_eq_u32_e64 s4, 1, v0
	v_mov_b32_e32 v0, v16
	v_mov_b32_e32 v1, v17
	s_xor_b32 s21, s4, -1
	s_mov_b32 s4, s5
	s_and_saveexec_b32 s20, s21
	s_cbranch_execz .LBB689_23
; %bb.22:
	v_cmp_gt_f64_e64 s4, v[16:17], v[2:3]
	s_and_b32 s4, s5, s4
	v_cndmask_b32_e64 v1, v3, v17, s4
	v_cndmask_b32_e64 v0, v2, v16, s4
	s_or_b32 s4, s5, exec_lo
.LBB689_23:
	s_or_b32 exec_lo, exec_lo, s20
	s_andn2_b32 s5, s5, exec_lo
	s_and_b32 s4, s4, exec_lo
	s_or_b32 s5, s5, s4
	s_or_b32 exec_lo, exec_lo, s10
	s_and_saveexec_b32 s10, s17
	s_cbranch_execnz .LBB689_34
.LBB689_24:
	s_or_b32 exec_lo, exec_lo, s10
	s_and_saveexec_b32 s10, s16
	s_cbranch_execz .LBB689_37
.LBB689_25:
	global_load_ubyte v18, v[50:51], off offset:96
	s_waitcnt vmcnt(0)
	v_and_b32_e32 v18, 1, v18
	v_cmp_eq_u32_e64 s4, 1, v18
	s_xor_b32 s21, s4, -1
	s_mov_b32 s4, s5
	s_and_saveexec_b32 s20, s21
	s_cbranch_execz .LBB689_27
; %bb.26:
	v_cmp_gt_f64_e64 s4, v[0:1], v[6:7]
	s_and_b32 s4, s5, s4
	v_cndmask_b32_e64 v1, v7, v1, s4
	v_cndmask_b32_e64 v0, v6, v0, s4
	s_or_b32 s4, s5, exec_lo
.LBB689_27:
	s_or_b32 exec_lo, exec_lo, s20
	s_andn2_b32 s5, s5, exec_lo
	s_and_b32 s4, s4, exec_lo
	s_or_b32 s5, s5, s4
	s_or_b32 exec_lo, exec_lo, s10
	s_and_saveexec_b32 s10, s15
	s_cbranch_execnz .LBB689_38
.LBB689_28:
	s_or_b32 exec_lo, exec_lo, s10
	s_and_saveexec_b32 s10, s14
	s_cbranch_execz .LBB689_41
.LBB689_29:
	global_load_ubyte v18, v[50:51], off offset:160
	s_waitcnt vmcnt(0)
	v_and_b32_e32 v18, 1, v18
	v_cmp_eq_u32_e64 s4, 1, v18
	s_xor_b32 s21, s4, -1
	s_mov_b32 s4, s5
	s_and_saveexec_b32 s20, s21
	s_cbranch_execz .LBB689_31
; %bb.30:
	v_cmp_gt_f64_e64 s4, v[0:1], v[10:11]
	s_and_b32 s4, s5, s4
	v_cndmask_b32_e64 v1, v11, v1, s4
	v_cndmask_b32_e64 v0, v10, v0, s4
	s_or_b32 s4, s5, exec_lo
.LBB689_31:
	s_or_b32 exec_lo, exec_lo, s20
	s_andn2_b32 s5, s5, exec_lo
	s_and_b32 s4, s4, exec_lo
	s_or_b32 s5, s5, s4
	s_or_b32 exec_lo, exec_lo, s10
	s_and_saveexec_b32 s10, s11
	s_cbranch_execnz .LBB689_42
.LBB689_32:
	s_or_b32 exec_lo, exec_lo, s10
	s_xor_b32 s10, s19, -1
	s_and_saveexec_b32 s19, s9
	s_cbranch_execnz .LBB689_45
	s_branch .LBB689_48
.LBB689_33:
	s_or_b32 exec_lo, exec_lo, s10
	s_and_saveexec_b32 s10, s17
	s_cbranch_execz .LBB689_24
.LBB689_34:
	global_load_ubyte v18, v[50:51], off offset:64
	s_waitcnt vmcnt(0)
	v_and_b32_e32 v18, 1, v18
	v_cmp_eq_u32_e64 s4, 1, v18
	s_xor_b32 s21, s4, -1
	s_mov_b32 s4, s5
	s_and_saveexec_b32 s20, s21
	s_cbranch_execz .LBB689_36
; %bb.35:
	v_cmp_gt_f64_e64 s4, v[0:1], v[4:5]
	s_and_b32 s4, s5, s4
	v_cndmask_b32_e64 v1, v5, v1, s4
	v_cndmask_b32_e64 v0, v4, v0, s4
	s_or_b32 s4, s5, exec_lo
.LBB689_36:
	s_or_b32 exec_lo, exec_lo, s20
	s_andn2_b32 s5, s5, exec_lo
	s_and_b32 s4, s4, exec_lo
	s_or_b32 s5, s5, s4
	s_or_b32 exec_lo, exec_lo, s10
	s_and_saveexec_b32 s10, s16
	s_cbranch_execnz .LBB689_25
.LBB689_37:
	s_or_b32 exec_lo, exec_lo, s10
	s_and_saveexec_b32 s10, s15
	s_cbranch_execz .LBB689_28
.LBB689_38:
	global_load_ubyte v18, v[50:51], off offset:128
	s_waitcnt vmcnt(0)
	v_and_b32_e32 v18, 1, v18
	v_cmp_eq_u32_e64 s4, 1, v18
	s_xor_b32 s21, s4, -1
	s_mov_b32 s4, s5
	s_and_saveexec_b32 s20, s21
	s_cbranch_execz .LBB689_40
; %bb.39:
	v_cmp_gt_f64_e64 s4, v[0:1], v[8:9]
	s_and_b32 s4, s5, s4
	v_cndmask_b32_e64 v1, v9, v1, s4
	v_cndmask_b32_e64 v0, v8, v0, s4
	s_or_b32 s4, s5, exec_lo
.LBB689_40:
	s_or_b32 exec_lo, exec_lo, s20
	s_andn2_b32 s5, s5, exec_lo
	s_and_b32 s4, s4, exec_lo
	s_or_b32 s5, s5, s4
	s_or_b32 exec_lo, exec_lo, s10
	s_and_saveexec_b32 s10, s14
	s_cbranch_execnz .LBB689_29
.LBB689_41:
	s_or_b32 exec_lo, exec_lo, s10
	s_and_saveexec_b32 s10, s11
	s_cbranch_execz .LBB689_32
.LBB689_42:
	global_load_ubyte v18, v[50:51], off offset:192
	s_waitcnt vmcnt(0)
	v_and_b32_e32 v18, 1, v18
	v_cmp_eq_u32_e64 s4, 1, v18
	s_xor_b32 s21, s4, -1
	s_mov_b32 s4, s5
	s_and_saveexec_b32 s20, s21
	s_cbranch_execz .LBB689_44
; %bb.43:
	v_cmp_gt_f64_e64 s4, v[0:1], v[12:13]
	s_and_b32 s4, s5, s4
	v_cndmask_b32_e64 v1, v13, v1, s4
	v_cndmask_b32_e64 v0, v12, v0, s4
	s_or_b32 s4, s5, exec_lo
.LBB689_44:
	s_or_b32 exec_lo, exec_lo, s20
	s_andn2_b32 s5, s5, exec_lo
	s_and_b32 s4, s4, exec_lo
	s_or_b32 s5, s5, s4
	s_or_b32 exec_lo, exec_lo, s10
	s_xor_b32 s10, s19, -1
	s_and_saveexec_b32 s19, s9
	s_cbranch_execz .LBB689_48
.LBB689_45:
	global_load_ubyte v18, v[50:51], off offset:224
	s_waitcnt vmcnt(0)
	v_and_b32_e32 v18, 1, v18
	v_cmp_eq_u32_e64 s4, 1, v18
	s_xor_b32 s21, s4, -1
	s_mov_b32 s4, s5
	s_and_saveexec_b32 s20, s21
	s_cbranch_execz .LBB689_47
; %bb.46:
	v_cmp_gt_f64_e64 s4, v[0:1], v[14:15]
	s_and_b32 s4, s5, s4
	v_cndmask_b32_e64 v1, v15, v1, s4
	v_cndmask_b32_e64 v0, v14, v0, s4
	s_or_b32 s4, s5, exec_lo
.LBB689_47:
	s_or_b32 exec_lo, exec_lo, s20
	s_andn2_b32 s5, s5, exec_lo
	s_and_b32 s4, s4, exec_lo
	s_or_b32 s5, s5, s4
.LBB689_48:
	s_or_b32 exec_lo, exec_lo, s19
	v_mbcnt_lo_u32_b32 v20, -1, 0
	v_cndmask_b32_e64 v0, 0, v0, s5
	v_cndmask_b32_e64 v1, 0xfff00000, v1, s5
	v_xor_b32_e32 v18, 16, v20
	v_xor_b32_e32 v21, 8, v20
	v_cmp_gt_i32_e64 s4, 32, v18
	v_cmp_gt_i32_e64 s5, 32, v21
	v_cndmask_b32_e64 v18, v20, v18, s4
	v_cndmask_b32_e64 v21, v20, v21, s5
	v_lshlrev_b32_e32 v57, 2, v18
	v_lshlrev_b32_e32 v58, 2, v21
	v_xor_b32_e32 v21, 4, v20
	ds_bpermute_b32 v18, v57, v0
	ds_bpermute_b32 v19, v57, v1
	v_cmp_gt_i32_e64 s5, 32, v21
	v_cndmask_b32_e64 v21, v20, v21, s5
	v_lshlrev_b32_e32 v59, 2, v21
	v_xor_b32_e32 v21, 2, v20
	v_cmp_gt_i32_e64 s5, 32, v21
	s_waitcnt lgkmcnt(0)
	v_cmp_lt_f64_e64 s4, v[0:1], v[18:19]
	v_cndmask_b32_e64 v21, v20, v21, s5
	v_lshlrev_b32_e32 v60, 2, v21
	v_xor_b32_e32 v21, 1, v20
	v_cmp_gt_i32_e64 s5, 32, v21
	v_cndmask_b32_e64 v20, v20, v21, s5
	s_mov_b32 s5, 0
	v_cndmask_b32_e64 v1, v1, v19, s4
	v_cndmask_b32_e64 v0, v0, v18, s4
	v_lshlrev_b32_e32 v61, 2, v20
	ds_bpermute_b32 v19, v58, v1
	ds_bpermute_b32 v18, v58, v0
	s_waitcnt lgkmcnt(0)
	v_cmp_lt_f64_e64 s4, v[0:1], v[18:19]
	v_cndmask_b32_e64 v1, v1, v19, s4
	v_cndmask_b32_e64 v0, v0, v18, s4
	ds_bpermute_b32 v19, v59, v1
	ds_bpermute_b32 v18, v59, v0
	s_waitcnt lgkmcnt(0)
	v_cmp_lt_f64_e64 s4, v[0:1], v[18:19]
	v_cndmask_b32_e64 v1, v1, v19, s4
	v_cndmask_b32_e64 v0, v0, v18, s4
	;; [unrolled: 6-line block ×4, first 2 shown]
	s_and_saveexec_b32 s4, s10
	s_xor_b32 s4, exec_lo, s4
; %bb.49:
	v_mov_b32_e32 v0, s5
	v_mov_b32_e32 v1, s5
                                        ; implicit-def: $vgpr16_vgpr17
; %bb.50:
	s_or_saveexec_b32 s10, s4
	v_mov_b32_e32 v54, 0
	v_mov_b32_e32 v55, 0
	s_xor_b32 s18, s18, -1
	s_xor_b32 exec_lo, exec_lo, s10
	s_cbranch_execz .LBB689_56
; %bb.51:
	global_load_ubyte v0, v[50:51], off
	v_mov_b32_e32 v1, s5
                                        ; implicit-def: $vgpr54_vgpr55
	s_waitcnt vmcnt(0)
	v_and_b32_e32 v0, 1, v0
	v_cmp_eq_u32_e64 s4, 1, v0
	v_mov_b32_e32 v0, s5
	s_xor_b32 s4, s4, -1
	s_and_saveexec_b32 s5, s4
	s_xor_b32 s19, exec_lo, s5
	s_cbranch_execz .LBB689_53
; %bb.52:
	v_add_f64 v[0:1], v[16:17], -v[52:53]
	s_mov_b32 s4, 0x652b82fe
	s_mov_b32 s5, 0x3ff71547
	;; [unrolled: 1-line block ×4, first 2 shown]
	v_mul_f64 v[16:17], v[0:1], s[4:5]
	s_mov_b32 s4, 0xfefa39ef
	s_mov_b32 s5, 0xbfe62e42
	v_rndne_f64_e32 v[16:17], v[16:17]
	v_fma_f64 v[18:19], v[16:17], s[4:5], v[0:1]
	s_mov_b32 s4, 0x3b39803f
	s_mov_b32 s5, 0xbc7abc9e
	v_cvt_i32_f64_e32 v22, v[16:17]
	v_fma_f64 v[18:19], v[16:17], s[4:5], v[18:19]
	s_mov_b32 s4, 0xfca7ab0c
	s_mov_b32 s5, 0x3e928af3
	v_fma_f64 v[20:21], v[18:19], s[20:21], s[4:5]
	s_mov_b32 s4, 0x623fde64
	s_mov_b32 s5, 0x3ec71dee
	;; [unrolled: 3-line block ×9, first 2 shown]
	v_fma_f64 v[20:21], v[18:19], v[20:21], s[4:5]
	v_cmp_nlt_f64_e64 s4, 0x40900000, v[0:1]
	v_cmp_ngt_f64_e64 s5, 0xc090cc00, v[0:1]
	v_fma_f64 v[20:21], v[18:19], v[20:21], 1.0
	v_fma_f64 v[16:17], v[18:19], v[20:21], 1.0
	v_ldexp_f64 v[16:17], v[16:17], v22
	v_cndmask_b32_e64 v17, 0x7ff00000, v17, s4
	s_and_b32 s4, s5, s4
	v_cndmask_b32_e64 v0, 0, v16, s4
	v_cndmask_b32_e64 v1, 0, v17, s5
	v_add_f64 v[54:55], v[0:1], 0
.LBB689_53:
	s_andn2_saveexec_b32 s4, s19
; %bb.54:
	v_mov_b32_e32 v54, 0
	v_mov_b32_e32 v55, 0
; %bb.55:
	s_or_b32 exec_lo, exec_lo, s4
.LBB689_56:
	s_or_b32 exec_lo, exec_lo, s10
                                        ; implicit-def: $vgpr16_vgpr17_vgpr18_vgpr19_vgpr20_vgpr21_vgpr22_vgpr23_vgpr24_vgpr25_vgpr26_vgpr27_vgpr28_vgpr29_vgpr30_vgpr31
	s_and_saveexec_b32 s4, s18
	s_xor_b32 s4, exec_lo, s4
	s_cbranch_execz .LBB689_70
; %bb.57:
	s_mov_b32 s5, 0
	v_mov_b32_e32 v2, s5
	v_mov_b32_e32 v3, s5
	;; [unrolled: 1-line block ×18, first 2 shown]
                                        ; implicit-def: $vgpr0_vgpr1_vgpr2_vgpr3_vgpr4_vgpr5_vgpr6_vgpr7_vgpr8_vgpr9_vgpr10_vgpr11_vgpr12_vgpr13_vgpr14_vgpr15
	s_or_saveexec_b32 s18, s4
	s_xor_b32 s10, s17, -1
	s_xor_b32 exec_lo, exec_lo, s18
	s_cbranch_execnz .LBB689_71
.LBB689_58:
	s_or_b32 exec_lo, exec_lo, s18
                                        ; implicit-def: $vgpr0_vgpr1_vgpr2_vgpr3_vgpr4_vgpr5_vgpr6_vgpr7_vgpr8_vgpr9_vgpr10_vgpr11_vgpr12_vgpr13_vgpr14_vgpr15
	s_and_saveexec_b32 s4, s10
	s_xor_b32 s4, exec_lo, s4
	s_cbranch_execz .LBB689_74
.LBB689_59:
	s_mov_b32 s5, 0
	v_mov_b32_e32 v20, s5
	v_mov_b32_e32 v21, s5
	;; [unrolled: 1-line block ×18, first 2 shown]
                                        ; implicit-def: $vgpr16_vgpr17_vgpr18_vgpr19_vgpr20_vgpr21_vgpr22_vgpr23_vgpr24_vgpr25_vgpr26_vgpr27_vgpr28_vgpr29_vgpr30_vgpr31
	s_or_saveexec_b32 s17, s4
	s_xor_b32 s10, s16, -1
	s_xor_b32 exec_lo, exec_lo, s17
	s_cbranch_execnz .LBB689_75
.LBB689_60:
	s_or_b32 exec_lo, exec_lo, s17
                                        ; implicit-def: $vgpr16_vgpr17_vgpr18_vgpr19_vgpr20_vgpr21_vgpr22_vgpr23_vgpr24_vgpr25_vgpr26_vgpr27_vgpr28_vgpr29_vgpr30_vgpr31
	s_and_saveexec_b32 s4, s10
	s_xor_b32 s4, exec_lo, s4
	s_cbranch_execz .LBB689_78
.LBB689_61:
	s_mov_b32 s5, 0
	v_mov_b32_e32 v6, s5
	v_mov_b32_e32 v7, s5
	;; [unrolled: 1-line block ×18, first 2 shown]
                                        ; implicit-def: $vgpr0_vgpr1_vgpr2_vgpr3_vgpr4_vgpr5_vgpr6_vgpr7_vgpr8_vgpr9_vgpr10_vgpr11_vgpr12_vgpr13_vgpr14_vgpr15
	s_or_saveexec_b32 s16, s4
	s_xor_b32 s10, s15, -1
	s_xor_b32 exec_lo, exec_lo, s16
	s_cbranch_execnz .LBB689_79
.LBB689_62:
	s_or_b32 exec_lo, exec_lo, s16
                                        ; implicit-def: $vgpr0_vgpr1_vgpr2_vgpr3_vgpr4_vgpr5_vgpr6_vgpr7_vgpr8_vgpr9_vgpr10_vgpr11_vgpr12_vgpr13_vgpr14_vgpr15
	s_and_saveexec_b32 s4, s10
	s_xor_b32 s4, exec_lo, s4
	s_cbranch_execz .LBB689_82
.LBB689_63:
	s_mov_b32 s5, 0
	v_mov_b32_e32 v24, s5
	v_mov_b32_e32 v25, s5
	;; [unrolled: 1-line block ×18, first 2 shown]
                                        ; implicit-def: $vgpr16_vgpr17_vgpr18_vgpr19_vgpr20_vgpr21_vgpr22_vgpr23_vgpr24_vgpr25_vgpr26_vgpr27_vgpr28_vgpr29_vgpr30_vgpr31
	s_or_saveexec_b32 s15, s4
	s_xor_b32 s10, s14, -1
	s_xor_b32 exec_lo, exec_lo, s15
	s_cbranch_execnz .LBB689_83
.LBB689_64:
	s_or_b32 exec_lo, exec_lo, s15
                                        ; implicit-def: $vgpr32_vgpr33_vgpr34_vgpr35_vgpr36_vgpr37_vgpr38_vgpr39_vgpr40_vgpr41_vgpr42_vgpr43_vgpr44_vgpr45_vgpr46_vgpr47
	s_and_saveexec_b32 s4, s10
	s_xor_b32 s4, exec_lo, s4
	s_cbranch_execz .LBB689_86
.LBB689_65:
	s_mov_b32 s5, 0
	v_mov_b32_e32 v10, s5
	v_mov_b32_e32 v11, s5
	;; [unrolled: 1-line block ×18, first 2 shown]
                                        ; implicit-def: $vgpr0_vgpr1_vgpr2_vgpr3_vgpr4_vgpr5_vgpr6_vgpr7_vgpr8_vgpr9_vgpr10_vgpr11_vgpr12_vgpr13_vgpr14_vgpr15
	s_or_saveexec_b32 s14, s4
	s_xor_b32 s10, s11, -1
	s_xor_b32 exec_lo, exec_lo, s14
	s_cbranch_execnz .LBB689_87
.LBB689_66:
	s_or_b32 exec_lo, exec_lo, s14
                                        ; implicit-def: $vgpr16_vgpr17_vgpr18_vgpr19_vgpr20_vgpr21_vgpr22_vgpr23_vgpr24_vgpr25_vgpr26_vgpr27_vgpr28_vgpr29_vgpr30_vgpr31
	s_and_saveexec_b32 s4, s10
	s_xor_b32 s4, exec_lo, s4
	s_cbranch_execz .LBB689_90
.LBB689_67:
	s_mov_b32 s5, 0
	v_mov_b32_e32 v44, s5
	v_mov_b32_e32 v45, s5
	v_mov_b32_e32 v16, v32
	v_mov_b32_e32 v17, v33
	v_mov_b32_e32 v18, v34
	v_mov_b32_e32 v19, v35
	v_mov_b32_e32 v20, v36
	v_mov_b32_e32 v21, v37
	v_mov_b32_e32 v22, v38
	v_mov_b32_e32 v23, v39
	v_mov_b32_e32 v24, v40
	v_mov_b32_e32 v25, v41
	v_mov_b32_e32 v26, v42
	v_mov_b32_e32 v27, v43
	v_mov_b32_e32 v28, v44
	v_mov_b32_e32 v29, v45
	v_mov_b32_e32 v30, v46
	v_mov_b32_e32 v31, v47
                                        ; implicit-def: $vgpr32_vgpr33_vgpr34_vgpr35_vgpr36_vgpr37_vgpr38_vgpr39_vgpr40_vgpr41_vgpr42_vgpr43_vgpr44_vgpr45_vgpr46_vgpr47
	s_or_saveexec_b32 s10, s4
	s_xor_b32 s9, s9, -1
	s_xor_b32 exec_lo, exec_lo, s10
	s_cbranch_execnz .LBB689_91
.LBB689_68:
	s_or_b32 exec_lo, exec_lo, s10
                                        ; implicit-def: $vgpr0_vgpr1_vgpr2_vgpr3_vgpr4_vgpr5_vgpr6_vgpr7_vgpr8_vgpr9_vgpr10_vgpr11_vgpr12_vgpr13_vgpr14_vgpr15
	s_and_saveexec_b32 s4, s9
	s_xor_b32 s4, exec_lo, s4
	s_cbranch_execz .LBB689_94
.LBB689_69:
	s_mov_b32 s5, 0
                                        ; implicit-def: $vgpr50_vgpr51
                                        ; implicit-def: $vgpr52_vgpr53
	v_mov_b32_e32 v30, s5
	v_mov_b32_e32 v31, s5
	;; [unrolled: 1-line block ×18, first 2 shown]
                                        ; implicit-def: $vgpr16_vgpr17_vgpr18_vgpr19_vgpr20_vgpr21_vgpr22_vgpr23_vgpr24_vgpr25_vgpr26_vgpr27_vgpr28_vgpr29_vgpr30_vgpr31
	s_andn2_saveexec_b32 s9, s4
	s_cbranch_execz .LBB689_98
	s_branch .LBB689_95
.LBB689_70:
	s_or_saveexec_b32 s18, s4
	s_xor_b32 s10, s17, -1
	s_xor_b32 exec_lo, exec_lo, s18
	s_cbranch_execz .LBB689_58
.LBB689_71:
	global_load_ubyte v16, v[50:51], off offset:32
	s_mov_b32 s5, 0
	s_waitcnt vmcnt(0)
	v_and_b32_e32 v16, 1, v16
	v_cmp_eq_u32_e64 s4, 1, v16
	v_mov_b32_e32 v31, v15
	v_mov_b32_e32 v19, v3
	;; [unrolled: 1-line block ×18, first 2 shown]
	s_xor_b32 s4, s4, -1
	s_and_saveexec_b32 s5, s4
	s_xor_b32 s17, exec_lo, s5
	s_cbranch_execz .LBB689_73
; %bb.72:
	v_add_f64 v[2:3], v[2:3], -v[52:53]
	s_mov_b32 s4, 0x652b82fe
	s_mov_b32 s5, 0x3ff71547
	s_mov_b32 s20, 0x6a5dcb37
	s_mov_b32 s21, 0x3e5ade15
	v_mul_f64 v[16:17], v[2:3], s[4:5]
	s_mov_b32 s4, 0xfefa39ef
	s_mov_b32 s5, 0xbfe62e42
	v_rndne_f64_e32 v[16:17], v[16:17]
	v_fma_f64 v[18:19], v[16:17], s[4:5], v[2:3]
	s_mov_b32 s4, 0x3b39803f
	s_mov_b32 s5, 0xbc7abc9e
	v_cvt_i32_f64_e32 v22, v[16:17]
	v_fma_f64 v[18:19], v[16:17], s[4:5], v[18:19]
	s_mov_b32 s4, 0xfca7ab0c
	s_mov_b32 s5, 0x3e928af3
	v_fma_f64 v[20:21], v[18:19], s[20:21], s[4:5]
	s_mov_b32 s4, 0x623fde64
	s_mov_b32 s5, 0x3ec71dee
	;; [unrolled: 3-line block ×9, first 2 shown]
	v_fma_f64 v[20:21], v[18:19], v[20:21], s[4:5]
	v_cmp_nlt_f64_e64 s4, 0x40900000, v[2:3]
	v_cmp_ngt_f64_e64 s5, 0xc090cc00, v[2:3]
	v_fma_f64 v[20:21], v[18:19], v[20:21], 1.0
	v_fma_f64 v[16:17], v[18:19], v[20:21], 1.0
	v_ldexp_f64 v[16:17], v[16:17], v22
	v_cndmask_b32_e64 v17, 0x7ff00000, v17, s4
	s_and_b32 s4, s5, s4
	v_cndmask_b32_e64 v2, 0, v16, s4
	v_cndmask_b32_e64 v3, 0, v17, s5
	v_mov_b32_e32 v31, v15
	v_mov_b32_e32 v30, v14
	;; [unrolled: 1-line block ×4, first 2 shown]
	v_add_f64 v[54:55], v[54:55], v[2:3]
	v_mov_b32_e32 v27, v11
	v_mov_b32_e32 v26, v10
	;; [unrolled: 1-line block ×12, first 2 shown]
.LBB689_73:
	s_andn2_saveexec_b32 s4, s17
	s_or_b32 exec_lo, exec_lo, s4
	s_or_b32 exec_lo, exec_lo, s18
                                        ; implicit-def: $vgpr0_vgpr1_vgpr2_vgpr3_vgpr4_vgpr5_vgpr6_vgpr7_vgpr8_vgpr9_vgpr10_vgpr11_vgpr12_vgpr13_vgpr14_vgpr15
	s_and_saveexec_b32 s4, s10
	s_xor_b32 s4, exec_lo, s4
	s_cbranch_execnz .LBB689_59
.LBB689_74:
	s_or_saveexec_b32 s17, s4
	s_xor_b32 s10, s16, -1
	s_xor_b32 exec_lo, exec_lo, s17
	s_cbranch_execz .LBB689_60
.LBB689_75:
	global_load_ubyte v0, v[50:51], off offset:64
	s_mov_b32 s5, 0
	s_waitcnt vmcnt(0)
	v_and_b32_e32 v0, 1, v0
	v_cmp_eq_u32_e64 s4, 1, v0
	v_mov_b32_e32 v0, v16
	v_mov_b32_e32 v4, v20
	;; [unrolled: 1-line block ×18, first 2 shown]
	s_xor_b32 s4, s4, -1
	s_and_saveexec_b32 s5, s4
	s_xor_b32 s16, exec_lo, s5
	s_cbranch_execz .LBB689_77
; %bb.76:
	v_add_f64 v[0:1], v[20:21], -v[52:53]
	s_mov_b32 s4, 0x652b82fe
	s_mov_b32 s5, 0x3ff71547
	;; [unrolled: 1-line block ×4, first 2 shown]
	v_mul_f64 v[2:3], v[0:1], s[4:5]
	s_mov_b32 s4, 0xfefa39ef
	s_mov_b32 s5, 0xbfe62e42
	v_rndne_f64_e32 v[2:3], v[2:3]
	v_fma_f64 v[4:5], v[2:3], s[4:5], v[0:1]
	s_mov_b32 s4, 0x3b39803f
	s_mov_b32 s5, 0xbc7abc9e
	v_cvt_i32_f64_e32 v8, v[2:3]
	v_fma_f64 v[4:5], v[2:3], s[4:5], v[4:5]
	s_mov_b32 s4, 0xfca7ab0c
	s_mov_b32 s5, 0x3e928af3
	v_fma_f64 v[6:7], v[4:5], s[18:19], s[4:5]
	s_mov_b32 s4, 0x623fde64
	s_mov_b32 s5, 0x3ec71dee
	;; [unrolled: 3-line block ×9, first 2 shown]
	v_fma_f64 v[6:7], v[4:5], v[6:7], s[4:5]
	v_cmp_nlt_f64_e64 s4, 0x40900000, v[0:1]
	v_cmp_ngt_f64_e64 s5, 0xc090cc00, v[0:1]
	v_fma_f64 v[6:7], v[4:5], v[6:7], 1.0
	v_fma_f64 v[2:3], v[4:5], v[6:7], 1.0
	v_ldexp_f64 v[2:3], v[2:3], v8
	v_cndmask_b32_e64 v3, 0x7ff00000, v3, s4
	s_and_b32 s4, s5, s4
	v_cndmask_b32_e64 v20, 0, v2, s4
	v_cndmask_b32_e64 v21, 0, v3, s5
	v_mov_b32_e32 v0, v16
	v_mov_b32_e32 v1, v17
	;; [unrolled: 1-line block ×4, first 2 shown]
	v_add_f64 v[54:55], v[54:55], v[20:21]
	v_mov_b32_e32 v4, v20
	v_mov_b32_e32 v5, v21
	;; [unrolled: 1-line block ×12, first 2 shown]
.LBB689_77:
	s_andn2_saveexec_b32 s4, s16
	s_or_b32 exec_lo, exec_lo, s4
	s_or_b32 exec_lo, exec_lo, s17
                                        ; implicit-def: $vgpr16_vgpr17_vgpr18_vgpr19_vgpr20_vgpr21_vgpr22_vgpr23_vgpr24_vgpr25_vgpr26_vgpr27_vgpr28_vgpr29_vgpr30_vgpr31
	s_and_saveexec_b32 s4, s10
	s_xor_b32 s4, exec_lo, s4
	s_cbranch_execnz .LBB689_61
.LBB689_78:
	s_or_saveexec_b32 s16, s4
	s_xor_b32 s10, s15, -1
	s_xor_b32 exec_lo, exec_lo, s16
	s_cbranch_execz .LBB689_62
.LBB689_79:
	global_load_ubyte v16, v[50:51], off offset:96
	s_mov_b32 s5, 0
	s_waitcnt vmcnt(0)
	v_and_b32_e32 v16, 1, v16
	v_cmp_eq_u32_e64 s4, 1, v16
	v_mov_b32_e32 v31, v15
	v_mov_b32_e32 v23, v7
	;; [unrolled: 1-line block ×18, first 2 shown]
	s_xor_b32 s4, s4, -1
	s_and_saveexec_b32 s5, s4
	s_xor_b32 s15, exec_lo, s5
	s_cbranch_execz .LBB689_81
; %bb.80:
	v_add_f64 v[6:7], v[6:7], -v[52:53]
	s_mov_b32 s4, 0x652b82fe
	s_mov_b32 s5, 0x3ff71547
	;; [unrolled: 1-line block ×4, first 2 shown]
	v_mul_f64 v[16:17], v[6:7], s[4:5]
	s_mov_b32 s4, 0xfefa39ef
	s_mov_b32 s5, 0xbfe62e42
	v_rndne_f64_e32 v[16:17], v[16:17]
	v_fma_f64 v[18:19], v[16:17], s[4:5], v[6:7]
	s_mov_b32 s4, 0x3b39803f
	s_mov_b32 s5, 0xbc7abc9e
	v_cvt_i32_f64_e32 v22, v[16:17]
	v_fma_f64 v[18:19], v[16:17], s[4:5], v[18:19]
	s_mov_b32 s4, 0xfca7ab0c
	s_mov_b32 s5, 0x3e928af3
	v_fma_f64 v[20:21], v[18:19], s[18:19], s[4:5]
	s_mov_b32 s4, 0x623fde64
	s_mov_b32 s5, 0x3ec71dee
	v_fma_f64 v[20:21], v[18:19], v[20:21], s[4:5]
	s_mov_b32 s4, 0x7c89e6b0
	s_mov_b32 s5, 0x3efa0199
	v_fma_f64 v[20:21], v[18:19], v[20:21], s[4:5]
	s_mov_b32 s4, 0x14761f6e
	s_mov_b32 s5, 0x3f2a01a0
	v_fma_f64 v[20:21], v[18:19], v[20:21], s[4:5]
	s_mov_b32 s4, 0x1852b7b0
	s_mov_b32 s5, 0x3f56c16c
	v_fma_f64 v[20:21], v[18:19], v[20:21], s[4:5]
	s_mov_b32 s4, 0x11122322
	s_mov_b32 s5, 0x3f811111
	v_fma_f64 v[20:21], v[18:19], v[20:21], s[4:5]
	s_mov_b32 s4, 0x555502a1
	s_mov_b32 s5, 0x3fa55555
	v_fma_f64 v[20:21], v[18:19], v[20:21], s[4:5]
	s_mov_b32 s4, 0x55555511
	s_mov_b32 s5, 0x3fc55555
	v_fma_f64 v[20:21], v[18:19], v[20:21], s[4:5]
	s_mov_b32 s4, 11
	s_mov_b32 s5, 0x3fe00000
	v_fma_f64 v[20:21], v[18:19], v[20:21], s[4:5]
	v_cmp_nlt_f64_e64 s4, 0x40900000, v[6:7]
	v_cmp_ngt_f64_e64 s5, 0xc090cc00, v[6:7]
	v_fma_f64 v[20:21], v[18:19], v[20:21], 1.0
	v_fma_f64 v[16:17], v[18:19], v[20:21], 1.0
	v_ldexp_f64 v[16:17], v[16:17], v22
	v_cndmask_b32_e64 v17, 0x7ff00000, v17, s4
	s_and_b32 s4, s5, s4
	v_cndmask_b32_e64 v6, 0, v16, s4
	v_cndmask_b32_e64 v7, 0, v17, s5
	v_mov_b32_e32 v31, v15
	v_mov_b32_e32 v30, v14
	;; [unrolled: 1-line block ×4, first 2 shown]
	v_add_f64 v[54:55], v[54:55], v[6:7]
	v_mov_b32_e32 v27, v11
	v_mov_b32_e32 v26, v10
	;; [unrolled: 1-line block ×12, first 2 shown]
.LBB689_81:
	s_andn2_saveexec_b32 s4, s15
	s_or_b32 exec_lo, exec_lo, s4
	s_or_b32 exec_lo, exec_lo, s16
                                        ; implicit-def: $vgpr0_vgpr1_vgpr2_vgpr3_vgpr4_vgpr5_vgpr6_vgpr7_vgpr8_vgpr9_vgpr10_vgpr11_vgpr12_vgpr13_vgpr14_vgpr15
	s_and_saveexec_b32 s4, s10
	s_xor_b32 s4, exec_lo, s4
	s_cbranch_execnz .LBB689_63
.LBB689_82:
	s_or_saveexec_b32 s15, s4
	s_xor_b32 s10, s14, -1
	s_xor_b32 exec_lo, exec_lo, s15
	s_cbranch_execz .LBB689_64
.LBB689_83:
	global_load_ubyte v0, v[50:51], off offset:128
	s_mov_b32 s5, 0
	s_waitcnt vmcnt(0)
	v_and_b32_e32 v0, 1, v0
	v_cmp_eq_u32_e64 s4, 1, v0
	v_mov_b32_e32 v0, v16
	v_mov_b32_e32 v8, v24
	;; [unrolled: 1-line block ×18, first 2 shown]
	s_xor_b32 s4, s4, -1
	s_and_saveexec_b32 s5, s4
	s_xor_b32 s14, exec_lo, s5
	s_cbranch_execz .LBB689_85
; %bb.84:
	v_add_f64 v[0:1], v[24:25], -v[52:53]
	s_mov_b32 s4, 0x652b82fe
	s_mov_b32 s5, 0x3ff71547
	;; [unrolled: 1-line block ×4, first 2 shown]
	v_mul_f64 v[2:3], v[0:1], s[4:5]
	s_mov_b32 s4, 0xfefa39ef
	s_mov_b32 s5, 0xbfe62e42
	v_rndne_f64_e32 v[2:3], v[2:3]
	v_fma_f64 v[4:5], v[2:3], s[4:5], v[0:1]
	s_mov_b32 s4, 0x3b39803f
	s_mov_b32 s5, 0xbc7abc9e
	v_cvt_i32_f64_e32 v8, v[2:3]
	v_fma_f64 v[4:5], v[2:3], s[4:5], v[4:5]
	s_mov_b32 s4, 0xfca7ab0c
	s_mov_b32 s5, 0x3e928af3
	v_fma_f64 v[6:7], v[4:5], s[16:17], s[4:5]
	s_mov_b32 s4, 0x623fde64
	s_mov_b32 s5, 0x3ec71dee
	;; [unrolled: 3-line block ×9, first 2 shown]
	v_fma_f64 v[6:7], v[4:5], v[6:7], s[4:5]
	v_cmp_nlt_f64_e64 s4, 0x40900000, v[0:1]
	v_cmp_ngt_f64_e64 s5, 0xc090cc00, v[0:1]
	v_fma_f64 v[6:7], v[4:5], v[6:7], 1.0
	v_fma_f64 v[2:3], v[4:5], v[6:7], 1.0
	v_ldexp_f64 v[2:3], v[2:3], v8
	v_cndmask_b32_e64 v3, 0x7ff00000, v3, s4
	s_and_b32 s4, s5, s4
	v_cndmask_b32_e64 v24, 0, v2, s4
	v_cndmask_b32_e64 v25, 0, v3, s5
	v_mov_b32_e32 v0, v16
	v_mov_b32_e32 v1, v17
	;; [unrolled: 1-line block ×4, first 2 shown]
	v_add_f64 v[54:55], v[54:55], v[24:25]
	v_mov_b32_e32 v4, v20
	v_mov_b32_e32 v5, v21
	;; [unrolled: 1-line block ×12, first 2 shown]
.LBB689_85:
	s_andn2_saveexec_b32 s4, s14
	s_or_b32 exec_lo, exec_lo, s4
	s_or_b32 exec_lo, exec_lo, s15
                                        ; implicit-def: $vgpr32_vgpr33_vgpr34_vgpr35_vgpr36_vgpr37_vgpr38_vgpr39_vgpr40_vgpr41_vgpr42_vgpr43_vgpr44_vgpr45_vgpr46_vgpr47
	s_and_saveexec_b32 s4, s10
	s_xor_b32 s4, exec_lo, s4
	s_cbranch_execnz .LBB689_65
.LBB689_86:
	s_or_saveexec_b32 s14, s4
	s_xor_b32 s10, s11, -1
	s_xor_b32 exec_lo, exec_lo, s14
	s_cbranch_execz .LBB689_66
.LBB689_87:
	global_load_ubyte v16, v[50:51], off offset:160
	s_mov_b32 s5, 0
	v_mov_b32_e32 v47, v15
	v_mov_b32_e32 v43, v11
	;; [unrolled: 1-line block ×18, first 2 shown]
	s_waitcnt vmcnt(0)
	v_and_b32_e32 v16, 1, v16
	v_cmp_eq_u32_e64 s4, 1, v16
	s_xor_b32 s4, s4, -1
	s_and_saveexec_b32 s5, s4
	s_xor_b32 s11, exec_lo, s5
	s_cbranch_execz .LBB689_89
; %bb.88:
	v_add_f64 v[10:11], v[10:11], -v[52:53]
	s_mov_b32 s4, 0x652b82fe
	s_mov_b32 s5, 0x3ff71547
	;; [unrolled: 1-line block ×4, first 2 shown]
	v_mul_f64 v[16:17], v[10:11], s[4:5]
	s_mov_b32 s4, 0xfefa39ef
	s_mov_b32 s5, 0xbfe62e42
	v_rndne_f64_e32 v[16:17], v[16:17]
	v_fma_f64 v[18:19], v[16:17], s[4:5], v[10:11]
	s_mov_b32 s4, 0x3b39803f
	s_mov_b32 s5, 0xbc7abc9e
	v_cvt_i32_f64_e32 v22, v[16:17]
	v_fma_f64 v[18:19], v[16:17], s[4:5], v[18:19]
	s_mov_b32 s4, 0xfca7ab0c
	s_mov_b32 s5, 0x3e928af3
	v_fma_f64 v[20:21], v[18:19], s[16:17], s[4:5]
	s_mov_b32 s4, 0x623fde64
	s_mov_b32 s5, 0x3ec71dee
	;; [unrolled: 3-line block ×9, first 2 shown]
	v_fma_f64 v[20:21], v[18:19], v[20:21], s[4:5]
	v_cmp_nlt_f64_e64 s4, 0x40900000, v[10:11]
	v_cmp_ngt_f64_e64 s5, 0xc090cc00, v[10:11]
	v_fma_f64 v[20:21], v[18:19], v[20:21], 1.0
	v_fma_f64 v[16:17], v[18:19], v[20:21], 1.0
	v_ldexp_f64 v[16:17], v[16:17], v22
	v_cndmask_b32_e64 v17, 0x7ff00000, v17, s4
	s_and_b32 s4, s5, s4
	v_cndmask_b32_e64 v10, 0, v16, s4
	v_cndmask_b32_e64 v11, 0, v17, s5
	v_mov_b32_e32 v47, v15
	v_mov_b32_e32 v46, v14
	;; [unrolled: 1-line block ×4, first 2 shown]
	v_add_f64 v[54:55], v[54:55], v[10:11]
	v_mov_b32_e32 v43, v11
	v_mov_b32_e32 v42, v10
	;; [unrolled: 1-line block ×12, first 2 shown]
.LBB689_89:
	s_andn2_saveexec_b32 s4, s11
	s_or_b32 exec_lo, exec_lo, s4
	s_or_b32 exec_lo, exec_lo, s14
                                        ; implicit-def: $vgpr16_vgpr17_vgpr18_vgpr19_vgpr20_vgpr21_vgpr22_vgpr23_vgpr24_vgpr25_vgpr26_vgpr27_vgpr28_vgpr29_vgpr30_vgpr31
	s_and_saveexec_b32 s4, s10
	s_xor_b32 s4, exec_lo, s4
	s_cbranch_execnz .LBB689_67
.LBB689_90:
	s_or_saveexec_b32 s10, s4
	s_xor_b32 s9, s9, -1
	s_xor_b32 exec_lo, exec_lo, s10
	s_cbranch_execz .LBB689_68
.LBB689_91:
	global_load_ubyte v0, v[50:51], off offset:192
	s_mov_b32 s5, 0
	v_mov_b32_e32 v16, v32
	v_mov_b32_e32 v28, v44
	v_mov_b32_e32 v29, v45
	v_mov_b32_e32 v17, v33
	v_mov_b32_e32 v18, v34
	v_mov_b32_e32 v19, v35
	v_mov_b32_e32 v20, v36
	v_mov_b32_e32 v21, v37
	v_mov_b32_e32 v22, v38
	v_mov_b32_e32 v23, v39
	v_mov_b32_e32 v24, v40
	v_mov_b32_e32 v25, v41
	v_mov_b32_e32 v26, v42
	v_mov_b32_e32 v27, v43
	v_mov_b32_e32 v30, v46
	v_mov_b32_e32 v31, v47
	v_mov_b32_e32 v28, s5
	v_mov_b32_e32 v29, s5
	s_waitcnt vmcnt(0)
	v_and_b32_e32 v0, 1, v0
	v_cmp_eq_u32_e64 s4, 1, v0
	s_xor_b32 s4, s4, -1
	s_and_saveexec_b32 s5, s4
	s_xor_b32 s11, exec_lo, s5
	s_cbranch_execz .LBB689_93
; %bb.92:
	v_add_f64 v[0:1], v[44:45], -v[52:53]
	s_mov_b32 s4, 0x652b82fe
	s_mov_b32 s5, 0x3ff71547
	;; [unrolled: 1-line block ×4, first 2 shown]
	v_mul_f64 v[2:3], v[0:1], s[4:5]
	s_mov_b32 s4, 0xfefa39ef
	s_mov_b32 s5, 0xbfe62e42
	v_rndne_f64_e32 v[2:3], v[2:3]
	v_fma_f64 v[4:5], v[2:3], s[4:5], v[0:1]
	s_mov_b32 s4, 0x3b39803f
	s_mov_b32 s5, 0xbc7abc9e
	v_cvt_i32_f64_e32 v8, v[2:3]
	v_fma_f64 v[4:5], v[2:3], s[4:5], v[4:5]
	s_mov_b32 s4, 0xfca7ab0c
	s_mov_b32 s5, 0x3e928af3
	v_fma_f64 v[6:7], v[4:5], s[14:15], s[4:5]
	s_mov_b32 s4, 0x623fde64
	s_mov_b32 s5, 0x3ec71dee
	;; [unrolled: 3-line block ×9, first 2 shown]
	v_fma_f64 v[6:7], v[4:5], v[6:7], s[4:5]
	v_cmp_nlt_f64_e64 s4, 0x40900000, v[0:1]
	v_cmp_ngt_f64_e64 s5, 0xc090cc00, v[0:1]
	v_fma_f64 v[6:7], v[4:5], v[6:7], 1.0
	v_fma_f64 v[2:3], v[4:5], v[6:7], 1.0
	v_ldexp_f64 v[2:3], v[2:3], v8
	v_cndmask_b32_e64 v3, 0x7ff00000, v3, s4
	s_and_b32 s4, s5, s4
	v_cndmask_b32_e64 v44, 0, v2, s4
	v_cndmask_b32_e64 v45, 0, v3, s5
	v_mov_b32_e32 v16, v32
	v_mov_b32_e32 v17, v33
	;; [unrolled: 1-line block ×4, first 2 shown]
	v_add_f64 v[54:55], v[54:55], v[44:45]
	v_mov_b32_e32 v20, v36
	v_mov_b32_e32 v21, v37
	;; [unrolled: 1-line block ×12, first 2 shown]
.LBB689_93:
	s_andn2_saveexec_b32 s4, s11
	s_or_b32 exec_lo, exec_lo, s4
	s_or_b32 exec_lo, exec_lo, s10
                                        ; implicit-def: $vgpr0_vgpr1_vgpr2_vgpr3_vgpr4_vgpr5_vgpr6_vgpr7_vgpr8_vgpr9_vgpr10_vgpr11_vgpr12_vgpr13_vgpr14_vgpr15
	s_and_saveexec_b32 s4, s9
	s_xor_b32 s4, exec_lo, s4
	s_cbranch_execnz .LBB689_69
.LBB689_94:
	s_andn2_saveexec_b32 s9, s4
	s_cbranch_execz .LBB689_98
.LBB689_95:
	global_load_ubyte v0, v[50:51], off offset:224
	s_mov_b32 s5, 0
	s_waitcnt vmcnt(0)
	v_and_b32_e32 v0, 1, v0
	v_cmp_eq_u32_e64 s4, 1, v0
	v_mov_b32_e32 v0, v16
	v_mov_b32_e32 v14, v30
	;; [unrolled: 1-line block ×18, first 2 shown]
	s_xor_b32 s4, s4, -1
	s_and_saveexec_b32 s5, s4
	s_xor_b32 s10, exec_lo, s5
	s_cbranch_execz .LBB689_97
; %bb.96:
	v_add_f64 v[0:1], v[30:31], -v[52:53]
	s_mov_b32 s4, 0x652b82fe
	s_mov_b32 s5, 0x3ff71547
	;; [unrolled: 1-line block ×4, first 2 shown]
	v_mul_f64 v[2:3], v[0:1], s[4:5]
	s_mov_b32 s4, 0xfefa39ef
	s_mov_b32 s5, 0xbfe62e42
	v_rndne_f64_e32 v[2:3], v[2:3]
	v_fma_f64 v[4:5], v[2:3], s[4:5], v[0:1]
	s_mov_b32 s4, 0x3b39803f
	s_mov_b32 s5, 0xbc7abc9e
	v_cvt_i32_f64_e32 v8, v[2:3]
	v_fma_f64 v[4:5], v[2:3], s[4:5], v[4:5]
	s_mov_b32 s4, 0xfca7ab0c
	s_mov_b32 s5, 0x3e928af3
	v_fma_f64 v[6:7], v[4:5], s[14:15], s[4:5]
	s_mov_b32 s4, 0x623fde64
	s_mov_b32 s5, 0x3ec71dee
	;; [unrolled: 3-line block ×9, first 2 shown]
	v_fma_f64 v[6:7], v[4:5], v[6:7], s[4:5]
	v_cmp_nlt_f64_e64 s4, 0x40900000, v[0:1]
	v_cmp_ngt_f64_e64 s5, 0xc090cc00, v[0:1]
	v_fma_f64 v[6:7], v[4:5], v[6:7], 1.0
	v_fma_f64 v[2:3], v[4:5], v[6:7], 1.0
	v_ldexp_f64 v[2:3], v[2:3], v8
	v_cndmask_b32_e64 v3, 0x7ff00000, v3, s4
	s_and_b32 s4, s5, s4
	v_cndmask_b32_e64 v30, 0, v2, s4
	v_cndmask_b32_e64 v31, 0, v3, s5
	v_mov_b32_e32 v0, v16
	v_mov_b32_e32 v1, v17
	;; [unrolled: 1-line block ×4, first 2 shown]
	v_add_f64 v[54:55], v[54:55], v[30:31]
	v_mov_b32_e32 v4, v20
	v_mov_b32_e32 v5, v21
	;; [unrolled: 1-line block ×12, first 2 shown]
.LBB689_97:
	s_andn2_saveexec_b32 s4, s10
	s_or_b32 exec_lo, exec_lo, s4
.LBB689_98:
	s_or_b32 exec_lo, exec_lo, s9
	ds_bpermute_b32 v16, v57, v54
	ds_bpermute_b32 v17, v57, v55
	s_mov_b32 s5, exec_lo
	s_waitcnt lgkmcnt(0)
	v_add_f64 v[16:17], v[54:55], v[16:17]
	ds_bpermute_b32 v18, v58, v16
	ds_bpermute_b32 v19, v58, v17
	s_waitcnt lgkmcnt(0)
	v_add_f64 v[16:17], v[16:17], v[18:19]
	ds_bpermute_b32 v18, v59, v16
	ds_bpermute_b32 v19, v59, v17
	;; [unrolled: 4-line block ×4, first 2 shown]
	v_cmpx_lt_i32_e32 0, v56
	s_cbranch_execz .LBB689_124
; %bb.99:
	s_and_b32 exec_lo, exec_lo, vcc_lo
	s_cbranch_execz .LBB689_124
; %bb.100:
	s_waitcnt lgkmcnt(0)
	v_add_f64 v[16:17], v[16:17], v[18:19]
	v_mov_b32_e32 v18, 0
	v_mov_b32_e32 v19, 0x7ff80000
	v_cmp_neq_f64_e64 s4, 0, v[16:17]
	s_and_saveexec_b32 s5, s4
	s_cbranch_execz .LBB689_102
; %bb.101:
	v_div_scale_f64 v[18:19], null, v[16:17], v[16:17], v[0:1]
	v_rcp_f64_e32 v[20:21], v[18:19]
	v_fma_f64 v[22:23], -v[18:19], v[20:21], 1.0
	v_fma_f64 v[20:21], v[20:21], v[22:23], v[20:21]
	v_fma_f64 v[22:23], -v[18:19], v[20:21], 1.0
	v_fma_f64 v[20:21], v[20:21], v[22:23], v[20:21]
	v_div_scale_f64 v[22:23], vcc_lo, v[0:1], v[16:17], v[0:1]
	v_mul_f64 v[24:25], v[22:23], v[20:21]
	v_fma_f64 v[18:19], -v[18:19], v[24:25], v[22:23]
	v_div_fmas_f64 v[18:19], v[18:19], v[20:21], v[24:25]
	v_div_fixup_f64 v[18:19], v[18:19], v[16:17], v[0:1]
.LBB689_102:
	s_or_b32 exec_lo, exec_lo, s5
	v_add_co_u32 v0, vcc_lo, s12, v48
	v_add_co_ci_u32_e64 v1, null, s13, v49, vcc_lo
	global_store_dwordx2 v[0:1], v[18:19], off
	s_and_b32 exec_lo, exec_lo, s8
	s_cbranch_execz .LBB689_124
; %bb.103:
	v_mov_b32_e32 v18, 0
	v_mov_b32_e32 v19, 0x7ff80000
	s_and_saveexec_b32 s5, s4
	s_cbranch_execz .LBB689_105
; %bb.104:
	v_div_scale_f64 v[18:19], null, v[16:17], v[16:17], v[2:3]
	v_rcp_f64_e32 v[20:21], v[18:19]
	v_fma_f64 v[22:23], -v[18:19], v[20:21], 1.0
	v_fma_f64 v[20:21], v[20:21], v[22:23], v[20:21]
	v_fma_f64 v[22:23], -v[18:19], v[20:21], 1.0
	v_fma_f64 v[20:21], v[20:21], v[22:23], v[20:21]
	v_div_scale_f64 v[22:23], vcc_lo, v[2:3], v[16:17], v[2:3]
	v_mul_f64 v[24:25], v[22:23], v[20:21]
	v_fma_f64 v[18:19], -v[18:19], v[24:25], v[22:23]
	v_div_fmas_f64 v[18:19], v[18:19], v[20:21], v[24:25]
	v_div_fixup_f64 v[18:19], v[18:19], v[16:17], v[2:3]
.LBB689_105:
	s_or_b32 exec_lo, exec_lo, s5
	global_store_dwordx2 v[0:1], v[18:19], off offset:256
	s_and_b32 exec_lo, exec_lo, s7
	s_cbranch_execz .LBB689_124
; %bb.106:
	v_mov_b32_e32 v2, 0
	v_mov_b32_e32 v3, 0x7ff80000
	s_and_saveexec_b32 s5, s4
	s_cbranch_execz .LBB689_108
; %bb.107:
	v_div_scale_f64 v[2:3], null, v[16:17], v[16:17], v[4:5]
	v_rcp_f64_e32 v[18:19], v[2:3]
	v_fma_f64 v[20:21], -v[2:3], v[18:19], 1.0
	v_fma_f64 v[18:19], v[18:19], v[20:21], v[18:19]
	v_fma_f64 v[20:21], -v[2:3], v[18:19], 1.0
	v_fma_f64 v[18:19], v[18:19], v[20:21], v[18:19]
	v_div_scale_f64 v[20:21], vcc_lo, v[4:5], v[16:17], v[4:5]
	v_mul_f64 v[22:23], v[20:21], v[18:19]
	v_fma_f64 v[2:3], -v[2:3], v[22:23], v[20:21]
	v_div_fmas_f64 v[2:3], v[2:3], v[18:19], v[22:23]
	v_div_fixup_f64 v[2:3], v[2:3], v[16:17], v[4:5]
.LBB689_108:
	s_or_b32 exec_lo, exec_lo, s5
	global_store_dwordx2 v[0:1], v[2:3], off offset:512
	;; [unrolled: 22-line block ×7, first 2 shown]
.LBB689_124:
	s_endpgm
	.section	.rodata,"a",@progbits
	.p2align	6, 0x0
	.amdhsa_kernel _ZN12_GLOBAL__N_120softmax_warp_forwardIdddLi8ELb0ELb1ELi32EEEvPT0_PKT_iiiPKbib
		.amdhsa_group_segment_fixed_size 0
		.amdhsa_private_segment_fixed_size 0
		.amdhsa_kernarg_size 304
		.amdhsa_user_sgpr_count 6
		.amdhsa_user_sgpr_private_segment_buffer 1
		.amdhsa_user_sgpr_dispatch_ptr 0
		.amdhsa_user_sgpr_queue_ptr 0
		.amdhsa_user_sgpr_kernarg_segment_ptr 1
		.amdhsa_user_sgpr_dispatch_id 0
		.amdhsa_user_sgpr_flat_scratch_init 0
		.amdhsa_user_sgpr_private_segment_size 0
		.amdhsa_wavefront_size32 1
		.amdhsa_uses_dynamic_stack 0
		.amdhsa_system_sgpr_private_segment_wavefront_offset 0
		.amdhsa_system_sgpr_workgroup_id_x 1
		.amdhsa_system_sgpr_workgroup_id_y 0
		.amdhsa_system_sgpr_workgroup_id_z 0
		.amdhsa_system_sgpr_workgroup_info 0
		.amdhsa_system_vgpr_workitem_id 1
		.amdhsa_next_free_vgpr 62
		.amdhsa_next_free_sgpr 22
		.amdhsa_reserve_vcc 1
		.amdhsa_reserve_flat_scratch 0
		.amdhsa_float_round_mode_32 0
		.amdhsa_float_round_mode_16_64 0
		.amdhsa_float_denorm_mode_32 3
		.amdhsa_float_denorm_mode_16_64 3
		.amdhsa_dx10_clamp 1
		.amdhsa_ieee_mode 1
		.amdhsa_fp16_overflow 0
		.amdhsa_workgroup_processor_mode 1
		.amdhsa_memory_ordered 1
		.amdhsa_forward_progress 1
		.amdhsa_shared_vgpr_count 0
		.amdhsa_exception_fp_ieee_invalid_op 0
		.amdhsa_exception_fp_denorm_src 0
		.amdhsa_exception_fp_ieee_div_zero 0
		.amdhsa_exception_fp_ieee_overflow 0
		.amdhsa_exception_fp_ieee_underflow 0
		.amdhsa_exception_fp_ieee_inexact 0
		.amdhsa_exception_int_div_zero 0
	.end_amdhsa_kernel
	.section	.text._ZN12_GLOBAL__N_120softmax_warp_forwardIdddLi8ELb0ELb1ELi32EEEvPT0_PKT_iiiPKbib,"axG",@progbits,_ZN12_GLOBAL__N_120softmax_warp_forwardIdddLi8ELb0ELb1ELi32EEEvPT0_PKT_iiiPKbib,comdat
.Lfunc_end689:
	.size	_ZN12_GLOBAL__N_120softmax_warp_forwardIdddLi8ELb0ELb1ELi32EEEvPT0_PKT_iiiPKbib, .Lfunc_end689-_ZN12_GLOBAL__N_120softmax_warp_forwardIdddLi8ELb0ELb1ELi32EEEvPT0_PKT_iiiPKbib
                                        ; -- End function
	.set _ZN12_GLOBAL__N_120softmax_warp_forwardIdddLi8ELb0ELb1ELi32EEEvPT0_PKT_iiiPKbib.num_vgpr, 62
	.set _ZN12_GLOBAL__N_120softmax_warp_forwardIdddLi8ELb0ELb1ELi32EEEvPT0_PKT_iiiPKbib.num_agpr, 0
	.set _ZN12_GLOBAL__N_120softmax_warp_forwardIdddLi8ELb0ELb1ELi32EEEvPT0_PKT_iiiPKbib.numbered_sgpr, 22
	.set _ZN12_GLOBAL__N_120softmax_warp_forwardIdddLi8ELb0ELb1ELi32EEEvPT0_PKT_iiiPKbib.num_named_barrier, 0
	.set _ZN12_GLOBAL__N_120softmax_warp_forwardIdddLi8ELb0ELb1ELi32EEEvPT0_PKT_iiiPKbib.private_seg_size, 0
	.set _ZN12_GLOBAL__N_120softmax_warp_forwardIdddLi8ELb0ELb1ELi32EEEvPT0_PKT_iiiPKbib.uses_vcc, 1
	.set _ZN12_GLOBAL__N_120softmax_warp_forwardIdddLi8ELb0ELb1ELi32EEEvPT0_PKT_iiiPKbib.uses_flat_scratch, 0
	.set _ZN12_GLOBAL__N_120softmax_warp_forwardIdddLi8ELb0ELb1ELi32EEEvPT0_PKT_iiiPKbib.has_dyn_sized_stack, 0
	.set _ZN12_GLOBAL__N_120softmax_warp_forwardIdddLi8ELb0ELb1ELi32EEEvPT0_PKT_iiiPKbib.has_recursion, 0
	.set _ZN12_GLOBAL__N_120softmax_warp_forwardIdddLi8ELb0ELb1ELi32EEEvPT0_PKT_iiiPKbib.has_indirect_call, 0
	.section	.AMDGPU.csdata,"",@progbits
; Kernel info:
; codeLenInByte = 8692
; TotalNumSgprs: 24
; NumVgprs: 62
; ScratchSize: 0
; MemoryBound: 1
; FloatMode: 240
; IeeeMode: 1
; LDSByteSize: 0 bytes/workgroup (compile time only)
; SGPRBlocks: 0
; VGPRBlocks: 7
; NumSGPRsForWavesPerEU: 24
; NumVGPRsForWavesPerEU: 62
; Occupancy: 16
; WaveLimiterHint : 0
; COMPUTE_PGM_RSRC2:SCRATCH_EN: 0
; COMPUTE_PGM_RSRC2:USER_SGPR: 6
; COMPUTE_PGM_RSRC2:TRAP_HANDLER: 0
; COMPUTE_PGM_RSRC2:TGID_X_EN: 1
; COMPUTE_PGM_RSRC2:TGID_Y_EN: 0
; COMPUTE_PGM_RSRC2:TGID_Z_EN: 0
; COMPUTE_PGM_RSRC2:TIDIG_COMP_CNT: 1
	.section	.text._ZN12_GLOBAL__N_120softmax_warp_forwardIdddLi9ELb0ELb1ELi64EEEvPT0_PKT_iiiPKbib,"axG",@progbits,_ZN12_GLOBAL__N_120softmax_warp_forwardIdddLi9ELb0ELb1ELi64EEEvPT0_PKT_iiiPKbib,comdat
	.globl	_ZN12_GLOBAL__N_120softmax_warp_forwardIdddLi9ELb0ELb1ELi64EEEvPT0_PKT_iiiPKbib ; -- Begin function _ZN12_GLOBAL__N_120softmax_warp_forwardIdddLi9ELb0ELb1ELi64EEEvPT0_PKT_iiiPKbib
	.p2align	8
	.type	_ZN12_GLOBAL__N_120softmax_warp_forwardIdddLi9ELb0ELb1ELi64EEEvPT0_PKT_iiiPKbib,@function
_ZN12_GLOBAL__N_120softmax_warp_forwardIdddLi9ELb0ELb1ELi64EEEvPT0_PKT_iiiPKbib: ; @_ZN12_GLOBAL__N_120softmax_warp_forwardIdddLi9ELb0ELb1ELi64EEEvPT0_PKT_iiiPKbib
; %bb.0:
	s_clause 0x1
	s_load_dword s0, s[4:5], 0x3c
	s_load_dwordx4 s[8:11], s[4:5], 0x10
	s_waitcnt lgkmcnt(0)
	s_lshr_b32 s0, s0, 16
	v_mad_u64_u32 v[1:2], null, s6, s0, v[1:2]
	s_load_dwordx2 s[0:1], s[4:5], 0x28
	v_mul_lo_u32 v4, v1, s9
	v_add_nc_u32_e32 v2, v4, v0
	v_ashrrev_i32_e32 v3, 31, v2
	s_waitcnt lgkmcnt(0)
	s_bitcmp0_b32 s1, 0
	v_mov_b32_e32 v19, v3
	v_mov_b32_e32 v18, v2
	s_cbranch_scc1 .LBB690_2
; %bb.1:
	s_abs_i32 s1, s0
	v_sub_nc_u32_e32 v7, 0, v4
	v_cvt_f32_u32_e32 v5, s1
	s_sub_i32 s2, 0, s1
	v_max_i32_e32 v7, v4, v7
	v_rcp_iflag_f32_e32 v5, v5
	v_xor_b32_e32 v4, s0, v4
	v_ashrrev_i32_e32 v4, 31, v4
	v_mul_f32_e32 v5, 0x4f7ffffe, v5
	v_cvt_u32_f32_e32 v5, v5
	v_mul_lo_u32 v6, s2, v5
	v_mul_hi_u32 v6, v5, v6
	v_add_nc_u32_e32 v5, v5, v6
	v_mul_hi_u32 v5, v7, v5
	v_mul_lo_u32 v6, v5, s1
	v_sub_nc_u32_e32 v6, v7, v6
	v_add_nc_u32_e32 v7, 1, v5
	v_subrev_nc_u32_e32 v8, s1, v6
	v_cmp_le_u32_e32 vcc_lo, s1, v6
	v_cndmask_b32_e32 v5, v5, v7, vcc_lo
	v_cndmask_b32_e32 v6, v6, v8, vcc_lo
	v_add_nc_u32_e32 v7, 1, v5
	v_cmp_le_u32_e32 vcc_lo, s1, v6
	v_cndmask_b32_e32 v5, v5, v7, vcc_lo
	v_xor_b32_e32 v5, v5, v4
	v_sub_nc_u32_e32 v4, v5, v4
	v_mad_u64_u32 v[18:19], null, v4, s9, v[0:1]
	v_ashrrev_i32_e32 v19, 31, v18
.LBB690_2:
	s_load_dwordx4 s[12:15], s[4:5], 0x0
	v_lshlrev_b64 v[48:49], 3, v[2:3]
	v_sub_nc_u32_e32 v56, s8, v1
	v_cmp_gt_i32_e32 vcc_lo, s10, v0
	v_mov_b32_e32 v2, 0
	v_mov_b32_e32 v16, 0
	;; [unrolled: 1-line block ×3, first 2 shown]
	v_cmp_lt_i32_e64 s9, 0, v56
	v_mov_b32_e32 v17, 0xfff00000
	s_and_b32 s19, s9, vcc_lo
	s_waitcnt lgkmcnt(0)
	v_add_co_u32 v20, s0, s14, v48
	v_add_co_ci_u32_e64 v21, null, s15, v49, s0
	s_and_saveexec_b32 s0, s19
	s_cbranch_execz .LBB690_4
; %bb.3:
	global_load_dwordx2 v[16:17], v[20:21], off
.LBB690_4:
	s_or_b32 exec_lo, exec_lo, s0
	v_add_nc_u32_e32 v1, 64, v0
	v_cmp_gt_i32_e64 s8, s10, v1
	s_and_b32 s18, s9, s8
	s_and_saveexec_b32 s0, s18
	s_cbranch_execz .LBB690_6
; %bb.5:
	global_load_dwordx2 v[2:3], v[20:21], off offset:512
.LBB690_6:
	s_or_b32 exec_lo, exec_lo, s0
	v_add_nc_u32_e32 v1, 0x80, v0
	v_mov_b32_e32 v6, 0
	v_mov_b32_e32 v4, 0
	;; [unrolled: 1-line block ×4, first 2 shown]
	v_cmp_gt_i32_e64 s7, s10, v1
	s_and_b32 s17, s9, s7
	s_and_saveexec_b32 s0, s17
	s_cbranch_execz .LBB690_8
; %bb.7:
	global_load_dwordx2 v[4:5], v[20:21], off offset:1024
.LBB690_8:
	s_or_b32 exec_lo, exec_lo, s0
	v_add_nc_u32_e32 v1, 0xc0, v0
	v_cmp_gt_i32_e64 s6, s10, v1
	s_and_b32 s16, s9, s6
	s_and_saveexec_b32 s0, s16
	s_cbranch_execz .LBB690_10
; %bb.9:
	global_load_dwordx2 v[6:7], v[20:21], off offset:1536
.LBB690_10:
	s_or_b32 exec_lo, exec_lo, s0
	v_add_nc_u32_e32 v1, 0x100, v0
	v_mov_b32_e32 v10, 0
	v_mov_b32_e32 v8, 0
	;; [unrolled: 1-line block ×4, first 2 shown]
	v_cmp_gt_i32_e64 s3, s10, v1
	s_and_b32 s15, s9, s3
	s_and_saveexec_b32 s1, s15
	s_cbranch_execz .LBB690_12
; %bb.11:
	v_add_co_u32 v8, s0, 0x800, v20
	v_add_co_ci_u32_e64 v9, null, 0, v21, s0
	global_load_dwordx2 v[8:9], v[8:9], off
.LBB690_12:
	s_or_b32 exec_lo, exec_lo, s1
	v_add_nc_u32_e32 v1, 0x140, v0
	v_cmp_gt_i32_e64 s2, s10, v1
	s_and_b32 s14, s9, s2
	s_and_saveexec_b32 s1, s14
	s_cbranch_execz .LBB690_14
; %bb.13:
	v_add_co_u32 v10, s0, 0x800, v20
	v_add_co_ci_u32_e64 v11, null, 0, v21, s0
	global_load_dwordx2 v[10:11], v[10:11], off offset:512
.LBB690_14:
	s_or_b32 exec_lo, exec_lo, s1
	v_add_nc_u32_e32 v1, 0x180, v0
	v_mov_b32_e32 v14, 0
	v_mov_b32_e32 v12, 0
	v_mov_b32_e32 v15, 0xfff00000
	v_mov_b32_e32 v13, 0xfff00000
	v_cmp_gt_i32_e64 s1, s10, v1
	s_and_b32 s11, s9, s1
	s_and_saveexec_b32 s20, s11
	s_cbranch_execz .LBB690_16
; %bb.15:
	v_add_co_u32 v12, s0, 0x800, v20
	v_add_co_ci_u32_e64 v13, null, 0, v21, s0
	global_load_dwordx2 v[12:13], v[12:13], off offset:1024
.LBB690_16:
	s_or_b32 exec_lo, exec_lo, s20
	v_add_nc_u32_e32 v0, 0x1c0, v0
	v_cmp_gt_i32_e64 s0, s10, v0
	s_and_b32 s10, s9, s0
	s_and_saveexec_b32 s20, s10
	s_cbranch_execz .LBB690_18
; %bb.17:
	v_add_co_u32 v0, s9, 0x800, v20
	v_add_co_ci_u32_e64 v1, null, 0, v21, s9
	global_load_dwordx2 v[14:15], v[0:1], off offset:1536
.LBB690_18:
	s_or_b32 exec_lo, exec_lo, s20
	s_load_dwordx2 s[4:5], s[4:5], 0x20
	s_waitcnt lgkmcnt(0)
	v_add_co_u32 v50, s4, s4, v18
	v_add_co_ci_u32_e64 v51, null, s5, v19, s4
	s_mov_b32 s5, 0
	s_and_saveexec_b32 s9, s19
	s_cbranch_execz .LBB690_20
; %bb.19:
	global_load_ubyte v0, v[50:51], off
	s_waitcnt vmcnt(0)
	v_and_b32_e32 v0, 1, v0
	v_cmp_eq_u32_e64 s4, 1, v0
	s_xor_b32 s4, s4, -1
	s_and_b32 s5, s4, exec_lo
.LBB690_20:
	s_or_b32 exec_lo, exec_lo, s9
	s_waitcnt vmcnt(0)
	v_mov_b32_e32 v0, v16
	v_mov_b32_e32 v1, v17
	s_and_saveexec_b32 s9, s18
	s_cbranch_execz .LBB690_33
; %bb.21:
	global_load_ubyte v0, v[50:51], off offset:64
	s_waitcnt vmcnt(0)
	v_and_b32_e32 v0, 1, v0
	v_cmp_eq_u32_e64 s4, 1, v0
	v_mov_b32_e32 v0, v16
	v_mov_b32_e32 v1, v17
	s_xor_b32 s21, s4, -1
	s_mov_b32 s4, s5
	s_and_saveexec_b32 s20, s21
	s_cbranch_execz .LBB690_23
; %bb.22:
	v_cmp_gt_f64_e64 s4, v[16:17], v[2:3]
	s_and_b32 s4, s5, s4
	v_cndmask_b32_e64 v1, v3, v17, s4
	v_cndmask_b32_e64 v0, v2, v16, s4
	s_or_b32 s4, s5, exec_lo
.LBB690_23:
	s_or_b32 exec_lo, exec_lo, s20
	s_andn2_b32 s5, s5, exec_lo
	s_and_b32 s4, s4, exec_lo
	s_or_b32 s5, s5, s4
	s_or_b32 exec_lo, exec_lo, s9
	s_and_saveexec_b32 s9, s17
	s_cbranch_execnz .LBB690_34
.LBB690_24:
	s_or_b32 exec_lo, exec_lo, s9
	s_and_saveexec_b32 s9, s16
	s_cbranch_execz .LBB690_37
.LBB690_25:
	global_load_ubyte v18, v[50:51], off offset:192
	s_waitcnt vmcnt(0)
	v_and_b32_e32 v18, 1, v18
	v_cmp_eq_u32_e64 s4, 1, v18
	s_xor_b32 s21, s4, -1
	s_mov_b32 s4, s5
	s_and_saveexec_b32 s20, s21
	s_cbranch_execz .LBB690_27
; %bb.26:
	v_cmp_gt_f64_e64 s4, v[0:1], v[6:7]
	s_and_b32 s4, s5, s4
	v_cndmask_b32_e64 v1, v7, v1, s4
	v_cndmask_b32_e64 v0, v6, v0, s4
	s_or_b32 s4, s5, exec_lo
.LBB690_27:
	s_or_b32 exec_lo, exec_lo, s20
	s_andn2_b32 s5, s5, exec_lo
	s_and_b32 s4, s4, exec_lo
	s_or_b32 s5, s5, s4
	s_or_b32 exec_lo, exec_lo, s9
	s_and_saveexec_b32 s9, s15
	s_cbranch_execnz .LBB690_38
.LBB690_28:
	s_or_b32 exec_lo, exec_lo, s9
	s_and_saveexec_b32 s9, s14
	s_cbranch_execz .LBB690_41
.LBB690_29:
	global_load_ubyte v18, v[50:51], off offset:320
	s_waitcnt vmcnt(0)
	v_and_b32_e32 v18, 1, v18
	v_cmp_eq_u32_e64 s4, 1, v18
	s_xor_b32 s21, s4, -1
	s_mov_b32 s4, s5
	s_and_saveexec_b32 s20, s21
	s_cbranch_execz .LBB690_31
; %bb.30:
	v_cmp_gt_f64_e64 s4, v[0:1], v[10:11]
	s_and_b32 s4, s5, s4
	v_cndmask_b32_e64 v1, v11, v1, s4
	v_cndmask_b32_e64 v0, v10, v0, s4
	s_or_b32 s4, s5, exec_lo
.LBB690_31:
	s_or_b32 exec_lo, exec_lo, s20
	s_andn2_b32 s5, s5, exec_lo
	s_and_b32 s4, s4, exec_lo
	s_or_b32 s5, s5, s4
	s_or_b32 exec_lo, exec_lo, s9
	s_and_saveexec_b32 s9, s11
	s_cbranch_execnz .LBB690_42
.LBB690_32:
	s_or_b32 exec_lo, exec_lo, s9
	s_xor_b32 s9, s19, -1
	s_and_saveexec_b32 s19, s10
	s_cbranch_execnz .LBB690_45
	s_branch .LBB690_48
.LBB690_33:
	s_or_b32 exec_lo, exec_lo, s9
	s_and_saveexec_b32 s9, s17
	s_cbranch_execz .LBB690_24
.LBB690_34:
	global_load_ubyte v18, v[50:51], off offset:128
	s_waitcnt vmcnt(0)
	v_and_b32_e32 v18, 1, v18
	v_cmp_eq_u32_e64 s4, 1, v18
	s_xor_b32 s21, s4, -1
	s_mov_b32 s4, s5
	s_and_saveexec_b32 s20, s21
	s_cbranch_execz .LBB690_36
; %bb.35:
	v_cmp_gt_f64_e64 s4, v[0:1], v[4:5]
	s_and_b32 s4, s5, s4
	v_cndmask_b32_e64 v1, v5, v1, s4
	v_cndmask_b32_e64 v0, v4, v0, s4
	s_or_b32 s4, s5, exec_lo
.LBB690_36:
	s_or_b32 exec_lo, exec_lo, s20
	s_andn2_b32 s5, s5, exec_lo
	s_and_b32 s4, s4, exec_lo
	s_or_b32 s5, s5, s4
	s_or_b32 exec_lo, exec_lo, s9
	s_and_saveexec_b32 s9, s16
	s_cbranch_execnz .LBB690_25
.LBB690_37:
	s_or_b32 exec_lo, exec_lo, s9
	s_and_saveexec_b32 s9, s15
	s_cbranch_execz .LBB690_28
.LBB690_38:
	global_load_ubyte v18, v[50:51], off offset:256
	s_waitcnt vmcnt(0)
	v_and_b32_e32 v18, 1, v18
	v_cmp_eq_u32_e64 s4, 1, v18
	s_xor_b32 s21, s4, -1
	s_mov_b32 s4, s5
	s_and_saveexec_b32 s20, s21
	s_cbranch_execz .LBB690_40
; %bb.39:
	v_cmp_gt_f64_e64 s4, v[0:1], v[8:9]
	s_and_b32 s4, s5, s4
	v_cndmask_b32_e64 v1, v9, v1, s4
	v_cndmask_b32_e64 v0, v8, v0, s4
	s_or_b32 s4, s5, exec_lo
.LBB690_40:
	s_or_b32 exec_lo, exec_lo, s20
	s_andn2_b32 s5, s5, exec_lo
	s_and_b32 s4, s4, exec_lo
	s_or_b32 s5, s5, s4
	s_or_b32 exec_lo, exec_lo, s9
	s_and_saveexec_b32 s9, s14
	s_cbranch_execnz .LBB690_29
.LBB690_41:
	s_or_b32 exec_lo, exec_lo, s9
	s_and_saveexec_b32 s9, s11
	s_cbranch_execz .LBB690_32
.LBB690_42:
	global_load_ubyte v18, v[50:51], off offset:384
	s_waitcnt vmcnt(0)
	v_and_b32_e32 v18, 1, v18
	v_cmp_eq_u32_e64 s4, 1, v18
	s_xor_b32 s21, s4, -1
	s_mov_b32 s4, s5
	s_and_saveexec_b32 s20, s21
	s_cbranch_execz .LBB690_44
; %bb.43:
	v_cmp_gt_f64_e64 s4, v[0:1], v[12:13]
	s_and_b32 s4, s5, s4
	v_cndmask_b32_e64 v1, v13, v1, s4
	v_cndmask_b32_e64 v0, v12, v0, s4
	s_or_b32 s4, s5, exec_lo
.LBB690_44:
	s_or_b32 exec_lo, exec_lo, s20
	s_andn2_b32 s5, s5, exec_lo
	s_and_b32 s4, s4, exec_lo
	s_or_b32 s5, s5, s4
	s_or_b32 exec_lo, exec_lo, s9
	s_xor_b32 s9, s19, -1
	s_and_saveexec_b32 s19, s10
	s_cbranch_execz .LBB690_48
.LBB690_45:
	global_load_ubyte v18, v[50:51], off offset:448
	s_waitcnt vmcnt(0)
	v_and_b32_e32 v18, 1, v18
	v_cmp_eq_u32_e64 s4, 1, v18
	s_xor_b32 s21, s4, -1
	s_mov_b32 s4, s5
	s_and_saveexec_b32 s20, s21
	s_cbranch_execz .LBB690_47
; %bb.46:
	v_cmp_gt_f64_e64 s4, v[0:1], v[14:15]
	s_and_b32 s4, s5, s4
	v_cndmask_b32_e64 v1, v15, v1, s4
	v_cndmask_b32_e64 v0, v14, v0, s4
	s_or_b32 s4, s5, exec_lo
.LBB690_47:
	s_or_b32 exec_lo, exec_lo, s20
	s_andn2_b32 s5, s5, exec_lo
	s_and_b32 s4, s4, exec_lo
	s_or_b32 s5, s5, s4
.LBB690_48:
	s_or_b32 exec_lo, exec_lo, s19
	v_mbcnt_lo_u32_b32 v20, -1, 0
	v_cndmask_b32_e64 v0, 0, v0, s5
	v_cndmask_b32_e64 v1, 0xfff00000, v1, s5
	v_or_b32_e32 v18, 32, v20
	v_xor_b32_e32 v21, 16, v20
	v_cmp_gt_i32_e64 s4, 64, v18
	v_cmp_gt_i32_e64 s5, 64, v21
	v_cndmask_b32_e64 v18, v20, v18, s4
	v_cndmask_b32_e64 v21, v20, v21, s5
	v_lshlrev_b32_e32 v57, 2, v18
	v_lshlrev_b32_e32 v58, 2, v21
	v_xor_b32_e32 v21, 8, v20
	ds_bpermute_b32 v18, v57, v0
	ds_bpermute_b32 v19, v57, v1
	v_cmp_gt_i32_e64 s5, 64, v21
	v_cndmask_b32_e64 v21, v20, v21, s5
	v_lshlrev_b32_e32 v59, 2, v21
	v_xor_b32_e32 v21, 4, v20
	v_cmp_gt_i32_e64 s5, 64, v21
	s_waitcnt lgkmcnt(0)
	v_cmp_lt_f64_e64 s4, v[0:1], v[18:19]
	v_cndmask_b32_e64 v21, v20, v21, s5
	v_lshlrev_b32_e32 v60, 2, v21
	v_xor_b32_e32 v21, 2, v20
	v_cmp_gt_i32_e64 s5, 64, v21
	v_cndmask_b32_e64 v21, v20, v21, s5
	v_cndmask_b32_e64 v1, v1, v19, s4
	v_cndmask_b32_e64 v0, v0, v18, s4
	v_lshlrev_b32_e32 v61, 2, v21
	v_xor_b32_e32 v21, 1, v20
	ds_bpermute_b32 v19, v58, v1
	ds_bpermute_b32 v18, v58, v0
	v_cmp_gt_i32_e64 s5, 64, v21
	v_cndmask_b32_e64 v20, v20, v21, s5
	s_mov_b32 s5, 0
	v_lshlrev_b32_e32 v62, 2, v20
	s_waitcnt lgkmcnt(0)
	v_cmp_lt_f64_e64 s4, v[0:1], v[18:19]
	v_cndmask_b32_e64 v1, v1, v19, s4
	v_cndmask_b32_e64 v0, v0, v18, s4
	ds_bpermute_b32 v19, v59, v1
	ds_bpermute_b32 v18, v59, v0
	s_waitcnt lgkmcnt(0)
	v_cmp_lt_f64_e64 s4, v[0:1], v[18:19]
	v_cndmask_b32_e64 v1, v1, v19, s4
	v_cndmask_b32_e64 v0, v0, v18, s4
	ds_bpermute_b32 v19, v60, v1
	ds_bpermute_b32 v18, v60, v0
	s_waitcnt lgkmcnt(0)
	v_cmp_lt_f64_e64 s4, v[0:1], v[18:19]
	v_cndmask_b32_e64 v1, v1, v19, s4
	v_cndmask_b32_e64 v0, v0, v18, s4
	ds_bpermute_b32 v19, v61, v1
	ds_bpermute_b32 v18, v61, v0
	s_waitcnt lgkmcnt(0)
	v_cmp_lt_f64_e64 s4, v[0:1], v[18:19]
	v_cndmask_b32_e64 v1, v1, v19, s4
	v_cndmask_b32_e64 v0, v0, v18, s4
	ds_bpermute_b32 v19, v62, v1
	ds_bpermute_b32 v18, v62, v0
	s_waitcnt lgkmcnt(0)
	v_cmp_lt_f64_e64 s4, v[0:1], v[18:19]
	v_cndmask_b32_e64 v53, v1, v19, s4
	v_cndmask_b32_e64 v52, v0, v18, s4
	s_and_saveexec_b32 s4, s9
	s_xor_b32 s4, exec_lo, s4
; %bb.49:
	v_mov_b32_e32 v0, s5
	v_mov_b32_e32 v1, s5
                                        ; implicit-def: $vgpr16_vgpr17
; %bb.50:
	s_or_saveexec_b32 s9, s4
	v_mov_b32_e32 v54, 0
	v_mov_b32_e32 v55, 0
	s_xor_b32 s18, s18, -1
	s_xor_b32 exec_lo, exec_lo, s9
	s_cbranch_execz .LBB690_56
; %bb.51:
	global_load_ubyte v0, v[50:51], off
	v_mov_b32_e32 v1, s5
                                        ; implicit-def: $vgpr54_vgpr55
	s_waitcnt vmcnt(0)
	v_and_b32_e32 v0, 1, v0
	v_cmp_eq_u32_e64 s4, 1, v0
	v_mov_b32_e32 v0, s5
	s_xor_b32 s4, s4, -1
	s_and_saveexec_b32 s5, s4
	s_xor_b32 s19, exec_lo, s5
	s_cbranch_execz .LBB690_53
; %bb.52:
	v_add_f64 v[0:1], v[16:17], -v[52:53]
	s_mov_b32 s4, 0x652b82fe
	s_mov_b32 s5, 0x3ff71547
	;; [unrolled: 1-line block ×4, first 2 shown]
	v_mul_f64 v[16:17], v[0:1], s[4:5]
	s_mov_b32 s4, 0xfefa39ef
	s_mov_b32 s5, 0xbfe62e42
	v_rndne_f64_e32 v[16:17], v[16:17]
	v_fma_f64 v[18:19], v[16:17], s[4:5], v[0:1]
	s_mov_b32 s4, 0x3b39803f
	s_mov_b32 s5, 0xbc7abc9e
	v_cvt_i32_f64_e32 v22, v[16:17]
	v_fma_f64 v[18:19], v[16:17], s[4:5], v[18:19]
	s_mov_b32 s4, 0xfca7ab0c
	s_mov_b32 s5, 0x3e928af3
	v_fma_f64 v[20:21], v[18:19], s[20:21], s[4:5]
	s_mov_b32 s4, 0x623fde64
	s_mov_b32 s5, 0x3ec71dee
	;; [unrolled: 3-line block ×9, first 2 shown]
	v_fma_f64 v[20:21], v[18:19], v[20:21], s[4:5]
	v_cmp_nlt_f64_e64 s4, 0x40900000, v[0:1]
	v_cmp_ngt_f64_e64 s5, 0xc090cc00, v[0:1]
	v_fma_f64 v[20:21], v[18:19], v[20:21], 1.0
	v_fma_f64 v[16:17], v[18:19], v[20:21], 1.0
	v_ldexp_f64 v[16:17], v[16:17], v22
	v_cndmask_b32_e64 v17, 0x7ff00000, v17, s4
	s_and_b32 s4, s5, s4
	v_cndmask_b32_e64 v0, 0, v16, s4
	v_cndmask_b32_e64 v1, 0, v17, s5
	v_add_f64 v[54:55], v[0:1], 0
.LBB690_53:
	s_andn2_saveexec_b32 s4, s19
; %bb.54:
	v_mov_b32_e32 v54, 0
	v_mov_b32_e32 v55, 0
; %bb.55:
	s_or_b32 exec_lo, exec_lo, s4
.LBB690_56:
	s_or_b32 exec_lo, exec_lo, s9
                                        ; implicit-def: $vgpr16_vgpr17_vgpr18_vgpr19_vgpr20_vgpr21_vgpr22_vgpr23_vgpr24_vgpr25_vgpr26_vgpr27_vgpr28_vgpr29_vgpr30_vgpr31
	s_and_saveexec_b32 s4, s18
	s_xor_b32 s4, exec_lo, s4
	s_cbranch_execz .LBB690_70
; %bb.57:
	s_mov_b32 s5, 0
	v_mov_b32_e32 v2, s5
	v_mov_b32_e32 v3, s5
	v_mov_b32_e32 v31, v15
	v_mov_b32_e32 v30, v14
	v_mov_b32_e32 v29, v13
	v_mov_b32_e32 v28, v12
	v_mov_b32_e32 v27, v11
	v_mov_b32_e32 v26, v10
	v_mov_b32_e32 v25, v9
	v_mov_b32_e32 v24, v8
	v_mov_b32_e32 v23, v7
	v_mov_b32_e32 v22, v6
	v_mov_b32_e32 v21, v5
	v_mov_b32_e32 v20, v4
	v_mov_b32_e32 v19, v3
	v_mov_b32_e32 v18, v2
	v_mov_b32_e32 v17, v1
	v_mov_b32_e32 v16, v0
                                        ; implicit-def: $vgpr0_vgpr1_vgpr2_vgpr3_vgpr4_vgpr5_vgpr6_vgpr7_vgpr8_vgpr9_vgpr10_vgpr11_vgpr12_vgpr13_vgpr14_vgpr15
	s_or_saveexec_b32 s18, s4
	s_xor_b32 s9, s17, -1
	s_xor_b32 exec_lo, exec_lo, s18
	s_cbranch_execnz .LBB690_71
.LBB690_58:
	s_or_b32 exec_lo, exec_lo, s18
                                        ; implicit-def: $vgpr0_vgpr1_vgpr2_vgpr3_vgpr4_vgpr5_vgpr6_vgpr7_vgpr8_vgpr9_vgpr10_vgpr11_vgpr12_vgpr13_vgpr14_vgpr15
	s_and_saveexec_b32 s4, s9
	s_xor_b32 s4, exec_lo, s4
	s_cbranch_execz .LBB690_74
.LBB690_59:
	s_mov_b32 s5, 0
	v_mov_b32_e32 v20, s5
	v_mov_b32_e32 v21, s5
	;; [unrolled: 1-line block ×18, first 2 shown]
                                        ; implicit-def: $vgpr16_vgpr17_vgpr18_vgpr19_vgpr20_vgpr21_vgpr22_vgpr23_vgpr24_vgpr25_vgpr26_vgpr27_vgpr28_vgpr29_vgpr30_vgpr31
	s_or_saveexec_b32 s17, s4
	s_xor_b32 s9, s16, -1
	s_xor_b32 exec_lo, exec_lo, s17
	s_cbranch_execnz .LBB690_75
.LBB690_60:
	s_or_b32 exec_lo, exec_lo, s17
                                        ; implicit-def: $vgpr16_vgpr17_vgpr18_vgpr19_vgpr20_vgpr21_vgpr22_vgpr23_vgpr24_vgpr25_vgpr26_vgpr27_vgpr28_vgpr29_vgpr30_vgpr31
	s_and_saveexec_b32 s4, s9
	s_xor_b32 s4, exec_lo, s4
	s_cbranch_execz .LBB690_78
.LBB690_61:
	s_mov_b32 s5, 0
	v_mov_b32_e32 v6, s5
	v_mov_b32_e32 v7, s5
	;; [unrolled: 1-line block ×18, first 2 shown]
                                        ; implicit-def: $vgpr0_vgpr1_vgpr2_vgpr3_vgpr4_vgpr5_vgpr6_vgpr7_vgpr8_vgpr9_vgpr10_vgpr11_vgpr12_vgpr13_vgpr14_vgpr15
	s_or_saveexec_b32 s16, s4
	s_xor_b32 s9, s15, -1
	s_xor_b32 exec_lo, exec_lo, s16
	s_cbranch_execnz .LBB690_79
.LBB690_62:
	s_or_b32 exec_lo, exec_lo, s16
                                        ; implicit-def: $vgpr0_vgpr1_vgpr2_vgpr3_vgpr4_vgpr5_vgpr6_vgpr7_vgpr8_vgpr9_vgpr10_vgpr11_vgpr12_vgpr13_vgpr14_vgpr15
	s_and_saveexec_b32 s4, s9
	s_xor_b32 s4, exec_lo, s4
	s_cbranch_execz .LBB690_82
.LBB690_63:
	s_mov_b32 s5, 0
	v_mov_b32_e32 v24, s5
	v_mov_b32_e32 v25, s5
	;; [unrolled: 1-line block ×18, first 2 shown]
                                        ; implicit-def: $vgpr16_vgpr17_vgpr18_vgpr19_vgpr20_vgpr21_vgpr22_vgpr23_vgpr24_vgpr25_vgpr26_vgpr27_vgpr28_vgpr29_vgpr30_vgpr31
	s_or_saveexec_b32 s15, s4
	s_xor_b32 s9, s14, -1
	s_xor_b32 exec_lo, exec_lo, s15
	s_cbranch_execnz .LBB690_83
.LBB690_64:
	s_or_b32 exec_lo, exec_lo, s15
                                        ; implicit-def: $vgpr32_vgpr33_vgpr34_vgpr35_vgpr36_vgpr37_vgpr38_vgpr39_vgpr40_vgpr41_vgpr42_vgpr43_vgpr44_vgpr45_vgpr46_vgpr47
	s_and_saveexec_b32 s4, s9
	s_xor_b32 s4, exec_lo, s4
	s_cbranch_execz .LBB690_86
.LBB690_65:
	s_mov_b32 s5, 0
	v_mov_b32_e32 v10, s5
	v_mov_b32_e32 v11, s5
	;; [unrolled: 1-line block ×18, first 2 shown]
                                        ; implicit-def: $vgpr0_vgpr1_vgpr2_vgpr3_vgpr4_vgpr5_vgpr6_vgpr7_vgpr8_vgpr9_vgpr10_vgpr11_vgpr12_vgpr13_vgpr14_vgpr15
	s_or_saveexec_b32 s14, s4
	s_xor_b32 s9, s11, -1
	s_xor_b32 exec_lo, exec_lo, s14
	s_cbranch_execnz .LBB690_87
.LBB690_66:
	s_or_b32 exec_lo, exec_lo, s14
                                        ; implicit-def: $vgpr16_vgpr17_vgpr18_vgpr19_vgpr20_vgpr21_vgpr22_vgpr23_vgpr24_vgpr25_vgpr26_vgpr27_vgpr28_vgpr29_vgpr30_vgpr31
	s_and_saveexec_b32 s4, s9
	s_xor_b32 s4, exec_lo, s4
	s_cbranch_execz .LBB690_90
.LBB690_67:
	s_mov_b32 s5, 0
	v_mov_b32_e32 v44, s5
	v_mov_b32_e32 v45, s5
	;; [unrolled: 1-line block ×18, first 2 shown]
                                        ; implicit-def: $vgpr32_vgpr33_vgpr34_vgpr35_vgpr36_vgpr37_vgpr38_vgpr39_vgpr40_vgpr41_vgpr42_vgpr43_vgpr44_vgpr45_vgpr46_vgpr47
	s_or_saveexec_b32 s11, s4
	s_xor_b32 s9, s10, -1
	s_xor_b32 exec_lo, exec_lo, s11
	s_cbranch_execnz .LBB690_91
.LBB690_68:
	s_or_b32 exec_lo, exec_lo, s11
                                        ; implicit-def: $vgpr0_vgpr1_vgpr2_vgpr3_vgpr4_vgpr5_vgpr6_vgpr7_vgpr8_vgpr9_vgpr10_vgpr11_vgpr12_vgpr13_vgpr14_vgpr15
	s_and_saveexec_b32 s4, s9
	s_xor_b32 s4, exec_lo, s4
	s_cbranch_execz .LBB690_94
.LBB690_69:
	s_mov_b32 s5, 0
                                        ; implicit-def: $vgpr50_vgpr51
                                        ; implicit-def: $vgpr52_vgpr53
	v_mov_b32_e32 v30, s5
	v_mov_b32_e32 v31, s5
	;; [unrolled: 1-line block ×18, first 2 shown]
                                        ; implicit-def: $vgpr16_vgpr17_vgpr18_vgpr19_vgpr20_vgpr21_vgpr22_vgpr23_vgpr24_vgpr25_vgpr26_vgpr27_vgpr28_vgpr29_vgpr30_vgpr31
	s_andn2_saveexec_b32 s9, s4
	s_cbranch_execz .LBB690_98
	s_branch .LBB690_95
.LBB690_70:
	s_or_saveexec_b32 s18, s4
	s_xor_b32 s9, s17, -1
	s_xor_b32 exec_lo, exec_lo, s18
	s_cbranch_execz .LBB690_58
.LBB690_71:
	global_load_ubyte v16, v[50:51], off offset:64
	s_mov_b32 s5, 0
	s_waitcnt vmcnt(0)
	v_and_b32_e32 v16, 1, v16
	v_cmp_eq_u32_e64 s4, 1, v16
	v_mov_b32_e32 v31, v15
	v_mov_b32_e32 v19, v3
	;; [unrolled: 1-line block ×18, first 2 shown]
	s_xor_b32 s4, s4, -1
	s_and_saveexec_b32 s5, s4
	s_xor_b32 s17, exec_lo, s5
	s_cbranch_execz .LBB690_73
; %bb.72:
	v_add_f64 v[2:3], v[2:3], -v[52:53]
	s_mov_b32 s4, 0x652b82fe
	s_mov_b32 s5, 0x3ff71547
	;; [unrolled: 1-line block ×4, first 2 shown]
	v_mul_f64 v[16:17], v[2:3], s[4:5]
	s_mov_b32 s4, 0xfefa39ef
	s_mov_b32 s5, 0xbfe62e42
	v_rndne_f64_e32 v[16:17], v[16:17]
	v_fma_f64 v[18:19], v[16:17], s[4:5], v[2:3]
	s_mov_b32 s4, 0x3b39803f
	s_mov_b32 s5, 0xbc7abc9e
	v_cvt_i32_f64_e32 v22, v[16:17]
	v_fma_f64 v[18:19], v[16:17], s[4:5], v[18:19]
	s_mov_b32 s4, 0xfca7ab0c
	s_mov_b32 s5, 0x3e928af3
	v_fma_f64 v[20:21], v[18:19], s[20:21], s[4:5]
	s_mov_b32 s4, 0x623fde64
	s_mov_b32 s5, 0x3ec71dee
	;; [unrolled: 3-line block ×9, first 2 shown]
	v_fma_f64 v[20:21], v[18:19], v[20:21], s[4:5]
	v_cmp_nlt_f64_e64 s4, 0x40900000, v[2:3]
	v_cmp_ngt_f64_e64 s5, 0xc090cc00, v[2:3]
	v_fma_f64 v[20:21], v[18:19], v[20:21], 1.0
	v_fma_f64 v[16:17], v[18:19], v[20:21], 1.0
	v_ldexp_f64 v[16:17], v[16:17], v22
	v_cndmask_b32_e64 v17, 0x7ff00000, v17, s4
	s_and_b32 s4, s5, s4
	v_cndmask_b32_e64 v2, 0, v16, s4
	v_cndmask_b32_e64 v3, 0, v17, s5
	v_mov_b32_e32 v31, v15
	v_mov_b32_e32 v30, v14
	;; [unrolled: 1-line block ×4, first 2 shown]
	v_add_f64 v[54:55], v[54:55], v[2:3]
	v_mov_b32_e32 v27, v11
	v_mov_b32_e32 v26, v10
	;; [unrolled: 1-line block ×12, first 2 shown]
.LBB690_73:
	s_andn2_saveexec_b32 s4, s17
	s_or_b32 exec_lo, exec_lo, s4
	s_or_b32 exec_lo, exec_lo, s18
                                        ; implicit-def: $vgpr0_vgpr1_vgpr2_vgpr3_vgpr4_vgpr5_vgpr6_vgpr7_vgpr8_vgpr9_vgpr10_vgpr11_vgpr12_vgpr13_vgpr14_vgpr15
	s_and_saveexec_b32 s4, s9
	s_xor_b32 s4, exec_lo, s4
	s_cbranch_execnz .LBB690_59
.LBB690_74:
	s_or_saveexec_b32 s17, s4
	s_xor_b32 s9, s16, -1
	s_xor_b32 exec_lo, exec_lo, s17
	s_cbranch_execz .LBB690_60
.LBB690_75:
	global_load_ubyte v0, v[50:51], off offset:128
	s_mov_b32 s5, 0
	s_waitcnt vmcnt(0)
	v_and_b32_e32 v0, 1, v0
	v_cmp_eq_u32_e64 s4, 1, v0
	v_mov_b32_e32 v0, v16
	v_mov_b32_e32 v4, v20
	;; [unrolled: 1-line block ×18, first 2 shown]
	s_xor_b32 s4, s4, -1
	s_and_saveexec_b32 s5, s4
	s_xor_b32 s16, exec_lo, s5
	s_cbranch_execz .LBB690_77
; %bb.76:
	v_add_f64 v[0:1], v[20:21], -v[52:53]
	s_mov_b32 s4, 0x652b82fe
	s_mov_b32 s5, 0x3ff71547
	s_mov_b32 s18, 0x6a5dcb37
	s_mov_b32 s19, 0x3e5ade15
	v_mul_f64 v[2:3], v[0:1], s[4:5]
	s_mov_b32 s4, 0xfefa39ef
	s_mov_b32 s5, 0xbfe62e42
	v_rndne_f64_e32 v[2:3], v[2:3]
	v_fma_f64 v[4:5], v[2:3], s[4:5], v[0:1]
	s_mov_b32 s4, 0x3b39803f
	s_mov_b32 s5, 0xbc7abc9e
	v_cvt_i32_f64_e32 v8, v[2:3]
	v_fma_f64 v[4:5], v[2:3], s[4:5], v[4:5]
	s_mov_b32 s4, 0xfca7ab0c
	s_mov_b32 s5, 0x3e928af3
	v_fma_f64 v[6:7], v[4:5], s[18:19], s[4:5]
	s_mov_b32 s4, 0x623fde64
	s_mov_b32 s5, 0x3ec71dee
	;; [unrolled: 3-line block ×9, first 2 shown]
	v_fma_f64 v[6:7], v[4:5], v[6:7], s[4:5]
	v_cmp_nlt_f64_e64 s4, 0x40900000, v[0:1]
	v_cmp_ngt_f64_e64 s5, 0xc090cc00, v[0:1]
	v_fma_f64 v[6:7], v[4:5], v[6:7], 1.0
	v_fma_f64 v[2:3], v[4:5], v[6:7], 1.0
	v_ldexp_f64 v[2:3], v[2:3], v8
	v_cndmask_b32_e64 v3, 0x7ff00000, v3, s4
	s_and_b32 s4, s5, s4
	v_cndmask_b32_e64 v20, 0, v2, s4
	v_cndmask_b32_e64 v21, 0, v3, s5
	v_mov_b32_e32 v0, v16
	v_mov_b32_e32 v1, v17
	;; [unrolled: 1-line block ×4, first 2 shown]
	v_add_f64 v[54:55], v[54:55], v[20:21]
	v_mov_b32_e32 v4, v20
	v_mov_b32_e32 v5, v21
	;; [unrolled: 1-line block ×12, first 2 shown]
.LBB690_77:
	s_andn2_saveexec_b32 s4, s16
	s_or_b32 exec_lo, exec_lo, s4
	s_or_b32 exec_lo, exec_lo, s17
                                        ; implicit-def: $vgpr16_vgpr17_vgpr18_vgpr19_vgpr20_vgpr21_vgpr22_vgpr23_vgpr24_vgpr25_vgpr26_vgpr27_vgpr28_vgpr29_vgpr30_vgpr31
	s_and_saveexec_b32 s4, s9
	s_xor_b32 s4, exec_lo, s4
	s_cbranch_execnz .LBB690_61
.LBB690_78:
	s_or_saveexec_b32 s16, s4
	s_xor_b32 s9, s15, -1
	s_xor_b32 exec_lo, exec_lo, s16
	s_cbranch_execz .LBB690_62
.LBB690_79:
	global_load_ubyte v16, v[50:51], off offset:192
	s_mov_b32 s5, 0
	s_waitcnt vmcnt(0)
	v_and_b32_e32 v16, 1, v16
	v_cmp_eq_u32_e64 s4, 1, v16
	v_mov_b32_e32 v31, v15
	v_mov_b32_e32 v23, v7
	;; [unrolled: 1-line block ×18, first 2 shown]
	s_xor_b32 s4, s4, -1
	s_and_saveexec_b32 s5, s4
	s_xor_b32 s15, exec_lo, s5
	s_cbranch_execz .LBB690_81
; %bb.80:
	v_add_f64 v[6:7], v[6:7], -v[52:53]
	s_mov_b32 s4, 0x652b82fe
	s_mov_b32 s5, 0x3ff71547
	;; [unrolled: 1-line block ×4, first 2 shown]
	v_mul_f64 v[16:17], v[6:7], s[4:5]
	s_mov_b32 s4, 0xfefa39ef
	s_mov_b32 s5, 0xbfe62e42
	v_rndne_f64_e32 v[16:17], v[16:17]
	v_fma_f64 v[18:19], v[16:17], s[4:5], v[6:7]
	s_mov_b32 s4, 0x3b39803f
	s_mov_b32 s5, 0xbc7abc9e
	v_cvt_i32_f64_e32 v22, v[16:17]
	v_fma_f64 v[18:19], v[16:17], s[4:5], v[18:19]
	s_mov_b32 s4, 0xfca7ab0c
	s_mov_b32 s5, 0x3e928af3
	v_fma_f64 v[20:21], v[18:19], s[18:19], s[4:5]
	s_mov_b32 s4, 0x623fde64
	s_mov_b32 s5, 0x3ec71dee
	v_fma_f64 v[20:21], v[18:19], v[20:21], s[4:5]
	s_mov_b32 s4, 0x7c89e6b0
	s_mov_b32 s5, 0x3efa0199
	v_fma_f64 v[20:21], v[18:19], v[20:21], s[4:5]
	s_mov_b32 s4, 0x14761f6e
	s_mov_b32 s5, 0x3f2a01a0
	v_fma_f64 v[20:21], v[18:19], v[20:21], s[4:5]
	s_mov_b32 s4, 0x1852b7b0
	s_mov_b32 s5, 0x3f56c16c
	v_fma_f64 v[20:21], v[18:19], v[20:21], s[4:5]
	s_mov_b32 s4, 0x11122322
	s_mov_b32 s5, 0x3f811111
	v_fma_f64 v[20:21], v[18:19], v[20:21], s[4:5]
	s_mov_b32 s4, 0x555502a1
	s_mov_b32 s5, 0x3fa55555
	v_fma_f64 v[20:21], v[18:19], v[20:21], s[4:5]
	s_mov_b32 s4, 0x55555511
	s_mov_b32 s5, 0x3fc55555
	v_fma_f64 v[20:21], v[18:19], v[20:21], s[4:5]
	s_mov_b32 s4, 11
	s_mov_b32 s5, 0x3fe00000
	v_fma_f64 v[20:21], v[18:19], v[20:21], s[4:5]
	v_cmp_nlt_f64_e64 s4, 0x40900000, v[6:7]
	v_cmp_ngt_f64_e64 s5, 0xc090cc00, v[6:7]
	v_fma_f64 v[20:21], v[18:19], v[20:21], 1.0
	v_fma_f64 v[16:17], v[18:19], v[20:21], 1.0
	v_ldexp_f64 v[16:17], v[16:17], v22
	v_cndmask_b32_e64 v17, 0x7ff00000, v17, s4
	s_and_b32 s4, s5, s4
	v_cndmask_b32_e64 v6, 0, v16, s4
	v_cndmask_b32_e64 v7, 0, v17, s5
	v_mov_b32_e32 v31, v15
	v_mov_b32_e32 v30, v14
	;; [unrolled: 1-line block ×4, first 2 shown]
	v_add_f64 v[54:55], v[54:55], v[6:7]
	v_mov_b32_e32 v27, v11
	v_mov_b32_e32 v26, v10
	;; [unrolled: 1-line block ×12, first 2 shown]
.LBB690_81:
	s_andn2_saveexec_b32 s4, s15
	s_or_b32 exec_lo, exec_lo, s4
	s_or_b32 exec_lo, exec_lo, s16
                                        ; implicit-def: $vgpr0_vgpr1_vgpr2_vgpr3_vgpr4_vgpr5_vgpr6_vgpr7_vgpr8_vgpr9_vgpr10_vgpr11_vgpr12_vgpr13_vgpr14_vgpr15
	s_and_saveexec_b32 s4, s9
	s_xor_b32 s4, exec_lo, s4
	s_cbranch_execnz .LBB690_63
.LBB690_82:
	s_or_saveexec_b32 s15, s4
	s_xor_b32 s9, s14, -1
	s_xor_b32 exec_lo, exec_lo, s15
	s_cbranch_execz .LBB690_64
.LBB690_83:
	global_load_ubyte v0, v[50:51], off offset:256
	s_mov_b32 s5, 0
	s_waitcnt vmcnt(0)
	v_and_b32_e32 v0, 1, v0
	v_cmp_eq_u32_e64 s4, 1, v0
	v_mov_b32_e32 v0, v16
	v_mov_b32_e32 v8, v24
	;; [unrolled: 1-line block ×18, first 2 shown]
	s_xor_b32 s4, s4, -1
	s_and_saveexec_b32 s5, s4
	s_xor_b32 s14, exec_lo, s5
	s_cbranch_execz .LBB690_85
; %bb.84:
	v_add_f64 v[0:1], v[24:25], -v[52:53]
	s_mov_b32 s4, 0x652b82fe
	s_mov_b32 s5, 0x3ff71547
	;; [unrolled: 1-line block ×4, first 2 shown]
	v_mul_f64 v[2:3], v[0:1], s[4:5]
	s_mov_b32 s4, 0xfefa39ef
	s_mov_b32 s5, 0xbfe62e42
	v_rndne_f64_e32 v[2:3], v[2:3]
	v_fma_f64 v[4:5], v[2:3], s[4:5], v[0:1]
	s_mov_b32 s4, 0x3b39803f
	s_mov_b32 s5, 0xbc7abc9e
	v_cvt_i32_f64_e32 v8, v[2:3]
	v_fma_f64 v[4:5], v[2:3], s[4:5], v[4:5]
	s_mov_b32 s4, 0xfca7ab0c
	s_mov_b32 s5, 0x3e928af3
	v_fma_f64 v[6:7], v[4:5], s[16:17], s[4:5]
	s_mov_b32 s4, 0x623fde64
	s_mov_b32 s5, 0x3ec71dee
	;; [unrolled: 3-line block ×9, first 2 shown]
	v_fma_f64 v[6:7], v[4:5], v[6:7], s[4:5]
	v_cmp_nlt_f64_e64 s4, 0x40900000, v[0:1]
	v_cmp_ngt_f64_e64 s5, 0xc090cc00, v[0:1]
	v_fma_f64 v[6:7], v[4:5], v[6:7], 1.0
	v_fma_f64 v[2:3], v[4:5], v[6:7], 1.0
	v_ldexp_f64 v[2:3], v[2:3], v8
	v_cndmask_b32_e64 v3, 0x7ff00000, v3, s4
	s_and_b32 s4, s5, s4
	v_cndmask_b32_e64 v24, 0, v2, s4
	v_cndmask_b32_e64 v25, 0, v3, s5
	v_mov_b32_e32 v0, v16
	v_mov_b32_e32 v1, v17
	;; [unrolled: 1-line block ×4, first 2 shown]
	v_add_f64 v[54:55], v[54:55], v[24:25]
	v_mov_b32_e32 v4, v20
	v_mov_b32_e32 v5, v21
	v_mov_b32_e32 v6, v22
	v_mov_b32_e32 v7, v23
	v_mov_b32_e32 v8, v24
	v_mov_b32_e32 v9, v25
	v_mov_b32_e32 v10, v26
	v_mov_b32_e32 v11, v27
	v_mov_b32_e32 v12, v28
	v_mov_b32_e32 v13, v29
	v_mov_b32_e32 v14, v30
	v_mov_b32_e32 v15, v31
.LBB690_85:
	s_andn2_saveexec_b32 s4, s14
	s_or_b32 exec_lo, exec_lo, s4
	s_or_b32 exec_lo, exec_lo, s15
                                        ; implicit-def: $vgpr32_vgpr33_vgpr34_vgpr35_vgpr36_vgpr37_vgpr38_vgpr39_vgpr40_vgpr41_vgpr42_vgpr43_vgpr44_vgpr45_vgpr46_vgpr47
	s_and_saveexec_b32 s4, s9
	s_xor_b32 s4, exec_lo, s4
	s_cbranch_execnz .LBB690_65
.LBB690_86:
	s_or_saveexec_b32 s14, s4
	s_xor_b32 s9, s11, -1
	s_xor_b32 exec_lo, exec_lo, s14
	s_cbranch_execz .LBB690_66
.LBB690_87:
	global_load_ubyte v16, v[50:51], off offset:320
	s_mov_b32 s5, 0
	v_mov_b32_e32 v47, v15
	v_mov_b32_e32 v43, v11
	;; [unrolled: 1-line block ×18, first 2 shown]
	s_waitcnt vmcnt(0)
	v_and_b32_e32 v16, 1, v16
	v_cmp_eq_u32_e64 s4, 1, v16
	s_xor_b32 s4, s4, -1
	s_and_saveexec_b32 s5, s4
	s_xor_b32 s11, exec_lo, s5
	s_cbranch_execz .LBB690_89
; %bb.88:
	v_add_f64 v[10:11], v[10:11], -v[52:53]
	s_mov_b32 s4, 0x652b82fe
	s_mov_b32 s5, 0x3ff71547
	;; [unrolled: 1-line block ×4, first 2 shown]
	v_mul_f64 v[16:17], v[10:11], s[4:5]
	s_mov_b32 s4, 0xfefa39ef
	s_mov_b32 s5, 0xbfe62e42
	v_rndne_f64_e32 v[16:17], v[16:17]
	v_fma_f64 v[18:19], v[16:17], s[4:5], v[10:11]
	s_mov_b32 s4, 0x3b39803f
	s_mov_b32 s5, 0xbc7abc9e
	v_cvt_i32_f64_e32 v22, v[16:17]
	v_fma_f64 v[18:19], v[16:17], s[4:5], v[18:19]
	s_mov_b32 s4, 0xfca7ab0c
	s_mov_b32 s5, 0x3e928af3
	v_fma_f64 v[20:21], v[18:19], s[16:17], s[4:5]
	s_mov_b32 s4, 0x623fde64
	s_mov_b32 s5, 0x3ec71dee
	;; [unrolled: 3-line block ×9, first 2 shown]
	v_fma_f64 v[20:21], v[18:19], v[20:21], s[4:5]
	v_cmp_nlt_f64_e64 s4, 0x40900000, v[10:11]
	v_cmp_ngt_f64_e64 s5, 0xc090cc00, v[10:11]
	v_fma_f64 v[20:21], v[18:19], v[20:21], 1.0
	v_fma_f64 v[16:17], v[18:19], v[20:21], 1.0
	v_ldexp_f64 v[16:17], v[16:17], v22
	v_cndmask_b32_e64 v17, 0x7ff00000, v17, s4
	s_and_b32 s4, s5, s4
	v_cndmask_b32_e64 v10, 0, v16, s4
	v_cndmask_b32_e64 v11, 0, v17, s5
	v_mov_b32_e32 v47, v15
	v_mov_b32_e32 v46, v14
	;; [unrolled: 1-line block ×4, first 2 shown]
	v_add_f64 v[54:55], v[54:55], v[10:11]
	v_mov_b32_e32 v43, v11
	v_mov_b32_e32 v42, v10
	;; [unrolled: 1-line block ×12, first 2 shown]
.LBB690_89:
	s_andn2_saveexec_b32 s4, s11
	s_or_b32 exec_lo, exec_lo, s4
	s_or_b32 exec_lo, exec_lo, s14
                                        ; implicit-def: $vgpr16_vgpr17_vgpr18_vgpr19_vgpr20_vgpr21_vgpr22_vgpr23_vgpr24_vgpr25_vgpr26_vgpr27_vgpr28_vgpr29_vgpr30_vgpr31
	s_and_saveexec_b32 s4, s9
	s_xor_b32 s4, exec_lo, s4
	s_cbranch_execnz .LBB690_67
.LBB690_90:
	s_or_saveexec_b32 s11, s4
	s_xor_b32 s9, s10, -1
	s_xor_b32 exec_lo, exec_lo, s11
	s_cbranch_execz .LBB690_68
.LBB690_91:
	global_load_ubyte v0, v[50:51], off offset:384
	s_mov_b32 s5, 0
	v_mov_b32_e32 v16, v32
	v_mov_b32_e32 v28, v44
	;; [unrolled: 1-line block ×18, first 2 shown]
	s_waitcnt vmcnt(0)
	v_and_b32_e32 v0, 1, v0
	v_cmp_eq_u32_e64 s4, 1, v0
	s_xor_b32 s4, s4, -1
	s_and_saveexec_b32 s5, s4
	s_xor_b32 s10, exec_lo, s5
	s_cbranch_execz .LBB690_93
; %bb.92:
	v_add_f64 v[0:1], v[44:45], -v[52:53]
	s_mov_b32 s4, 0x652b82fe
	s_mov_b32 s5, 0x3ff71547
	;; [unrolled: 1-line block ×4, first 2 shown]
	v_mul_f64 v[2:3], v[0:1], s[4:5]
	s_mov_b32 s4, 0xfefa39ef
	s_mov_b32 s5, 0xbfe62e42
	v_rndne_f64_e32 v[2:3], v[2:3]
	v_fma_f64 v[4:5], v[2:3], s[4:5], v[0:1]
	s_mov_b32 s4, 0x3b39803f
	s_mov_b32 s5, 0xbc7abc9e
	v_cvt_i32_f64_e32 v8, v[2:3]
	v_fma_f64 v[4:5], v[2:3], s[4:5], v[4:5]
	s_mov_b32 s4, 0xfca7ab0c
	s_mov_b32 s5, 0x3e928af3
	v_fma_f64 v[6:7], v[4:5], s[14:15], s[4:5]
	s_mov_b32 s4, 0x623fde64
	s_mov_b32 s5, 0x3ec71dee
	v_fma_f64 v[6:7], v[4:5], v[6:7], s[4:5]
	s_mov_b32 s4, 0x7c89e6b0
	s_mov_b32 s5, 0x3efa0199
	v_fma_f64 v[6:7], v[4:5], v[6:7], s[4:5]
	s_mov_b32 s4, 0x14761f6e
	s_mov_b32 s5, 0x3f2a01a0
	v_fma_f64 v[6:7], v[4:5], v[6:7], s[4:5]
	s_mov_b32 s4, 0x1852b7b0
	s_mov_b32 s5, 0x3f56c16c
	v_fma_f64 v[6:7], v[4:5], v[6:7], s[4:5]
	s_mov_b32 s4, 0x11122322
	s_mov_b32 s5, 0x3f811111
	v_fma_f64 v[6:7], v[4:5], v[6:7], s[4:5]
	s_mov_b32 s4, 0x555502a1
	s_mov_b32 s5, 0x3fa55555
	v_fma_f64 v[6:7], v[4:5], v[6:7], s[4:5]
	s_mov_b32 s4, 0x55555511
	s_mov_b32 s5, 0x3fc55555
	v_fma_f64 v[6:7], v[4:5], v[6:7], s[4:5]
	s_mov_b32 s4, 11
	s_mov_b32 s5, 0x3fe00000
	v_fma_f64 v[6:7], v[4:5], v[6:7], s[4:5]
	v_cmp_nlt_f64_e64 s4, 0x40900000, v[0:1]
	v_cmp_ngt_f64_e64 s5, 0xc090cc00, v[0:1]
	v_fma_f64 v[6:7], v[4:5], v[6:7], 1.0
	v_fma_f64 v[2:3], v[4:5], v[6:7], 1.0
	v_ldexp_f64 v[2:3], v[2:3], v8
	v_cndmask_b32_e64 v3, 0x7ff00000, v3, s4
	s_and_b32 s4, s5, s4
	v_cndmask_b32_e64 v44, 0, v2, s4
	v_cndmask_b32_e64 v45, 0, v3, s5
	v_mov_b32_e32 v16, v32
	v_mov_b32_e32 v17, v33
	;; [unrolled: 1-line block ×4, first 2 shown]
	v_add_f64 v[54:55], v[54:55], v[44:45]
	v_mov_b32_e32 v20, v36
	v_mov_b32_e32 v21, v37
	;; [unrolled: 1-line block ×12, first 2 shown]
.LBB690_93:
	s_andn2_saveexec_b32 s4, s10
	s_or_b32 exec_lo, exec_lo, s4
	s_or_b32 exec_lo, exec_lo, s11
                                        ; implicit-def: $vgpr0_vgpr1_vgpr2_vgpr3_vgpr4_vgpr5_vgpr6_vgpr7_vgpr8_vgpr9_vgpr10_vgpr11_vgpr12_vgpr13_vgpr14_vgpr15
	s_and_saveexec_b32 s4, s9
	s_xor_b32 s4, exec_lo, s4
	s_cbranch_execnz .LBB690_69
.LBB690_94:
	s_andn2_saveexec_b32 s9, s4
	s_cbranch_execz .LBB690_98
.LBB690_95:
	global_load_ubyte v0, v[50:51], off offset:448
	s_mov_b32 s5, 0
	s_waitcnt vmcnt(0)
	v_and_b32_e32 v0, 1, v0
	v_cmp_eq_u32_e64 s4, 1, v0
	v_mov_b32_e32 v0, v16
	v_mov_b32_e32 v14, v30
	v_mov_b32_e32 v15, v31
	v_mov_b32_e32 v1, v17
	v_mov_b32_e32 v2, v18
	v_mov_b32_e32 v3, v19
	v_mov_b32_e32 v4, v20
	v_mov_b32_e32 v5, v21
	v_mov_b32_e32 v6, v22
	v_mov_b32_e32 v7, v23
	v_mov_b32_e32 v8, v24
	v_mov_b32_e32 v9, v25
	v_mov_b32_e32 v10, v26
	v_mov_b32_e32 v11, v27
	v_mov_b32_e32 v12, v28
	v_mov_b32_e32 v13, v29
	v_mov_b32_e32 v14, s5
	v_mov_b32_e32 v15, s5
	s_xor_b32 s4, s4, -1
	s_and_saveexec_b32 s5, s4
	s_xor_b32 s10, exec_lo, s5
	s_cbranch_execz .LBB690_97
; %bb.96:
	v_add_f64 v[0:1], v[30:31], -v[52:53]
	s_mov_b32 s4, 0x652b82fe
	s_mov_b32 s5, 0x3ff71547
	;; [unrolled: 1-line block ×4, first 2 shown]
	v_mul_f64 v[2:3], v[0:1], s[4:5]
	s_mov_b32 s4, 0xfefa39ef
	s_mov_b32 s5, 0xbfe62e42
	v_rndne_f64_e32 v[2:3], v[2:3]
	v_fma_f64 v[4:5], v[2:3], s[4:5], v[0:1]
	s_mov_b32 s4, 0x3b39803f
	s_mov_b32 s5, 0xbc7abc9e
	v_cvt_i32_f64_e32 v8, v[2:3]
	v_fma_f64 v[4:5], v[2:3], s[4:5], v[4:5]
	s_mov_b32 s4, 0xfca7ab0c
	s_mov_b32 s5, 0x3e928af3
	v_fma_f64 v[6:7], v[4:5], s[14:15], s[4:5]
	s_mov_b32 s4, 0x623fde64
	s_mov_b32 s5, 0x3ec71dee
	;; [unrolled: 3-line block ×9, first 2 shown]
	v_fma_f64 v[6:7], v[4:5], v[6:7], s[4:5]
	v_cmp_nlt_f64_e64 s4, 0x40900000, v[0:1]
	v_cmp_ngt_f64_e64 s5, 0xc090cc00, v[0:1]
	v_fma_f64 v[6:7], v[4:5], v[6:7], 1.0
	v_fma_f64 v[2:3], v[4:5], v[6:7], 1.0
	v_ldexp_f64 v[2:3], v[2:3], v8
	v_cndmask_b32_e64 v3, 0x7ff00000, v3, s4
	s_and_b32 s4, s5, s4
	v_cndmask_b32_e64 v30, 0, v2, s4
	v_cndmask_b32_e64 v31, 0, v3, s5
	v_mov_b32_e32 v0, v16
	v_mov_b32_e32 v1, v17
	;; [unrolled: 1-line block ×4, first 2 shown]
	v_add_f64 v[54:55], v[54:55], v[30:31]
	v_mov_b32_e32 v4, v20
	v_mov_b32_e32 v5, v21
	;; [unrolled: 1-line block ×12, first 2 shown]
.LBB690_97:
	s_andn2_saveexec_b32 s4, s10
	s_or_b32 exec_lo, exec_lo, s4
.LBB690_98:
	s_or_b32 exec_lo, exec_lo, s9
	ds_bpermute_b32 v16, v57, v54
	ds_bpermute_b32 v17, v57, v55
	s_mov_b32 s5, exec_lo
	s_waitcnt lgkmcnt(0)
	v_add_f64 v[16:17], v[54:55], v[16:17]
	ds_bpermute_b32 v18, v58, v16
	ds_bpermute_b32 v19, v58, v17
	s_waitcnt lgkmcnt(0)
	v_add_f64 v[16:17], v[16:17], v[18:19]
	ds_bpermute_b32 v18, v59, v16
	ds_bpermute_b32 v19, v59, v17
	;; [unrolled: 4-line block ×5, first 2 shown]
	v_cmpx_lt_i32_e32 0, v56
	s_cbranch_execz .LBB690_124
; %bb.99:
	s_and_b32 exec_lo, exec_lo, vcc_lo
	s_cbranch_execz .LBB690_124
; %bb.100:
	s_waitcnt lgkmcnt(0)
	v_add_f64 v[16:17], v[16:17], v[18:19]
	v_mov_b32_e32 v18, 0
	v_mov_b32_e32 v19, 0x7ff80000
	v_cmp_neq_f64_e64 s4, 0, v[16:17]
	s_and_saveexec_b32 s5, s4
	s_cbranch_execz .LBB690_102
; %bb.101:
	v_div_scale_f64 v[18:19], null, v[16:17], v[16:17], v[0:1]
	v_rcp_f64_e32 v[20:21], v[18:19]
	v_fma_f64 v[22:23], -v[18:19], v[20:21], 1.0
	v_fma_f64 v[20:21], v[20:21], v[22:23], v[20:21]
	v_fma_f64 v[22:23], -v[18:19], v[20:21], 1.0
	v_fma_f64 v[20:21], v[20:21], v[22:23], v[20:21]
	v_div_scale_f64 v[22:23], vcc_lo, v[0:1], v[16:17], v[0:1]
	v_mul_f64 v[24:25], v[22:23], v[20:21]
	v_fma_f64 v[18:19], -v[18:19], v[24:25], v[22:23]
	v_div_fmas_f64 v[18:19], v[18:19], v[20:21], v[24:25]
	v_div_fixup_f64 v[18:19], v[18:19], v[16:17], v[0:1]
.LBB690_102:
	s_or_b32 exec_lo, exec_lo, s5
	v_add_co_u32 v0, vcc_lo, s12, v48
	v_add_co_ci_u32_e64 v1, null, s13, v49, vcc_lo
	global_store_dwordx2 v[0:1], v[18:19], off
	s_and_b32 exec_lo, exec_lo, s8
	s_cbranch_execz .LBB690_124
; %bb.103:
	v_mov_b32_e32 v18, 0
	v_mov_b32_e32 v19, 0x7ff80000
	s_and_saveexec_b32 s5, s4
	s_cbranch_execz .LBB690_105
; %bb.104:
	v_div_scale_f64 v[18:19], null, v[16:17], v[16:17], v[2:3]
	v_rcp_f64_e32 v[20:21], v[18:19]
	v_fma_f64 v[22:23], -v[18:19], v[20:21], 1.0
	v_fma_f64 v[20:21], v[20:21], v[22:23], v[20:21]
	v_fma_f64 v[22:23], -v[18:19], v[20:21], 1.0
	v_fma_f64 v[20:21], v[20:21], v[22:23], v[20:21]
	v_div_scale_f64 v[22:23], vcc_lo, v[2:3], v[16:17], v[2:3]
	v_mul_f64 v[24:25], v[22:23], v[20:21]
	v_fma_f64 v[18:19], -v[18:19], v[24:25], v[22:23]
	v_div_fmas_f64 v[18:19], v[18:19], v[20:21], v[24:25]
	v_div_fixup_f64 v[18:19], v[18:19], v[16:17], v[2:3]
.LBB690_105:
	s_or_b32 exec_lo, exec_lo, s5
	global_store_dwordx2 v[0:1], v[18:19], off offset:512
	s_and_b32 exec_lo, exec_lo, s7
	s_cbranch_execz .LBB690_124
; %bb.106:
	v_mov_b32_e32 v2, 0
	v_mov_b32_e32 v3, 0x7ff80000
	s_and_saveexec_b32 s5, s4
	s_cbranch_execz .LBB690_108
; %bb.107:
	v_div_scale_f64 v[2:3], null, v[16:17], v[16:17], v[4:5]
	v_rcp_f64_e32 v[18:19], v[2:3]
	v_fma_f64 v[20:21], -v[2:3], v[18:19], 1.0
	v_fma_f64 v[18:19], v[18:19], v[20:21], v[18:19]
	v_fma_f64 v[20:21], -v[2:3], v[18:19], 1.0
	v_fma_f64 v[18:19], v[18:19], v[20:21], v[18:19]
	v_div_scale_f64 v[20:21], vcc_lo, v[4:5], v[16:17], v[4:5]
	v_mul_f64 v[22:23], v[20:21], v[18:19]
	v_fma_f64 v[2:3], -v[2:3], v[22:23], v[20:21]
	v_div_fmas_f64 v[2:3], v[2:3], v[18:19], v[22:23]
	v_div_fixup_f64 v[2:3], v[2:3], v[16:17], v[4:5]
.LBB690_108:
	s_or_b32 exec_lo, exec_lo, s5
	global_store_dwordx2 v[0:1], v[2:3], off offset:1024
	;; [unrolled: 22-line block ×3, first 2 shown]
	s_and_b32 exec_lo, exec_lo, s3
	s_cbranch_execz .LBB690_124
; %bb.112:
	v_mov_b32_e32 v2, 0
	v_mov_b32_e32 v3, 0x7ff80000
	s_and_saveexec_b32 s3, s4
	s_cbranch_execz .LBB690_114
; %bb.113:
	v_div_scale_f64 v[2:3], null, v[16:17], v[16:17], v[8:9]
	v_rcp_f64_e32 v[4:5], v[2:3]
	v_fma_f64 v[6:7], -v[2:3], v[4:5], 1.0
	v_fma_f64 v[4:5], v[4:5], v[6:7], v[4:5]
	v_fma_f64 v[6:7], -v[2:3], v[4:5], 1.0
	v_fma_f64 v[4:5], v[4:5], v[6:7], v[4:5]
	v_div_scale_f64 v[6:7], vcc_lo, v[8:9], v[16:17], v[8:9]
	v_mul_f64 v[18:19], v[6:7], v[4:5]
	v_fma_f64 v[2:3], -v[2:3], v[18:19], v[6:7]
	v_div_fmas_f64 v[2:3], v[2:3], v[4:5], v[18:19]
	v_div_fixup_f64 v[2:3], v[2:3], v[16:17], v[8:9]
.LBB690_114:
	s_or_b32 exec_lo, exec_lo, s3
	v_add_co_u32 v0, vcc_lo, 0x800, v0
	v_add_co_ci_u32_e64 v1, null, 0, v1, vcc_lo
	global_store_dwordx2 v[0:1], v[2:3], off
	s_and_b32 exec_lo, exec_lo, s2
	s_cbranch_execz .LBB690_124
; %bb.115:
	v_mov_b32_e32 v2, 0
	v_mov_b32_e32 v3, 0x7ff80000
	s_and_saveexec_b32 s2, s4
	s_cbranch_execz .LBB690_117
; %bb.116:
	v_div_scale_f64 v[2:3], null, v[16:17], v[16:17], v[10:11]
	v_rcp_f64_e32 v[4:5], v[2:3]
	v_fma_f64 v[6:7], -v[2:3], v[4:5], 1.0
	v_fma_f64 v[4:5], v[4:5], v[6:7], v[4:5]
	v_fma_f64 v[6:7], -v[2:3], v[4:5], 1.0
	v_fma_f64 v[4:5], v[4:5], v[6:7], v[4:5]
	v_div_scale_f64 v[6:7], vcc_lo, v[10:11], v[16:17], v[10:11]
	v_mul_f64 v[8:9], v[6:7], v[4:5]
	v_fma_f64 v[2:3], -v[2:3], v[8:9], v[6:7]
	v_div_fmas_f64 v[2:3], v[2:3], v[4:5], v[8:9]
	v_div_fixup_f64 v[2:3], v[2:3], v[16:17], v[10:11]
.LBB690_117:
	s_or_b32 exec_lo, exec_lo, s2
	global_store_dwordx2 v[0:1], v[2:3], off offset:512
	s_and_b32 exec_lo, exec_lo, s1
	s_cbranch_execz .LBB690_124
; %bb.118:
	v_mov_b32_e32 v2, 0
	v_mov_b32_e32 v3, 0x7ff80000
	s_and_saveexec_b32 s1, s4
	s_cbranch_execz .LBB690_120
; %bb.119:
	v_div_scale_f64 v[2:3], null, v[16:17], v[16:17], v[12:13]
	v_rcp_f64_e32 v[4:5], v[2:3]
	v_fma_f64 v[6:7], -v[2:3], v[4:5], 1.0
	v_fma_f64 v[4:5], v[4:5], v[6:7], v[4:5]
	v_fma_f64 v[6:7], -v[2:3], v[4:5], 1.0
	v_fma_f64 v[4:5], v[4:5], v[6:7], v[4:5]
	v_div_scale_f64 v[6:7], vcc_lo, v[12:13], v[16:17], v[12:13]
	v_mul_f64 v[8:9], v[6:7], v[4:5]
	v_fma_f64 v[2:3], -v[2:3], v[8:9], v[6:7]
	v_div_fmas_f64 v[2:3], v[2:3], v[4:5], v[8:9]
	v_div_fixup_f64 v[2:3], v[2:3], v[16:17], v[12:13]
.LBB690_120:
	s_or_b32 exec_lo, exec_lo, s1
	global_store_dwordx2 v[0:1], v[2:3], off offset:1024
	;; [unrolled: 22-line block ×3, first 2 shown]
.LBB690_124:
	s_endpgm
	.section	.rodata,"a",@progbits
	.p2align	6, 0x0
	.amdhsa_kernel _ZN12_GLOBAL__N_120softmax_warp_forwardIdddLi9ELb0ELb1ELi64EEEvPT0_PKT_iiiPKbib
		.amdhsa_group_segment_fixed_size 0
		.amdhsa_private_segment_fixed_size 0
		.amdhsa_kernarg_size 304
		.amdhsa_user_sgpr_count 6
		.amdhsa_user_sgpr_private_segment_buffer 1
		.amdhsa_user_sgpr_dispatch_ptr 0
		.amdhsa_user_sgpr_queue_ptr 0
		.amdhsa_user_sgpr_kernarg_segment_ptr 1
		.amdhsa_user_sgpr_dispatch_id 0
		.amdhsa_user_sgpr_flat_scratch_init 0
		.amdhsa_user_sgpr_private_segment_size 0
		.amdhsa_wavefront_size32 1
		.amdhsa_uses_dynamic_stack 0
		.amdhsa_system_sgpr_private_segment_wavefront_offset 0
		.amdhsa_system_sgpr_workgroup_id_x 1
		.amdhsa_system_sgpr_workgroup_id_y 0
		.amdhsa_system_sgpr_workgroup_id_z 0
		.amdhsa_system_sgpr_workgroup_info 0
		.amdhsa_system_vgpr_workitem_id 1
		.amdhsa_next_free_vgpr 63
		.amdhsa_next_free_sgpr 22
		.amdhsa_reserve_vcc 1
		.amdhsa_reserve_flat_scratch 0
		.amdhsa_float_round_mode_32 0
		.amdhsa_float_round_mode_16_64 0
		.amdhsa_float_denorm_mode_32 3
		.amdhsa_float_denorm_mode_16_64 3
		.amdhsa_dx10_clamp 1
		.amdhsa_ieee_mode 1
		.amdhsa_fp16_overflow 0
		.amdhsa_workgroup_processor_mode 1
		.amdhsa_memory_ordered 1
		.amdhsa_forward_progress 1
		.amdhsa_shared_vgpr_count 0
		.amdhsa_exception_fp_ieee_invalid_op 0
		.amdhsa_exception_fp_denorm_src 0
		.amdhsa_exception_fp_ieee_div_zero 0
		.amdhsa_exception_fp_ieee_overflow 0
		.amdhsa_exception_fp_ieee_underflow 0
		.amdhsa_exception_fp_ieee_inexact 0
		.amdhsa_exception_int_div_zero 0
	.end_amdhsa_kernel
	.section	.text._ZN12_GLOBAL__N_120softmax_warp_forwardIdddLi9ELb0ELb1ELi64EEEvPT0_PKT_iiiPKbib,"axG",@progbits,_ZN12_GLOBAL__N_120softmax_warp_forwardIdddLi9ELb0ELb1ELi64EEEvPT0_PKT_iiiPKbib,comdat
.Lfunc_end690:
	.size	_ZN12_GLOBAL__N_120softmax_warp_forwardIdddLi9ELb0ELb1ELi64EEEvPT0_PKT_iiiPKbib, .Lfunc_end690-_ZN12_GLOBAL__N_120softmax_warp_forwardIdddLi9ELb0ELb1ELi64EEEvPT0_PKT_iiiPKbib
                                        ; -- End function
	.set _ZN12_GLOBAL__N_120softmax_warp_forwardIdddLi9ELb0ELb1ELi64EEEvPT0_PKT_iiiPKbib.num_vgpr, 63
	.set _ZN12_GLOBAL__N_120softmax_warp_forwardIdddLi9ELb0ELb1ELi64EEEvPT0_PKT_iiiPKbib.num_agpr, 0
	.set _ZN12_GLOBAL__N_120softmax_warp_forwardIdddLi9ELb0ELb1ELi64EEEvPT0_PKT_iiiPKbib.numbered_sgpr, 22
	.set _ZN12_GLOBAL__N_120softmax_warp_forwardIdddLi9ELb0ELb1ELi64EEEvPT0_PKT_iiiPKbib.num_named_barrier, 0
	.set _ZN12_GLOBAL__N_120softmax_warp_forwardIdddLi9ELb0ELb1ELi64EEEvPT0_PKT_iiiPKbib.private_seg_size, 0
	.set _ZN12_GLOBAL__N_120softmax_warp_forwardIdddLi9ELb0ELb1ELi64EEEvPT0_PKT_iiiPKbib.uses_vcc, 1
	.set _ZN12_GLOBAL__N_120softmax_warp_forwardIdddLi9ELb0ELb1ELi64EEEvPT0_PKT_iiiPKbib.uses_flat_scratch, 0
	.set _ZN12_GLOBAL__N_120softmax_warp_forwardIdddLi9ELb0ELb1ELi64EEEvPT0_PKT_iiiPKbib.has_dyn_sized_stack, 0
	.set _ZN12_GLOBAL__N_120softmax_warp_forwardIdddLi9ELb0ELb1ELi64EEEvPT0_PKT_iiiPKbib.has_recursion, 0
	.set _ZN12_GLOBAL__N_120softmax_warp_forwardIdddLi9ELb0ELb1ELi64EEEvPT0_PKT_iiiPKbib.has_indirect_call, 0
	.section	.AMDGPU.csdata,"",@progbits
; Kernel info:
; codeLenInByte = 8892
; TotalNumSgprs: 24
; NumVgprs: 63
; ScratchSize: 0
; MemoryBound: 1
; FloatMode: 240
; IeeeMode: 1
; LDSByteSize: 0 bytes/workgroup (compile time only)
; SGPRBlocks: 0
; VGPRBlocks: 7
; NumSGPRsForWavesPerEU: 24
; NumVGPRsForWavesPerEU: 63
; Occupancy: 16
; WaveLimiterHint : 0
; COMPUTE_PGM_RSRC2:SCRATCH_EN: 0
; COMPUTE_PGM_RSRC2:USER_SGPR: 6
; COMPUTE_PGM_RSRC2:TRAP_HANDLER: 0
; COMPUTE_PGM_RSRC2:TGID_X_EN: 1
; COMPUTE_PGM_RSRC2:TGID_Y_EN: 0
; COMPUTE_PGM_RSRC2:TGID_Z_EN: 0
; COMPUTE_PGM_RSRC2:TIDIG_COMP_CNT: 1
	.section	.text._ZN12_GLOBAL__N_120softmax_warp_forwardIdddLi9ELb0ELb1ELi32EEEvPT0_PKT_iiiPKbib,"axG",@progbits,_ZN12_GLOBAL__N_120softmax_warp_forwardIdddLi9ELb0ELb1ELi32EEEvPT0_PKT_iiiPKbib,comdat
	.globl	_ZN12_GLOBAL__N_120softmax_warp_forwardIdddLi9ELb0ELb1ELi32EEEvPT0_PKT_iiiPKbib ; -- Begin function _ZN12_GLOBAL__N_120softmax_warp_forwardIdddLi9ELb0ELb1ELi32EEEvPT0_PKT_iiiPKbib
	.p2align	8
	.type	_ZN12_GLOBAL__N_120softmax_warp_forwardIdddLi9ELb0ELb1ELi32EEEvPT0_PKT_iiiPKbib,@function
_ZN12_GLOBAL__N_120softmax_warp_forwardIdddLi9ELb0ELb1ELi32EEEvPT0_PKT_iiiPKbib: ; @_ZN12_GLOBAL__N_120softmax_warp_forwardIdddLi9ELb0ELb1ELi32EEEvPT0_PKT_iiiPKbib
; %bb.0:
	s_clause 0x1
	s_load_dword s0, s[4:5], 0x3c
	s_load_dwordx4 s[16:19], s[4:5], 0x10
	s_waitcnt lgkmcnt(0)
	s_lshr_b32 s0, s0, 16
	v_mad_u64_u32 v[1:2], null, s6, s0, v[1:2]
	s_load_dwordx2 s[0:1], s[4:5], 0x28
	v_mul_lo_u32 v4, v1, s17
	v_add_nc_u32_e32 v2, v4, v0
	v_ashrrev_i32_e32 v3, 31, v2
	s_waitcnt lgkmcnt(0)
	s_bitcmp0_b32 s1, 0
	v_mov_b32_e32 v35, v3
	v_mov_b32_e32 v34, v2
	s_cbranch_scc1 .LBB691_2
; %bb.1:
	s_abs_i32 s1, s0
	v_sub_nc_u32_e32 v7, 0, v4
	v_cvt_f32_u32_e32 v5, s1
	s_sub_i32 s2, 0, s1
	v_max_i32_e32 v7, v4, v7
	v_rcp_iflag_f32_e32 v5, v5
	v_xor_b32_e32 v4, s0, v4
	v_ashrrev_i32_e32 v4, 31, v4
	v_mul_f32_e32 v5, 0x4f7ffffe, v5
	v_cvt_u32_f32_e32 v5, v5
	v_mul_lo_u32 v6, s2, v5
	v_mul_hi_u32 v6, v5, v6
	v_add_nc_u32_e32 v5, v5, v6
	v_mul_hi_u32 v5, v7, v5
	v_mul_lo_u32 v6, v5, s1
	v_sub_nc_u32_e32 v6, v7, v6
	v_add_nc_u32_e32 v7, 1, v5
	v_subrev_nc_u32_e32 v8, s1, v6
	v_cmp_le_u32_e32 vcc_lo, s1, v6
	v_cndmask_b32_e32 v5, v5, v7, vcc_lo
	v_cndmask_b32_e32 v6, v6, v8, vcc_lo
	v_add_nc_u32_e32 v7, 1, v5
	v_cmp_le_u32_e32 vcc_lo, s1, v6
	v_cndmask_b32_e32 v5, v5, v7, vcc_lo
	v_xor_b32_e32 v5, v5, v4
	v_sub_nc_u32_e32 v4, v5, v4
	v_mad_u64_u32 v[34:35], null, v4, s17, v[0:1]
	v_ashrrev_i32_e32 v35, 31, v34
.LBB691_2:
	s_load_dwordx4 s[20:23], s[4:5], 0x0
	v_lshlrev_b64 v[96:97], 3, v[2:3]
	v_sub_nc_u32_e32 v104, s16, v1
	v_cmp_gt_i32_e32 vcc_lo, s18, v0
	v_mov_b32_e32 v2, 0
	v_mov_b32_e32 v32, 0
	;; [unrolled: 1-line block ×3, first 2 shown]
	v_cmp_lt_i32_e64 s17, 0, v104
	v_mov_b32_e32 v33, 0xfff00000
	s_and_b32 s36, s17, vcc_lo
	s_waitcnt lgkmcnt(0)
	v_add_co_u32 v36, s0, s22, v96
	v_add_co_ci_u32_e64 v37, null, s23, v97, s0
	s_and_saveexec_b32 s0, s36
	s_cbranch_execz .LBB691_4
; %bb.3:
	global_load_dwordx2 v[32:33], v[36:37], off
.LBB691_4:
	s_or_b32 exec_lo, exec_lo, s0
	v_add_nc_u32_e32 v1, 32, v0
	v_cmp_gt_i32_e64 s16, s18, v1
	s_and_b32 s35, s17, s16
	s_and_saveexec_b32 s0, s35
	s_cbranch_execz .LBB691_6
; %bb.5:
	global_load_dwordx2 v[2:3], v[36:37], off offset:256
.LBB691_6:
	s_or_b32 exec_lo, exec_lo, s0
	v_add_nc_u32_e32 v1, 64, v0
	v_mov_b32_e32 v6, 0
	v_mov_b32_e32 v4, 0
	v_mov_b32_e32 v7, 0xfff00000
	v_mov_b32_e32 v5, 0xfff00000
	v_cmp_gt_i32_e64 s15, s18, v1
	s_and_b32 s34, s17, s15
	s_and_saveexec_b32 s0, s34
	s_cbranch_execz .LBB691_8
; %bb.7:
	global_load_dwordx2 v[4:5], v[36:37], off offset:512
.LBB691_8:
	s_or_b32 exec_lo, exec_lo, s0
	v_add_nc_u32_e32 v1, 0x60, v0
	v_cmp_gt_i32_e64 s14, s18, v1
	s_and_b32 s33, s17, s14
	s_and_saveexec_b32 s0, s33
	s_cbranch_execz .LBB691_10
; %bb.9:
	global_load_dwordx2 v[6:7], v[36:37], off offset:768
.LBB691_10:
	s_or_b32 exec_lo, exec_lo, s0
	v_add_nc_u32_e32 v1, 0x80, v0
	v_mov_b32_e32 v10, 0
	v_mov_b32_e32 v8, 0
	v_mov_b32_e32 v11, 0xfff00000
	v_mov_b32_e32 v9, 0xfff00000
	v_cmp_gt_i32_e64 s13, s18, v1
	s_and_b32 s31, s17, s13
	s_and_saveexec_b32 s0, s31
	s_cbranch_execz .LBB691_12
; %bb.11:
	global_load_dwordx2 v[8:9], v[36:37], off offset:1024
.LBB691_12:
	;; [unrolled: 22-line block ×3, first 2 shown]
	s_or_b32 exec_lo, exec_lo, s0
	v_add_nc_u32_e32 v1, 0xe0, v0
	v_cmp_gt_i32_e64 s10, s18, v1
	s_and_b32 s28, s17, s10
	s_and_saveexec_b32 s0, s28
	s_cbranch_execz .LBB691_18
; %bb.17:
	global_load_dwordx2 v[14:15], v[36:37], off offset:1792
.LBB691_18:
	s_or_b32 exec_lo, exec_lo, s0
	v_add_nc_u32_e32 v1, 0x100, v0
	v_mov_b32_e32 v18, 0
	v_mov_b32_e32 v16, 0
	;; [unrolled: 1-line block ×4, first 2 shown]
	v_cmp_gt_i32_e64 s9, s18, v1
	s_and_b32 s27, s17, s9
	s_and_saveexec_b32 s1, s27
	s_cbranch_execz .LBB691_20
; %bb.19:
	v_add_co_u32 v16, s0, 0x800, v36
	v_add_co_ci_u32_e64 v17, null, 0, v37, s0
	global_load_dwordx2 v[16:17], v[16:17], off
.LBB691_20:
	s_or_b32 exec_lo, exec_lo, s1
	v_add_nc_u32_e32 v1, 0x120, v0
	v_cmp_gt_i32_e64 s8, s18, v1
	s_and_b32 s26, s17, s8
	s_and_saveexec_b32 s1, s26
	s_cbranch_execz .LBB691_22
; %bb.21:
	v_add_co_u32 v18, s0, 0x800, v36
	v_add_co_ci_u32_e64 v19, null, 0, v37, s0
	global_load_dwordx2 v[18:19], v[18:19], off offset:256
.LBB691_22:
	s_or_b32 exec_lo, exec_lo, s1
	v_add_nc_u32_e32 v1, 0x140, v0
	v_mov_b32_e32 v22, 0
	v_mov_b32_e32 v20, 0
	v_mov_b32_e32 v23, 0xfff00000
	v_mov_b32_e32 v21, 0xfff00000
	v_cmp_gt_i32_e64 s7, s18, v1
	s_and_b32 s25, s17, s7
	s_and_saveexec_b32 s1, s25
	s_cbranch_execz .LBB691_24
; %bb.23:
	v_add_co_u32 v20, s0, 0x800, v36
	v_add_co_ci_u32_e64 v21, null, 0, v37, s0
	global_load_dwordx2 v[20:21], v[20:21], off offset:512
.LBB691_24:
	s_or_b32 exec_lo, exec_lo, s1
	v_add_nc_u32_e32 v1, 0x160, v0
	v_cmp_gt_i32_e64 s6, s18, v1
	s_and_b32 s24, s17, s6
	s_and_saveexec_b32 s1, s24
	s_cbranch_execz .LBB691_26
; %bb.25:
	v_add_co_u32 v22, s0, 0x800, v36
	v_add_co_ci_u32_e64 v23, null, 0, v37, s0
	global_load_dwordx2 v[22:23], v[22:23], off offset:768
.LBB691_26:
	s_or_b32 exec_lo, exec_lo, s1
	v_add_nc_u32_e32 v1, 0x180, v0
	v_mov_b32_e32 v26, 0
	v_mov_b32_e32 v24, 0
	v_mov_b32_e32 v27, 0xfff00000
	v_mov_b32_e32 v25, 0xfff00000
	v_cmp_gt_i32_e64 s3, s18, v1
	s_and_b32 s23, s17, s3
	s_and_saveexec_b32 s1, s23
	s_cbranch_execz .LBB691_28
; %bb.27:
	v_add_co_u32 v24, s0, 0x800, v36
	v_add_co_ci_u32_e64 v25, null, 0, v37, s0
	global_load_dwordx2 v[24:25], v[24:25], off offset:1024
.LBB691_28:
	;; [unrolled: 26-line block ×3, first 2 shown]
	s_or_b32 exec_lo, exec_lo, s37
	v_add_nc_u32_e32 v0, 0x1e0, v0
	v_cmp_gt_i32_e64 s0, s18, v0
	s_and_b32 s18, s17, s0
	s_and_saveexec_b32 s37, s18
	s_cbranch_execz .LBB691_34
; %bb.33:
	v_add_co_u32 v0, s17, 0x800, v36
	v_add_co_ci_u32_e64 v1, null, 0, v37, s17
	global_load_dwordx2 v[30:31], v[0:1], off offset:1792
.LBB691_34:
	s_or_b32 exec_lo, exec_lo, s37
	s_load_dwordx2 s[4:5], s[4:5], 0x20
	s_waitcnt lgkmcnt(0)
	v_add_co_u32 v98, s4, s4, v34
	v_add_co_ci_u32_e64 v99, null, s5, v35, s4
	s_mov_b32 s5, 0
	s_and_saveexec_b32 s17, s36
	s_cbranch_execz .LBB691_36
; %bb.35:
	global_load_ubyte v0, v[98:99], off
	s_waitcnt vmcnt(0)
	v_and_b32_e32 v0, 1, v0
	v_cmp_eq_u32_e64 s4, 1, v0
	s_xor_b32 s4, s4, -1
	s_and_b32 s5, s4, exec_lo
.LBB691_36:
	s_or_b32 exec_lo, exec_lo, s17
	s_waitcnt vmcnt(0)
	v_mov_b32_e32 v0, v32
	v_mov_b32_e32 v1, v33
	s_and_saveexec_b32 s17, s35
	s_cbranch_execz .LBB691_65
; %bb.37:
	global_load_ubyte v0, v[98:99], off offset:32
	s_waitcnt vmcnt(0)
	v_and_b32_e32 v0, 1, v0
	v_cmp_eq_u32_e64 s4, 1, v0
	v_mov_b32_e32 v0, v32
	v_mov_b32_e32 v1, v33
	s_xor_b32 s38, s4, -1
	s_mov_b32 s4, s5
	s_and_saveexec_b32 s37, s38
	s_cbranch_execz .LBB691_39
; %bb.38:
	v_cmp_gt_f64_e64 s4, v[32:33], v[2:3]
	s_and_b32 s4, s5, s4
	v_cndmask_b32_e64 v1, v3, v33, s4
	v_cndmask_b32_e64 v0, v2, v32, s4
	s_or_b32 s4, s5, exec_lo
.LBB691_39:
	s_or_b32 exec_lo, exec_lo, s37
	s_andn2_b32 s5, s5, exec_lo
	s_and_b32 s4, s4, exec_lo
	s_or_b32 s5, s5, s4
	s_or_b32 exec_lo, exec_lo, s17
	s_and_saveexec_b32 s17, s34
	s_cbranch_execnz .LBB691_66
.LBB691_40:
	s_or_b32 exec_lo, exec_lo, s17
	s_and_saveexec_b32 s17, s33
	s_cbranch_execz .LBB691_69
.LBB691_41:
	global_load_ubyte v34, v[98:99], off offset:96
	s_waitcnt vmcnt(0)
	v_and_b32_e32 v34, 1, v34
	v_cmp_eq_u32_e64 s4, 1, v34
	s_xor_b32 s38, s4, -1
	s_mov_b32 s4, s5
	s_and_saveexec_b32 s37, s38
	s_cbranch_execz .LBB691_43
; %bb.42:
	v_cmp_gt_f64_e64 s4, v[0:1], v[6:7]
	s_and_b32 s4, s5, s4
	v_cndmask_b32_e64 v1, v7, v1, s4
	v_cndmask_b32_e64 v0, v6, v0, s4
	s_or_b32 s4, s5, exec_lo
.LBB691_43:
	s_or_b32 exec_lo, exec_lo, s37
	s_andn2_b32 s5, s5, exec_lo
	s_and_b32 s4, s4, exec_lo
	s_or_b32 s5, s5, s4
	s_or_b32 exec_lo, exec_lo, s17
	s_and_saveexec_b32 s17, s31
	s_cbranch_execnz .LBB691_70
.LBB691_44:
	s_or_b32 exec_lo, exec_lo, s17
	s_and_saveexec_b32 s17, s30
	s_cbranch_execz .LBB691_73
.LBB691_45:
	global_load_ubyte v34, v[98:99], off offset:160
	s_waitcnt vmcnt(0)
	v_and_b32_e32 v34, 1, v34
	v_cmp_eq_u32_e64 s4, 1, v34
	s_xor_b32 s38, s4, -1
	s_mov_b32 s4, s5
	s_and_saveexec_b32 s37, s38
	s_cbranch_execz .LBB691_47
; %bb.46:
	v_cmp_gt_f64_e64 s4, v[0:1], v[10:11]
	s_and_b32 s4, s5, s4
	v_cndmask_b32_e64 v1, v11, v1, s4
	v_cndmask_b32_e64 v0, v10, v0, s4
	s_or_b32 s4, s5, exec_lo
.LBB691_47:
	s_or_b32 exec_lo, exec_lo, s37
	s_andn2_b32 s5, s5, exec_lo
	s_and_b32 s4, s4, exec_lo
	s_or_b32 s5, s5, s4
	s_or_b32 exec_lo, exec_lo, s17
	s_and_saveexec_b32 s17, s29
	s_cbranch_execnz .LBB691_74
.LBB691_48:
	s_or_b32 exec_lo, exec_lo, s17
	s_and_saveexec_b32 s17, s28
	s_cbranch_execz .LBB691_77
.LBB691_49:
	global_load_ubyte v34, v[98:99], off offset:224
	s_waitcnt vmcnt(0)
	v_and_b32_e32 v34, 1, v34
	v_cmp_eq_u32_e64 s4, 1, v34
	s_xor_b32 s38, s4, -1
	s_mov_b32 s4, s5
	s_and_saveexec_b32 s37, s38
	s_cbranch_execz .LBB691_51
; %bb.50:
	v_cmp_gt_f64_e64 s4, v[0:1], v[14:15]
	s_and_b32 s4, s5, s4
	v_cndmask_b32_e64 v1, v15, v1, s4
	v_cndmask_b32_e64 v0, v14, v0, s4
	s_or_b32 s4, s5, exec_lo
.LBB691_51:
	s_or_b32 exec_lo, exec_lo, s37
	s_andn2_b32 s5, s5, exec_lo
	s_and_b32 s4, s4, exec_lo
	s_or_b32 s5, s5, s4
	s_or_b32 exec_lo, exec_lo, s17
	s_and_saveexec_b32 s17, s27
	s_cbranch_execnz .LBB691_78
.LBB691_52:
	s_or_b32 exec_lo, exec_lo, s17
	s_and_saveexec_b32 s17, s26
	s_cbranch_execz .LBB691_81
.LBB691_53:
	global_load_ubyte v34, v[98:99], off offset:288
	s_waitcnt vmcnt(0)
	v_and_b32_e32 v34, 1, v34
	v_cmp_eq_u32_e64 s4, 1, v34
	s_xor_b32 s38, s4, -1
	s_mov_b32 s4, s5
	s_and_saveexec_b32 s37, s38
	s_cbranch_execz .LBB691_55
; %bb.54:
	v_cmp_gt_f64_e64 s4, v[0:1], v[18:19]
	s_and_b32 s4, s5, s4
	v_cndmask_b32_e64 v1, v19, v1, s4
	v_cndmask_b32_e64 v0, v18, v0, s4
	s_or_b32 s4, s5, exec_lo
.LBB691_55:
	s_or_b32 exec_lo, exec_lo, s37
	s_andn2_b32 s5, s5, exec_lo
	s_and_b32 s4, s4, exec_lo
	s_or_b32 s5, s5, s4
	s_or_b32 exec_lo, exec_lo, s17
	s_and_saveexec_b32 s17, s25
	s_cbranch_execnz .LBB691_82
.LBB691_56:
	s_or_b32 exec_lo, exec_lo, s17
	s_and_saveexec_b32 s17, s24
	s_cbranch_execz .LBB691_85
.LBB691_57:
	global_load_ubyte v34, v[98:99], off offset:352
	s_waitcnt vmcnt(0)
	v_and_b32_e32 v34, 1, v34
	v_cmp_eq_u32_e64 s4, 1, v34
	s_xor_b32 s38, s4, -1
	s_mov_b32 s4, s5
	s_and_saveexec_b32 s37, s38
	s_cbranch_execz .LBB691_59
; %bb.58:
	v_cmp_gt_f64_e64 s4, v[0:1], v[22:23]
	s_and_b32 s4, s5, s4
	v_cndmask_b32_e64 v1, v23, v1, s4
	v_cndmask_b32_e64 v0, v22, v0, s4
	s_or_b32 s4, s5, exec_lo
.LBB691_59:
	s_or_b32 exec_lo, exec_lo, s37
	s_andn2_b32 s5, s5, exec_lo
	s_and_b32 s4, s4, exec_lo
	s_or_b32 s5, s5, s4
	s_or_b32 exec_lo, exec_lo, s17
	s_and_saveexec_b32 s17, s23
	s_cbranch_execnz .LBB691_86
.LBB691_60:
	s_or_b32 exec_lo, exec_lo, s17
	s_and_saveexec_b32 s17, s22
	s_cbranch_execz .LBB691_89
.LBB691_61:
	global_load_ubyte v34, v[98:99], off offset:416
	s_waitcnt vmcnt(0)
	v_and_b32_e32 v34, 1, v34
	v_cmp_eq_u32_e64 s4, 1, v34
	s_xor_b32 s38, s4, -1
	s_mov_b32 s4, s5
	s_and_saveexec_b32 s37, s38
	s_cbranch_execz .LBB691_63
; %bb.62:
	v_cmp_gt_f64_e64 s4, v[0:1], v[26:27]
	s_and_b32 s4, s5, s4
	v_cndmask_b32_e64 v1, v27, v1, s4
	v_cndmask_b32_e64 v0, v26, v0, s4
	s_or_b32 s4, s5, exec_lo
.LBB691_63:
	s_or_b32 exec_lo, exec_lo, s37
	s_andn2_b32 s5, s5, exec_lo
	s_and_b32 s4, s4, exec_lo
	s_or_b32 s5, s5, s4
	s_or_b32 exec_lo, exec_lo, s17
	s_and_saveexec_b32 s17, s19
	s_cbranch_execnz .LBB691_90
.LBB691_64:
	s_or_b32 exec_lo, exec_lo, s17
	s_xor_b32 s17, s36, -1
	s_and_saveexec_b32 s36, s18
	s_cbranch_execnz .LBB691_93
	s_branch .LBB691_96
.LBB691_65:
	s_or_b32 exec_lo, exec_lo, s17
	s_and_saveexec_b32 s17, s34
	s_cbranch_execz .LBB691_40
.LBB691_66:
	global_load_ubyte v34, v[98:99], off offset:64
	s_waitcnt vmcnt(0)
	v_and_b32_e32 v34, 1, v34
	v_cmp_eq_u32_e64 s4, 1, v34
	s_xor_b32 s38, s4, -1
	s_mov_b32 s4, s5
	s_and_saveexec_b32 s37, s38
	s_cbranch_execz .LBB691_68
; %bb.67:
	v_cmp_gt_f64_e64 s4, v[0:1], v[4:5]
	s_and_b32 s4, s5, s4
	v_cndmask_b32_e64 v1, v5, v1, s4
	v_cndmask_b32_e64 v0, v4, v0, s4
	s_or_b32 s4, s5, exec_lo
.LBB691_68:
	s_or_b32 exec_lo, exec_lo, s37
	s_andn2_b32 s5, s5, exec_lo
	s_and_b32 s4, s4, exec_lo
	s_or_b32 s5, s5, s4
	s_or_b32 exec_lo, exec_lo, s17
	s_and_saveexec_b32 s17, s33
	s_cbranch_execnz .LBB691_41
.LBB691_69:
	s_or_b32 exec_lo, exec_lo, s17
	s_and_saveexec_b32 s17, s31
	s_cbranch_execz .LBB691_44
.LBB691_70:
	global_load_ubyte v34, v[98:99], off offset:128
	s_waitcnt vmcnt(0)
	v_and_b32_e32 v34, 1, v34
	v_cmp_eq_u32_e64 s4, 1, v34
	s_xor_b32 s38, s4, -1
	s_mov_b32 s4, s5
	s_and_saveexec_b32 s37, s38
	s_cbranch_execz .LBB691_72
; %bb.71:
	v_cmp_gt_f64_e64 s4, v[0:1], v[8:9]
	s_and_b32 s4, s5, s4
	v_cndmask_b32_e64 v1, v9, v1, s4
	v_cndmask_b32_e64 v0, v8, v0, s4
	s_or_b32 s4, s5, exec_lo
.LBB691_72:
	s_or_b32 exec_lo, exec_lo, s37
	s_andn2_b32 s5, s5, exec_lo
	s_and_b32 s4, s4, exec_lo
	s_or_b32 s5, s5, s4
	s_or_b32 exec_lo, exec_lo, s17
	s_and_saveexec_b32 s17, s30
	s_cbranch_execnz .LBB691_45
.LBB691_73:
	s_or_b32 exec_lo, exec_lo, s17
	s_and_saveexec_b32 s17, s29
	s_cbranch_execz .LBB691_48
.LBB691_74:
	global_load_ubyte v34, v[98:99], off offset:192
	s_waitcnt vmcnt(0)
	v_and_b32_e32 v34, 1, v34
	v_cmp_eq_u32_e64 s4, 1, v34
	s_xor_b32 s38, s4, -1
	s_mov_b32 s4, s5
	s_and_saveexec_b32 s37, s38
	s_cbranch_execz .LBB691_76
; %bb.75:
	v_cmp_gt_f64_e64 s4, v[0:1], v[12:13]
	s_and_b32 s4, s5, s4
	v_cndmask_b32_e64 v1, v13, v1, s4
	v_cndmask_b32_e64 v0, v12, v0, s4
	s_or_b32 s4, s5, exec_lo
.LBB691_76:
	s_or_b32 exec_lo, exec_lo, s37
	s_andn2_b32 s5, s5, exec_lo
	s_and_b32 s4, s4, exec_lo
	s_or_b32 s5, s5, s4
	s_or_b32 exec_lo, exec_lo, s17
	s_and_saveexec_b32 s17, s28
	s_cbranch_execnz .LBB691_49
.LBB691_77:
	s_or_b32 exec_lo, exec_lo, s17
	s_and_saveexec_b32 s17, s27
	s_cbranch_execz .LBB691_52
.LBB691_78:
	global_load_ubyte v34, v[98:99], off offset:256
	s_waitcnt vmcnt(0)
	v_and_b32_e32 v34, 1, v34
	v_cmp_eq_u32_e64 s4, 1, v34
	s_xor_b32 s38, s4, -1
	s_mov_b32 s4, s5
	s_and_saveexec_b32 s37, s38
	s_cbranch_execz .LBB691_80
; %bb.79:
	v_cmp_gt_f64_e64 s4, v[0:1], v[16:17]
	s_and_b32 s4, s5, s4
	v_cndmask_b32_e64 v1, v17, v1, s4
	v_cndmask_b32_e64 v0, v16, v0, s4
	s_or_b32 s4, s5, exec_lo
.LBB691_80:
	s_or_b32 exec_lo, exec_lo, s37
	s_andn2_b32 s5, s5, exec_lo
	s_and_b32 s4, s4, exec_lo
	s_or_b32 s5, s5, s4
	s_or_b32 exec_lo, exec_lo, s17
	s_and_saveexec_b32 s17, s26
	s_cbranch_execnz .LBB691_53
.LBB691_81:
	s_or_b32 exec_lo, exec_lo, s17
	s_and_saveexec_b32 s17, s25
	s_cbranch_execz .LBB691_56
.LBB691_82:
	global_load_ubyte v34, v[98:99], off offset:320
	s_waitcnt vmcnt(0)
	v_and_b32_e32 v34, 1, v34
	v_cmp_eq_u32_e64 s4, 1, v34
	s_xor_b32 s38, s4, -1
	s_mov_b32 s4, s5
	s_and_saveexec_b32 s37, s38
	s_cbranch_execz .LBB691_84
; %bb.83:
	v_cmp_gt_f64_e64 s4, v[0:1], v[20:21]
	s_and_b32 s4, s5, s4
	v_cndmask_b32_e64 v1, v21, v1, s4
	v_cndmask_b32_e64 v0, v20, v0, s4
	s_or_b32 s4, s5, exec_lo
.LBB691_84:
	s_or_b32 exec_lo, exec_lo, s37
	s_andn2_b32 s5, s5, exec_lo
	s_and_b32 s4, s4, exec_lo
	s_or_b32 s5, s5, s4
	s_or_b32 exec_lo, exec_lo, s17
	s_and_saveexec_b32 s17, s24
	s_cbranch_execnz .LBB691_57
.LBB691_85:
	s_or_b32 exec_lo, exec_lo, s17
	s_and_saveexec_b32 s17, s23
	s_cbranch_execz .LBB691_60
.LBB691_86:
	global_load_ubyte v34, v[98:99], off offset:384
	s_waitcnt vmcnt(0)
	v_and_b32_e32 v34, 1, v34
	v_cmp_eq_u32_e64 s4, 1, v34
	s_xor_b32 s38, s4, -1
	s_mov_b32 s4, s5
	s_and_saveexec_b32 s37, s38
	s_cbranch_execz .LBB691_88
; %bb.87:
	v_cmp_gt_f64_e64 s4, v[0:1], v[24:25]
	s_and_b32 s4, s5, s4
	v_cndmask_b32_e64 v1, v25, v1, s4
	v_cndmask_b32_e64 v0, v24, v0, s4
	s_or_b32 s4, s5, exec_lo
.LBB691_88:
	s_or_b32 exec_lo, exec_lo, s37
	s_andn2_b32 s5, s5, exec_lo
	s_and_b32 s4, s4, exec_lo
	s_or_b32 s5, s5, s4
	s_or_b32 exec_lo, exec_lo, s17
	s_and_saveexec_b32 s17, s22
	s_cbranch_execnz .LBB691_61
.LBB691_89:
	s_or_b32 exec_lo, exec_lo, s17
	s_and_saveexec_b32 s17, s19
	s_cbranch_execz .LBB691_64
.LBB691_90:
	global_load_ubyte v34, v[98:99], off offset:448
	s_waitcnt vmcnt(0)
	v_and_b32_e32 v34, 1, v34
	v_cmp_eq_u32_e64 s4, 1, v34
	s_xor_b32 s38, s4, -1
	s_mov_b32 s4, s5
	s_and_saveexec_b32 s37, s38
	s_cbranch_execz .LBB691_92
; %bb.91:
	v_cmp_gt_f64_e64 s4, v[0:1], v[28:29]
	s_and_b32 s4, s5, s4
	v_cndmask_b32_e64 v1, v29, v1, s4
	v_cndmask_b32_e64 v0, v28, v0, s4
	s_or_b32 s4, s5, exec_lo
.LBB691_92:
	s_or_b32 exec_lo, exec_lo, s37
	s_andn2_b32 s5, s5, exec_lo
	s_and_b32 s4, s4, exec_lo
	s_or_b32 s5, s5, s4
	s_or_b32 exec_lo, exec_lo, s17
	s_xor_b32 s17, s36, -1
	s_and_saveexec_b32 s36, s18
	s_cbranch_execz .LBB691_96
.LBB691_93:
	global_load_ubyte v34, v[98:99], off offset:480
	s_waitcnt vmcnt(0)
	v_and_b32_e32 v34, 1, v34
	v_cmp_eq_u32_e64 s4, 1, v34
	s_xor_b32 s38, s4, -1
	s_mov_b32 s4, s5
	s_and_saveexec_b32 s37, s38
	s_cbranch_execz .LBB691_95
; %bb.94:
	v_cmp_gt_f64_e64 s4, v[0:1], v[30:31]
	s_and_b32 s4, s5, s4
	v_cndmask_b32_e64 v1, v31, v1, s4
	v_cndmask_b32_e64 v0, v30, v0, s4
	s_or_b32 s4, s5, exec_lo
.LBB691_95:
	s_or_b32 exec_lo, exec_lo, s37
	s_andn2_b32 s5, s5, exec_lo
	s_and_b32 s4, s4, exec_lo
	s_or_b32 s5, s5, s4
.LBB691_96:
	s_or_b32 exec_lo, exec_lo, s36
	v_mbcnt_lo_u32_b32 v36, -1, 0
	v_cndmask_b32_e64 v0, 0, v0, s5
	v_cndmask_b32_e64 v1, 0xfff00000, v1, s5
	v_xor_b32_e32 v34, 16, v36
	v_xor_b32_e32 v37, 8, v36
	v_cmp_gt_i32_e64 s4, 32, v34
	v_cmp_gt_i32_e64 s5, 32, v37
	v_cndmask_b32_e64 v34, v36, v34, s4
	v_cndmask_b32_e64 v37, v36, v37, s5
	v_lshlrev_b32_e32 v105, 2, v34
	v_lshlrev_b32_e32 v106, 2, v37
	v_xor_b32_e32 v37, 4, v36
	ds_bpermute_b32 v34, v105, v0
	ds_bpermute_b32 v35, v105, v1
	v_cmp_gt_i32_e64 s5, 32, v37
	v_cndmask_b32_e64 v37, v36, v37, s5
	v_lshlrev_b32_e32 v107, 2, v37
	v_xor_b32_e32 v37, 2, v36
	v_cmp_gt_i32_e64 s5, 32, v37
	s_waitcnt lgkmcnt(0)
	v_cmp_lt_f64_e64 s4, v[0:1], v[34:35]
	v_cndmask_b32_e64 v37, v36, v37, s5
	v_lshlrev_b32_e32 v108, 2, v37
	v_xor_b32_e32 v37, 1, v36
	v_cmp_gt_i32_e64 s5, 32, v37
	v_cndmask_b32_e64 v36, v36, v37, s5
	s_mov_b32 s5, 0
	v_cndmask_b32_e64 v1, v1, v35, s4
	v_cndmask_b32_e64 v0, v0, v34, s4
	v_lshlrev_b32_e32 v109, 2, v36
	ds_bpermute_b32 v35, v106, v1
	ds_bpermute_b32 v34, v106, v0
	s_waitcnt lgkmcnt(0)
	v_cmp_lt_f64_e64 s4, v[0:1], v[34:35]
	v_cndmask_b32_e64 v1, v1, v35, s4
	v_cndmask_b32_e64 v0, v0, v34, s4
	ds_bpermute_b32 v35, v107, v1
	ds_bpermute_b32 v34, v107, v0
	s_waitcnt lgkmcnt(0)
	v_cmp_lt_f64_e64 s4, v[0:1], v[34:35]
	v_cndmask_b32_e64 v1, v1, v35, s4
	v_cndmask_b32_e64 v0, v0, v34, s4
	;; [unrolled: 6-line block ×4, first 2 shown]
	s_and_saveexec_b32 s4, s17
	s_xor_b32 s4, exec_lo, s4
; %bb.97:
	v_mov_b32_e32 v0, s5
	v_mov_b32_e32 v1, s5
                                        ; implicit-def: $vgpr32_vgpr33
; %bb.98:
	s_or_saveexec_b32 s17, s4
	v_mov_b32_e32 v102, 0
	v_mov_b32_e32 v103, 0
	s_xor_b32 s35, s35, -1
	s_xor_b32 exec_lo, exec_lo, s17
	s_cbranch_execz .LBB691_104
; %bb.99:
	global_load_ubyte v0, v[98:99], off
	v_mov_b32_e32 v1, s5
                                        ; implicit-def: $vgpr102_vgpr103
	s_waitcnt vmcnt(0)
	v_and_b32_e32 v0, 1, v0
	v_cmp_eq_u32_e64 s4, 1, v0
	v_mov_b32_e32 v0, s5
	s_xor_b32 s4, s4, -1
	s_and_saveexec_b32 s5, s4
	s_xor_b32 s36, exec_lo, s5
	s_cbranch_execz .LBB691_101
; %bb.100:
	v_add_f64 v[0:1], v[32:33], -v[100:101]
	s_mov_b32 s4, 0x652b82fe
	s_mov_b32 s5, 0x3ff71547
	;; [unrolled: 1-line block ×4, first 2 shown]
	v_mul_f64 v[32:33], v[0:1], s[4:5]
	s_mov_b32 s4, 0xfefa39ef
	s_mov_b32 s5, 0xbfe62e42
	v_rndne_f64_e32 v[32:33], v[32:33]
	v_fma_f64 v[34:35], v[32:33], s[4:5], v[0:1]
	s_mov_b32 s4, 0x3b39803f
	s_mov_b32 s5, 0xbc7abc9e
	v_cvt_i32_f64_e32 v38, v[32:33]
	v_fma_f64 v[34:35], v[32:33], s[4:5], v[34:35]
	s_mov_b32 s4, 0xfca7ab0c
	s_mov_b32 s5, 0x3e928af3
	v_fma_f64 v[36:37], v[34:35], s[38:39], s[4:5]
	s_mov_b32 s4, 0x623fde64
	s_mov_b32 s5, 0x3ec71dee
	;; [unrolled: 3-line block ×9, first 2 shown]
	v_fma_f64 v[36:37], v[34:35], v[36:37], s[4:5]
	v_cmp_nlt_f64_e64 s4, 0x40900000, v[0:1]
	v_cmp_ngt_f64_e64 s5, 0xc090cc00, v[0:1]
	v_fma_f64 v[36:37], v[34:35], v[36:37], 1.0
	v_fma_f64 v[32:33], v[34:35], v[36:37], 1.0
	v_ldexp_f64 v[32:33], v[32:33], v38
	v_cndmask_b32_e64 v33, 0x7ff00000, v33, s4
	s_and_b32 s4, s5, s4
	v_cndmask_b32_e64 v0, 0, v32, s4
	v_cndmask_b32_e64 v1, 0, v33, s5
	v_add_f64 v[102:103], v[0:1], 0
.LBB691_101:
	s_andn2_saveexec_b32 s4, s36
; %bb.102:
	v_mov_b32_e32 v102, 0
	v_mov_b32_e32 v103, 0
; %bb.103:
	s_or_b32 exec_lo, exec_lo, s4
.LBB691_104:
	s_or_b32 exec_lo, exec_lo, s17
                                        ; implicit-def: $vgpr32_vgpr33_vgpr34_vgpr35_vgpr36_vgpr37_vgpr38_vgpr39_vgpr40_vgpr41_vgpr42_vgpr43_vgpr44_vgpr45_vgpr46_vgpr47_vgpr48_vgpr49_vgpr50_vgpr51_vgpr52_vgpr53_vgpr54_vgpr55_vgpr56_vgpr57_vgpr58_vgpr59_vgpr60_vgpr61_vgpr62_vgpr63
	s_and_saveexec_b32 s4, s35
	s_xor_b32 s4, exec_lo, s4
	s_cbranch_execz .LBB691_134
; %bb.105:
	s_mov_b32 s5, 0
	v_mov_b32_e32 v2, s5
	v_mov_b32_e32 v3, s5
	;; [unrolled: 1-line block ×34, first 2 shown]
                                        ; implicit-def: $vgpr0_vgpr1_vgpr2_vgpr3_vgpr4_vgpr5_vgpr6_vgpr7_vgpr8_vgpr9_vgpr10_vgpr11_vgpr12_vgpr13_vgpr14_vgpr15_vgpr16_vgpr17_vgpr18_vgpr19_vgpr20_vgpr21_vgpr22_vgpr23_vgpr24_vgpr25_vgpr26_vgpr27_vgpr28_vgpr29_vgpr30_vgpr31
	s_or_saveexec_b32 s35, s4
	s_xor_b32 s17, s34, -1
	s_xor_b32 exec_lo, exec_lo, s35
	s_cbranch_execnz .LBB691_135
.LBB691_106:
	s_or_b32 exec_lo, exec_lo, s35
                                        ; implicit-def: $vgpr0_vgpr1_vgpr2_vgpr3_vgpr4_vgpr5_vgpr6_vgpr7_vgpr8_vgpr9_vgpr10_vgpr11_vgpr12_vgpr13_vgpr14_vgpr15_vgpr16_vgpr17_vgpr18_vgpr19_vgpr20_vgpr21_vgpr22_vgpr23_vgpr24_vgpr25_vgpr26_vgpr27_vgpr28_vgpr29_vgpr30_vgpr31
	s_and_saveexec_b32 s4, s17
	s_xor_b32 s4, exec_lo, s4
	s_cbranch_execz .LBB691_138
.LBB691_107:
	s_mov_b32 s5, 0
	v_mov_b32_e32 v36, s5
	v_mov_b32_e32 v37, s5
	;; [unrolled: 1-line block ×34, first 2 shown]
                                        ; implicit-def: $vgpr32_vgpr33_vgpr34_vgpr35_vgpr36_vgpr37_vgpr38_vgpr39_vgpr40_vgpr41_vgpr42_vgpr43_vgpr44_vgpr45_vgpr46_vgpr47_vgpr48_vgpr49_vgpr50_vgpr51_vgpr52_vgpr53_vgpr54_vgpr55_vgpr56_vgpr57_vgpr58_vgpr59_vgpr60_vgpr61_vgpr62_vgpr63
	s_or_saveexec_b32 s34, s4
	s_xor_b32 s17, s33, -1
	s_xor_b32 exec_lo, exec_lo, s34
	s_cbranch_execnz .LBB691_139
.LBB691_108:
	s_or_b32 exec_lo, exec_lo, s34
                                        ; implicit-def: $vgpr32_vgpr33_vgpr34_vgpr35_vgpr36_vgpr37_vgpr38_vgpr39_vgpr40_vgpr41_vgpr42_vgpr43_vgpr44_vgpr45_vgpr46_vgpr47_vgpr48_vgpr49_vgpr50_vgpr51_vgpr52_vgpr53_vgpr54_vgpr55_vgpr56_vgpr57_vgpr58_vgpr59_vgpr60_vgpr61_vgpr62_vgpr63
	s_and_saveexec_b32 s4, s17
	s_xor_b32 s4, exec_lo, s4
	s_cbranch_execz .LBB691_142
.LBB691_109:
	s_mov_b32 s5, 0
	v_mov_b32_e32 v6, s5
	v_mov_b32_e32 v7, s5
	;; [unrolled: 1-line block ×34, first 2 shown]
                                        ; implicit-def: $vgpr0_vgpr1_vgpr2_vgpr3_vgpr4_vgpr5_vgpr6_vgpr7_vgpr8_vgpr9_vgpr10_vgpr11_vgpr12_vgpr13_vgpr14_vgpr15_vgpr16_vgpr17_vgpr18_vgpr19_vgpr20_vgpr21_vgpr22_vgpr23_vgpr24_vgpr25_vgpr26_vgpr27_vgpr28_vgpr29_vgpr30_vgpr31
	s_or_saveexec_b32 s33, s4
	s_xor_b32 s17, s31, -1
	s_xor_b32 exec_lo, exec_lo, s33
	s_cbranch_execnz .LBB691_143
.LBB691_110:
	s_or_b32 exec_lo, exec_lo, s33
                                        ; implicit-def: $vgpr0_vgpr1_vgpr2_vgpr3_vgpr4_vgpr5_vgpr6_vgpr7_vgpr8_vgpr9_vgpr10_vgpr11_vgpr12_vgpr13_vgpr14_vgpr15_vgpr16_vgpr17_vgpr18_vgpr19_vgpr20_vgpr21_vgpr22_vgpr23_vgpr24_vgpr25_vgpr26_vgpr27_vgpr28_vgpr29_vgpr30_vgpr31
	s_and_saveexec_b32 s4, s17
	s_xor_b32 s4, exec_lo, s4
	s_cbranch_execz .LBB691_146
.LBB691_111:
	s_mov_b32 s5, 0
	v_mov_b32_e32 v40, s5
	v_mov_b32_e32 v41, s5
	;; [unrolled: 1-line block ×34, first 2 shown]
                                        ; implicit-def: $vgpr32_vgpr33_vgpr34_vgpr35_vgpr36_vgpr37_vgpr38_vgpr39_vgpr40_vgpr41_vgpr42_vgpr43_vgpr44_vgpr45_vgpr46_vgpr47_vgpr48_vgpr49_vgpr50_vgpr51_vgpr52_vgpr53_vgpr54_vgpr55_vgpr56_vgpr57_vgpr58_vgpr59_vgpr60_vgpr61_vgpr62_vgpr63
	s_or_saveexec_b32 s31, s4
	s_xor_b32 s17, s30, -1
	s_xor_b32 exec_lo, exec_lo, s31
	s_cbranch_execnz .LBB691_147
.LBB691_112:
	s_or_b32 exec_lo, exec_lo, s31
                                        ; implicit-def: $vgpr32_vgpr33_vgpr34_vgpr35_vgpr36_vgpr37_vgpr38_vgpr39_vgpr40_vgpr41_vgpr42_vgpr43_vgpr44_vgpr45_vgpr46_vgpr47_vgpr48_vgpr49_vgpr50_vgpr51_vgpr52_vgpr53_vgpr54_vgpr55_vgpr56_vgpr57_vgpr58_vgpr59_vgpr60_vgpr61_vgpr62_vgpr63
	s_and_saveexec_b32 s4, s17
	s_xor_b32 s4, exec_lo, s4
	s_cbranch_execz .LBB691_150
.LBB691_113:
	s_mov_b32 s5, 0
	v_mov_b32_e32 v10, s5
	v_mov_b32_e32 v11, s5
	;; [unrolled: 1-line block ×34, first 2 shown]
                                        ; implicit-def: $vgpr0_vgpr1_vgpr2_vgpr3_vgpr4_vgpr5_vgpr6_vgpr7_vgpr8_vgpr9_vgpr10_vgpr11_vgpr12_vgpr13_vgpr14_vgpr15_vgpr16_vgpr17_vgpr18_vgpr19_vgpr20_vgpr21_vgpr22_vgpr23_vgpr24_vgpr25_vgpr26_vgpr27_vgpr28_vgpr29_vgpr30_vgpr31
	s_or_saveexec_b32 s30, s4
	s_xor_b32 s17, s29, -1
	s_xor_b32 exec_lo, exec_lo, s30
	s_cbranch_execnz .LBB691_151
.LBB691_114:
	s_or_b32 exec_lo, exec_lo, s30
                                        ; implicit-def: $vgpr0_vgpr1_vgpr2_vgpr3_vgpr4_vgpr5_vgpr6_vgpr7_vgpr8_vgpr9_vgpr10_vgpr11_vgpr12_vgpr13_vgpr14_vgpr15_vgpr16_vgpr17_vgpr18_vgpr19_vgpr20_vgpr21_vgpr22_vgpr23_vgpr24_vgpr25_vgpr26_vgpr27_vgpr28_vgpr29_vgpr30_vgpr31
	s_and_saveexec_b32 s4, s17
	s_xor_b32 s4, exec_lo, s4
	s_cbranch_execz .LBB691_154
.LBB691_115:
	s_mov_b32 s5, 0
	v_mov_b32_e32 v44, s5
	v_mov_b32_e32 v45, s5
	;; [unrolled: 1-line block ×34, first 2 shown]
                                        ; implicit-def: $vgpr32_vgpr33_vgpr34_vgpr35_vgpr36_vgpr37_vgpr38_vgpr39_vgpr40_vgpr41_vgpr42_vgpr43_vgpr44_vgpr45_vgpr46_vgpr47_vgpr48_vgpr49_vgpr50_vgpr51_vgpr52_vgpr53_vgpr54_vgpr55_vgpr56_vgpr57_vgpr58_vgpr59_vgpr60_vgpr61_vgpr62_vgpr63
	s_or_saveexec_b32 s29, s4
	s_xor_b32 s17, s28, -1
	s_xor_b32 exec_lo, exec_lo, s29
	s_cbranch_execnz .LBB691_155
.LBB691_116:
	s_or_b32 exec_lo, exec_lo, s29
                                        ; implicit-def: $vgpr32_vgpr33_vgpr34_vgpr35_vgpr36_vgpr37_vgpr38_vgpr39_vgpr40_vgpr41_vgpr42_vgpr43_vgpr44_vgpr45_vgpr46_vgpr47_vgpr48_vgpr49_vgpr50_vgpr51_vgpr52_vgpr53_vgpr54_vgpr55_vgpr56_vgpr57_vgpr58_vgpr59_vgpr60_vgpr61_vgpr62_vgpr63
	s_and_saveexec_b32 s4, s17
	s_xor_b32 s4, exec_lo, s4
	s_cbranch_execz .LBB691_158
.LBB691_117:
	s_mov_b32 s5, 0
	v_mov_b32_e32 v14, s5
	v_mov_b32_e32 v15, s5
	;; [unrolled: 1-line block ×34, first 2 shown]
                                        ; implicit-def: $vgpr0_vgpr1_vgpr2_vgpr3_vgpr4_vgpr5_vgpr6_vgpr7_vgpr8_vgpr9_vgpr10_vgpr11_vgpr12_vgpr13_vgpr14_vgpr15_vgpr16_vgpr17_vgpr18_vgpr19_vgpr20_vgpr21_vgpr22_vgpr23_vgpr24_vgpr25_vgpr26_vgpr27_vgpr28_vgpr29_vgpr30_vgpr31
	s_or_saveexec_b32 s28, s4
	s_xor_b32 s17, s27, -1
	s_xor_b32 exec_lo, exec_lo, s28
	s_cbranch_execnz .LBB691_159
.LBB691_118:
	s_or_b32 exec_lo, exec_lo, s28
                                        ; implicit-def: $vgpr0_vgpr1_vgpr2_vgpr3_vgpr4_vgpr5_vgpr6_vgpr7_vgpr8_vgpr9_vgpr10_vgpr11_vgpr12_vgpr13_vgpr14_vgpr15_vgpr16_vgpr17_vgpr18_vgpr19_vgpr20_vgpr21_vgpr22_vgpr23_vgpr24_vgpr25_vgpr26_vgpr27_vgpr28_vgpr29_vgpr30_vgpr31
	s_and_saveexec_b32 s4, s17
	s_xor_b32 s4, exec_lo, s4
	s_cbranch_execz .LBB691_162
.LBB691_119:
	s_mov_b32 s5, 0
	v_mov_b32_e32 v48, s5
	v_mov_b32_e32 v49, s5
	;; [unrolled: 1-line block ×34, first 2 shown]
                                        ; implicit-def: $vgpr32_vgpr33_vgpr34_vgpr35_vgpr36_vgpr37_vgpr38_vgpr39_vgpr40_vgpr41_vgpr42_vgpr43_vgpr44_vgpr45_vgpr46_vgpr47_vgpr48_vgpr49_vgpr50_vgpr51_vgpr52_vgpr53_vgpr54_vgpr55_vgpr56_vgpr57_vgpr58_vgpr59_vgpr60_vgpr61_vgpr62_vgpr63
	s_or_saveexec_b32 s27, s4
	s_xor_b32 s17, s26, -1
	s_xor_b32 exec_lo, exec_lo, s27
	s_cbranch_execnz .LBB691_163
.LBB691_120:
	s_or_b32 exec_lo, exec_lo, s27
                                        ; implicit-def: $vgpr32_vgpr33_vgpr34_vgpr35_vgpr36_vgpr37_vgpr38_vgpr39_vgpr40_vgpr41_vgpr42_vgpr43_vgpr44_vgpr45_vgpr46_vgpr47_vgpr48_vgpr49_vgpr50_vgpr51_vgpr52_vgpr53_vgpr54_vgpr55_vgpr56_vgpr57_vgpr58_vgpr59_vgpr60_vgpr61_vgpr62_vgpr63
	s_and_saveexec_b32 s4, s17
	s_xor_b32 s4, exec_lo, s4
	s_cbranch_execz .LBB691_166
.LBB691_121:
	s_mov_b32 s5, 0
	v_mov_b32_e32 v18, s5
	v_mov_b32_e32 v19, s5
	;; [unrolled: 1-line block ×34, first 2 shown]
                                        ; implicit-def: $vgpr0_vgpr1_vgpr2_vgpr3_vgpr4_vgpr5_vgpr6_vgpr7_vgpr8_vgpr9_vgpr10_vgpr11_vgpr12_vgpr13_vgpr14_vgpr15_vgpr16_vgpr17_vgpr18_vgpr19_vgpr20_vgpr21_vgpr22_vgpr23_vgpr24_vgpr25_vgpr26_vgpr27_vgpr28_vgpr29_vgpr30_vgpr31
	s_or_saveexec_b32 s26, s4
	s_xor_b32 s17, s25, -1
	s_xor_b32 exec_lo, exec_lo, s26
	s_cbranch_execnz .LBB691_167
.LBB691_122:
	s_or_b32 exec_lo, exec_lo, s26
                                        ; implicit-def: $vgpr0_vgpr1_vgpr2_vgpr3_vgpr4_vgpr5_vgpr6_vgpr7_vgpr8_vgpr9_vgpr10_vgpr11_vgpr12_vgpr13_vgpr14_vgpr15_vgpr16_vgpr17_vgpr18_vgpr19_vgpr20_vgpr21_vgpr22_vgpr23_vgpr24_vgpr25_vgpr26_vgpr27_vgpr28_vgpr29_vgpr30_vgpr31
	s_and_saveexec_b32 s4, s17
	s_xor_b32 s4, exec_lo, s4
	s_cbranch_execz .LBB691_170
.LBB691_123:
	s_mov_b32 s5, 0
	v_mov_b32_e32 v52, s5
	v_mov_b32_e32 v53, s5
	;; [unrolled: 1-line block ×34, first 2 shown]
                                        ; implicit-def: $vgpr32_vgpr33_vgpr34_vgpr35_vgpr36_vgpr37_vgpr38_vgpr39_vgpr40_vgpr41_vgpr42_vgpr43_vgpr44_vgpr45_vgpr46_vgpr47_vgpr48_vgpr49_vgpr50_vgpr51_vgpr52_vgpr53_vgpr54_vgpr55_vgpr56_vgpr57_vgpr58_vgpr59_vgpr60_vgpr61_vgpr62_vgpr63
	s_or_saveexec_b32 s25, s4
	s_xor_b32 s17, s24, -1
	s_xor_b32 exec_lo, exec_lo, s25
	s_cbranch_execnz .LBB691_171
.LBB691_124:
	s_or_b32 exec_lo, exec_lo, s25
                                        ; implicit-def: $vgpr32_vgpr33_vgpr34_vgpr35_vgpr36_vgpr37_vgpr38_vgpr39_vgpr40_vgpr41_vgpr42_vgpr43_vgpr44_vgpr45_vgpr46_vgpr47_vgpr48_vgpr49_vgpr50_vgpr51_vgpr52_vgpr53_vgpr54_vgpr55_vgpr56_vgpr57_vgpr58_vgpr59_vgpr60_vgpr61_vgpr62_vgpr63
	s_and_saveexec_b32 s4, s17
	s_xor_b32 s4, exec_lo, s4
	s_cbranch_execz .LBB691_174
.LBB691_125:
	s_mov_b32 s5, 0
	v_mov_b32_e32 v22, s5
	v_mov_b32_e32 v23, s5
	v_mov_b32_e32 v63, v31
	v_mov_b32_e32 v62, v30
	v_mov_b32_e32 v61, v29
	v_mov_b32_e32 v60, v28
	v_mov_b32_e32 v59, v27
	v_mov_b32_e32 v58, v26
	v_mov_b32_e32 v57, v25
	v_mov_b32_e32 v56, v24
	v_mov_b32_e32 v55, v23
	v_mov_b32_e32 v54, v22
	v_mov_b32_e32 v53, v21
	v_mov_b32_e32 v52, v20
	v_mov_b32_e32 v51, v19
	v_mov_b32_e32 v50, v18
	v_mov_b32_e32 v49, v17
	v_mov_b32_e32 v48, v16
	v_mov_b32_e32 v47, v15
	v_mov_b32_e32 v46, v14
	v_mov_b32_e32 v45, v13
	v_mov_b32_e32 v44, v12
	v_mov_b32_e32 v43, v11
	v_mov_b32_e32 v42, v10
	v_mov_b32_e32 v41, v9
	v_mov_b32_e32 v40, v8
	v_mov_b32_e32 v39, v7
	v_mov_b32_e32 v38, v6
	v_mov_b32_e32 v37, v5
	v_mov_b32_e32 v36, v4
	v_mov_b32_e32 v35, v3
	v_mov_b32_e32 v34, v2
	v_mov_b32_e32 v33, v1
	v_mov_b32_e32 v32, v0
                                        ; implicit-def: $vgpr0_vgpr1_vgpr2_vgpr3_vgpr4_vgpr5_vgpr6_vgpr7_vgpr8_vgpr9_vgpr10_vgpr11_vgpr12_vgpr13_vgpr14_vgpr15_vgpr16_vgpr17_vgpr18_vgpr19_vgpr20_vgpr21_vgpr22_vgpr23_vgpr24_vgpr25_vgpr26_vgpr27_vgpr28_vgpr29_vgpr30_vgpr31
	s_or_saveexec_b32 s24, s4
	s_xor_b32 s17, s23, -1
	s_xor_b32 exec_lo, exec_lo, s24
	s_cbranch_execnz .LBB691_175
.LBB691_126:
	s_or_b32 exec_lo, exec_lo, s24
                                        ; implicit-def: $vgpr0_vgpr1_vgpr2_vgpr3_vgpr4_vgpr5_vgpr6_vgpr7_vgpr8_vgpr9_vgpr10_vgpr11_vgpr12_vgpr13_vgpr14_vgpr15_vgpr16_vgpr17_vgpr18_vgpr19_vgpr20_vgpr21_vgpr22_vgpr23_vgpr24_vgpr25_vgpr26_vgpr27_vgpr28_vgpr29_vgpr30_vgpr31
	s_and_saveexec_b32 s4, s17
	s_xor_b32 s4, exec_lo, s4
	s_cbranch_execz .LBB691_178
.LBB691_127:
	s_mov_b32 s5, 0
	v_mov_b32_e32 v56, s5
	v_mov_b32_e32 v57, s5
	;; [unrolled: 1-line block ×34, first 2 shown]
                                        ; implicit-def: $vgpr32_vgpr33_vgpr34_vgpr35_vgpr36_vgpr37_vgpr38_vgpr39_vgpr40_vgpr41_vgpr42_vgpr43_vgpr44_vgpr45_vgpr46_vgpr47_vgpr48_vgpr49_vgpr50_vgpr51_vgpr52_vgpr53_vgpr54_vgpr55_vgpr56_vgpr57_vgpr58_vgpr59_vgpr60_vgpr61_vgpr62_vgpr63
	s_or_saveexec_b32 s23, s4
	s_xor_b32 s17, s22, -1
	s_xor_b32 exec_lo, exec_lo, s23
	s_cbranch_execnz .LBB691_179
.LBB691_128:
	s_or_b32 exec_lo, exec_lo, s23
                                        ; implicit-def: $vgpr64_vgpr65_vgpr66_vgpr67_vgpr68_vgpr69_vgpr70_vgpr71_vgpr72_vgpr73_vgpr74_vgpr75_vgpr76_vgpr77_vgpr78_vgpr79_vgpr80_vgpr81_vgpr82_vgpr83_vgpr84_vgpr85_vgpr86_vgpr87_vgpr88_vgpr89_vgpr90_vgpr91_vgpr92_vgpr93_vgpr94_vgpr95
	s_and_saveexec_b32 s4, s17
	s_xor_b32 s4, exec_lo, s4
	s_cbranch_execz .LBB691_182
.LBB691_129:
	s_mov_b32 s5, 0
	v_mov_b32_e32 v26, s5
	v_mov_b32_e32 v27, s5
	;; [unrolled: 1-line block ×34, first 2 shown]
                                        ; implicit-def: $vgpr0_vgpr1_vgpr2_vgpr3_vgpr4_vgpr5_vgpr6_vgpr7_vgpr8_vgpr9_vgpr10_vgpr11_vgpr12_vgpr13_vgpr14_vgpr15_vgpr16_vgpr17_vgpr18_vgpr19_vgpr20_vgpr21_vgpr22_vgpr23_vgpr24_vgpr25_vgpr26_vgpr27_vgpr28_vgpr29_vgpr30_vgpr31
	s_or_saveexec_b32 s22, s4
	s_xor_b32 s17, s19, -1
	s_xor_b32 exec_lo, exec_lo, s22
	s_cbranch_execnz .LBB691_183
.LBB691_130:
	s_or_b32 exec_lo, exec_lo, s22
                                        ; implicit-def: $vgpr32_vgpr33_vgpr34_vgpr35_vgpr36_vgpr37_vgpr38_vgpr39_vgpr40_vgpr41_vgpr42_vgpr43_vgpr44_vgpr45_vgpr46_vgpr47_vgpr48_vgpr49_vgpr50_vgpr51_vgpr52_vgpr53_vgpr54_vgpr55_vgpr56_vgpr57_vgpr58_vgpr59_vgpr60_vgpr61_vgpr62_vgpr63
	s_and_saveexec_b32 s4, s17
	s_xor_b32 s4, exec_lo, s4
	s_cbranch_execz .LBB691_186
.LBB691_131:
	s_mov_b32 s5, 0
	v_mov_b32_e32 v92, s5
	v_mov_b32_e32 v93, s5
	v_mov_b32_e32 v32, v64
	v_mov_b32_e32 v33, v65
	v_mov_b32_e32 v34, v66
	v_mov_b32_e32 v35, v67
	v_mov_b32_e32 v36, v68
	v_mov_b32_e32 v37, v69
	v_mov_b32_e32 v38, v70
	v_mov_b32_e32 v39, v71
	v_mov_b32_e32 v40, v72
	v_mov_b32_e32 v41, v73
	v_mov_b32_e32 v42, v74
	v_mov_b32_e32 v43, v75
	v_mov_b32_e32 v44, v76
	v_mov_b32_e32 v45, v77
	v_mov_b32_e32 v46, v78
	v_mov_b32_e32 v47, v79
	v_mov_b32_e32 v48, v80
	v_mov_b32_e32 v49, v81
	v_mov_b32_e32 v50, v82
	v_mov_b32_e32 v51, v83
	v_mov_b32_e32 v52, v84
	v_mov_b32_e32 v53, v85
	v_mov_b32_e32 v54, v86
	v_mov_b32_e32 v55, v87
	v_mov_b32_e32 v56, v88
	v_mov_b32_e32 v57, v89
	v_mov_b32_e32 v58, v90
	v_mov_b32_e32 v59, v91
	v_mov_b32_e32 v60, v92
	v_mov_b32_e32 v61, v93
	v_mov_b32_e32 v62, v94
	v_mov_b32_e32 v63, v95
                                        ; implicit-def: $vgpr64_vgpr65_vgpr66_vgpr67_vgpr68_vgpr69_vgpr70_vgpr71_vgpr72_vgpr73_vgpr74_vgpr75_vgpr76_vgpr77_vgpr78_vgpr79_vgpr80_vgpr81_vgpr82_vgpr83_vgpr84_vgpr85_vgpr86_vgpr87_vgpr88_vgpr89_vgpr90_vgpr91_vgpr92_vgpr93_vgpr94_vgpr95
	s_or_saveexec_b32 s19, s4
	s_xor_b32 s17, s18, -1
	s_xor_b32 exec_lo, exec_lo, s19
	s_cbranch_execnz .LBB691_187
.LBB691_132:
	s_or_b32 exec_lo, exec_lo, s19
                                        ; implicit-def: $vgpr0_vgpr1_vgpr2_vgpr3_vgpr4_vgpr5_vgpr6_vgpr7_vgpr8_vgpr9_vgpr10_vgpr11_vgpr12_vgpr13_vgpr14_vgpr15_vgpr16_vgpr17_vgpr18_vgpr19_vgpr20_vgpr21_vgpr22_vgpr23_vgpr24_vgpr25_vgpr26_vgpr27_vgpr28_vgpr29_vgpr30_vgpr31
	s_and_saveexec_b32 s4, s17
	s_xor_b32 s4, exec_lo, s4
	s_cbranch_execz .LBB691_190
.LBB691_133:
	s_mov_b32 s5, 0
                                        ; implicit-def: $vgpr98_vgpr99
                                        ; implicit-def: $vgpr100_vgpr101
	v_mov_b32_e32 v62, s5
	v_mov_b32_e32 v63, s5
	;; [unrolled: 1-line block ×34, first 2 shown]
                                        ; implicit-def: $vgpr32_vgpr33_vgpr34_vgpr35_vgpr36_vgpr37_vgpr38_vgpr39_vgpr40_vgpr41_vgpr42_vgpr43_vgpr44_vgpr45_vgpr46_vgpr47_vgpr48_vgpr49_vgpr50_vgpr51_vgpr52_vgpr53_vgpr54_vgpr55_vgpr56_vgpr57_vgpr58_vgpr59_vgpr60_vgpr61_vgpr62_vgpr63
	s_andn2_saveexec_b32 s17, s4
	s_cbranch_execz .LBB691_194
	s_branch .LBB691_191
.LBB691_134:
	s_or_saveexec_b32 s35, s4
	s_xor_b32 s17, s34, -1
	s_xor_b32 exec_lo, exec_lo, s35
	s_cbranch_execz .LBB691_106
.LBB691_135:
	global_load_ubyte v32, v[98:99], off offset:32
	s_mov_b32 s5, 0
	s_waitcnt vmcnt(0)
	v_and_b32_e32 v32, 1, v32
	v_cmp_eq_u32_e64 s4, 1, v32
	v_mov_b32_e32 v63, v31
	v_mov_b32_e32 v35, v3
	;; [unrolled: 1-line block ×34, first 2 shown]
	s_xor_b32 s4, s4, -1
	s_and_saveexec_b32 s5, s4
	s_xor_b32 s34, exec_lo, s5
	s_cbranch_execz .LBB691_137
; %bb.136:
	v_add_f64 v[2:3], v[2:3], -v[100:101]
	s_mov_b32 s4, 0x652b82fe
	s_mov_b32 s5, 0x3ff71547
	s_mov_b32 s36, 0x6a5dcb37
	s_mov_b32 s37, 0x3e5ade15
	v_mul_f64 v[32:33], v[2:3], s[4:5]
	s_mov_b32 s4, 0xfefa39ef
	s_mov_b32 s5, 0xbfe62e42
	v_rndne_f64_e32 v[32:33], v[32:33]
	v_fma_f64 v[34:35], v[32:33], s[4:5], v[2:3]
	s_mov_b32 s4, 0x3b39803f
	s_mov_b32 s5, 0xbc7abc9e
	v_cvt_i32_f64_e32 v38, v[32:33]
	v_fma_f64 v[34:35], v[32:33], s[4:5], v[34:35]
	s_mov_b32 s4, 0xfca7ab0c
	s_mov_b32 s5, 0x3e928af3
	v_fma_f64 v[36:37], v[34:35], s[36:37], s[4:5]
	s_mov_b32 s4, 0x623fde64
	s_mov_b32 s5, 0x3ec71dee
	;; [unrolled: 3-line block ×9, first 2 shown]
	v_fma_f64 v[36:37], v[34:35], v[36:37], s[4:5]
	v_cmp_nlt_f64_e64 s4, 0x40900000, v[2:3]
	v_cmp_ngt_f64_e64 s5, 0xc090cc00, v[2:3]
	v_fma_f64 v[36:37], v[34:35], v[36:37], 1.0
	v_fma_f64 v[32:33], v[34:35], v[36:37], 1.0
	v_ldexp_f64 v[32:33], v[32:33], v38
	v_cndmask_b32_e64 v33, 0x7ff00000, v33, s4
	s_and_b32 s4, s5, s4
	v_cndmask_b32_e64 v2, 0, v32, s4
	v_cndmask_b32_e64 v3, 0, v33, s5
	v_mov_b32_e32 v63, v31
	v_mov_b32_e32 v62, v30
	;; [unrolled: 1-line block ×4, first 2 shown]
	v_add_f64 v[102:103], v[102:103], v[2:3]
	v_mov_b32_e32 v59, v27
	v_mov_b32_e32 v58, v26
	;; [unrolled: 1-line block ×28, first 2 shown]
.LBB691_137:
	s_andn2_saveexec_b32 s4, s34
	s_or_b32 exec_lo, exec_lo, s4
	s_or_b32 exec_lo, exec_lo, s35
                                        ; implicit-def: $vgpr0_vgpr1_vgpr2_vgpr3_vgpr4_vgpr5_vgpr6_vgpr7_vgpr8_vgpr9_vgpr10_vgpr11_vgpr12_vgpr13_vgpr14_vgpr15_vgpr16_vgpr17_vgpr18_vgpr19_vgpr20_vgpr21_vgpr22_vgpr23_vgpr24_vgpr25_vgpr26_vgpr27_vgpr28_vgpr29_vgpr30_vgpr31
	s_and_saveexec_b32 s4, s17
	s_xor_b32 s4, exec_lo, s4
	s_cbranch_execnz .LBB691_107
.LBB691_138:
	s_or_saveexec_b32 s34, s4
	s_xor_b32 s17, s33, -1
	s_xor_b32 exec_lo, exec_lo, s34
	s_cbranch_execz .LBB691_108
.LBB691_139:
	global_load_ubyte v0, v[98:99], off offset:64
	s_mov_b32 s5, 0
	s_waitcnt vmcnt(0)
	v_and_b32_e32 v0, 1, v0
	v_cmp_eq_u32_e64 s4, 1, v0
	v_mov_b32_e32 v0, v32
	v_mov_b32_e32 v4, v36
	;; [unrolled: 1-line block ×34, first 2 shown]
	s_xor_b32 s4, s4, -1
	s_and_saveexec_b32 s5, s4
	s_xor_b32 s33, exec_lo, s5
	s_cbranch_execz .LBB691_141
; %bb.140:
	v_add_f64 v[0:1], v[36:37], -v[100:101]
	s_mov_b32 s4, 0x652b82fe
	s_mov_b32 s5, 0x3ff71547
	;; [unrolled: 1-line block ×4, first 2 shown]
	v_mul_f64 v[2:3], v[0:1], s[4:5]
	s_mov_b32 s4, 0xfefa39ef
	s_mov_b32 s5, 0xbfe62e42
	v_rndne_f64_e32 v[2:3], v[2:3]
	v_fma_f64 v[4:5], v[2:3], s[4:5], v[0:1]
	s_mov_b32 s4, 0x3b39803f
	s_mov_b32 s5, 0xbc7abc9e
	v_cvt_i32_f64_e32 v8, v[2:3]
	v_fma_f64 v[4:5], v[2:3], s[4:5], v[4:5]
	s_mov_b32 s4, 0xfca7ab0c
	s_mov_b32 s5, 0x3e928af3
	v_fma_f64 v[6:7], v[4:5], s[36:37], s[4:5]
	s_mov_b32 s4, 0x623fde64
	s_mov_b32 s5, 0x3ec71dee
	;; [unrolled: 3-line block ×9, first 2 shown]
	v_fma_f64 v[6:7], v[4:5], v[6:7], s[4:5]
	v_cmp_nlt_f64_e64 s4, 0x40900000, v[0:1]
	v_cmp_ngt_f64_e64 s5, 0xc090cc00, v[0:1]
	v_fma_f64 v[6:7], v[4:5], v[6:7], 1.0
	v_fma_f64 v[2:3], v[4:5], v[6:7], 1.0
	v_ldexp_f64 v[2:3], v[2:3], v8
	v_cndmask_b32_e64 v3, 0x7ff00000, v3, s4
	s_and_b32 s4, s5, s4
	v_cndmask_b32_e64 v36, 0, v2, s4
	v_cndmask_b32_e64 v37, 0, v3, s5
	v_mov_b32_e32 v0, v32
	v_mov_b32_e32 v1, v33
	;; [unrolled: 1-line block ×4, first 2 shown]
	v_add_f64 v[102:103], v[102:103], v[36:37]
	v_mov_b32_e32 v4, v36
	v_mov_b32_e32 v5, v37
	;; [unrolled: 1-line block ×28, first 2 shown]
.LBB691_141:
	s_andn2_saveexec_b32 s4, s33
	s_or_b32 exec_lo, exec_lo, s4
	s_or_b32 exec_lo, exec_lo, s34
                                        ; implicit-def: $vgpr32_vgpr33_vgpr34_vgpr35_vgpr36_vgpr37_vgpr38_vgpr39_vgpr40_vgpr41_vgpr42_vgpr43_vgpr44_vgpr45_vgpr46_vgpr47_vgpr48_vgpr49_vgpr50_vgpr51_vgpr52_vgpr53_vgpr54_vgpr55_vgpr56_vgpr57_vgpr58_vgpr59_vgpr60_vgpr61_vgpr62_vgpr63
	s_and_saveexec_b32 s4, s17
	s_xor_b32 s4, exec_lo, s4
	s_cbranch_execnz .LBB691_109
.LBB691_142:
	s_or_saveexec_b32 s33, s4
	s_xor_b32 s17, s31, -1
	s_xor_b32 exec_lo, exec_lo, s33
	s_cbranch_execz .LBB691_110
.LBB691_143:
	global_load_ubyte v32, v[98:99], off offset:96
	s_mov_b32 s5, 0
	s_waitcnt vmcnt(0)
	v_and_b32_e32 v32, 1, v32
	v_cmp_eq_u32_e64 s4, 1, v32
	v_mov_b32_e32 v63, v31
	v_mov_b32_e32 v39, v7
	;; [unrolled: 1-line block ×34, first 2 shown]
	s_xor_b32 s4, s4, -1
	s_and_saveexec_b32 s5, s4
	s_xor_b32 s31, exec_lo, s5
	s_cbranch_execz .LBB691_145
; %bb.144:
	v_add_f64 v[6:7], v[6:7], -v[100:101]
	s_mov_b32 s4, 0x652b82fe
	s_mov_b32 s5, 0x3ff71547
	;; [unrolled: 1-line block ×4, first 2 shown]
	v_mul_f64 v[32:33], v[6:7], s[4:5]
	s_mov_b32 s4, 0xfefa39ef
	s_mov_b32 s5, 0xbfe62e42
	v_rndne_f64_e32 v[32:33], v[32:33]
	v_fma_f64 v[34:35], v[32:33], s[4:5], v[6:7]
	s_mov_b32 s4, 0x3b39803f
	s_mov_b32 s5, 0xbc7abc9e
	v_cvt_i32_f64_e32 v38, v[32:33]
	v_fma_f64 v[34:35], v[32:33], s[4:5], v[34:35]
	s_mov_b32 s4, 0xfca7ab0c
	s_mov_b32 s5, 0x3e928af3
	v_fma_f64 v[36:37], v[34:35], s[34:35], s[4:5]
	s_mov_b32 s4, 0x623fde64
	s_mov_b32 s5, 0x3ec71dee
	;; [unrolled: 3-line block ×9, first 2 shown]
	v_fma_f64 v[36:37], v[34:35], v[36:37], s[4:5]
	v_cmp_nlt_f64_e64 s4, 0x40900000, v[6:7]
	v_cmp_ngt_f64_e64 s5, 0xc090cc00, v[6:7]
	v_fma_f64 v[36:37], v[34:35], v[36:37], 1.0
	v_fma_f64 v[32:33], v[34:35], v[36:37], 1.0
	v_ldexp_f64 v[32:33], v[32:33], v38
	v_cndmask_b32_e64 v33, 0x7ff00000, v33, s4
	s_and_b32 s4, s5, s4
	v_cndmask_b32_e64 v6, 0, v32, s4
	v_cndmask_b32_e64 v7, 0, v33, s5
	v_mov_b32_e32 v63, v31
	v_mov_b32_e32 v62, v30
	;; [unrolled: 1-line block ×4, first 2 shown]
	v_add_f64 v[102:103], v[102:103], v[6:7]
	v_mov_b32_e32 v59, v27
	v_mov_b32_e32 v58, v26
	;; [unrolled: 1-line block ×28, first 2 shown]
.LBB691_145:
	s_andn2_saveexec_b32 s4, s31
	s_or_b32 exec_lo, exec_lo, s4
	s_or_b32 exec_lo, exec_lo, s33
                                        ; implicit-def: $vgpr0_vgpr1_vgpr2_vgpr3_vgpr4_vgpr5_vgpr6_vgpr7_vgpr8_vgpr9_vgpr10_vgpr11_vgpr12_vgpr13_vgpr14_vgpr15_vgpr16_vgpr17_vgpr18_vgpr19_vgpr20_vgpr21_vgpr22_vgpr23_vgpr24_vgpr25_vgpr26_vgpr27_vgpr28_vgpr29_vgpr30_vgpr31
	s_and_saveexec_b32 s4, s17
	s_xor_b32 s4, exec_lo, s4
	s_cbranch_execnz .LBB691_111
.LBB691_146:
	s_or_saveexec_b32 s31, s4
	s_xor_b32 s17, s30, -1
	s_xor_b32 exec_lo, exec_lo, s31
	s_cbranch_execz .LBB691_112
.LBB691_147:
	global_load_ubyte v0, v[98:99], off offset:128
	s_mov_b32 s5, 0
	s_waitcnt vmcnt(0)
	v_and_b32_e32 v0, 1, v0
	v_cmp_eq_u32_e64 s4, 1, v0
	v_mov_b32_e32 v0, v32
	v_mov_b32_e32 v8, v40
	;; [unrolled: 1-line block ×34, first 2 shown]
	s_xor_b32 s4, s4, -1
	s_and_saveexec_b32 s5, s4
	s_xor_b32 s30, exec_lo, s5
	s_cbranch_execz .LBB691_149
; %bb.148:
	v_add_f64 v[0:1], v[40:41], -v[100:101]
	s_mov_b32 s4, 0x652b82fe
	s_mov_b32 s5, 0x3ff71547
	;; [unrolled: 1-line block ×4, first 2 shown]
	v_mul_f64 v[2:3], v[0:1], s[4:5]
	s_mov_b32 s4, 0xfefa39ef
	s_mov_b32 s5, 0xbfe62e42
	v_rndne_f64_e32 v[2:3], v[2:3]
	v_fma_f64 v[4:5], v[2:3], s[4:5], v[0:1]
	s_mov_b32 s4, 0x3b39803f
	s_mov_b32 s5, 0xbc7abc9e
	v_cvt_i32_f64_e32 v8, v[2:3]
	v_fma_f64 v[4:5], v[2:3], s[4:5], v[4:5]
	s_mov_b32 s4, 0xfca7ab0c
	s_mov_b32 s5, 0x3e928af3
	v_fma_f64 v[6:7], v[4:5], s[34:35], s[4:5]
	s_mov_b32 s4, 0x623fde64
	s_mov_b32 s5, 0x3ec71dee
	;; [unrolled: 3-line block ×9, first 2 shown]
	v_fma_f64 v[6:7], v[4:5], v[6:7], s[4:5]
	v_cmp_nlt_f64_e64 s4, 0x40900000, v[0:1]
	v_cmp_ngt_f64_e64 s5, 0xc090cc00, v[0:1]
	v_fma_f64 v[6:7], v[4:5], v[6:7], 1.0
	v_fma_f64 v[2:3], v[4:5], v[6:7], 1.0
	v_ldexp_f64 v[2:3], v[2:3], v8
	v_cndmask_b32_e64 v3, 0x7ff00000, v3, s4
	s_and_b32 s4, s5, s4
	v_cndmask_b32_e64 v40, 0, v2, s4
	v_cndmask_b32_e64 v41, 0, v3, s5
	v_mov_b32_e32 v0, v32
	v_mov_b32_e32 v1, v33
	;; [unrolled: 1-line block ×4, first 2 shown]
	v_add_f64 v[102:103], v[102:103], v[40:41]
	v_mov_b32_e32 v4, v36
	v_mov_b32_e32 v5, v37
	;; [unrolled: 1-line block ×28, first 2 shown]
.LBB691_149:
	s_andn2_saveexec_b32 s4, s30
	s_or_b32 exec_lo, exec_lo, s4
	s_or_b32 exec_lo, exec_lo, s31
                                        ; implicit-def: $vgpr32_vgpr33_vgpr34_vgpr35_vgpr36_vgpr37_vgpr38_vgpr39_vgpr40_vgpr41_vgpr42_vgpr43_vgpr44_vgpr45_vgpr46_vgpr47_vgpr48_vgpr49_vgpr50_vgpr51_vgpr52_vgpr53_vgpr54_vgpr55_vgpr56_vgpr57_vgpr58_vgpr59_vgpr60_vgpr61_vgpr62_vgpr63
	s_and_saveexec_b32 s4, s17
	s_xor_b32 s4, exec_lo, s4
	s_cbranch_execnz .LBB691_113
.LBB691_150:
	s_or_saveexec_b32 s30, s4
	s_xor_b32 s17, s29, -1
	s_xor_b32 exec_lo, exec_lo, s30
	s_cbranch_execz .LBB691_114
.LBB691_151:
	global_load_ubyte v32, v[98:99], off offset:160
	s_mov_b32 s5, 0
	s_waitcnt vmcnt(0)
	v_and_b32_e32 v32, 1, v32
	v_cmp_eq_u32_e64 s4, 1, v32
	v_mov_b32_e32 v63, v31
	v_mov_b32_e32 v43, v11
	;; [unrolled: 1-line block ×34, first 2 shown]
	s_xor_b32 s4, s4, -1
	s_and_saveexec_b32 s5, s4
	s_xor_b32 s29, exec_lo, s5
	s_cbranch_execz .LBB691_153
; %bb.152:
	v_add_f64 v[10:11], v[10:11], -v[100:101]
	s_mov_b32 s4, 0x652b82fe
	s_mov_b32 s5, 0x3ff71547
	;; [unrolled: 1-line block ×4, first 2 shown]
	v_mul_f64 v[32:33], v[10:11], s[4:5]
	s_mov_b32 s4, 0xfefa39ef
	s_mov_b32 s5, 0xbfe62e42
	v_rndne_f64_e32 v[32:33], v[32:33]
	v_fma_f64 v[34:35], v[32:33], s[4:5], v[10:11]
	s_mov_b32 s4, 0x3b39803f
	s_mov_b32 s5, 0xbc7abc9e
	v_cvt_i32_f64_e32 v38, v[32:33]
	v_fma_f64 v[34:35], v[32:33], s[4:5], v[34:35]
	s_mov_b32 s4, 0xfca7ab0c
	s_mov_b32 s5, 0x3e928af3
	v_fma_f64 v[36:37], v[34:35], s[34:35], s[4:5]
	s_mov_b32 s4, 0x623fde64
	s_mov_b32 s5, 0x3ec71dee
	;; [unrolled: 3-line block ×9, first 2 shown]
	v_fma_f64 v[36:37], v[34:35], v[36:37], s[4:5]
	v_cmp_nlt_f64_e64 s4, 0x40900000, v[10:11]
	v_cmp_ngt_f64_e64 s5, 0xc090cc00, v[10:11]
	v_fma_f64 v[36:37], v[34:35], v[36:37], 1.0
	v_fma_f64 v[32:33], v[34:35], v[36:37], 1.0
	v_ldexp_f64 v[32:33], v[32:33], v38
	v_cndmask_b32_e64 v33, 0x7ff00000, v33, s4
	s_and_b32 s4, s5, s4
	v_cndmask_b32_e64 v10, 0, v32, s4
	v_cndmask_b32_e64 v11, 0, v33, s5
	v_mov_b32_e32 v63, v31
	v_mov_b32_e32 v62, v30
	;; [unrolled: 1-line block ×4, first 2 shown]
	v_add_f64 v[102:103], v[102:103], v[10:11]
	v_mov_b32_e32 v59, v27
	v_mov_b32_e32 v58, v26
	;; [unrolled: 1-line block ×28, first 2 shown]
.LBB691_153:
	s_andn2_saveexec_b32 s4, s29
	s_or_b32 exec_lo, exec_lo, s4
	s_or_b32 exec_lo, exec_lo, s30
                                        ; implicit-def: $vgpr0_vgpr1_vgpr2_vgpr3_vgpr4_vgpr5_vgpr6_vgpr7_vgpr8_vgpr9_vgpr10_vgpr11_vgpr12_vgpr13_vgpr14_vgpr15_vgpr16_vgpr17_vgpr18_vgpr19_vgpr20_vgpr21_vgpr22_vgpr23_vgpr24_vgpr25_vgpr26_vgpr27_vgpr28_vgpr29_vgpr30_vgpr31
	s_and_saveexec_b32 s4, s17
	s_xor_b32 s4, exec_lo, s4
	s_cbranch_execnz .LBB691_115
.LBB691_154:
	s_or_saveexec_b32 s29, s4
	s_xor_b32 s17, s28, -1
	s_xor_b32 exec_lo, exec_lo, s29
	s_cbranch_execz .LBB691_116
.LBB691_155:
	global_load_ubyte v0, v[98:99], off offset:192
	s_mov_b32 s5, 0
	s_waitcnt vmcnt(0)
	v_and_b32_e32 v0, 1, v0
	v_cmp_eq_u32_e64 s4, 1, v0
	v_mov_b32_e32 v0, v32
	v_mov_b32_e32 v12, v44
	;; [unrolled: 1-line block ×34, first 2 shown]
	s_xor_b32 s4, s4, -1
	s_and_saveexec_b32 s5, s4
	s_xor_b32 s28, exec_lo, s5
	s_cbranch_execz .LBB691_157
; %bb.156:
	v_add_f64 v[0:1], v[44:45], -v[100:101]
	s_mov_b32 s4, 0x652b82fe
	s_mov_b32 s5, 0x3ff71547
	;; [unrolled: 1-line block ×4, first 2 shown]
	v_mul_f64 v[2:3], v[0:1], s[4:5]
	s_mov_b32 s4, 0xfefa39ef
	s_mov_b32 s5, 0xbfe62e42
	v_rndne_f64_e32 v[2:3], v[2:3]
	v_fma_f64 v[4:5], v[2:3], s[4:5], v[0:1]
	s_mov_b32 s4, 0x3b39803f
	s_mov_b32 s5, 0xbc7abc9e
	v_cvt_i32_f64_e32 v8, v[2:3]
	v_fma_f64 v[4:5], v[2:3], s[4:5], v[4:5]
	s_mov_b32 s4, 0xfca7ab0c
	s_mov_b32 s5, 0x3e928af3
	v_fma_f64 v[6:7], v[4:5], s[30:31], s[4:5]
	s_mov_b32 s4, 0x623fde64
	s_mov_b32 s5, 0x3ec71dee
	;; [unrolled: 3-line block ×9, first 2 shown]
	v_fma_f64 v[6:7], v[4:5], v[6:7], s[4:5]
	v_cmp_nlt_f64_e64 s4, 0x40900000, v[0:1]
	v_cmp_ngt_f64_e64 s5, 0xc090cc00, v[0:1]
	v_fma_f64 v[6:7], v[4:5], v[6:7], 1.0
	v_fma_f64 v[2:3], v[4:5], v[6:7], 1.0
	v_ldexp_f64 v[2:3], v[2:3], v8
	v_cndmask_b32_e64 v3, 0x7ff00000, v3, s4
	s_and_b32 s4, s5, s4
	v_cndmask_b32_e64 v44, 0, v2, s4
	v_cndmask_b32_e64 v45, 0, v3, s5
	v_mov_b32_e32 v0, v32
	v_mov_b32_e32 v1, v33
	;; [unrolled: 1-line block ×4, first 2 shown]
	v_add_f64 v[102:103], v[102:103], v[44:45]
	v_mov_b32_e32 v4, v36
	v_mov_b32_e32 v5, v37
	;; [unrolled: 1-line block ×28, first 2 shown]
.LBB691_157:
	s_andn2_saveexec_b32 s4, s28
	s_or_b32 exec_lo, exec_lo, s4
	s_or_b32 exec_lo, exec_lo, s29
                                        ; implicit-def: $vgpr32_vgpr33_vgpr34_vgpr35_vgpr36_vgpr37_vgpr38_vgpr39_vgpr40_vgpr41_vgpr42_vgpr43_vgpr44_vgpr45_vgpr46_vgpr47_vgpr48_vgpr49_vgpr50_vgpr51_vgpr52_vgpr53_vgpr54_vgpr55_vgpr56_vgpr57_vgpr58_vgpr59_vgpr60_vgpr61_vgpr62_vgpr63
	s_and_saveexec_b32 s4, s17
	s_xor_b32 s4, exec_lo, s4
	s_cbranch_execnz .LBB691_117
.LBB691_158:
	s_or_saveexec_b32 s28, s4
	s_xor_b32 s17, s27, -1
	s_xor_b32 exec_lo, exec_lo, s28
	s_cbranch_execz .LBB691_118
.LBB691_159:
	global_load_ubyte v32, v[98:99], off offset:224
	s_mov_b32 s5, 0
	s_waitcnt vmcnt(0)
	v_and_b32_e32 v32, 1, v32
	v_cmp_eq_u32_e64 s4, 1, v32
	v_mov_b32_e32 v63, v31
	v_mov_b32_e32 v47, v15
	;; [unrolled: 1-line block ×34, first 2 shown]
	s_xor_b32 s4, s4, -1
	s_and_saveexec_b32 s5, s4
	s_xor_b32 s27, exec_lo, s5
	s_cbranch_execz .LBB691_161
; %bb.160:
	v_add_f64 v[14:15], v[14:15], -v[100:101]
	s_mov_b32 s4, 0x652b82fe
	s_mov_b32 s5, 0x3ff71547
	;; [unrolled: 1-line block ×4, first 2 shown]
	v_mul_f64 v[32:33], v[14:15], s[4:5]
	s_mov_b32 s4, 0xfefa39ef
	s_mov_b32 s5, 0xbfe62e42
	v_rndne_f64_e32 v[32:33], v[32:33]
	v_fma_f64 v[34:35], v[32:33], s[4:5], v[14:15]
	s_mov_b32 s4, 0x3b39803f
	s_mov_b32 s5, 0xbc7abc9e
	v_cvt_i32_f64_e32 v38, v[32:33]
	v_fma_f64 v[34:35], v[32:33], s[4:5], v[34:35]
	s_mov_b32 s4, 0xfca7ab0c
	s_mov_b32 s5, 0x3e928af3
	v_fma_f64 v[36:37], v[34:35], s[30:31], s[4:5]
	s_mov_b32 s4, 0x623fde64
	s_mov_b32 s5, 0x3ec71dee
	;; [unrolled: 3-line block ×9, first 2 shown]
	v_fma_f64 v[36:37], v[34:35], v[36:37], s[4:5]
	v_cmp_nlt_f64_e64 s4, 0x40900000, v[14:15]
	v_cmp_ngt_f64_e64 s5, 0xc090cc00, v[14:15]
	v_fma_f64 v[36:37], v[34:35], v[36:37], 1.0
	v_fma_f64 v[32:33], v[34:35], v[36:37], 1.0
	v_ldexp_f64 v[32:33], v[32:33], v38
	v_cndmask_b32_e64 v33, 0x7ff00000, v33, s4
	s_and_b32 s4, s5, s4
	v_cndmask_b32_e64 v14, 0, v32, s4
	v_cndmask_b32_e64 v15, 0, v33, s5
	v_mov_b32_e32 v63, v31
	v_mov_b32_e32 v62, v30
	;; [unrolled: 1-line block ×4, first 2 shown]
	v_add_f64 v[102:103], v[102:103], v[14:15]
	v_mov_b32_e32 v59, v27
	v_mov_b32_e32 v58, v26
	;; [unrolled: 1-line block ×28, first 2 shown]
.LBB691_161:
	s_andn2_saveexec_b32 s4, s27
	s_or_b32 exec_lo, exec_lo, s4
	s_or_b32 exec_lo, exec_lo, s28
                                        ; implicit-def: $vgpr0_vgpr1_vgpr2_vgpr3_vgpr4_vgpr5_vgpr6_vgpr7_vgpr8_vgpr9_vgpr10_vgpr11_vgpr12_vgpr13_vgpr14_vgpr15_vgpr16_vgpr17_vgpr18_vgpr19_vgpr20_vgpr21_vgpr22_vgpr23_vgpr24_vgpr25_vgpr26_vgpr27_vgpr28_vgpr29_vgpr30_vgpr31
	s_and_saveexec_b32 s4, s17
	s_xor_b32 s4, exec_lo, s4
	s_cbranch_execnz .LBB691_119
.LBB691_162:
	s_or_saveexec_b32 s27, s4
	s_xor_b32 s17, s26, -1
	s_xor_b32 exec_lo, exec_lo, s27
	s_cbranch_execz .LBB691_120
.LBB691_163:
	global_load_ubyte v0, v[98:99], off offset:256
	s_mov_b32 s5, 0
	s_waitcnt vmcnt(0)
	v_and_b32_e32 v0, 1, v0
	v_cmp_eq_u32_e64 s4, 1, v0
	v_mov_b32_e32 v0, v32
	v_mov_b32_e32 v16, v48
	;; [unrolled: 1-line block ×34, first 2 shown]
	s_xor_b32 s4, s4, -1
	s_and_saveexec_b32 s5, s4
	s_xor_b32 s26, exec_lo, s5
	s_cbranch_execz .LBB691_165
; %bb.164:
	v_add_f64 v[0:1], v[48:49], -v[100:101]
	s_mov_b32 s4, 0x652b82fe
	s_mov_b32 s5, 0x3ff71547
	;; [unrolled: 1-line block ×4, first 2 shown]
	v_mul_f64 v[2:3], v[0:1], s[4:5]
	s_mov_b32 s4, 0xfefa39ef
	s_mov_b32 s5, 0xbfe62e42
	v_rndne_f64_e32 v[2:3], v[2:3]
	v_fma_f64 v[4:5], v[2:3], s[4:5], v[0:1]
	s_mov_b32 s4, 0x3b39803f
	s_mov_b32 s5, 0xbc7abc9e
	v_cvt_i32_f64_e32 v8, v[2:3]
	v_fma_f64 v[4:5], v[2:3], s[4:5], v[4:5]
	s_mov_b32 s4, 0xfca7ab0c
	s_mov_b32 s5, 0x3e928af3
	v_fma_f64 v[6:7], v[4:5], s[28:29], s[4:5]
	s_mov_b32 s4, 0x623fde64
	s_mov_b32 s5, 0x3ec71dee
	;; [unrolled: 3-line block ×9, first 2 shown]
	v_fma_f64 v[6:7], v[4:5], v[6:7], s[4:5]
	v_cmp_nlt_f64_e64 s4, 0x40900000, v[0:1]
	v_cmp_ngt_f64_e64 s5, 0xc090cc00, v[0:1]
	v_fma_f64 v[6:7], v[4:5], v[6:7], 1.0
	v_fma_f64 v[2:3], v[4:5], v[6:7], 1.0
	v_ldexp_f64 v[2:3], v[2:3], v8
	v_cndmask_b32_e64 v3, 0x7ff00000, v3, s4
	s_and_b32 s4, s5, s4
	v_cndmask_b32_e64 v48, 0, v2, s4
	v_cndmask_b32_e64 v49, 0, v3, s5
	v_mov_b32_e32 v0, v32
	v_mov_b32_e32 v1, v33
	;; [unrolled: 1-line block ×4, first 2 shown]
	v_add_f64 v[102:103], v[102:103], v[48:49]
	v_mov_b32_e32 v4, v36
	v_mov_b32_e32 v5, v37
	v_mov_b32_e32 v6, v38
	v_mov_b32_e32 v7, v39
	v_mov_b32_e32 v8, v40
	v_mov_b32_e32 v9, v41
	v_mov_b32_e32 v10, v42
	v_mov_b32_e32 v11, v43
	v_mov_b32_e32 v12, v44
	v_mov_b32_e32 v13, v45
	v_mov_b32_e32 v14, v46
	v_mov_b32_e32 v15, v47
	v_mov_b32_e32 v16, v48
	v_mov_b32_e32 v17, v49
	v_mov_b32_e32 v18, v50
	v_mov_b32_e32 v19, v51
	v_mov_b32_e32 v20, v52
	v_mov_b32_e32 v21, v53
	v_mov_b32_e32 v22, v54
	v_mov_b32_e32 v23, v55
	v_mov_b32_e32 v24, v56
	v_mov_b32_e32 v25, v57
	v_mov_b32_e32 v26, v58
	v_mov_b32_e32 v27, v59
	v_mov_b32_e32 v28, v60
	v_mov_b32_e32 v29, v61
	v_mov_b32_e32 v30, v62
	v_mov_b32_e32 v31, v63
.LBB691_165:
	s_andn2_saveexec_b32 s4, s26
	s_or_b32 exec_lo, exec_lo, s4
	s_or_b32 exec_lo, exec_lo, s27
                                        ; implicit-def: $vgpr32_vgpr33_vgpr34_vgpr35_vgpr36_vgpr37_vgpr38_vgpr39_vgpr40_vgpr41_vgpr42_vgpr43_vgpr44_vgpr45_vgpr46_vgpr47_vgpr48_vgpr49_vgpr50_vgpr51_vgpr52_vgpr53_vgpr54_vgpr55_vgpr56_vgpr57_vgpr58_vgpr59_vgpr60_vgpr61_vgpr62_vgpr63
	s_and_saveexec_b32 s4, s17
	s_xor_b32 s4, exec_lo, s4
	s_cbranch_execnz .LBB691_121
.LBB691_166:
	s_or_saveexec_b32 s26, s4
	s_xor_b32 s17, s25, -1
	s_xor_b32 exec_lo, exec_lo, s26
	s_cbranch_execz .LBB691_122
.LBB691_167:
	global_load_ubyte v32, v[98:99], off offset:288
	s_mov_b32 s5, 0
	s_waitcnt vmcnt(0)
	v_and_b32_e32 v32, 1, v32
	v_cmp_eq_u32_e64 s4, 1, v32
	v_mov_b32_e32 v63, v31
	v_mov_b32_e32 v51, v19
	;; [unrolled: 1-line block ×34, first 2 shown]
	s_xor_b32 s4, s4, -1
	s_and_saveexec_b32 s5, s4
	s_xor_b32 s25, exec_lo, s5
	s_cbranch_execz .LBB691_169
; %bb.168:
	v_add_f64 v[18:19], v[18:19], -v[100:101]
	s_mov_b32 s4, 0x652b82fe
	s_mov_b32 s5, 0x3ff71547
	s_mov_b32 s28, 0x6a5dcb37
	s_mov_b32 s29, 0x3e5ade15
	v_mul_f64 v[32:33], v[18:19], s[4:5]
	s_mov_b32 s4, 0xfefa39ef
	s_mov_b32 s5, 0xbfe62e42
	v_rndne_f64_e32 v[32:33], v[32:33]
	v_fma_f64 v[34:35], v[32:33], s[4:5], v[18:19]
	s_mov_b32 s4, 0x3b39803f
	s_mov_b32 s5, 0xbc7abc9e
	v_cvt_i32_f64_e32 v38, v[32:33]
	v_fma_f64 v[34:35], v[32:33], s[4:5], v[34:35]
	s_mov_b32 s4, 0xfca7ab0c
	s_mov_b32 s5, 0x3e928af3
	v_fma_f64 v[36:37], v[34:35], s[28:29], s[4:5]
	s_mov_b32 s4, 0x623fde64
	s_mov_b32 s5, 0x3ec71dee
	;; [unrolled: 3-line block ×9, first 2 shown]
	v_fma_f64 v[36:37], v[34:35], v[36:37], s[4:5]
	v_cmp_nlt_f64_e64 s4, 0x40900000, v[18:19]
	v_cmp_ngt_f64_e64 s5, 0xc090cc00, v[18:19]
	v_fma_f64 v[36:37], v[34:35], v[36:37], 1.0
	v_fma_f64 v[32:33], v[34:35], v[36:37], 1.0
	v_ldexp_f64 v[32:33], v[32:33], v38
	v_cndmask_b32_e64 v33, 0x7ff00000, v33, s4
	s_and_b32 s4, s5, s4
	v_cndmask_b32_e64 v18, 0, v32, s4
	v_cndmask_b32_e64 v19, 0, v33, s5
	v_mov_b32_e32 v63, v31
	v_mov_b32_e32 v62, v30
	;; [unrolled: 1-line block ×4, first 2 shown]
	v_add_f64 v[102:103], v[102:103], v[18:19]
	v_mov_b32_e32 v59, v27
	v_mov_b32_e32 v58, v26
	;; [unrolled: 1-line block ×28, first 2 shown]
.LBB691_169:
	s_andn2_saveexec_b32 s4, s25
	s_or_b32 exec_lo, exec_lo, s4
	s_or_b32 exec_lo, exec_lo, s26
                                        ; implicit-def: $vgpr0_vgpr1_vgpr2_vgpr3_vgpr4_vgpr5_vgpr6_vgpr7_vgpr8_vgpr9_vgpr10_vgpr11_vgpr12_vgpr13_vgpr14_vgpr15_vgpr16_vgpr17_vgpr18_vgpr19_vgpr20_vgpr21_vgpr22_vgpr23_vgpr24_vgpr25_vgpr26_vgpr27_vgpr28_vgpr29_vgpr30_vgpr31
	s_and_saveexec_b32 s4, s17
	s_xor_b32 s4, exec_lo, s4
	s_cbranch_execnz .LBB691_123
.LBB691_170:
	s_or_saveexec_b32 s25, s4
	s_xor_b32 s17, s24, -1
	s_xor_b32 exec_lo, exec_lo, s25
	s_cbranch_execz .LBB691_124
.LBB691_171:
	global_load_ubyte v0, v[98:99], off offset:320
	s_mov_b32 s5, 0
	s_waitcnt vmcnt(0)
	v_and_b32_e32 v0, 1, v0
	v_cmp_eq_u32_e64 s4, 1, v0
	v_mov_b32_e32 v0, v32
	v_mov_b32_e32 v20, v52
	;; [unrolled: 1-line block ×34, first 2 shown]
	s_xor_b32 s4, s4, -1
	s_and_saveexec_b32 s5, s4
	s_xor_b32 s24, exec_lo, s5
	s_cbranch_execz .LBB691_173
; %bb.172:
	v_add_f64 v[0:1], v[52:53], -v[100:101]
	s_mov_b32 s4, 0x652b82fe
	s_mov_b32 s5, 0x3ff71547
	;; [unrolled: 1-line block ×4, first 2 shown]
	v_mul_f64 v[2:3], v[0:1], s[4:5]
	s_mov_b32 s4, 0xfefa39ef
	s_mov_b32 s5, 0xbfe62e42
	v_rndne_f64_e32 v[2:3], v[2:3]
	v_fma_f64 v[4:5], v[2:3], s[4:5], v[0:1]
	s_mov_b32 s4, 0x3b39803f
	s_mov_b32 s5, 0xbc7abc9e
	v_cvt_i32_f64_e32 v8, v[2:3]
	v_fma_f64 v[4:5], v[2:3], s[4:5], v[4:5]
	s_mov_b32 s4, 0xfca7ab0c
	s_mov_b32 s5, 0x3e928af3
	v_fma_f64 v[6:7], v[4:5], s[26:27], s[4:5]
	s_mov_b32 s4, 0x623fde64
	s_mov_b32 s5, 0x3ec71dee
	;; [unrolled: 3-line block ×9, first 2 shown]
	v_fma_f64 v[6:7], v[4:5], v[6:7], s[4:5]
	v_cmp_nlt_f64_e64 s4, 0x40900000, v[0:1]
	v_cmp_ngt_f64_e64 s5, 0xc090cc00, v[0:1]
	v_fma_f64 v[6:7], v[4:5], v[6:7], 1.0
	v_fma_f64 v[2:3], v[4:5], v[6:7], 1.0
	v_ldexp_f64 v[2:3], v[2:3], v8
	v_cndmask_b32_e64 v3, 0x7ff00000, v3, s4
	s_and_b32 s4, s5, s4
	v_cndmask_b32_e64 v52, 0, v2, s4
	v_cndmask_b32_e64 v53, 0, v3, s5
	v_mov_b32_e32 v0, v32
	v_mov_b32_e32 v1, v33
	;; [unrolled: 1-line block ×4, first 2 shown]
	v_add_f64 v[102:103], v[102:103], v[52:53]
	v_mov_b32_e32 v4, v36
	v_mov_b32_e32 v5, v37
	;; [unrolled: 1-line block ×28, first 2 shown]
.LBB691_173:
	s_andn2_saveexec_b32 s4, s24
	s_or_b32 exec_lo, exec_lo, s4
	s_or_b32 exec_lo, exec_lo, s25
                                        ; implicit-def: $vgpr32_vgpr33_vgpr34_vgpr35_vgpr36_vgpr37_vgpr38_vgpr39_vgpr40_vgpr41_vgpr42_vgpr43_vgpr44_vgpr45_vgpr46_vgpr47_vgpr48_vgpr49_vgpr50_vgpr51_vgpr52_vgpr53_vgpr54_vgpr55_vgpr56_vgpr57_vgpr58_vgpr59_vgpr60_vgpr61_vgpr62_vgpr63
	s_and_saveexec_b32 s4, s17
	s_xor_b32 s4, exec_lo, s4
	s_cbranch_execnz .LBB691_125
.LBB691_174:
	s_or_saveexec_b32 s24, s4
	s_xor_b32 s17, s23, -1
	s_xor_b32 exec_lo, exec_lo, s24
	s_cbranch_execz .LBB691_126
.LBB691_175:
	global_load_ubyte v32, v[98:99], off offset:352
	s_mov_b32 s5, 0
	s_waitcnt vmcnt(0)
	v_and_b32_e32 v32, 1, v32
	v_cmp_eq_u32_e64 s4, 1, v32
	v_mov_b32_e32 v63, v31
	v_mov_b32_e32 v55, v23
	v_mov_b32_e32 v54, v22
	v_mov_b32_e32 v62, v30
	v_mov_b32_e32 v61, v29
	v_mov_b32_e32 v60, v28
	v_mov_b32_e32 v59, v27
	v_mov_b32_e32 v58, v26
	v_mov_b32_e32 v57, v25
	v_mov_b32_e32 v56, v24
	v_mov_b32_e32 v53, v21
	v_mov_b32_e32 v52, v20
	v_mov_b32_e32 v51, v19
	v_mov_b32_e32 v50, v18
	v_mov_b32_e32 v49, v17
	v_mov_b32_e32 v48, v16
	v_mov_b32_e32 v47, v15
	v_mov_b32_e32 v46, v14
	v_mov_b32_e32 v45, v13
	v_mov_b32_e32 v44, v12
	v_mov_b32_e32 v43, v11
	v_mov_b32_e32 v42, v10
	v_mov_b32_e32 v41, v9
	v_mov_b32_e32 v40, v8
	v_mov_b32_e32 v39, v7
	v_mov_b32_e32 v38, v6
	v_mov_b32_e32 v37, v5
	v_mov_b32_e32 v36, v4
	v_mov_b32_e32 v35, v3
	v_mov_b32_e32 v34, v2
	v_mov_b32_e32 v33, v1
	v_mov_b32_e32 v32, v0
	v_mov_b32_e32 v54, s5
	v_mov_b32_e32 v55, s5
	s_xor_b32 s4, s4, -1
	s_and_saveexec_b32 s5, s4
	s_xor_b32 s23, exec_lo, s5
	s_cbranch_execz .LBB691_177
; %bb.176:
	v_add_f64 v[22:23], v[22:23], -v[100:101]
	s_mov_b32 s4, 0x652b82fe
	s_mov_b32 s5, 0x3ff71547
	;; [unrolled: 1-line block ×4, first 2 shown]
	v_mul_f64 v[32:33], v[22:23], s[4:5]
	s_mov_b32 s4, 0xfefa39ef
	s_mov_b32 s5, 0xbfe62e42
	v_rndne_f64_e32 v[32:33], v[32:33]
	v_fma_f64 v[34:35], v[32:33], s[4:5], v[22:23]
	s_mov_b32 s4, 0x3b39803f
	s_mov_b32 s5, 0xbc7abc9e
	v_cvt_i32_f64_e32 v38, v[32:33]
	v_fma_f64 v[34:35], v[32:33], s[4:5], v[34:35]
	s_mov_b32 s4, 0xfca7ab0c
	s_mov_b32 s5, 0x3e928af3
	v_fma_f64 v[36:37], v[34:35], s[26:27], s[4:5]
	s_mov_b32 s4, 0x623fde64
	s_mov_b32 s5, 0x3ec71dee
	;; [unrolled: 3-line block ×9, first 2 shown]
	v_fma_f64 v[36:37], v[34:35], v[36:37], s[4:5]
	v_cmp_nlt_f64_e64 s4, 0x40900000, v[22:23]
	v_cmp_ngt_f64_e64 s5, 0xc090cc00, v[22:23]
	v_fma_f64 v[36:37], v[34:35], v[36:37], 1.0
	v_fma_f64 v[32:33], v[34:35], v[36:37], 1.0
	v_ldexp_f64 v[32:33], v[32:33], v38
	v_cndmask_b32_e64 v33, 0x7ff00000, v33, s4
	s_and_b32 s4, s5, s4
	v_cndmask_b32_e64 v22, 0, v32, s4
	v_cndmask_b32_e64 v23, 0, v33, s5
	v_mov_b32_e32 v63, v31
	v_mov_b32_e32 v62, v30
	;; [unrolled: 1-line block ×4, first 2 shown]
	v_add_f64 v[102:103], v[102:103], v[22:23]
	v_mov_b32_e32 v59, v27
	v_mov_b32_e32 v58, v26
	;; [unrolled: 1-line block ×28, first 2 shown]
.LBB691_177:
	s_andn2_saveexec_b32 s4, s23
	s_or_b32 exec_lo, exec_lo, s4
	s_or_b32 exec_lo, exec_lo, s24
                                        ; implicit-def: $vgpr0_vgpr1_vgpr2_vgpr3_vgpr4_vgpr5_vgpr6_vgpr7_vgpr8_vgpr9_vgpr10_vgpr11_vgpr12_vgpr13_vgpr14_vgpr15_vgpr16_vgpr17_vgpr18_vgpr19_vgpr20_vgpr21_vgpr22_vgpr23_vgpr24_vgpr25_vgpr26_vgpr27_vgpr28_vgpr29_vgpr30_vgpr31
	s_and_saveexec_b32 s4, s17
	s_xor_b32 s4, exec_lo, s4
	s_cbranch_execnz .LBB691_127
.LBB691_178:
	s_or_saveexec_b32 s23, s4
	s_xor_b32 s17, s22, -1
	s_xor_b32 exec_lo, exec_lo, s23
	s_cbranch_execz .LBB691_128
.LBB691_179:
	global_load_ubyte v0, v[98:99], off offset:384
	s_mov_b32 s5, 0
	s_waitcnt vmcnt(0)
	v_and_b32_e32 v0, 1, v0
	v_cmp_eq_u32_e64 s4, 1, v0
	v_mov_b32_e32 v0, v32
	v_mov_b32_e32 v24, v56
	;; [unrolled: 1-line block ×34, first 2 shown]
	s_xor_b32 s4, s4, -1
	s_and_saveexec_b32 s5, s4
	s_xor_b32 s22, exec_lo, s5
	s_cbranch_execz .LBB691_181
; %bb.180:
	v_add_f64 v[0:1], v[56:57], -v[100:101]
	s_mov_b32 s4, 0x652b82fe
	s_mov_b32 s5, 0x3ff71547
	;; [unrolled: 1-line block ×4, first 2 shown]
	v_mul_f64 v[2:3], v[0:1], s[4:5]
	s_mov_b32 s4, 0xfefa39ef
	s_mov_b32 s5, 0xbfe62e42
	v_rndne_f64_e32 v[2:3], v[2:3]
	v_fma_f64 v[4:5], v[2:3], s[4:5], v[0:1]
	s_mov_b32 s4, 0x3b39803f
	s_mov_b32 s5, 0xbc7abc9e
	v_cvt_i32_f64_e32 v8, v[2:3]
	v_fma_f64 v[4:5], v[2:3], s[4:5], v[4:5]
	s_mov_b32 s4, 0xfca7ab0c
	s_mov_b32 s5, 0x3e928af3
	v_fma_f64 v[6:7], v[4:5], s[24:25], s[4:5]
	s_mov_b32 s4, 0x623fde64
	s_mov_b32 s5, 0x3ec71dee
	;; [unrolled: 3-line block ×9, first 2 shown]
	v_fma_f64 v[6:7], v[4:5], v[6:7], s[4:5]
	v_cmp_nlt_f64_e64 s4, 0x40900000, v[0:1]
	v_cmp_ngt_f64_e64 s5, 0xc090cc00, v[0:1]
	v_fma_f64 v[6:7], v[4:5], v[6:7], 1.0
	v_fma_f64 v[2:3], v[4:5], v[6:7], 1.0
	v_ldexp_f64 v[2:3], v[2:3], v8
	v_cndmask_b32_e64 v3, 0x7ff00000, v3, s4
	s_and_b32 s4, s5, s4
	v_cndmask_b32_e64 v56, 0, v2, s4
	v_cndmask_b32_e64 v57, 0, v3, s5
	v_mov_b32_e32 v0, v32
	v_mov_b32_e32 v1, v33
	;; [unrolled: 1-line block ×4, first 2 shown]
	v_add_f64 v[102:103], v[102:103], v[56:57]
	v_mov_b32_e32 v4, v36
	v_mov_b32_e32 v5, v37
	;; [unrolled: 1-line block ×28, first 2 shown]
.LBB691_181:
	s_andn2_saveexec_b32 s4, s22
	s_or_b32 exec_lo, exec_lo, s4
	s_or_b32 exec_lo, exec_lo, s23
                                        ; implicit-def: $vgpr64_vgpr65_vgpr66_vgpr67_vgpr68_vgpr69_vgpr70_vgpr71_vgpr72_vgpr73_vgpr74_vgpr75_vgpr76_vgpr77_vgpr78_vgpr79_vgpr80_vgpr81_vgpr82_vgpr83_vgpr84_vgpr85_vgpr86_vgpr87_vgpr88_vgpr89_vgpr90_vgpr91_vgpr92_vgpr93_vgpr94_vgpr95
	s_and_saveexec_b32 s4, s17
	s_xor_b32 s4, exec_lo, s4
	s_cbranch_execnz .LBB691_129
.LBB691_182:
	s_or_saveexec_b32 s22, s4
	s_xor_b32 s17, s19, -1
	s_xor_b32 exec_lo, exec_lo, s22
	s_cbranch_execz .LBB691_130
.LBB691_183:
	global_load_ubyte v32, v[98:99], off offset:416
	s_mov_b32 s5, 0
	v_mov_b32_e32 v95, v31
	v_mov_b32_e32 v91, v27
	;; [unrolled: 1-line block ×34, first 2 shown]
	s_waitcnt vmcnt(0)
	v_and_b32_e32 v32, 1, v32
	v_cmp_eq_u32_e64 s4, 1, v32
	s_xor_b32 s4, s4, -1
	s_and_saveexec_b32 s5, s4
	s_xor_b32 s19, exec_lo, s5
	s_cbranch_execz .LBB691_185
; %bb.184:
	v_add_f64 v[26:27], v[26:27], -v[100:101]
	s_mov_b32 s4, 0x652b82fe
	s_mov_b32 s5, 0x3ff71547
	;; [unrolled: 1-line block ×4, first 2 shown]
	v_mul_f64 v[32:33], v[26:27], s[4:5]
	s_mov_b32 s4, 0xfefa39ef
	s_mov_b32 s5, 0xbfe62e42
	v_rndne_f64_e32 v[32:33], v[32:33]
	v_fma_f64 v[34:35], v[32:33], s[4:5], v[26:27]
	s_mov_b32 s4, 0x3b39803f
	s_mov_b32 s5, 0xbc7abc9e
	v_cvt_i32_f64_e32 v38, v[32:33]
	v_fma_f64 v[34:35], v[32:33], s[4:5], v[34:35]
	s_mov_b32 s4, 0xfca7ab0c
	s_mov_b32 s5, 0x3e928af3
	v_fma_f64 v[36:37], v[34:35], s[24:25], s[4:5]
	s_mov_b32 s4, 0x623fde64
	s_mov_b32 s5, 0x3ec71dee
	;; [unrolled: 3-line block ×9, first 2 shown]
	v_fma_f64 v[36:37], v[34:35], v[36:37], s[4:5]
	v_cmp_nlt_f64_e64 s4, 0x40900000, v[26:27]
	v_cmp_ngt_f64_e64 s5, 0xc090cc00, v[26:27]
	v_fma_f64 v[36:37], v[34:35], v[36:37], 1.0
	v_fma_f64 v[32:33], v[34:35], v[36:37], 1.0
	v_ldexp_f64 v[32:33], v[32:33], v38
	v_cndmask_b32_e64 v33, 0x7ff00000, v33, s4
	s_and_b32 s4, s5, s4
	v_cndmask_b32_e64 v26, 0, v32, s4
	v_cndmask_b32_e64 v27, 0, v33, s5
	v_mov_b32_e32 v95, v31
	v_mov_b32_e32 v94, v30
	;; [unrolled: 1-line block ×4, first 2 shown]
	v_add_f64 v[102:103], v[102:103], v[26:27]
	v_mov_b32_e32 v91, v27
	v_mov_b32_e32 v90, v26
	;; [unrolled: 1-line block ×28, first 2 shown]
.LBB691_185:
	s_andn2_saveexec_b32 s4, s19
	s_or_b32 exec_lo, exec_lo, s4
	s_or_b32 exec_lo, exec_lo, s22
                                        ; implicit-def: $vgpr32_vgpr33_vgpr34_vgpr35_vgpr36_vgpr37_vgpr38_vgpr39_vgpr40_vgpr41_vgpr42_vgpr43_vgpr44_vgpr45_vgpr46_vgpr47_vgpr48_vgpr49_vgpr50_vgpr51_vgpr52_vgpr53_vgpr54_vgpr55_vgpr56_vgpr57_vgpr58_vgpr59_vgpr60_vgpr61_vgpr62_vgpr63
	s_and_saveexec_b32 s4, s17
	s_xor_b32 s4, exec_lo, s4
	s_cbranch_execnz .LBB691_131
.LBB691_186:
	s_or_saveexec_b32 s19, s4
	s_xor_b32 s17, s18, -1
	s_xor_b32 exec_lo, exec_lo, s19
	s_cbranch_execz .LBB691_132
.LBB691_187:
	global_load_ubyte v0, v[98:99], off offset:448
	s_mov_b32 s5, 0
	v_mov_b32_e32 v32, v64
	v_mov_b32_e32 v60, v92
	;; [unrolled: 1-line block ×34, first 2 shown]
	s_waitcnt vmcnt(0)
	v_and_b32_e32 v0, 1, v0
	v_cmp_eq_u32_e64 s4, 1, v0
	s_xor_b32 s4, s4, -1
	s_and_saveexec_b32 s5, s4
	s_xor_b32 s18, exec_lo, s5
	s_cbranch_execz .LBB691_189
; %bb.188:
	v_add_f64 v[0:1], v[92:93], -v[100:101]
	s_mov_b32 s4, 0x652b82fe
	s_mov_b32 s5, 0x3ff71547
	;; [unrolled: 1-line block ×4, first 2 shown]
	v_mul_f64 v[2:3], v[0:1], s[4:5]
	s_mov_b32 s4, 0xfefa39ef
	s_mov_b32 s5, 0xbfe62e42
	v_rndne_f64_e32 v[2:3], v[2:3]
	v_fma_f64 v[4:5], v[2:3], s[4:5], v[0:1]
	s_mov_b32 s4, 0x3b39803f
	s_mov_b32 s5, 0xbc7abc9e
	v_cvt_i32_f64_e32 v8, v[2:3]
	v_fma_f64 v[4:5], v[2:3], s[4:5], v[4:5]
	s_mov_b32 s4, 0xfca7ab0c
	s_mov_b32 s5, 0x3e928af3
	v_fma_f64 v[6:7], v[4:5], s[22:23], s[4:5]
	s_mov_b32 s4, 0x623fde64
	s_mov_b32 s5, 0x3ec71dee
	v_fma_f64 v[6:7], v[4:5], v[6:7], s[4:5]
	s_mov_b32 s4, 0x7c89e6b0
	s_mov_b32 s5, 0x3efa0199
	v_fma_f64 v[6:7], v[4:5], v[6:7], s[4:5]
	s_mov_b32 s4, 0x14761f6e
	s_mov_b32 s5, 0x3f2a01a0
	v_fma_f64 v[6:7], v[4:5], v[6:7], s[4:5]
	s_mov_b32 s4, 0x1852b7b0
	s_mov_b32 s5, 0x3f56c16c
	v_fma_f64 v[6:7], v[4:5], v[6:7], s[4:5]
	s_mov_b32 s4, 0x11122322
	s_mov_b32 s5, 0x3f811111
	v_fma_f64 v[6:7], v[4:5], v[6:7], s[4:5]
	s_mov_b32 s4, 0x555502a1
	s_mov_b32 s5, 0x3fa55555
	v_fma_f64 v[6:7], v[4:5], v[6:7], s[4:5]
	s_mov_b32 s4, 0x55555511
	s_mov_b32 s5, 0x3fc55555
	v_fma_f64 v[6:7], v[4:5], v[6:7], s[4:5]
	s_mov_b32 s4, 11
	s_mov_b32 s5, 0x3fe00000
	v_fma_f64 v[6:7], v[4:5], v[6:7], s[4:5]
	v_cmp_nlt_f64_e64 s4, 0x40900000, v[0:1]
	v_cmp_ngt_f64_e64 s5, 0xc090cc00, v[0:1]
	v_fma_f64 v[6:7], v[4:5], v[6:7], 1.0
	v_fma_f64 v[2:3], v[4:5], v[6:7], 1.0
	v_ldexp_f64 v[2:3], v[2:3], v8
	v_cndmask_b32_e64 v3, 0x7ff00000, v3, s4
	s_and_b32 s4, s5, s4
	v_cndmask_b32_e64 v92, 0, v2, s4
	v_cndmask_b32_e64 v93, 0, v3, s5
	v_mov_b32_e32 v32, v64
	v_mov_b32_e32 v33, v65
	;; [unrolled: 1-line block ×4, first 2 shown]
	v_add_f64 v[102:103], v[102:103], v[92:93]
	v_mov_b32_e32 v36, v68
	v_mov_b32_e32 v37, v69
	;; [unrolled: 1-line block ×28, first 2 shown]
.LBB691_189:
	s_andn2_saveexec_b32 s4, s18
	s_or_b32 exec_lo, exec_lo, s4
	s_or_b32 exec_lo, exec_lo, s19
                                        ; implicit-def: $vgpr0_vgpr1_vgpr2_vgpr3_vgpr4_vgpr5_vgpr6_vgpr7_vgpr8_vgpr9_vgpr10_vgpr11_vgpr12_vgpr13_vgpr14_vgpr15_vgpr16_vgpr17_vgpr18_vgpr19_vgpr20_vgpr21_vgpr22_vgpr23_vgpr24_vgpr25_vgpr26_vgpr27_vgpr28_vgpr29_vgpr30_vgpr31
	s_and_saveexec_b32 s4, s17
	s_xor_b32 s4, exec_lo, s4
	s_cbranch_execnz .LBB691_133
.LBB691_190:
	s_andn2_saveexec_b32 s17, s4
	s_cbranch_execz .LBB691_194
.LBB691_191:
	global_load_ubyte v0, v[98:99], off offset:480
	s_mov_b32 s5, 0
	s_waitcnt vmcnt(0)
	v_and_b32_e32 v0, 1, v0
	v_cmp_eq_u32_e64 s4, 1, v0
	v_mov_b32_e32 v0, v32
	v_mov_b32_e32 v30, v62
	;; [unrolled: 1-line block ×34, first 2 shown]
	s_xor_b32 s4, s4, -1
	s_and_saveexec_b32 s5, s4
	s_xor_b32 s18, exec_lo, s5
	s_cbranch_execz .LBB691_193
; %bb.192:
	v_add_f64 v[0:1], v[62:63], -v[100:101]
	s_mov_b32 s4, 0x652b82fe
	s_mov_b32 s5, 0x3ff71547
	;; [unrolled: 1-line block ×4, first 2 shown]
	v_mul_f64 v[2:3], v[0:1], s[4:5]
	s_mov_b32 s4, 0xfefa39ef
	s_mov_b32 s5, 0xbfe62e42
	v_rndne_f64_e32 v[2:3], v[2:3]
	v_fma_f64 v[4:5], v[2:3], s[4:5], v[0:1]
	s_mov_b32 s4, 0x3b39803f
	s_mov_b32 s5, 0xbc7abc9e
	v_cvt_i32_f64_e32 v8, v[2:3]
	v_fma_f64 v[4:5], v[2:3], s[4:5], v[4:5]
	s_mov_b32 s4, 0xfca7ab0c
	s_mov_b32 s5, 0x3e928af3
	v_fma_f64 v[6:7], v[4:5], s[22:23], s[4:5]
	s_mov_b32 s4, 0x623fde64
	s_mov_b32 s5, 0x3ec71dee
	;; [unrolled: 3-line block ×9, first 2 shown]
	v_fma_f64 v[6:7], v[4:5], v[6:7], s[4:5]
	v_cmp_nlt_f64_e64 s4, 0x40900000, v[0:1]
	v_cmp_ngt_f64_e64 s5, 0xc090cc00, v[0:1]
	v_fma_f64 v[6:7], v[4:5], v[6:7], 1.0
	v_fma_f64 v[2:3], v[4:5], v[6:7], 1.0
	v_ldexp_f64 v[2:3], v[2:3], v8
	v_cndmask_b32_e64 v3, 0x7ff00000, v3, s4
	s_and_b32 s4, s5, s4
	v_cndmask_b32_e64 v62, 0, v2, s4
	v_cndmask_b32_e64 v63, 0, v3, s5
	v_mov_b32_e32 v0, v32
	v_mov_b32_e32 v1, v33
	;; [unrolled: 1-line block ×4, first 2 shown]
	v_add_f64 v[102:103], v[102:103], v[62:63]
	v_mov_b32_e32 v4, v36
	v_mov_b32_e32 v5, v37
	;; [unrolled: 1-line block ×28, first 2 shown]
.LBB691_193:
	s_andn2_saveexec_b32 s4, s18
	s_or_b32 exec_lo, exec_lo, s4
.LBB691_194:
	s_or_b32 exec_lo, exec_lo, s17
	ds_bpermute_b32 v32, v105, v102
	ds_bpermute_b32 v33, v105, v103
	s_mov_b32 s5, exec_lo
	s_waitcnt lgkmcnt(0)
	v_add_f64 v[32:33], v[102:103], v[32:33]
	ds_bpermute_b32 v34, v106, v32
	ds_bpermute_b32 v35, v106, v33
	s_waitcnt lgkmcnt(0)
	v_add_f64 v[32:33], v[32:33], v[34:35]
	ds_bpermute_b32 v34, v107, v32
	ds_bpermute_b32 v35, v107, v33
	;; [unrolled: 4-line block ×4, first 2 shown]
	v_cmpx_lt_i32_e32 0, v104
	s_cbranch_execz .LBB691_244
; %bb.195:
	s_and_b32 exec_lo, exec_lo, vcc_lo
	s_cbranch_execz .LBB691_244
; %bb.196:
	s_waitcnt lgkmcnt(0)
	v_add_f64 v[32:33], v[32:33], v[34:35]
	v_mov_b32_e32 v34, 0
	v_mov_b32_e32 v35, 0x7ff80000
	v_cmp_neq_f64_e64 s4, 0, v[32:33]
	s_and_saveexec_b32 s5, s4
	s_cbranch_execz .LBB691_198
; %bb.197:
	v_div_scale_f64 v[34:35], null, v[32:33], v[32:33], v[0:1]
	v_rcp_f64_e32 v[36:37], v[34:35]
	v_fma_f64 v[38:39], -v[34:35], v[36:37], 1.0
	v_fma_f64 v[36:37], v[36:37], v[38:39], v[36:37]
	v_fma_f64 v[38:39], -v[34:35], v[36:37], 1.0
	v_fma_f64 v[36:37], v[36:37], v[38:39], v[36:37]
	v_div_scale_f64 v[38:39], vcc_lo, v[0:1], v[32:33], v[0:1]
	v_mul_f64 v[40:41], v[38:39], v[36:37]
	v_fma_f64 v[34:35], -v[34:35], v[40:41], v[38:39]
	v_div_fmas_f64 v[34:35], v[34:35], v[36:37], v[40:41]
	v_div_fixup_f64 v[34:35], v[34:35], v[32:33], v[0:1]
.LBB691_198:
	s_or_b32 exec_lo, exec_lo, s5
	v_add_co_u32 v0, vcc_lo, s20, v96
	v_add_co_ci_u32_e64 v1, null, s21, v97, vcc_lo
	global_store_dwordx2 v[0:1], v[34:35], off
	s_and_b32 exec_lo, exec_lo, s16
	s_cbranch_execz .LBB691_244
; %bb.199:
	v_mov_b32_e32 v34, 0
	v_mov_b32_e32 v35, 0x7ff80000
	s_and_saveexec_b32 s5, s4
	s_cbranch_execz .LBB691_201
; %bb.200:
	v_div_scale_f64 v[34:35], null, v[32:33], v[32:33], v[2:3]
	v_rcp_f64_e32 v[36:37], v[34:35]
	v_fma_f64 v[38:39], -v[34:35], v[36:37], 1.0
	v_fma_f64 v[36:37], v[36:37], v[38:39], v[36:37]
	v_fma_f64 v[38:39], -v[34:35], v[36:37], 1.0
	v_fma_f64 v[36:37], v[36:37], v[38:39], v[36:37]
	v_div_scale_f64 v[38:39], vcc_lo, v[2:3], v[32:33], v[2:3]
	v_mul_f64 v[40:41], v[38:39], v[36:37]
	v_fma_f64 v[34:35], -v[34:35], v[40:41], v[38:39]
	v_div_fmas_f64 v[34:35], v[34:35], v[36:37], v[40:41]
	v_div_fixup_f64 v[34:35], v[34:35], v[32:33], v[2:3]
.LBB691_201:
	s_or_b32 exec_lo, exec_lo, s5
	global_store_dwordx2 v[0:1], v[34:35], off offset:256
	s_and_b32 exec_lo, exec_lo, s15
	s_cbranch_execz .LBB691_244
; %bb.202:
	v_mov_b32_e32 v2, 0
	v_mov_b32_e32 v3, 0x7ff80000
	s_and_saveexec_b32 s5, s4
	s_cbranch_execz .LBB691_204
; %bb.203:
	v_div_scale_f64 v[2:3], null, v[32:33], v[32:33], v[4:5]
	v_rcp_f64_e32 v[34:35], v[2:3]
	v_fma_f64 v[36:37], -v[2:3], v[34:35], 1.0
	v_fma_f64 v[34:35], v[34:35], v[36:37], v[34:35]
	v_fma_f64 v[36:37], -v[2:3], v[34:35], 1.0
	v_fma_f64 v[34:35], v[34:35], v[36:37], v[34:35]
	v_div_scale_f64 v[36:37], vcc_lo, v[4:5], v[32:33], v[4:5]
	v_mul_f64 v[38:39], v[36:37], v[34:35]
	v_fma_f64 v[2:3], -v[2:3], v[38:39], v[36:37]
	v_div_fmas_f64 v[2:3], v[2:3], v[34:35], v[38:39]
	v_div_fixup_f64 v[2:3], v[2:3], v[32:33], v[4:5]
.LBB691_204:
	s_or_b32 exec_lo, exec_lo, s5
	global_store_dwordx2 v[0:1], v[2:3], off offset:512
	;; [unrolled: 22-line block ×7, first 2 shown]
	s_and_b32 exec_lo, exec_lo, s9
	s_cbranch_execz .LBB691_244
; %bb.220:
	v_mov_b32_e32 v2, 0
	v_mov_b32_e32 v3, 0x7ff80000
	s_and_saveexec_b32 s5, s4
	s_cbranch_execz .LBB691_222
; %bb.221:
	v_div_scale_f64 v[2:3], null, v[32:33], v[32:33], v[16:17]
	v_rcp_f64_e32 v[4:5], v[2:3]
	v_fma_f64 v[6:7], -v[2:3], v[4:5], 1.0
	v_fma_f64 v[4:5], v[4:5], v[6:7], v[4:5]
	v_fma_f64 v[6:7], -v[2:3], v[4:5], 1.0
	v_fma_f64 v[4:5], v[4:5], v[6:7], v[4:5]
	v_div_scale_f64 v[6:7], vcc_lo, v[16:17], v[32:33], v[16:17]
	v_mul_f64 v[8:9], v[6:7], v[4:5]
	v_fma_f64 v[2:3], -v[2:3], v[8:9], v[6:7]
	v_div_fmas_f64 v[2:3], v[2:3], v[4:5], v[8:9]
	v_div_fixup_f64 v[2:3], v[2:3], v[32:33], v[16:17]
.LBB691_222:
	s_or_b32 exec_lo, exec_lo, s5
	v_add_co_u32 v0, vcc_lo, 0x800, v0
	v_add_co_ci_u32_e64 v1, null, 0, v1, vcc_lo
	global_store_dwordx2 v[0:1], v[2:3], off
	s_and_b32 exec_lo, exec_lo, s8
	s_cbranch_execz .LBB691_244
; %bb.223:
	v_mov_b32_e32 v2, 0
	v_mov_b32_e32 v3, 0x7ff80000
	s_and_saveexec_b32 s5, s4
	s_cbranch_execz .LBB691_225
; %bb.224:
	v_div_scale_f64 v[2:3], null, v[32:33], v[32:33], v[18:19]
	v_rcp_f64_e32 v[4:5], v[2:3]
	v_fma_f64 v[6:7], -v[2:3], v[4:5], 1.0
	v_fma_f64 v[4:5], v[4:5], v[6:7], v[4:5]
	v_fma_f64 v[6:7], -v[2:3], v[4:5], 1.0
	v_fma_f64 v[4:5], v[4:5], v[6:7], v[4:5]
	v_div_scale_f64 v[6:7], vcc_lo, v[18:19], v[32:33], v[18:19]
	v_mul_f64 v[8:9], v[6:7], v[4:5]
	v_fma_f64 v[2:3], -v[2:3], v[8:9], v[6:7]
	v_div_fmas_f64 v[2:3], v[2:3], v[4:5], v[8:9]
	v_div_fixup_f64 v[2:3], v[2:3], v[32:33], v[18:19]
.LBB691_225:
	s_or_b32 exec_lo, exec_lo, s5
	global_store_dwordx2 v[0:1], v[2:3], off offset:256
	s_and_b32 exec_lo, exec_lo, s7
	s_cbranch_execz .LBB691_244
; %bb.226:
	v_mov_b32_e32 v2, 0
	v_mov_b32_e32 v3, 0x7ff80000
	s_and_saveexec_b32 s5, s4
	s_cbranch_execz .LBB691_228
; %bb.227:
	v_div_scale_f64 v[2:3], null, v[32:33], v[32:33], v[20:21]
	v_rcp_f64_e32 v[4:5], v[2:3]
	v_fma_f64 v[6:7], -v[2:3], v[4:5], 1.0
	v_fma_f64 v[4:5], v[4:5], v[6:7], v[4:5]
	v_fma_f64 v[6:7], -v[2:3], v[4:5], 1.0
	v_fma_f64 v[4:5], v[4:5], v[6:7], v[4:5]
	v_div_scale_f64 v[6:7], vcc_lo, v[20:21], v[32:33], v[20:21]
	v_mul_f64 v[8:9], v[6:7], v[4:5]
	v_fma_f64 v[2:3], -v[2:3], v[8:9], v[6:7]
	v_div_fmas_f64 v[2:3], v[2:3], v[4:5], v[8:9]
	v_div_fixup_f64 v[2:3], v[2:3], v[32:33], v[20:21]
.LBB691_228:
	s_or_b32 exec_lo, exec_lo, s5
	global_store_dwordx2 v[0:1], v[2:3], off offset:512
	;; [unrolled: 22-line block ×7, first 2 shown]
.LBB691_244:
	s_endpgm
	.section	.rodata,"a",@progbits
	.p2align	6, 0x0
	.amdhsa_kernel _ZN12_GLOBAL__N_120softmax_warp_forwardIdddLi9ELb0ELb1ELi32EEEvPT0_PKT_iiiPKbib
		.amdhsa_group_segment_fixed_size 0
		.amdhsa_private_segment_fixed_size 0
		.amdhsa_kernarg_size 304
		.amdhsa_user_sgpr_count 6
		.amdhsa_user_sgpr_private_segment_buffer 1
		.amdhsa_user_sgpr_dispatch_ptr 0
		.amdhsa_user_sgpr_queue_ptr 0
		.amdhsa_user_sgpr_kernarg_segment_ptr 1
		.amdhsa_user_sgpr_dispatch_id 0
		.amdhsa_user_sgpr_flat_scratch_init 0
		.amdhsa_user_sgpr_private_segment_size 0
		.amdhsa_wavefront_size32 1
		.amdhsa_uses_dynamic_stack 0
		.amdhsa_system_sgpr_private_segment_wavefront_offset 0
		.amdhsa_system_sgpr_workgroup_id_x 1
		.amdhsa_system_sgpr_workgroup_id_y 0
		.amdhsa_system_sgpr_workgroup_id_z 0
		.amdhsa_system_sgpr_workgroup_info 0
		.amdhsa_system_vgpr_workitem_id 1
		.amdhsa_next_free_vgpr 110
		.amdhsa_next_free_sgpr 40
		.amdhsa_reserve_vcc 1
		.amdhsa_reserve_flat_scratch 0
		.amdhsa_float_round_mode_32 0
		.amdhsa_float_round_mode_16_64 0
		.amdhsa_float_denorm_mode_32 3
		.amdhsa_float_denorm_mode_16_64 3
		.amdhsa_dx10_clamp 1
		.amdhsa_ieee_mode 1
		.amdhsa_fp16_overflow 0
		.amdhsa_workgroup_processor_mode 1
		.amdhsa_memory_ordered 1
		.amdhsa_forward_progress 1
		.amdhsa_shared_vgpr_count 0
		.amdhsa_exception_fp_ieee_invalid_op 0
		.amdhsa_exception_fp_denorm_src 0
		.amdhsa_exception_fp_ieee_div_zero 0
		.amdhsa_exception_fp_ieee_overflow 0
		.amdhsa_exception_fp_ieee_underflow 0
		.amdhsa_exception_fp_ieee_inexact 0
		.amdhsa_exception_int_div_zero 0
	.end_amdhsa_kernel
	.section	.text._ZN12_GLOBAL__N_120softmax_warp_forwardIdddLi9ELb0ELb1ELi32EEEvPT0_PKT_iiiPKbib,"axG",@progbits,_ZN12_GLOBAL__N_120softmax_warp_forwardIdddLi9ELb0ELb1ELi32EEEvPT0_PKT_iiiPKbib,comdat
.Lfunc_end691:
	.size	_ZN12_GLOBAL__N_120softmax_warp_forwardIdddLi9ELb0ELb1ELi32EEEvPT0_PKT_iiiPKbib, .Lfunc_end691-_ZN12_GLOBAL__N_120softmax_warp_forwardIdddLi9ELb0ELb1ELi32EEEvPT0_PKT_iiiPKbib
                                        ; -- End function
	.set _ZN12_GLOBAL__N_120softmax_warp_forwardIdddLi9ELb0ELb1ELi32EEEvPT0_PKT_iiiPKbib.num_vgpr, 110
	.set _ZN12_GLOBAL__N_120softmax_warp_forwardIdddLi9ELb0ELb1ELi32EEEvPT0_PKT_iiiPKbib.num_agpr, 0
	.set _ZN12_GLOBAL__N_120softmax_warp_forwardIdddLi9ELb0ELb1ELi32EEEvPT0_PKT_iiiPKbib.numbered_sgpr, 40
	.set _ZN12_GLOBAL__N_120softmax_warp_forwardIdddLi9ELb0ELb1ELi32EEEvPT0_PKT_iiiPKbib.num_named_barrier, 0
	.set _ZN12_GLOBAL__N_120softmax_warp_forwardIdddLi9ELb0ELb1ELi32EEEvPT0_PKT_iiiPKbib.private_seg_size, 0
	.set _ZN12_GLOBAL__N_120softmax_warp_forwardIdddLi9ELb0ELb1ELi32EEEvPT0_PKT_iiiPKbib.uses_vcc, 1
	.set _ZN12_GLOBAL__N_120softmax_warp_forwardIdddLi9ELb0ELb1ELi32EEEvPT0_PKT_iiiPKbib.uses_flat_scratch, 0
	.set _ZN12_GLOBAL__N_120softmax_warp_forwardIdddLi9ELb0ELb1ELi32EEEvPT0_PKT_iiiPKbib.has_dyn_sized_stack, 0
	.set _ZN12_GLOBAL__N_120softmax_warp_forwardIdddLi9ELb0ELb1ELi32EEEvPT0_PKT_iiiPKbib.has_recursion, 0
	.set _ZN12_GLOBAL__N_120softmax_warp_forwardIdddLi9ELb0ELb1ELi32EEEvPT0_PKT_iiiPKbib.has_indirect_call, 0
	.section	.AMDGPU.csdata,"",@progbits
; Kernel info:
; codeLenInByte = 19912
; TotalNumSgprs: 42
; NumVgprs: 110
; ScratchSize: 0
; MemoryBound: 1
; FloatMode: 240
; IeeeMode: 1
; LDSByteSize: 0 bytes/workgroup (compile time only)
; SGPRBlocks: 0
; VGPRBlocks: 13
; NumSGPRsForWavesPerEU: 42
; NumVGPRsForWavesPerEU: 110
; Occupancy: 9
; WaveLimiterHint : 0
; COMPUTE_PGM_RSRC2:SCRATCH_EN: 0
; COMPUTE_PGM_RSRC2:USER_SGPR: 6
; COMPUTE_PGM_RSRC2:TRAP_HANDLER: 0
; COMPUTE_PGM_RSRC2:TGID_X_EN: 1
; COMPUTE_PGM_RSRC2:TGID_Y_EN: 0
; COMPUTE_PGM_RSRC2:TGID_Z_EN: 0
; COMPUTE_PGM_RSRC2:TIDIG_COMP_CNT: 1
	.section	.text._ZN12_GLOBAL__N_120softmax_warp_forwardIdddLi10ELb0ELb1ELi64EEEvPT0_PKT_iiiPKbib,"axG",@progbits,_ZN12_GLOBAL__N_120softmax_warp_forwardIdddLi10ELb0ELb1ELi64EEEvPT0_PKT_iiiPKbib,comdat
	.globl	_ZN12_GLOBAL__N_120softmax_warp_forwardIdddLi10ELb0ELb1ELi64EEEvPT0_PKT_iiiPKbib ; -- Begin function _ZN12_GLOBAL__N_120softmax_warp_forwardIdddLi10ELb0ELb1ELi64EEEvPT0_PKT_iiiPKbib
	.p2align	8
	.type	_ZN12_GLOBAL__N_120softmax_warp_forwardIdddLi10ELb0ELb1ELi64EEEvPT0_PKT_iiiPKbib,@function
_ZN12_GLOBAL__N_120softmax_warp_forwardIdddLi10ELb0ELb1ELi64EEEvPT0_PKT_iiiPKbib: ; @_ZN12_GLOBAL__N_120softmax_warp_forwardIdddLi10ELb0ELb1ELi64EEEvPT0_PKT_iiiPKbib
; %bb.0:
	s_clause 0x1
	s_load_dword s0, s[4:5], 0x3c
	s_load_dwordx4 s[16:19], s[4:5], 0x10
	s_waitcnt lgkmcnt(0)
	s_lshr_b32 s0, s0, 16
	v_mad_u64_u32 v[1:2], null, s6, s0, v[1:2]
	s_load_dwordx2 s[0:1], s[4:5], 0x28
	v_mul_lo_u32 v4, v1, s17
	v_add_nc_u32_e32 v2, v4, v0
	v_ashrrev_i32_e32 v3, 31, v2
	s_waitcnt lgkmcnt(0)
	s_bitcmp0_b32 s1, 0
	v_mov_b32_e32 v35, v3
	v_mov_b32_e32 v34, v2
	s_cbranch_scc1 .LBB692_2
; %bb.1:
	s_abs_i32 s1, s0
	v_sub_nc_u32_e32 v7, 0, v4
	v_cvt_f32_u32_e32 v5, s1
	s_sub_i32 s2, 0, s1
	v_max_i32_e32 v7, v4, v7
	v_rcp_iflag_f32_e32 v5, v5
	v_xor_b32_e32 v4, s0, v4
	v_ashrrev_i32_e32 v4, 31, v4
	v_mul_f32_e32 v5, 0x4f7ffffe, v5
	v_cvt_u32_f32_e32 v5, v5
	v_mul_lo_u32 v6, s2, v5
	v_mul_hi_u32 v6, v5, v6
	v_add_nc_u32_e32 v5, v5, v6
	v_mul_hi_u32 v5, v7, v5
	v_mul_lo_u32 v6, v5, s1
	v_sub_nc_u32_e32 v6, v7, v6
	v_add_nc_u32_e32 v7, 1, v5
	v_subrev_nc_u32_e32 v8, s1, v6
	v_cmp_le_u32_e32 vcc_lo, s1, v6
	v_cndmask_b32_e32 v5, v5, v7, vcc_lo
	v_cndmask_b32_e32 v6, v6, v8, vcc_lo
	v_add_nc_u32_e32 v7, 1, v5
	v_cmp_le_u32_e32 vcc_lo, s1, v6
	v_cndmask_b32_e32 v5, v5, v7, vcc_lo
	v_xor_b32_e32 v5, v5, v4
	v_sub_nc_u32_e32 v4, v5, v4
	v_mad_u64_u32 v[34:35], null, v4, s17, v[0:1]
	v_ashrrev_i32_e32 v35, 31, v34
.LBB692_2:
	s_load_dwordx4 s[20:23], s[4:5], 0x0
	v_lshlrev_b64 v[96:97], 3, v[2:3]
	v_sub_nc_u32_e32 v104, s16, v1
	v_cmp_gt_i32_e32 vcc_lo, s18, v0
	v_mov_b32_e32 v2, 0
	v_mov_b32_e32 v32, 0
	;; [unrolled: 1-line block ×3, first 2 shown]
	v_cmp_lt_i32_e64 s17, 0, v104
	v_mov_b32_e32 v33, 0xfff00000
	s_and_b32 s36, s17, vcc_lo
	s_waitcnt lgkmcnt(0)
	v_add_co_u32 v36, s0, s22, v96
	v_add_co_ci_u32_e64 v37, null, s23, v97, s0
	s_and_saveexec_b32 s0, s36
	s_cbranch_execz .LBB692_4
; %bb.3:
	global_load_dwordx2 v[32:33], v[36:37], off
.LBB692_4:
	s_or_b32 exec_lo, exec_lo, s0
	v_add_nc_u32_e32 v1, 64, v0
	v_cmp_gt_i32_e64 s16, s18, v1
	s_and_b32 s35, s17, s16
	s_and_saveexec_b32 s0, s35
	s_cbranch_execz .LBB692_6
; %bb.5:
	global_load_dwordx2 v[2:3], v[36:37], off offset:512
.LBB692_6:
	s_or_b32 exec_lo, exec_lo, s0
	v_add_nc_u32_e32 v1, 0x80, v0
	v_mov_b32_e32 v6, 0
	v_mov_b32_e32 v4, 0
	;; [unrolled: 1-line block ×4, first 2 shown]
	v_cmp_gt_i32_e64 s15, s18, v1
	s_and_b32 s34, s17, s15
	s_and_saveexec_b32 s0, s34
	s_cbranch_execz .LBB692_8
; %bb.7:
	global_load_dwordx2 v[4:5], v[36:37], off offset:1024
.LBB692_8:
	s_or_b32 exec_lo, exec_lo, s0
	v_add_nc_u32_e32 v1, 0xc0, v0
	v_cmp_gt_i32_e64 s14, s18, v1
	s_and_b32 s33, s17, s14
	s_and_saveexec_b32 s0, s33
	s_cbranch_execz .LBB692_10
; %bb.9:
	global_load_dwordx2 v[6:7], v[36:37], off offset:1536
.LBB692_10:
	s_or_b32 exec_lo, exec_lo, s0
	v_add_nc_u32_e32 v1, 0x100, v0
	v_mov_b32_e32 v10, 0
	v_mov_b32_e32 v8, 0
	v_mov_b32_e32 v11, 0xfff00000
	v_mov_b32_e32 v9, 0xfff00000
	v_cmp_gt_i32_e64 s13, s18, v1
	s_and_b32 s31, s17, s13
	s_and_saveexec_b32 s1, s31
	s_cbranch_execz .LBB692_12
; %bb.11:
	v_add_co_u32 v8, s0, 0x800, v36
	v_add_co_ci_u32_e64 v9, null, 0, v37, s0
	global_load_dwordx2 v[8:9], v[8:9], off
.LBB692_12:
	s_or_b32 exec_lo, exec_lo, s1
	v_add_nc_u32_e32 v1, 0x140, v0
	v_cmp_gt_i32_e64 s12, s18, v1
	s_and_b32 s30, s17, s12
	s_and_saveexec_b32 s1, s30
	s_cbranch_execz .LBB692_14
; %bb.13:
	v_add_co_u32 v10, s0, 0x800, v36
	v_add_co_ci_u32_e64 v11, null, 0, v37, s0
	global_load_dwordx2 v[10:11], v[10:11], off offset:512
.LBB692_14:
	s_or_b32 exec_lo, exec_lo, s1
	v_add_nc_u32_e32 v1, 0x180, v0
	v_mov_b32_e32 v14, 0
	v_mov_b32_e32 v12, 0
	v_mov_b32_e32 v15, 0xfff00000
	v_mov_b32_e32 v13, 0xfff00000
	v_cmp_gt_i32_e64 s11, s18, v1
	s_and_b32 s29, s17, s11
	s_and_saveexec_b32 s1, s29
	s_cbranch_execz .LBB692_16
; %bb.15:
	v_add_co_u32 v12, s0, 0x800, v36
	v_add_co_ci_u32_e64 v13, null, 0, v37, s0
	global_load_dwordx2 v[12:13], v[12:13], off offset:1024
.LBB692_16:
	s_or_b32 exec_lo, exec_lo, s1
	v_add_nc_u32_e32 v1, 0x1c0, v0
	v_cmp_gt_i32_e64 s10, s18, v1
	s_and_b32 s28, s17, s10
	s_and_saveexec_b32 s1, s28
	s_cbranch_execz .LBB692_18
; %bb.17:
	v_add_co_u32 v14, s0, 0x800, v36
	v_add_co_ci_u32_e64 v15, null, 0, v37, s0
	global_load_dwordx2 v[14:15], v[14:15], off offset:1536
.LBB692_18:
	s_or_b32 exec_lo, exec_lo, s1
	v_add_nc_u32_e32 v1, 0x200, v0
	v_mov_b32_e32 v18, 0
	v_mov_b32_e32 v16, 0
	v_mov_b32_e32 v19, 0xfff00000
	v_mov_b32_e32 v17, 0xfff00000
	v_cmp_gt_i32_e64 s9, s18, v1
	s_and_b32 s27, s17, s9
	s_and_saveexec_b32 s1, s27
	s_cbranch_execz .LBB692_20
; %bb.19:
	v_add_co_u32 v16, s0, 0x1000, v36
	v_add_co_ci_u32_e64 v17, null, 0, v37, s0
	global_load_dwordx2 v[16:17], v[16:17], off
.LBB692_20:
	s_or_b32 exec_lo, exec_lo, s1
	v_add_nc_u32_e32 v1, 0x240, v0
	v_cmp_gt_i32_e64 s8, s18, v1
	s_and_b32 s26, s17, s8
	s_and_saveexec_b32 s1, s26
	s_cbranch_execz .LBB692_22
; %bb.21:
	v_add_co_u32 v18, s0, 0x1000, v36
	v_add_co_ci_u32_e64 v19, null, 0, v37, s0
	global_load_dwordx2 v[18:19], v[18:19], off offset:512
.LBB692_22:
	s_or_b32 exec_lo, exec_lo, s1
	v_add_nc_u32_e32 v1, 0x280, v0
	v_mov_b32_e32 v22, 0
	v_mov_b32_e32 v20, 0
	v_mov_b32_e32 v23, 0xfff00000
	v_mov_b32_e32 v21, 0xfff00000
	v_cmp_gt_i32_e64 s7, s18, v1
	s_and_b32 s25, s17, s7
	s_and_saveexec_b32 s1, s25
	s_cbranch_execz .LBB692_24
; %bb.23:
	v_add_co_u32 v20, s0, 0x1000, v36
	v_add_co_ci_u32_e64 v21, null, 0, v37, s0
	global_load_dwordx2 v[20:21], v[20:21], off offset:1024
.LBB692_24:
	s_or_b32 exec_lo, exec_lo, s1
	v_add_nc_u32_e32 v1, 0x2c0, v0
	v_cmp_gt_i32_e64 s6, s18, v1
	s_and_b32 s24, s17, s6
	s_and_saveexec_b32 s1, s24
	s_cbranch_execz .LBB692_26
; %bb.25:
	v_add_co_u32 v22, s0, 0x1000, v36
	v_add_co_ci_u32_e64 v23, null, 0, v37, s0
	global_load_dwordx2 v[22:23], v[22:23], off offset:1536
.LBB692_26:
	;; [unrolled: 52-line block ×3, first 2 shown]
	s_or_b32 exec_lo, exec_lo, s37
	s_load_dwordx2 s[4:5], s[4:5], 0x20
	s_waitcnt lgkmcnt(0)
	v_add_co_u32 v98, s4, s4, v34
	v_add_co_ci_u32_e64 v99, null, s5, v35, s4
	s_mov_b32 s5, 0
	s_and_saveexec_b32 s17, s36
	s_cbranch_execz .LBB692_36
; %bb.35:
	global_load_ubyte v0, v[98:99], off
	s_waitcnt vmcnt(0)
	v_and_b32_e32 v0, 1, v0
	v_cmp_eq_u32_e64 s4, 1, v0
	s_xor_b32 s4, s4, -1
	s_and_b32 s5, s4, exec_lo
.LBB692_36:
	s_or_b32 exec_lo, exec_lo, s17
	s_waitcnt vmcnt(0)
	v_mov_b32_e32 v0, v32
	v_mov_b32_e32 v1, v33
	s_and_saveexec_b32 s17, s35
	s_cbranch_execz .LBB692_65
; %bb.37:
	global_load_ubyte v0, v[98:99], off offset:64
	s_waitcnt vmcnt(0)
	v_and_b32_e32 v0, 1, v0
	v_cmp_eq_u32_e64 s4, 1, v0
	v_mov_b32_e32 v0, v32
	v_mov_b32_e32 v1, v33
	s_xor_b32 s38, s4, -1
	s_mov_b32 s4, s5
	s_and_saveexec_b32 s37, s38
	s_cbranch_execz .LBB692_39
; %bb.38:
	v_cmp_gt_f64_e64 s4, v[32:33], v[2:3]
	s_and_b32 s4, s5, s4
	v_cndmask_b32_e64 v1, v3, v33, s4
	v_cndmask_b32_e64 v0, v2, v32, s4
	s_or_b32 s4, s5, exec_lo
.LBB692_39:
	s_or_b32 exec_lo, exec_lo, s37
	s_andn2_b32 s5, s5, exec_lo
	s_and_b32 s4, s4, exec_lo
	s_or_b32 s5, s5, s4
	s_or_b32 exec_lo, exec_lo, s17
	s_and_saveexec_b32 s17, s34
	s_cbranch_execnz .LBB692_66
.LBB692_40:
	s_or_b32 exec_lo, exec_lo, s17
	s_and_saveexec_b32 s17, s33
	s_cbranch_execz .LBB692_69
.LBB692_41:
	global_load_ubyte v34, v[98:99], off offset:192
	s_waitcnt vmcnt(0)
	v_and_b32_e32 v34, 1, v34
	v_cmp_eq_u32_e64 s4, 1, v34
	s_xor_b32 s38, s4, -1
	s_mov_b32 s4, s5
	s_and_saveexec_b32 s37, s38
	s_cbranch_execz .LBB692_43
; %bb.42:
	v_cmp_gt_f64_e64 s4, v[0:1], v[6:7]
	s_and_b32 s4, s5, s4
	v_cndmask_b32_e64 v1, v7, v1, s4
	v_cndmask_b32_e64 v0, v6, v0, s4
	s_or_b32 s4, s5, exec_lo
.LBB692_43:
	s_or_b32 exec_lo, exec_lo, s37
	s_andn2_b32 s5, s5, exec_lo
	s_and_b32 s4, s4, exec_lo
	s_or_b32 s5, s5, s4
	s_or_b32 exec_lo, exec_lo, s17
	s_and_saveexec_b32 s17, s31
	s_cbranch_execnz .LBB692_70
.LBB692_44:
	s_or_b32 exec_lo, exec_lo, s17
	s_and_saveexec_b32 s17, s30
	s_cbranch_execz .LBB692_73
.LBB692_45:
	global_load_ubyte v34, v[98:99], off offset:320
	s_waitcnt vmcnt(0)
	v_and_b32_e32 v34, 1, v34
	v_cmp_eq_u32_e64 s4, 1, v34
	s_xor_b32 s38, s4, -1
	s_mov_b32 s4, s5
	s_and_saveexec_b32 s37, s38
	s_cbranch_execz .LBB692_47
; %bb.46:
	v_cmp_gt_f64_e64 s4, v[0:1], v[10:11]
	s_and_b32 s4, s5, s4
	v_cndmask_b32_e64 v1, v11, v1, s4
	v_cndmask_b32_e64 v0, v10, v0, s4
	s_or_b32 s4, s5, exec_lo
.LBB692_47:
	s_or_b32 exec_lo, exec_lo, s37
	s_andn2_b32 s5, s5, exec_lo
	s_and_b32 s4, s4, exec_lo
	s_or_b32 s5, s5, s4
	s_or_b32 exec_lo, exec_lo, s17
	s_and_saveexec_b32 s17, s29
	s_cbranch_execnz .LBB692_74
.LBB692_48:
	s_or_b32 exec_lo, exec_lo, s17
	s_and_saveexec_b32 s17, s28
	s_cbranch_execz .LBB692_77
.LBB692_49:
	global_load_ubyte v34, v[98:99], off offset:448
	s_waitcnt vmcnt(0)
	v_and_b32_e32 v34, 1, v34
	v_cmp_eq_u32_e64 s4, 1, v34
	s_xor_b32 s38, s4, -1
	s_mov_b32 s4, s5
	s_and_saveexec_b32 s37, s38
	s_cbranch_execz .LBB692_51
; %bb.50:
	v_cmp_gt_f64_e64 s4, v[0:1], v[14:15]
	s_and_b32 s4, s5, s4
	v_cndmask_b32_e64 v1, v15, v1, s4
	v_cndmask_b32_e64 v0, v14, v0, s4
	s_or_b32 s4, s5, exec_lo
.LBB692_51:
	s_or_b32 exec_lo, exec_lo, s37
	s_andn2_b32 s5, s5, exec_lo
	s_and_b32 s4, s4, exec_lo
	s_or_b32 s5, s5, s4
	s_or_b32 exec_lo, exec_lo, s17
	s_and_saveexec_b32 s17, s27
	s_cbranch_execnz .LBB692_78
.LBB692_52:
	s_or_b32 exec_lo, exec_lo, s17
	s_and_saveexec_b32 s17, s26
	s_cbranch_execz .LBB692_81
.LBB692_53:
	global_load_ubyte v34, v[98:99], off offset:576
	s_waitcnt vmcnt(0)
	v_and_b32_e32 v34, 1, v34
	v_cmp_eq_u32_e64 s4, 1, v34
	s_xor_b32 s38, s4, -1
	s_mov_b32 s4, s5
	s_and_saveexec_b32 s37, s38
	s_cbranch_execz .LBB692_55
; %bb.54:
	v_cmp_gt_f64_e64 s4, v[0:1], v[18:19]
	s_and_b32 s4, s5, s4
	v_cndmask_b32_e64 v1, v19, v1, s4
	v_cndmask_b32_e64 v0, v18, v0, s4
	s_or_b32 s4, s5, exec_lo
.LBB692_55:
	s_or_b32 exec_lo, exec_lo, s37
	s_andn2_b32 s5, s5, exec_lo
	s_and_b32 s4, s4, exec_lo
	s_or_b32 s5, s5, s4
	s_or_b32 exec_lo, exec_lo, s17
	s_and_saveexec_b32 s17, s25
	s_cbranch_execnz .LBB692_82
.LBB692_56:
	s_or_b32 exec_lo, exec_lo, s17
	s_and_saveexec_b32 s17, s24
	s_cbranch_execz .LBB692_85
.LBB692_57:
	global_load_ubyte v34, v[98:99], off offset:704
	s_waitcnt vmcnt(0)
	v_and_b32_e32 v34, 1, v34
	v_cmp_eq_u32_e64 s4, 1, v34
	s_xor_b32 s38, s4, -1
	s_mov_b32 s4, s5
	s_and_saveexec_b32 s37, s38
	s_cbranch_execz .LBB692_59
; %bb.58:
	v_cmp_gt_f64_e64 s4, v[0:1], v[22:23]
	s_and_b32 s4, s5, s4
	v_cndmask_b32_e64 v1, v23, v1, s4
	v_cndmask_b32_e64 v0, v22, v0, s4
	s_or_b32 s4, s5, exec_lo
.LBB692_59:
	s_or_b32 exec_lo, exec_lo, s37
	s_andn2_b32 s5, s5, exec_lo
	s_and_b32 s4, s4, exec_lo
	s_or_b32 s5, s5, s4
	s_or_b32 exec_lo, exec_lo, s17
	s_and_saveexec_b32 s17, s23
	s_cbranch_execnz .LBB692_86
.LBB692_60:
	s_or_b32 exec_lo, exec_lo, s17
	s_and_saveexec_b32 s17, s22
	s_cbranch_execz .LBB692_89
.LBB692_61:
	global_load_ubyte v34, v[98:99], off offset:832
	s_waitcnt vmcnt(0)
	v_and_b32_e32 v34, 1, v34
	v_cmp_eq_u32_e64 s4, 1, v34
	s_xor_b32 s38, s4, -1
	s_mov_b32 s4, s5
	s_and_saveexec_b32 s37, s38
	s_cbranch_execz .LBB692_63
; %bb.62:
	v_cmp_gt_f64_e64 s4, v[0:1], v[26:27]
	s_and_b32 s4, s5, s4
	v_cndmask_b32_e64 v1, v27, v1, s4
	v_cndmask_b32_e64 v0, v26, v0, s4
	s_or_b32 s4, s5, exec_lo
.LBB692_63:
	s_or_b32 exec_lo, exec_lo, s37
	s_andn2_b32 s5, s5, exec_lo
	s_and_b32 s4, s4, exec_lo
	s_or_b32 s5, s5, s4
	s_or_b32 exec_lo, exec_lo, s17
	s_and_saveexec_b32 s17, s19
	s_cbranch_execnz .LBB692_90
.LBB692_64:
	s_or_b32 exec_lo, exec_lo, s17
	s_xor_b32 s17, s36, -1
	s_and_saveexec_b32 s36, s18
	s_cbranch_execnz .LBB692_93
	s_branch .LBB692_96
.LBB692_65:
	s_or_b32 exec_lo, exec_lo, s17
	s_and_saveexec_b32 s17, s34
	s_cbranch_execz .LBB692_40
.LBB692_66:
	global_load_ubyte v34, v[98:99], off offset:128
	s_waitcnt vmcnt(0)
	v_and_b32_e32 v34, 1, v34
	v_cmp_eq_u32_e64 s4, 1, v34
	s_xor_b32 s38, s4, -1
	s_mov_b32 s4, s5
	s_and_saveexec_b32 s37, s38
	s_cbranch_execz .LBB692_68
; %bb.67:
	v_cmp_gt_f64_e64 s4, v[0:1], v[4:5]
	s_and_b32 s4, s5, s4
	v_cndmask_b32_e64 v1, v5, v1, s4
	v_cndmask_b32_e64 v0, v4, v0, s4
	s_or_b32 s4, s5, exec_lo
.LBB692_68:
	s_or_b32 exec_lo, exec_lo, s37
	s_andn2_b32 s5, s5, exec_lo
	s_and_b32 s4, s4, exec_lo
	s_or_b32 s5, s5, s4
	s_or_b32 exec_lo, exec_lo, s17
	s_and_saveexec_b32 s17, s33
	s_cbranch_execnz .LBB692_41
.LBB692_69:
	s_or_b32 exec_lo, exec_lo, s17
	s_and_saveexec_b32 s17, s31
	s_cbranch_execz .LBB692_44
.LBB692_70:
	global_load_ubyte v34, v[98:99], off offset:256
	s_waitcnt vmcnt(0)
	v_and_b32_e32 v34, 1, v34
	v_cmp_eq_u32_e64 s4, 1, v34
	s_xor_b32 s38, s4, -1
	s_mov_b32 s4, s5
	s_and_saveexec_b32 s37, s38
	s_cbranch_execz .LBB692_72
; %bb.71:
	v_cmp_gt_f64_e64 s4, v[0:1], v[8:9]
	s_and_b32 s4, s5, s4
	v_cndmask_b32_e64 v1, v9, v1, s4
	v_cndmask_b32_e64 v0, v8, v0, s4
	s_or_b32 s4, s5, exec_lo
.LBB692_72:
	s_or_b32 exec_lo, exec_lo, s37
	s_andn2_b32 s5, s5, exec_lo
	s_and_b32 s4, s4, exec_lo
	s_or_b32 s5, s5, s4
	s_or_b32 exec_lo, exec_lo, s17
	s_and_saveexec_b32 s17, s30
	s_cbranch_execnz .LBB692_45
.LBB692_73:
	s_or_b32 exec_lo, exec_lo, s17
	s_and_saveexec_b32 s17, s29
	s_cbranch_execz .LBB692_48
.LBB692_74:
	global_load_ubyte v34, v[98:99], off offset:384
	s_waitcnt vmcnt(0)
	v_and_b32_e32 v34, 1, v34
	v_cmp_eq_u32_e64 s4, 1, v34
	s_xor_b32 s38, s4, -1
	s_mov_b32 s4, s5
	s_and_saveexec_b32 s37, s38
	s_cbranch_execz .LBB692_76
; %bb.75:
	v_cmp_gt_f64_e64 s4, v[0:1], v[12:13]
	s_and_b32 s4, s5, s4
	v_cndmask_b32_e64 v1, v13, v1, s4
	v_cndmask_b32_e64 v0, v12, v0, s4
	s_or_b32 s4, s5, exec_lo
.LBB692_76:
	s_or_b32 exec_lo, exec_lo, s37
	s_andn2_b32 s5, s5, exec_lo
	s_and_b32 s4, s4, exec_lo
	s_or_b32 s5, s5, s4
	s_or_b32 exec_lo, exec_lo, s17
	s_and_saveexec_b32 s17, s28
	s_cbranch_execnz .LBB692_49
.LBB692_77:
	s_or_b32 exec_lo, exec_lo, s17
	s_and_saveexec_b32 s17, s27
	s_cbranch_execz .LBB692_52
.LBB692_78:
	global_load_ubyte v34, v[98:99], off offset:512
	s_waitcnt vmcnt(0)
	v_and_b32_e32 v34, 1, v34
	v_cmp_eq_u32_e64 s4, 1, v34
	s_xor_b32 s38, s4, -1
	s_mov_b32 s4, s5
	s_and_saveexec_b32 s37, s38
	s_cbranch_execz .LBB692_80
; %bb.79:
	v_cmp_gt_f64_e64 s4, v[0:1], v[16:17]
	s_and_b32 s4, s5, s4
	v_cndmask_b32_e64 v1, v17, v1, s4
	v_cndmask_b32_e64 v0, v16, v0, s4
	s_or_b32 s4, s5, exec_lo
.LBB692_80:
	s_or_b32 exec_lo, exec_lo, s37
	s_andn2_b32 s5, s5, exec_lo
	s_and_b32 s4, s4, exec_lo
	s_or_b32 s5, s5, s4
	s_or_b32 exec_lo, exec_lo, s17
	s_and_saveexec_b32 s17, s26
	s_cbranch_execnz .LBB692_53
.LBB692_81:
	s_or_b32 exec_lo, exec_lo, s17
	s_and_saveexec_b32 s17, s25
	s_cbranch_execz .LBB692_56
.LBB692_82:
	global_load_ubyte v34, v[98:99], off offset:640
	s_waitcnt vmcnt(0)
	v_and_b32_e32 v34, 1, v34
	v_cmp_eq_u32_e64 s4, 1, v34
	s_xor_b32 s38, s4, -1
	s_mov_b32 s4, s5
	s_and_saveexec_b32 s37, s38
	s_cbranch_execz .LBB692_84
; %bb.83:
	v_cmp_gt_f64_e64 s4, v[0:1], v[20:21]
	s_and_b32 s4, s5, s4
	v_cndmask_b32_e64 v1, v21, v1, s4
	v_cndmask_b32_e64 v0, v20, v0, s4
	s_or_b32 s4, s5, exec_lo
.LBB692_84:
	s_or_b32 exec_lo, exec_lo, s37
	s_andn2_b32 s5, s5, exec_lo
	s_and_b32 s4, s4, exec_lo
	s_or_b32 s5, s5, s4
	s_or_b32 exec_lo, exec_lo, s17
	s_and_saveexec_b32 s17, s24
	s_cbranch_execnz .LBB692_57
.LBB692_85:
	s_or_b32 exec_lo, exec_lo, s17
	s_and_saveexec_b32 s17, s23
	s_cbranch_execz .LBB692_60
.LBB692_86:
	global_load_ubyte v34, v[98:99], off offset:768
	s_waitcnt vmcnt(0)
	v_and_b32_e32 v34, 1, v34
	v_cmp_eq_u32_e64 s4, 1, v34
	s_xor_b32 s38, s4, -1
	s_mov_b32 s4, s5
	s_and_saveexec_b32 s37, s38
	s_cbranch_execz .LBB692_88
; %bb.87:
	v_cmp_gt_f64_e64 s4, v[0:1], v[24:25]
	s_and_b32 s4, s5, s4
	v_cndmask_b32_e64 v1, v25, v1, s4
	v_cndmask_b32_e64 v0, v24, v0, s4
	s_or_b32 s4, s5, exec_lo
.LBB692_88:
	s_or_b32 exec_lo, exec_lo, s37
	s_andn2_b32 s5, s5, exec_lo
	s_and_b32 s4, s4, exec_lo
	s_or_b32 s5, s5, s4
	s_or_b32 exec_lo, exec_lo, s17
	s_and_saveexec_b32 s17, s22
	s_cbranch_execnz .LBB692_61
.LBB692_89:
	s_or_b32 exec_lo, exec_lo, s17
	s_and_saveexec_b32 s17, s19
	s_cbranch_execz .LBB692_64
.LBB692_90:
	global_load_ubyte v34, v[98:99], off offset:896
	s_waitcnt vmcnt(0)
	v_and_b32_e32 v34, 1, v34
	v_cmp_eq_u32_e64 s4, 1, v34
	s_xor_b32 s38, s4, -1
	s_mov_b32 s4, s5
	s_and_saveexec_b32 s37, s38
	s_cbranch_execz .LBB692_92
; %bb.91:
	v_cmp_gt_f64_e64 s4, v[0:1], v[28:29]
	s_and_b32 s4, s5, s4
	v_cndmask_b32_e64 v1, v29, v1, s4
	v_cndmask_b32_e64 v0, v28, v0, s4
	s_or_b32 s4, s5, exec_lo
.LBB692_92:
	s_or_b32 exec_lo, exec_lo, s37
	s_andn2_b32 s5, s5, exec_lo
	s_and_b32 s4, s4, exec_lo
	s_or_b32 s5, s5, s4
	s_or_b32 exec_lo, exec_lo, s17
	s_xor_b32 s17, s36, -1
	s_and_saveexec_b32 s36, s18
	s_cbranch_execz .LBB692_96
.LBB692_93:
	global_load_ubyte v34, v[98:99], off offset:960
	s_waitcnt vmcnt(0)
	v_and_b32_e32 v34, 1, v34
	v_cmp_eq_u32_e64 s4, 1, v34
	s_xor_b32 s38, s4, -1
	s_mov_b32 s4, s5
	s_and_saveexec_b32 s37, s38
	s_cbranch_execz .LBB692_95
; %bb.94:
	v_cmp_gt_f64_e64 s4, v[0:1], v[30:31]
	s_and_b32 s4, s5, s4
	v_cndmask_b32_e64 v1, v31, v1, s4
	v_cndmask_b32_e64 v0, v30, v0, s4
	s_or_b32 s4, s5, exec_lo
.LBB692_95:
	s_or_b32 exec_lo, exec_lo, s37
	s_andn2_b32 s5, s5, exec_lo
	s_and_b32 s4, s4, exec_lo
	s_or_b32 s5, s5, s4
.LBB692_96:
	s_or_b32 exec_lo, exec_lo, s36
	v_mbcnt_lo_u32_b32 v36, -1, 0
	v_cndmask_b32_e64 v0, 0, v0, s5
	v_cndmask_b32_e64 v1, 0xfff00000, v1, s5
	v_or_b32_e32 v34, 32, v36
	v_xor_b32_e32 v37, 16, v36
	v_cmp_gt_i32_e64 s4, 64, v34
	v_cmp_gt_i32_e64 s5, 64, v37
	v_cndmask_b32_e64 v34, v36, v34, s4
	v_cndmask_b32_e64 v37, v36, v37, s5
	v_lshlrev_b32_e32 v105, 2, v34
	v_lshlrev_b32_e32 v106, 2, v37
	v_xor_b32_e32 v37, 8, v36
	ds_bpermute_b32 v34, v105, v0
	ds_bpermute_b32 v35, v105, v1
	v_cmp_gt_i32_e64 s5, 64, v37
	v_cndmask_b32_e64 v37, v36, v37, s5
	v_lshlrev_b32_e32 v107, 2, v37
	v_xor_b32_e32 v37, 4, v36
	v_cmp_gt_i32_e64 s5, 64, v37
	s_waitcnt lgkmcnt(0)
	v_cmp_lt_f64_e64 s4, v[0:1], v[34:35]
	v_cndmask_b32_e64 v37, v36, v37, s5
	v_lshlrev_b32_e32 v108, 2, v37
	v_xor_b32_e32 v37, 2, v36
	v_cmp_gt_i32_e64 s5, 64, v37
	v_cndmask_b32_e64 v37, v36, v37, s5
	v_cndmask_b32_e64 v1, v1, v35, s4
	;; [unrolled: 1-line block ×3, first 2 shown]
	v_lshlrev_b32_e32 v109, 2, v37
	v_xor_b32_e32 v37, 1, v36
	ds_bpermute_b32 v35, v106, v1
	ds_bpermute_b32 v34, v106, v0
	v_cmp_gt_i32_e64 s5, 64, v37
	v_cndmask_b32_e64 v36, v36, v37, s5
	s_mov_b32 s5, 0
	v_lshlrev_b32_e32 v110, 2, v36
	s_waitcnt lgkmcnt(0)
	v_cmp_lt_f64_e64 s4, v[0:1], v[34:35]
	v_cndmask_b32_e64 v1, v1, v35, s4
	v_cndmask_b32_e64 v0, v0, v34, s4
	ds_bpermute_b32 v35, v107, v1
	ds_bpermute_b32 v34, v107, v0
	s_waitcnt lgkmcnt(0)
	v_cmp_lt_f64_e64 s4, v[0:1], v[34:35]
	v_cndmask_b32_e64 v1, v1, v35, s4
	v_cndmask_b32_e64 v0, v0, v34, s4
	ds_bpermute_b32 v35, v108, v1
	ds_bpermute_b32 v34, v108, v0
	s_waitcnt lgkmcnt(0)
	v_cmp_lt_f64_e64 s4, v[0:1], v[34:35]
	v_cndmask_b32_e64 v1, v1, v35, s4
	v_cndmask_b32_e64 v0, v0, v34, s4
	ds_bpermute_b32 v35, v109, v1
	ds_bpermute_b32 v34, v109, v0
	s_waitcnt lgkmcnt(0)
	v_cmp_lt_f64_e64 s4, v[0:1], v[34:35]
	v_cndmask_b32_e64 v1, v1, v35, s4
	v_cndmask_b32_e64 v0, v0, v34, s4
	ds_bpermute_b32 v35, v110, v1
	ds_bpermute_b32 v34, v110, v0
	s_waitcnt lgkmcnt(0)
	v_cmp_lt_f64_e64 s4, v[0:1], v[34:35]
	v_cndmask_b32_e64 v101, v1, v35, s4
	v_cndmask_b32_e64 v100, v0, v34, s4
	s_and_saveexec_b32 s4, s17
	s_xor_b32 s4, exec_lo, s4
; %bb.97:
	v_mov_b32_e32 v0, s5
	v_mov_b32_e32 v1, s5
                                        ; implicit-def: $vgpr32_vgpr33
; %bb.98:
	s_or_saveexec_b32 s17, s4
	v_mov_b32_e32 v102, 0
	v_mov_b32_e32 v103, 0
	s_xor_b32 s35, s35, -1
	s_xor_b32 exec_lo, exec_lo, s17
	s_cbranch_execz .LBB692_104
; %bb.99:
	global_load_ubyte v0, v[98:99], off
	v_mov_b32_e32 v1, s5
                                        ; implicit-def: $vgpr102_vgpr103
	s_waitcnt vmcnt(0)
	v_and_b32_e32 v0, 1, v0
	v_cmp_eq_u32_e64 s4, 1, v0
	v_mov_b32_e32 v0, s5
	s_xor_b32 s4, s4, -1
	s_and_saveexec_b32 s5, s4
	s_xor_b32 s36, exec_lo, s5
	s_cbranch_execz .LBB692_101
; %bb.100:
	v_add_f64 v[0:1], v[32:33], -v[100:101]
	s_mov_b32 s4, 0x652b82fe
	s_mov_b32 s5, 0x3ff71547
	;; [unrolled: 1-line block ×4, first 2 shown]
	v_mul_f64 v[32:33], v[0:1], s[4:5]
	s_mov_b32 s4, 0xfefa39ef
	s_mov_b32 s5, 0xbfe62e42
	v_rndne_f64_e32 v[32:33], v[32:33]
	v_fma_f64 v[34:35], v[32:33], s[4:5], v[0:1]
	s_mov_b32 s4, 0x3b39803f
	s_mov_b32 s5, 0xbc7abc9e
	v_cvt_i32_f64_e32 v38, v[32:33]
	v_fma_f64 v[34:35], v[32:33], s[4:5], v[34:35]
	s_mov_b32 s4, 0xfca7ab0c
	s_mov_b32 s5, 0x3e928af3
	v_fma_f64 v[36:37], v[34:35], s[38:39], s[4:5]
	s_mov_b32 s4, 0x623fde64
	s_mov_b32 s5, 0x3ec71dee
	;; [unrolled: 3-line block ×9, first 2 shown]
	v_fma_f64 v[36:37], v[34:35], v[36:37], s[4:5]
	v_cmp_nlt_f64_e64 s4, 0x40900000, v[0:1]
	v_cmp_ngt_f64_e64 s5, 0xc090cc00, v[0:1]
	v_fma_f64 v[36:37], v[34:35], v[36:37], 1.0
	v_fma_f64 v[32:33], v[34:35], v[36:37], 1.0
	v_ldexp_f64 v[32:33], v[32:33], v38
	v_cndmask_b32_e64 v33, 0x7ff00000, v33, s4
	s_and_b32 s4, s5, s4
	v_cndmask_b32_e64 v0, 0, v32, s4
	v_cndmask_b32_e64 v1, 0, v33, s5
	v_add_f64 v[102:103], v[0:1], 0
.LBB692_101:
	s_andn2_saveexec_b32 s4, s36
; %bb.102:
	v_mov_b32_e32 v102, 0
	v_mov_b32_e32 v103, 0
; %bb.103:
	s_or_b32 exec_lo, exec_lo, s4
.LBB692_104:
	s_or_b32 exec_lo, exec_lo, s17
                                        ; implicit-def: $vgpr32_vgpr33_vgpr34_vgpr35_vgpr36_vgpr37_vgpr38_vgpr39_vgpr40_vgpr41_vgpr42_vgpr43_vgpr44_vgpr45_vgpr46_vgpr47_vgpr48_vgpr49_vgpr50_vgpr51_vgpr52_vgpr53_vgpr54_vgpr55_vgpr56_vgpr57_vgpr58_vgpr59_vgpr60_vgpr61_vgpr62_vgpr63
	s_and_saveexec_b32 s4, s35
	s_xor_b32 s4, exec_lo, s4
	s_cbranch_execz .LBB692_134
; %bb.105:
	s_mov_b32 s5, 0
	v_mov_b32_e32 v2, s5
	v_mov_b32_e32 v3, s5
	;; [unrolled: 1-line block ×34, first 2 shown]
                                        ; implicit-def: $vgpr0_vgpr1_vgpr2_vgpr3_vgpr4_vgpr5_vgpr6_vgpr7_vgpr8_vgpr9_vgpr10_vgpr11_vgpr12_vgpr13_vgpr14_vgpr15_vgpr16_vgpr17_vgpr18_vgpr19_vgpr20_vgpr21_vgpr22_vgpr23_vgpr24_vgpr25_vgpr26_vgpr27_vgpr28_vgpr29_vgpr30_vgpr31
	s_or_saveexec_b32 s35, s4
	s_xor_b32 s17, s34, -1
	s_xor_b32 exec_lo, exec_lo, s35
	s_cbranch_execnz .LBB692_135
.LBB692_106:
	s_or_b32 exec_lo, exec_lo, s35
                                        ; implicit-def: $vgpr0_vgpr1_vgpr2_vgpr3_vgpr4_vgpr5_vgpr6_vgpr7_vgpr8_vgpr9_vgpr10_vgpr11_vgpr12_vgpr13_vgpr14_vgpr15_vgpr16_vgpr17_vgpr18_vgpr19_vgpr20_vgpr21_vgpr22_vgpr23_vgpr24_vgpr25_vgpr26_vgpr27_vgpr28_vgpr29_vgpr30_vgpr31
	s_and_saveexec_b32 s4, s17
	s_xor_b32 s4, exec_lo, s4
	s_cbranch_execz .LBB692_138
.LBB692_107:
	s_mov_b32 s5, 0
	v_mov_b32_e32 v36, s5
	v_mov_b32_e32 v37, s5
	;; [unrolled: 1-line block ×34, first 2 shown]
                                        ; implicit-def: $vgpr32_vgpr33_vgpr34_vgpr35_vgpr36_vgpr37_vgpr38_vgpr39_vgpr40_vgpr41_vgpr42_vgpr43_vgpr44_vgpr45_vgpr46_vgpr47_vgpr48_vgpr49_vgpr50_vgpr51_vgpr52_vgpr53_vgpr54_vgpr55_vgpr56_vgpr57_vgpr58_vgpr59_vgpr60_vgpr61_vgpr62_vgpr63
	s_or_saveexec_b32 s34, s4
	s_xor_b32 s17, s33, -1
	s_xor_b32 exec_lo, exec_lo, s34
	s_cbranch_execnz .LBB692_139
.LBB692_108:
	s_or_b32 exec_lo, exec_lo, s34
                                        ; implicit-def: $vgpr32_vgpr33_vgpr34_vgpr35_vgpr36_vgpr37_vgpr38_vgpr39_vgpr40_vgpr41_vgpr42_vgpr43_vgpr44_vgpr45_vgpr46_vgpr47_vgpr48_vgpr49_vgpr50_vgpr51_vgpr52_vgpr53_vgpr54_vgpr55_vgpr56_vgpr57_vgpr58_vgpr59_vgpr60_vgpr61_vgpr62_vgpr63
	s_and_saveexec_b32 s4, s17
	s_xor_b32 s4, exec_lo, s4
	s_cbranch_execz .LBB692_142
.LBB692_109:
	s_mov_b32 s5, 0
	v_mov_b32_e32 v6, s5
	v_mov_b32_e32 v7, s5
	;; [unrolled: 1-line block ×34, first 2 shown]
                                        ; implicit-def: $vgpr0_vgpr1_vgpr2_vgpr3_vgpr4_vgpr5_vgpr6_vgpr7_vgpr8_vgpr9_vgpr10_vgpr11_vgpr12_vgpr13_vgpr14_vgpr15_vgpr16_vgpr17_vgpr18_vgpr19_vgpr20_vgpr21_vgpr22_vgpr23_vgpr24_vgpr25_vgpr26_vgpr27_vgpr28_vgpr29_vgpr30_vgpr31
	s_or_saveexec_b32 s33, s4
	s_xor_b32 s17, s31, -1
	s_xor_b32 exec_lo, exec_lo, s33
	s_cbranch_execnz .LBB692_143
.LBB692_110:
	s_or_b32 exec_lo, exec_lo, s33
                                        ; implicit-def: $vgpr0_vgpr1_vgpr2_vgpr3_vgpr4_vgpr5_vgpr6_vgpr7_vgpr8_vgpr9_vgpr10_vgpr11_vgpr12_vgpr13_vgpr14_vgpr15_vgpr16_vgpr17_vgpr18_vgpr19_vgpr20_vgpr21_vgpr22_vgpr23_vgpr24_vgpr25_vgpr26_vgpr27_vgpr28_vgpr29_vgpr30_vgpr31
	s_and_saveexec_b32 s4, s17
	s_xor_b32 s4, exec_lo, s4
	s_cbranch_execz .LBB692_146
.LBB692_111:
	s_mov_b32 s5, 0
	v_mov_b32_e32 v40, s5
	v_mov_b32_e32 v41, s5
	;; [unrolled: 1-line block ×34, first 2 shown]
                                        ; implicit-def: $vgpr32_vgpr33_vgpr34_vgpr35_vgpr36_vgpr37_vgpr38_vgpr39_vgpr40_vgpr41_vgpr42_vgpr43_vgpr44_vgpr45_vgpr46_vgpr47_vgpr48_vgpr49_vgpr50_vgpr51_vgpr52_vgpr53_vgpr54_vgpr55_vgpr56_vgpr57_vgpr58_vgpr59_vgpr60_vgpr61_vgpr62_vgpr63
	s_or_saveexec_b32 s31, s4
	s_xor_b32 s17, s30, -1
	s_xor_b32 exec_lo, exec_lo, s31
	s_cbranch_execnz .LBB692_147
.LBB692_112:
	s_or_b32 exec_lo, exec_lo, s31
                                        ; implicit-def: $vgpr32_vgpr33_vgpr34_vgpr35_vgpr36_vgpr37_vgpr38_vgpr39_vgpr40_vgpr41_vgpr42_vgpr43_vgpr44_vgpr45_vgpr46_vgpr47_vgpr48_vgpr49_vgpr50_vgpr51_vgpr52_vgpr53_vgpr54_vgpr55_vgpr56_vgpr57_vgpr58_vgpr59_vgpr60_vgpr61_vgpr62_vgpr63
	s_and_saveexec_b32 s4, s17
	s_xor_b32 s4, exec_lo, s4
	s_cbranch_execz .LBB692_150
.LBB692_113:
	s_mov_b32 s5, 0
	v_mov_b32_e32 v10, s5
	v_mov_b32_e32 v11, s5
	;; [unrolled: 1-line block ×34, first 2 shown]
                                        ; implicit-def: $vgpr0_vgpr1_vgpr2_vgpr3_vgpr4_vgpr5_vgpr6_vgpr7_vgpr8_vgpr9_vgpr10_vgpr11_vgpr12_vgpr13_vgpr14_vgpr15_vgpr16_vgpr17_vgpr18_vgpr19_vgpr20_vgpr21_vgpr22_vgpr23_vgpr24_vgpr25_vgpr26_vgpr27_vgpr28_vgpr29_vgpr30_vgpr31
	s_or_saveexec_b32 s30, s4
	s_xor_b32 s17, s29, -1
	s_xor_b32 exec_lo, exec_lo, s30
	s_cbranch_execnz .LBB692_151
.LBB692_114:
	s_or_b32 exec_lo, exec_lo, s30
                                        ; implicit-def: $vgpr0_vgpr1_vgpr2_vgpr3_vgpr4_vgpr5_vgpr6_vgpr7_vgpr8_vgpr9_vgpr10_vgpr11_vgpr12_vgpr13_vgpr14_vgpr15_vgpr16_vgpr17_vgpr18_vgpr19_vgpr20_vgpr21_vgpr22_vgpr23_vgpr24_vgpr25_vgpr26_vgpr27_vgpr28_vgpr29_vgpr30_vgpr31
	s_and_saveexec_b32 s4, s17
	s_xor_b32 s4, exec_lo, s4
	s_cbranch_execz .LBB692_154
.LBB692_115:
	s_mov_b32 s5, 0
	v_mov_b32_e32 v44, s5
	v_mov_b32_e32 v45, s5
	;; [unrolled: 1-line block ×34, first 2 shown]
                                        ; implicit-def: $vgpr32_vgpr33_vgpr34_vgpr35_vgpr36_vgpr37_vgpr38_vgpr39_vgpr40_vgpr41_vgpr42_vgpr43_vgpr44_vgpr45_vgpr46_vgpr47_vgpr48_vgpr49_vgpr50_vgpr51_vgpr52_vgpr53_vgpr54_vgpr55_vgpr56_vgpr57_vgpr58_vgpr59_vgpr60_vgpr61_vgpr62_vgpr63
	s_or_saveexec_b32 s29, s4
	s_xor_b32 s17, s28, -1
	s_xor_b32 exec_lo, exec_lo, s29
	s_cbranch_execnz .LBB692_155
.LBB692_116:
	s_or_b32 exec_lo, exec_lo, s29
                                        ; implicit-def: $vgpr32_vgpr33_vgpr34_vgpr35_vgpr36_vgpr37_vgpr38_vgpr39_vgpr40_vgpr41_vgpr42_vgpr43_vgpr44_vgpr45_vgpr46_vgpr47_vgpr48_vgpr49_vgpr50_vgpr51_vgpr52_vgpr53_vgpr54_vgpr55_vgpr56_vgpr57_vgpr58_vgpr59_vgpr60_vgpr61_vgpr62_vgpr63
	s_and_saveexec_b32 s4, s17
	s_xor_b32 s4, exec_lo, s4
	s_cbranch_execz .LBB692_158
.LBB692_117:
	s_mov_b32 s5, 0
	v_mov_b32_e32 v14, s5
	v_mov_b32_e32 v15, s5
	;; [unrolled: 1-line block ×34, first 2 shown]
                                        ; implicit-def: $vgpr0_vgpr1_vgpr2_vgpr3_vgpr4_vgpr5_vgpr6_vgpr7_vgpr8_vgpr9_vgpr10_vgpr11_vgpr12_vgpr13_vgpr14_vgpr15_vgpr16_vgpr17_vgpr18_vgpr19_vgpr20_vgpr21_vgpr22_vgpr23_vgpr24_vgpr25_vgpr26_vgpr27_vgpr28_vgpr29_vgpr30_vgpr31
	s_or_saveexec_b32 s28, s4
	s_xor_b32 s17, s27, -1
	s_xor_b32 exec_lo, exec_lo, s28
	s_cbranch_execnz .LBB692_159
.LBB692_118:
	s_or_b32 exec_lo, exec_lo, s28
                                        ; implicit-def: $vgpr0_vgpr1_vgpr2_vgpr3_vgpr4_vgpr5_vgpr6_vgpr7_vgpr8_vgpr9_vgpr10_vgpr11_vgpr12_vgpr13_vgpr14_vgpr15_vgpr16_vgpr17_vgpr18_vgpr19_vgpr20_vgpr21_vgpr22_vgpr23_vgpr24_vgpr25_vgpr26_vgpr27_vgpr28_vgpr29_vgpr30_vgpr31
	s_and_saveexec_b32 s4, s17
	s_xor_b32 s4, exec_lo, s4
	s_cbranch_execz .LBB692_162
.LBB692_119:
	s_mov_b32 s5, 0
	v_mov_b32_e32 v48, s5
	v_mov_b32_e32 v49, s5
	;; [unrolled: 1-line block ×34, first 2 shown]
                                        ; implicit-def: $vgpr32_vgpr33_vgpr34_vgpr35_vgpr36_vgpr37_vgpr38_vgpr39_vgpr40_vgpr41_vgpr42_vgpr43_vgpr44_vgpr45_vgpr46_vgpr47_vgpr48_vgpr49_vgpr50_vgpr51_vgpr52_vgpr53_vgpr54_vgpr55_vgpr56_vgpr57_vgpr58_vgpr59_vgpr60_vgpr61_vgpr62_vgpr63
	s_or_saveexec_b32 s27, s4
	s_xor_b32 s17, s26, -1
	s_xor_b32 exec_lo, exec_lo, s27
	s_cbranch_execnz .LBB692_163
.LBB692_120:
	s_or_b32 exec_lo, exec_lo, s27
                                        ; implicit-def: $vgpr32_vgpr33_vgpr34_vgpr35_vgpr36_vgpr37_vgpr38_vgpr39_vgpr40_vgpr41_vgpr42_vgpr43_vgpr44_vgpr45_vgpr46_vgpr47_vgpr48_vgpr49_vgpr50_vgpr51_vgpr52_vgpr53_vgpr54_vgpr55_vgpr56_vgpr57_vgpr58_vgpr59_vgpr60_vgpr61_vgpr62_vgpr63
	s_and_saveexec_b32 s4, s17
	s_xor_b32 s4, exec_lo, s4
	s_cbranch_execz .LBB692_166
.LBB692_121:
	s_mov_b32 s5, 0
	v_mov_b32_e32 v18, s5
	v_mov_b32_e32 v19, s5
	;; [unrolled: 1-line block ×34, first 2 shown]
                                        ; implicit-def: $vgpr0_vgpr1_vgpr2_vgpr3_vgpr4_vgpr5_vgpr6_vgpr7_vgpr8_vgpr9_vgpr10_vgpr11_vgpr12_vgpr13_vgpr14_vgpr15_vgpr16_vgpr17_vgpr18_vgpr19_vgpr20_vgpr21_vgpr22_vgpr23_vgpr24_vgpr25_vgpr26_vgpr27_vgpr28_vgpr29_vgpr30_vgpr31
	s_or_saveexec_b32 s26, s4
	s_xor_b32 s17, s25, -1
	s_xor_b32 exec_lo, exec_lo, s26
	s_cbranch_execnz .LBB692_167
.LBB692_122:
	s_or_b32 exec_lo, exec_lo, s26
                                        ; implicit-def: $vgpr0_vgpr1_vgpr2_vgpr3_vgpr4_vgpr5_vgpr6_vgpr7_vgpr8_vgpr9_vgpr10_vgpr11_vgpr12_vgpr13_vgpr14_vgpr15_vgpr16_vgpr17_vgpr18_vgpr19_vgpr20_vgpr21_vgpr22_vgpr23_vgpr24_vgpr25_vgpr26_vgpr27_vgpr28_vgpr29_vgpr30_vgpr31
	s_and_saveexec_b32 s4, s17
	s_xor_b32 s4, exec_lo, s4
	s_cbranch_execz .LBB692_170
.LBB692_123:
	s_mov_b32 s5, 0
	v_mov_b32_e32 v52, s5
	v_mov_b32_e32 v53, s5
	;; [unrolled: 1-line block ×34, first 2 shown]
                                        ; implicit-def: $vgpr32_vgpr33_vgpr34_vgpr35_vgpr36_vgpr37_vgpr38_vgpr39_vgpr40_vgpr41_vgpr42_vgpr43_vgpr44_vgpr45_vgpr46_vgpr47_vgpr48_vgpr49_vgpr50_vgpr51_vgpr52_vgpr53_vgpr54_vgpr55_vgpr56_vgpr57_vgpr58_vgpr59_vgpr60_vgpr61_vgpr62_vgpr63
	s_or_saveexec_b32 s25, s4
	s_xor_b32 s17, s24, -1
	s_xor_b32 exec_lo, exec_lo, s25
	s_cbranch_execnz .LBB692_171
.LBB692_124:
	s_or_b32 exec_lo, exec_lo, s25
                                        ; implicit-def: $vgpr32_vgpr33_vgpr34_vgpr35_vgpr36_vgpr37_vgpr38_vgpr39_vgpr40_vgpr41_vgpr42_vgpr43_vgpr44_vgpr45_vgpr46_vgpr47_vgpr48_vgpr49_vgpr50_vgpr51_vgpr52_vgpr53_vgpr54_vgpr55_vgpr56_vgpr57_vgpr58_vgpr59_vgpr60_vgpr61_vgpr62_vgpr63
	s_and_saveexec_b32 s4, s17
	s_xor_b32 s4, exec_lo, s4
	s_cbranch_execz .LBB692_174
.LBB692_125:
	s_mov_b32 s5, 0
	v_mov_b32_e32 v22, s5
	v_mov_b32_e32 v23, s5
	;; [unrolled: 1-line block ×34, first 2 shown]
                                        ; implicit-def: $vgpr0_vgpr1_vgpr2_vgpr3_vgpr4_vgpr5_vgpr6_vgpr7_vgpr8_vgpr9_vgpr10_vgpr11_vgpr12_vgpr13_vgpr14_vgpr15_vgpr16_vgpr17_vgpr18_vgpr19_vgpr20_vgpr21_vgpr22_vgpr23_vgpr24_vgpr25_vgpr26_vgpr27_vgpr28_vgpr29_vgpr30_vgpr31
	s_or_saveexec_b32 s24, s4
	s_xor_b32 s17, s23, -1
	s_xor_b32 exec_lo, exec_lo, s24
	s_cbranch_execnz .LBB692_175
.LBB692_126:
	s_or_b32 exec_lo, exec_lo, s24
                                        ; implicit-def: $vgpr0_vgpr1_vgpr2_vgpr3_vgpr4_vgpr5_vgpr6_vgpr7_vgpr8_vgpr9_vgpr10_vgpr11_vgpr12_vgpr13_vgpr14_vgpr15_vgpr16_vgpr17_vgpr18_vgpr19_vgpr20_vgpr21_vgpr22_vgpr23_vgpr24_vgpr25_vgpr26_vgpr27_vgpr28_vgpr29_vgpr30_vgpr31
	s_and_saveexec_b32 s4, s17
	s_xor_b32 s4, exec_lo, s4
	s_cbranch_execz .LBB692_178
.LBB692_127:
	s_mov_b32 s5, 0
	v_mov_b32_e32 v56, s5
	v_mov_b32_e32 v57, s5
	v_mov_b32_e32 v0, v32
	v_mov_b32_e32 v1, v33
	v_mov_b32_e32 v2, v34
	v_mov_b32_e32 v3, v35
	v_mov_b32_e32 v4, v36
	v_mov_b32_e32 v5, v37
	v_mov_b32_e32 v6, v38
	v_mov_b32_e32 v7, v39
	v_mov_b32_e32 v8, v40
	v_mov_b32_e32 v9, v41
	v_mov_b32_e32 v10, v42
	v_mov_b32_e32 v11, v43
	v_mov_b32_e32 v12, v44
	v_mov_b32_e32 v13, v45
	v_mov_b32_e32 v14, v46
	v_mov_b32_e32 v15, v47
	v_mov_b32_e32 v16, v48
	v_mov_b32_e32 v17, v49
	v_mov_b32_e32 v18, v50
	v_mov_b32_e32 v19, v51
	v_mov_b32_e32 v20, v52
	v_mov_b32_e32 v21, v53
	v_mov_b32_e32 v22, v54
	v_mov_b32_e32 v23, v55
	v_mov_b32_e32 v24, v56
	v_mov_b32_e32 v25, v57
	v_mov_b32_e32 v26, v58
	v_mov_b32_e32 v27, v59
	v_mov_b32_e32 v28, v60
	v_mov_b32_e32 v29, v61
	v_mov_b32_e32 v30, v62
	v_mov_b32_e32 v31, v63
                                        ; implicit-def: $vgpr32_vgpr33_vgpr34_vgpr35_vgpr36_vgpr37_vgpr38_vgpr39_vgpr40_vgpr41_vgpr42_vgpr43_vgpr44_vgpr45_vgpr46_vgpr47_vgpr48_vgpr49_vgpr50_vgpr51_vgpr52_vgpr53_vgpr54_vgpr55_vgpr56_vgpr57_vgpr58_vgpr59_vgpr60_vgpr61_vgpr62_vgpr63
	s_or_saveexec_b32 s23, s4
	s_xor_b32 s17, s22, -1
	s_xor_b32 exec_lo, exec_lo, s23
	s_cbranch_execnz .LBB692_179
.LBB692_128:
	s_or_b32 exec_lo, exec_lo, s23
                                        ; implicit-def: $vgpr64_vgpr65_vgpr66_vgpr67_vgpr68_vgpr69_vgpr70_vgpr71_vgpr72_vgpr73_vgpr74_vgpr75_vgpr76_vgpr77_vgpr78_vgpr79_vgpr80_vgpr81_vgpr82_vgpr83_vgpr84_vgpr85_vgpr86_vgpr87_vgpr88_vgpr89_vgpr90_vgpr91_vgpr92_vgpr93_vgpr94_vgpr95
	s_and_saveexec_b32 s4, s17
	s_xor_b32 s4, exec_lo, s4
	s_cbranch_execz .LBB692_182
.LBB692_129:
	s_mov_b32 s5, 0
	v_mov_b32_e32 v26, s5
	v_mov_b32_e32 v27, s5
	;; [unrolled: 1-line block ×34, first 2 shown]
                                        ; implicit-def: $vgpr0_vgpr1_vgpr2_vgpr3_vgpr4_vgpr5_vgpr6_vgpr7_vgpr8_vgpr9_vgpr10_vgpr11_vgpr12_vgpr13_vgpr14_vgpr15_vgpr16_vgpr17_vgpr18_vgpr19_vgpr20_vgpr21_vgpr22_vgpr23_vgpr24_vgpr25_vgpr26_vgpr27_vgpr28_vgpr29_vgpr30_vgpr31
	s_or_saveexec_b32 s22, s4
	s_xor_b32 s17, s19, -1
	s_xor_b32 exec_lo, exec_lo, s22
	s_cbranch_execnz .LBB692_183
.LBB692_130:
	s_or_b32 exec_lo, exec_lo, s22
                                        ; implicit-def: $vgpr32_vgpr33_vgpr34_vgpr35_vgpr36_vgpr37_vgpr38_vgpr39_vgpr40_vgpr41_vgpr42_vgpr43_vgpr44_vgpr45_vgpr46_vgpr47_vgpr48_vgpr49_vgpr50_vgpr51_vgpr52_vgpr53_vgpr54_vgpr55_vgpr56_vgpr57_vgpr58_vgpr59_vgpr60_vgpr61_vgpr62_vgpr63
	s_and_saveexec_b32 s4, s17
	s_xor_b32 s4, exec_lo, s4
	s_cbranch_execz .LBB692_186
.LBB692_131:
	s_mov_b32 s5, 0
	v_mov_b32_e32 v92, s5
	v_mov_b32_e32 v93, s5
	;; [unrolled: 1-line block ×34, first 2 shown]
                                        ; implicit-def: $vgpr64_vgpr65_vgpr66_vgpr67_vgpr68_vgpr69_vgpr70_vgpr71_vgpr72_vgpr73_vgpr74_vgpr75_vgpr76_vgpr77_vgpr78_vgpr79_vgpr80_vgpr81_vgpr82_vgpr83_vgpr84_vgpr85_vgpr86_vgpr87_vgpr88_vgpr89_vgpr90_vgpr91_vgpr92_vgpr93_vgpr94_vgpr95
	s_or_saveexec_b32 s19, s4
	s_xor_b32 s17, s18, -1
	s_xor_b32 exec_lo, exec_lo, s19
	s_cbranch_execnz .LBB692_187
.LBB692_132:
	s_or_b32 exec_lo, exec_lo, s19
                                        ; implicit-def: $vgpr0_vgpr1_vgpr2_vgpr3_vgpr4_vgpr5_vgpr6_vgpr7_vgpr8_vgpr9_vgpr10_vgpr11_vgpr12_vgpr13_vgpr14_vgpr15_vgpr16_vgpr17_vgpr18_vgpr19_vgpr20_vgpr21_vgpr22_vgpr23_vgpr24_vgpr25_vgpr26_vgpr27_vgpr28_vgpr29_vgpr30_vgpr31
	s_and_saveexec_b32 s4, s17
	s_xor_b32 s4, exec_lo, s4
	s_cbranch_execz .LBB692_190
.LBB692_133:
	s_mov_b32 s5, 0
                                        ; implicit-def: $vgpr98_vgpr99
                                        ; implicit-def: $vgpr100_vgpr101
	v_mov_b32_e32 v62, s5
	v_mov_b32_e32 v63, s5
	;; [unrolled: 1-line block ×34, first 2 shown]
                                        ; implicit-def: $vgpr32_vgpr33_vgpr34_vgpr35_vgpr36_vgpr37_vgpr38_vgpr39_vgpr40_vgpr41_vgpr42_vgpr43_vgpr44_vgpr45_vgpr46_vgpr47_vgpr48_vgpr49_vgpr50_vgpr51_vgpr52_vgpr53_vgpr54_vgpr55_vgpr56_vgpr57_vgpr58_vgpr59_vgpr60_vgpr61_vgpr62_vgpr63
	s_andn2_saveexec_b32 s17, s4
	s_cbranch_execz .LBB692_194
	s_branch .LBB692_191
.LBB692_134:
	s_or_saveexec_b32 s35, s4
	s_xor_b32 s17, s34, -1
	s_xor_b32 exec_lo, exec_lo, s35
	s_cbranch_execz .LBB692_106
.LBB692_135:
	global_load_ubyte v32, v[98:99], off offset:64
	s_mov_b32 s5, 0
	s_waitcnt vmcnt(0)
	v_and_b32_e32 v32, 1, v32
	v_cmp_eq_u32_e64 s4, 1, v32
	v_mov_b32_e32 v63, v31
	v_mov_b32_e32 v35, v3
	;; [unrolled: 1-line block ×34, first 2 shown]
	s_xor_b32 s4, s4, -1
	s_and_saveexec_b32 s5, s4
	s_xor_b32 s34, exec_lo, s5
	s_cbranch_execz .LBB692_137
; %bb.136:
	v_add_f64 v[2:3], v[2:3], -v[100:101]
	s_mov_b32 s4, 0x652b82fe
	s_mov_b32 s5, 0x3ff71547
	;; [unrolled: 1-line block ×4, first 2 shown]
	v_mul_f64 v[32:33], v[2:3], s[4:5]
	s_mov_b32 s4, 0xfefa39ef
	s_mov_b32 s5, 0xbfe62e42
	v_rndne_f64_e32 v[32:33], v[32:33]
	v_fma_f64 v[34:35], v[32:33], s[4:5], v[2:3]
	s_mov_b32 s4, 0x3b39803f
	s_mov_b32 s5, 0xbc7abc9e
	v_cvt_i32_f64_e32 v38, v[32:33]
	v_fma_f64 v[34:35], v[32:33], s[4:5], v[34:35]
	s_mov_b32 s4, 0xfca7ab0c
	s_mov_b32 s5, 0x3e928af3
	v_fma_f64 v[36:37], v[34:35], s[36:37], s[4:5]
	s_mov_b32 s4, 0x623fde64
	s_mov_b32 s5, 0x3ec71dee
	;; [unrolled: 3-line block ×9, first 2 shown]
	v_fma_f64 v[36:37], v[34:35], v[36:37], s[4:5]
	v_cmp_nlt_f64_e64 s4, 0x40900000, v[2:3]
	v_cmp_ngt_f64_e64 s5, 0xc090cc00, v[2:3]
	v_fma_f64 v[36:37], v[34:35], v[36:37], 1.0
	v_fma_f64 v[32:33], v[34:35], v[36:37], 1.0
	v_ldexp_f64 v[32:33], v[32:33], v38
	v_cndmask_b32_e64 v33, 0x7ff00000, v33, s4
	s_and_b32 s4, s5, s4
	v_cndmask_b32_e64 v2, 0, v32, s4
	v_cndmask_b32_e64 v3, 0, v33, s5
	v_mov_b32_e32 v63, v31
	v_mov_b32_e32 v62, v30
	v_mov_b32_e32 v61, v29
	v_mov_b32_e32 v60, v28
	v_add_f64 v[102:103], v[102:103], v[2:3]
	v_mov_b32_e32 v59, v27
	v_mov_b32_e32 v58, v26
	;; [unrolled: 1-line block ×28, first 2 shown]
.LBB692_137:
	s_andn2_saveexec_b32 s4, s34
	s_or_b32 exec_lo, exec_lo, s4
	s_or_b32 exec_lo, exec_lo, s35
                                        ; implicit-def: $vgpr0_vgpr1_vgpr2_vgpr3_vgpr4_vgpr5_vgpr6_vgpr7_vgpr8_vgpr9_vgpr10_vgpr11_vgpr12_vgpr13_vgpr14_vgpr15_vgpr16_vgpr17_vgpr18_vgpr19_vgpr20_vgpr21_vgpr22_vgpr23_vgpr24_vgpr25_vgpr26_vgpr27_vgpr28_vgpr29_vgpr30_vgpr31
	s_and_saveexec_b32 s4, s17
	s_xor_b32 s4, exec_lo, s4
	s_cbranch_execnz .LBB692_107
.LBB692_138:
	s_or_saveexec_b32 s34, s4
	s_xor_b32 s17, s33, -1
	s_xor_b32 exec_lo, exec_lo, s34
	s_cbranch_execz .LBB692_108
.LBB692_139:
	global_load_ubyte v0, v[98:99], off offset:128
	s_mov_b32 s5, 0
	s_waitcnt vmcnt(0)
	v_and_b32_e32 v0, 1, v0
	v_cmp_eq_u32_e64 s4, 1, v0
	v_mov_b32_e32 v0, v32
	v_mov_b32_e32 v4, v36
	;; [unrolled: 1-line block ×34, first 2 shown]
	s_xor_b32 s4, s4, -1
	s_and_saveexec_b32 s5, s4
	s_xor_b32 s33, exec_lo, s5
	s_cbranch_execz .LBB692_141
; %bb.140:
	v_add_f64 v[0:1], v[36:37], -v[100:101]
	s_mov_b32 s4, 0x652b82fe
	s_mov_b32 s5, 0x3ff71547
	;; [unrolled: 1-line block ×4, first 2 shown]
	v_mul_f64 v[2:3], v[0:1], s[4:5]
	s_mov_b32 s4, 0xfefa39ef
	s_mov_b32 s5, 0xbfe62e42
	v_rndne_f64_e32 v[2:3], v[2:3]
	v_fma_f64 v[4:5], v[2:3], s[4:5], v[0:1]
	s_mov_b32 s4, 0x3b39803f
	s_mov_b32 s5, 0xbc7abc9e
	v_cvt_i32_f64_e32 v8, v[2:3]
	v_fma_f64 v[4:5], v[2:3], s[4:5], v[4:5]
	s_mov_b32 s4, 0xfca7ab0c
	s_mov_b32 s5, 0x3e928af3
	v_fma_f64 v[6:7], v[4:5], s[36:37], s[4:5]
	s_mov_b32 s4, 0x623fde64
	s_mov_b32 s5, 0x3ec71dee
	;; [unrolled: 3-line block ×9, first 2 shown]
	v_fma_f64 v[6:7], v[4:5], v[6:7], s[4:5]
	v_cmp_nlt_f64_e64 s4, 0x40900000, v[0:1]
	v_cmp_ngt_f64_e64 s5, 0xc090cc00, v[0:1]
	v_fma_f64 v[6:7], v[4:5], v[6:7], 1.0
	v_fma_f64 v[2:3], v[4:5], v[6:7], 1.0
	v_ldexp_f64 v[2:3], v[2:3], v8
	v_cndmask_b32_e64 v3, 0x7ff00000, v3, s4
	s_and_b32 s4, s5, s4
	v_cndmask_b32_e64 v36, 0, v2, s4
	v_cndmask_b32_e64 v37, 0, v3, s5
	v_mov_b32_e32 v0, v32
	v_mov_b32_e32 v1, v33
	;; [unrolled: 1-line block ×4, first 2 shown]
	v_add_f64 v[102:103], v[102:103], v[36:37]
	v_mov_b32_e32 v4, v36
	v_mov_b32_e32 v5, v37
	;; [unrolled: 1-line block ×28, first 2 shown]
.LBB692_141:
	s_andn2_saveexec_b32 s4, s33
	s_or_b32 exec_lo, exec_lo, s4
	s_or_b32 exec_lo, exec_lo, s34
                                        ; implicit-def: $vgpr32_vgpr33_vgpr34_vgpr35_vgpr36_vgpr37_vgpr38_vgpr39_vgpr40_vgpr41_vgpr42_vgpr43_vgpr44_vgpr45_vgpr46_vgpr47_vgpr48_vgpr49_vgpr50_vgpr51_vgpr52_vgpr53_vgpr54_vgpr55_vgpr56_vgpr57_vgpr58_vgpr59_vgpr60_vgpr61_vgpr62_vgpr63
	s_and_saveexec_b32 s4, s17
	s_xor_b32 s4, exec_lo, s4
	s_cbranch_execnz .LBB692_109
.LBB692_142:
	s_or_saveexec_b32 s33, s4
	s_xor_b32 s17, s31, -1
	s_xor_b32 exec_lo, exec_lo, s33
	s_cbranch_execz .LBB692_110
.LBB692_143:
	global_load_ubyte v32, v[98:99], off offset:192
	s_mov_b32 s5, 0
	s_waitcnt vmcnt(0)
	v_and_b32_e32 v32, 1, v32
	v_cmp_eq_u32_e64 s4, 1, v32
	v_mov_b32_e32 v63, v31
	v_mov_b32_e32 v39, v7
	;; [unrolled: 1-line block ×34, first 2 shown]
	s_xor_b32 s4, s4, -1
	s_and_saveexec_b32 s5, s4
	s_xor_b32 s31, exec_lo, s5
	s_cbranch_execz .LBB692_145
; %bb.144:
	v_add_f64 v[6:7], v[6:7], -v[100:101]
	s_mov_b32 s4, 0x652b82fe
	s_mov_b32 s5, 0x3ff71547
	;; [unrolled: 1-line block ×4, first 2 shown]
	v_mul_f64 v[32:33], v[6:7], s[4:5]
	s_mov_b32 s4, 0xfefa39ef
	s_mov_b32 s5, 0xbfe62e42
	v_rndne_f64_e32 v[32:33], v[32:33]
	v_fma_f64 v[34:35], v[32:33], s[4:5], v[6:7]
	s_mov_b32 s4, 0x3b39803f
	s_mov_b32 s5, 0xbc7abc9e
	v_cvt_i32_f64_e32 v38, v[32:33]
	v_fma_f64 v[34:35], v[32:33], s[4:5], v[34:35]
	s_mov_b32 s4, 0xfca7ab0c
	s_mov_b32 s5, 0x3e928af3
	v_fma_f64 v[36:37], v[34:35], s[34:35], s[4:5]
	s_mov_b32 s4, 0x623fde64
	s_mov_b32 s5, 0x3ec71dee
	;; [unrolled: 3-line block ×9, first 2 shown]
	v_fma_f64 v[36:37], v[34:35], v[36:37], s[4:5]
	v_cmp_nlt_f64_e64 s4, 0x40900000, v[6:7]
	v_cmp_ngt_f64_e64 s5, 0xc090cc00, v[6:7]
	v_fma_f64 v[36:37], v[34:35], v[36:37], 1.0
	v_fma_f64 v[32:33], v[34:35], v[36:37], 1.0
	v_ldexp_f64 v[32:33], v[32:33], v38
	v_cndmask_b32_e64 v33, 0x7ff00000, v33, s4
	s_and_b32 s4, s5, s4
	v_cndmask_b32_e64 v6, 0, v32, s4
	v_cndmask_b32_e64 v7, 0, v33, s5
	v_mov_b32_e32 v63, v31
	v_mov_b32_e32 v62, v30
	;; [unrolled: 1-line block ×4, first 2 shown]
	v_add_f64 v[102:103], v[102:103], v[6:7]
	v_mov_b32_e32 v59, v27
	v_mov_b32_e32 v58, v26
	;; [unrolled: 1-line block ×28, first 2 shown]
.LBB692_145:
	s_andn2_saveexec_b32 s4, s31
	s_or_b32 exec_lo, exec_lo, s4
	s_or_b32 exec_lo, exec_lo, s33
                                        ; implicit-def: $vgpr0_vgpr1_vgpr2_vgpr3_vgpr4_vgpr5_vgpr6_vgpr7_vgpr8_vgpr9_vgpr10_vgpr11_vgpr12_vgpr13_vgpr14_vgpr15_vgpr16_vgpr17_vgpr18_vgpr19_vgpr20_vgpr21_vgpr22_vgpr23_vgpr24_vgpr25_vgpr26_vgpr27_vgpr28_vgpr29_vgpr30_vgpr31
	s_and_saveexec_b32 s4, s17
	s_xor_b32 s4, exec_lo, s4
	s_cbranch_execnz .LBB692_111
.LBB692_146:
	s_or_saveexec_b32 s31, s4
	s_xor_b32 s17, s30, -1
	s_xor_b32 exec_lo, exec_lo, s31
	s_cbranch_execz .LBB692_112
.LBB692_147:
	global_load_ubyte v0, v[98:99], off offset:256
	s_mov_b32 s5, 0
	s_waitcnt vmcnt(0)
	v_and_b32_e32 v0, 1, v0
	v_cmp_eq_u32_e64 s4, 1, v0
	v_mov_b32_e32 v0, v32
	v_mov_b32_e32 v8, v40
	;; [unrolled: 1-line block ×34, first 2 shown]
	s_xor_b32 s4, s4, -1
	s_and_saveexec_b32 s5, s4
	s_xor_b32 s30, exec_lo, s5
	s_cbranch_execz .LBB692_149
; %bb.148:
	v_add_f64 v[0:1], v[40:41], -v[100:101]
	s_mov_b32 s4, 0x652b82fe
	s_mov_b32 s5, 0x3ff71547
	;; [unrolled: 1-line block ×4, first 2 shown]
	v_mul_f64 v[2:3], v[0:1], s[4:5]
	s_mov_b32 s4, 0xfefa39ef
	s_mov_b32 s5, 0xbfe62e42
	v_rndne_f64_e32 v[2:3], v[2:3]
	v_fma_f64 v[4:5], v[2:3], s[4:5], v[0:1]
	s_mov_b32 s4, 0x3b39803f
	s_mov_b32 s5, 0xbc7abc9e
	v_cvt_i32_f64_e32 v8, v[2:3]
	v_fma_f64 v[4:5], v[2:3], s[4:5], v[4:5]
	s_mov_b32 s4, 0xfca7ab0c
	s_mov_b32 s5, 0x3e928af3
	v_fma_f64 v[6:7], v[4:5], s[34:35], s[4:5]
	s_mov_b32 s4, 0x623fde64
	s_mov_b32 s5, 0x3ec71dee
	;; [unrolled: 3-line block ×9, first 2 shown]
	v_fma_f64 v[6:7], v[4:5], v[6:7], s[4:5]
	v_cmp_nlt_f64_e64 s4, 0x40900000, v[0:1]
	v_cmp_ngt_f64_e64 s5, 0xc090cc00, v[0:1]
	v_fma_f64 v[6:7], v[4:5], v[6:7], 1.0
	v_fma_f64 v[2:3], v[4:5], v[6:7], 1.0
	v_ldexp_f64 v[2:3], v[2:3], v8
	v_cndmask_b32_e64 v3, 0x7ff00000, v3, s4
	s_and_b32 s4, s5, s4
	v_cndmask_b32_e64 v40, 0, v2, s4
	v_cndmask_b32_e64 v41, 0, v3, s5
	v_mov_b32_e32 v0, v32
	v_mov_b32_e32 v1, v33
	;; [unrolled: 1-line block ×4, first 2 shown]
	v_add_f64 v[102:103], v[102:103], v[40:41]
	v_mov_b32_e32 v4, v36
	v_mov_b32_e32 v5, v37
	;; [unrolled: 1-line block ×28, first 2 shown]
.LBB692_149:
	s_andn2_saveexec_b32 s4, s30
	s_or_b32 exec_lo, exec_lo, s4
	s_or_b32 exec_lo, exec_lo, s31
                                        ; implicit-def: $vgpr32_vgpr33_vgpr34_vgpr35_vgpr36_vgpr37_vgpr38_vgpr39_vgpr40_vgpr41_vgpr42_vgpr43_vgpr44_vgpr45_vgpr46_vgpr47_vgpr48_vgpr49_vgpr50_vgpr51_vgpr52_vgpr53_vgpr54_vgpr55_vgpr56_vgpr57_vgpr58_vgpr59_vgpr60_vgpr61_vgpr62_vgpr63
	s_and_saveexec_b32 s4, s17
	s_xor_b32 s4, exec_lo, s4
	s_cbranch_execnz .LBB692_113
.LBB692_150:
	s_or_saveexec_b32 s30, s4
	s_xor_b32 s17, s29, -1
	s_xor_b32 exec_lo, exec_lo, s30
	s_cbranch_execz .LBB692_114
.LBB692_151:
	global_load_ubyte v32, v[98:99], off offset:320
	s_mov_b32 s5, 0
	s_waitcnt vmcnt(0)
	v_and_b32_e32 v32, 1, v32
	v_cmp_eq_u32_e64 s4, 1, v32
	v_mov_b32_e32 v63, v31
	v_mov_b32_e32 v43, v11
	;; [unrolled: 1-line block ×34, first 2 shown]
	s_xor_b32 s4, s4, -1
	s_and_saveexec_b32 s5, s4
	s_xor_b32 s29, exec_lo, s5
	s_cbranch_execz .LBB692_153
; %bb.152:
	v_add_f64 v[10:11], v[10:11], -v[100:101]
	s_mov_b32 s4, 0x652b82fe
	s_mov_b32 s5, 0x3ff71547
	;; [unrolled: 1-line block ×4, first 2 shown]
	v_mul_f64 v[32:33], v[10:11], s[4:5]
	s_mov_b32 s4, 0xfefa39ef
	s_mov_b32 s5, 0xbfe62e42
	v_rndne_f64_e32 v[32:33], v[32:33]
	v_fma_f64 v[34:35], v[32:33], s[4:5], v[10:11]
	s_mov_b32 s4, 0x3b39803f
	s_mov_b32 s5, 0xbc7abc9e
	v_cvt_i32_f64_e32 v38, v[32:33]
	v_fma_f64 v[34:35], v[32:33], s[4:5], v[34:35]
	s_mov_b32 s4, 0xfca7ab0c
	s_mov_b32 s5, 0x3e928af3
	v_fma_f64 v[36:37], v[34:35], s[34:35], s[4:5]
	s_mov_b32 s4, 0x623fde64
	s_mov_b32 s5, 0x3ec71dee
	;; [unrolled: 3-line block ×9, first 2 shown]
	v_fma_f64 v[36:37], v[34:35], v[36:37], s[4:5]
	v_cmp_nlt_f64_e64 s4, 0x40900000, v[10:11]
	v_cmp_ngt_f64_e64 s5, 0xc090cc00, v[10:11]
	v_fma_f64 v[36:37], v[34:35], v[36:37], 1.0
	v_fma_f64 v[32:33], v[34:35], v[36:37], 1.0
	v_ldexp_f64 v[32:33], v[32:33], v38
	v_cndmask_b32_e64 v33, 0x7ff00000, v33, s4
	s_and_b32 s4, s5, s4
	v_cndmask_b32_e64 v10, 0, v32, s4
	v_cndmask_b32_e64 v11, 0, v33, s5
	v_mov_b32_e32 v63, v31
	v_mov_b32_e32 v62, v30
	;; [unrolled: 1-line block ×4, first 2 shown]
	v_add_f64 v[102:103], v[102:103], v[10:11]
	v_mov_b32_e32 v59, v27
	v_mov_b32_e32 v58, v26
	;; [unrolled: 1-line block ×28, first 2 shown]
.LBB692_153:
	s_andn2_saveexec_b32 s4, s29
	s_or_b32 exec_lo, exec_lo, s4
	s_or_b32 exec_lo, exec_lo, s30
                                        ; implicit-def: $vgpr0_vgpr1_vgpr2_vgpr3_vgpr4_vgpr5_vgpr6_vgpr7_vgpr8_vgpr9_vgpr10_vgpr11_vgpr12_vgpr13_vgpr14_vgpr15_vgpr16_vgpr17_vgpr18_vgpr19_vgpr20_vgpr21_vgpr22_vgpr23_vgpr24_vgpr25_vgpr26_vgpr27_vgpr28_vgpr29_vgpr30_vgpr31
	s_and_saveexec_b32 s4, s17
	s_xor_b32 s4, exec_lo, s4
	s_cbranch_execnz .LBB692_115
.LBB692_154:
	s_or_saveexec_b32 s29, s4
	s_xor_b32 s17, s28, -1
	s_xor_b32 exec_lo, exec_lo, s29
	s_cbranch_execz .LBB692_116
.LBB692_155:
	global_load_ubyte v0, v[98:99], off offset:384
	s_mov_b32 s5, 0
	s_waitcnt vmcnt(0)
	v_and_b32_e32 v0, 1, v0
	v_cmp_eq_u32_e64 s4, 1, v0
	v_mov_b32_e32 v0, v32
	v_mov_b32_e32 v12, v44
	;; [unrolled: 1-line block ×34, first 2 shown]
	s_xor_b32 s4, s4, -1
	s_and_saveexec_b32 s5, s4
	s_xor_b32 s28, exec_lo, s5
	s_cbranch_execz .LBB692_157
; %bb.156:
	v_add_f64 v[0:1], v[44:45], -v[100:101]
	s_mov_b32 s4, 0x652b82fe
	s_mov_b32 s5, 0x3ff71547
	;; [unrolled: 1-line block ×4, first 2 shown]
	v_mul_f64 v[2:3], v[0:1], s[4:5]
	s_mov_b32 s4, 0xfefa39ef
	s_mov_b32 s5, 0xbfe62e42
	v_rndne_f64_e32 v[2:3], v[2:3]
	v_fma_f64 v[4:5], v[2:3], s[4:5], v[0:1]
	s_mov_b32 s4, 0x3b39803f
	s_mov_b32 s5, 0xbc7abc9e
	v_cvt_i32_f64_e32 v8, v[2:3]
	v_fma_f64 v[4:5], v[2:3], s[4:5], v[4:5]
	s_mov_b32 s4, 0xfca7ab0c
	s_mov_b32 s5, 0x3e928af3
	v_fma_f64 v[6:7], v[4:5], s[30:31], s[4:5]
	s_mov_b32 s4, 0x623fde64
	s_mov_b32 s5, 0x3ec71dee
	;; [unrolled: 3-line block ×9, first 2 shown]
	v_fma_f64 v[6:7], v[4:5], v[6:7], s[4:5]
	v_cmp_nlt_f64_e64 s4, 0x40900000, v[0:1]
	v_cmp_ngt_f64_e64 s5, 0xc090cc00, v[0:1]
	v_fma_f64 v[6:7], v[4:5], v[6:7], 1.0
	v_fma_f64 v[2:3], v[4:5], v[6:7], 1.0
	v_ldexp_f64 v[2:3], v[2:3], v8
	v_cndmask_b32_e64 v3, 0x7ff00000, v3, s4
	s_and_b32 s4, s5, s4
	v_cndmask_b32_e64 v44, 0, v2, s4
	v_cndmask_b32_e64 v45, 0, v3, s5
	v_mov_b32_e32 v0, v32
	v_mov_b32_e32 v1, v33
	;; [unrolled: 1-line block ×4, first 2 shown]
	v_add_f64 v[102:103], v[102:103], v[44:45]
	v_mov_b32_e32 v4, v36
	v_mov_b32_e32 v5, v37
	;; [unrolled: 1-line block ×28, first 2 shown]
.LBB692_157:
	s_andn2_saveexec_b32 s4, s28
	s_or_b32 exec_lo, exec_lo, s4
	s_or_b32 exec_lo, exec_lo, s29
                                        ; implicit-def: $vgpr32_vgpr33_vgpr34_vgpr35_vgpr36_vgpr37_vgpr38_vgpr39_vgpr40_vgpr41_vgpr42_vgpr43_vgpr44_vgpr45_vgpr46_vgpr47_vgpr48_vgpr49_vgpr50_vgpr51_vgpr52_vgpr53_vgpr54_vgpr55_vgpr56_vgpr57_vgpr58_vgpr59_vgpr60_vgpr61_vgpr62_vgpr63
	s_and_saveexec_b32 s4, s17
	s_xor_b32 s4, exec_lo, s4
	s_cbranch_execnz .LBB692_117
.LBB692_158:
	s_or_saveexec_b32 s28, s4
	s_xor_b32 s17, s27, -1
	s_xor_b32 exec_lo, exec_lo, s28
	s_cbranch_execz .LBB692_118
.LBB692_159:
	global_load_ubyte v32, v[98:99], off offset:448
	s_mov_b32 s5, 0
	s_waitcnt vmcnt(0)
	v_and_b32_e32 v32, 1, v32
	v_cmp_eq_u32_e64 s4, 1, v32
	v_mov_b32_e32 v63, v31
	v_mov_b32_e32 v47, v15
	;; [unrolled: 1-line block ×34, first 2 shown]
	s_xor_b32 s4, s4, -1
	s_and_saveexec_b32 s5, s4
	s_xor_b32 s27, exec_lo, s5
	s_cbranch_execz .LBB692_161
; %bb.160:
	v_add_f64 v[14:15], v[14:15], -v[100:101]
	s_mov_b32 s4, 0x652b82fe
	s_mov_b32 s5, 0x3ff71547
	;; [unrolled: 1-line block ×4, first 2 shown]
	v_mul_f64 v[32:33], v[14:15], s[4:5]
	s_mov_b32 s4, 0xfefa39ef
	s_mov_b32 s5, 0xbfe62e42
	v_rndne_f64_e32 v[32:33], v[32:33]
	v_fma_f64 v[34:35], v[32:33], s[4:5], v[14:15]
	s_mov_b32 s4, 0x3b39803f
	s_mov_b32 s5, 0xbc7abc9e
	v_cvt_i32_f64_e32 v38, v[32:33]
	v_fma_f64 v[34:35], v[32:33], s[4:5], v[34:35]
	s_mov_b32 s4, 0xfca7ab0c
	s_mov_b32 s5, 0x3e928af3
	v_fma_f64 v[36:37], v[34:35], s[30:31], s[4:5]
	s_mov_b32 s4, 0x623fde64
	s_mov_b32 s5, 0x3ec71dee
	;; [unrolled: 3-line block ×9, first 2 shown]
	v_fma_f64 v[36:37], v[34:35], v[36:37], s[4:5]
	v_cmp_nlt_f64_e64 s4, 0x40900000, v[14:15]
	v_cmp_ngt_f64_e64 s5, 0xc090cc00, v[14:15]
	v_fma_f64 v[36:37], v[34:35], v[36:37], 1.0
	v_fma_f64 v[32:33], v[34:35], v[36:37], 1.0
	v_ldexp_f64 v[32:33], v[32:33], v38
	v_cndmask_b32_e64 v33, 0x7ff00000, v33, s4
	s_and_b32 s4, s5, s4
	v_cndmask_b32_e64 v14, 0, v32, s4
	v_cndmask_b32_e64 v15, 0, v33, s5
	v_mov_b32_e32 v63, v31
	v_mov_b32_e32 v62, v30
	;; [unrolled: 1-line block ×4, first 2 shown]
	v_add_f64 v[102:103], v[102:103], v[14:15]
	v_mov_b32_e32 v59, v27
	v_mov_b32_e32 v58, v26
	;; [unrolled: 1-line block ×28, first 2 shown]
.LBB692_161:
	s_andn2_saveexec_b32 s4, s27
	s_or_b32 exec_lo, exec_lo, s4
	s_or_b32 exec_lo, exec_lo, s28
                                        ; implicit-def: $vgpr0_vgpr1_vgpr2_vgpr3_vgpr4_vgpr5_vgpr6_vgpr7_vgpr8_vgpr9_vgpr10_vgpr11_vgpr12_vgpr13_vgpr14_vgpr15_vgpr16_vgpr17_vgpr18_vgpr19_vgpr20_vgpr21_vgpr22_vgpr23_vgpr24_vgpr25_vgpr26_vgpr27_vgpr28_vgpr29_vgpr30_vgpr31
	s_and_saveexec_b32 s4, s17
	s_xor_b32 s4, exec_lo, s4
	s_cbranch_execnz .LBB692_119
.LBB692_162:
	s_or_saveexec_b32 s27, s4
	s_xor_b32 s17, s26, -1
	s_xor_b32 exec_lo, exec_lo, s27
	s_cbranch_execz .LBB692_120
.LBB692_163:
	global_load_ubyte v0, v[98:99], off offset:512
	s_mov_b32 s5, 0
	s_waitcnt vmcnt(0)
	v_and_b32_e32 v0, 1, v0
	v_cmp_eq_u32_e64 s4, 1, v0
	v_mov_b32_e32 v0, v32
	v_mov_b32_e32 v16, v48
	;; [unrolled: 1-line block ×34, first 2 shown]
	s_xor_b32 s4, s4, -1
	s_and_saveexec_b32 s5, s4
	s_xor_b32 s26, exec_lo, s5
	s_cbranch_execz .LBB692_165
; %bb.164:
	v_add_f64 v[0:1], v[48:49], -v[100:101]
	s_mov_b32 s4, 0x652b82fe
	s_mov_b32 s5, 0x3ff71547
	;; [unrolled: 1-line block ×4, first 2 shown]
	v_mul_f64 v[2:3], v[0:1], s[4:5]
	s_mov_b32 s4, 0xfefa39ef
	s_mov_b32 s5, 0xbfe62e42
	v_rndne_f64_e32 v[2:3], v[2:3]
	v_fma_f64 v[4:5], v[2:3], s[4:5], v[0:1]
	s_mov_b32 s4, 0x3b39803f
	s_mov_b32 s5, 0xbc7abc9e
	v_cvt_i32_f64_e32 v8, v[2:3]
	v_fma_f64 v[4:5], v[2:3], s[4:5], v[4:5]
	s_mov_b32 s4, 0xfca7ab0c
	s_mov_b32 s5, 0x3e928af3
	v_fma_f64 v[6:7], v[4:5], s[28:29], s[4:5]
	s_mov_b32 s4, 0x623fde64
	s_mov_b32 s5, 0x3ec71dee
	;; [unrolled: 3-line block ×9, first 2 shown]
	v_fma_f64 v[6:7], v[4:5], v[6:7], s[4:5]
	v_cmp_nlt_f64_e64 s4, 0x40900000, v[0:1]
	v_cmp_ngt_f64_e64 s5, 0xc090cc00, v[0:1]
	v_fma_f64 v[6:7], v[4:5], v[6:7], 1.0
	v_fma_f64 v[2:3], v[4:5], v[6:7], 1.0
	v_ldexp_f64 v[2:3], v[2:3], v8
	v_cndmask_b32_e64 v3, 0x7ff00000, v3, s4
	s_and_b32 s4, s5, s4
	v_cndmask_b32_e64 v48, 0, v2, s4
	v_cndmask_b32_e64 v49, 0, v3, s5
	v_mov_b32_e32 v0, v32
	v_mov_b32_e32 v1, v33
	;; [unrolled: 1-line block ×4, first 2 shown]
	v_add_f64 v[102:103], v[102:103], v[48:49]
	v_mov_b32_e32 v4, v36
	v_mov_b32_e32 v5, v37
	;; [unrolled: 1-line block ×28, first 2 shown]
.LBB692_165:
	s_andn2_saveexec_b32 s4, s26
	s_or_b32 exec_lo, exec_lo, s4
	s_or_b32 exec_lo, exec_lo, s27
                                        ; implicit-def: $vgpr32_vgpr33_vgpr34_vgpr35_vgpr36_vgpr37_vgpr38_vgpr39_vgpr40_vgpr41_vgpr42_vgpr43_vgpr44_vgpr45_vgpr46_vgpr47_vgpr48_vgpr49_vgpr50_vgpr51_vgpr52_vgpr53_vgpr54_vgpr55_vgpr56_vgpr57_vgpr58_vgpr59_vgpr60_vgpr61_vgpr62_vgpr63
	s_and_saveexec_b32 s4, s17
	s_xor_b32 s4, exec_lo, s4
	s_cbranch_execnz .LBB692_121
.LBB692_166:
	s_or_saveexec_b32 s26, s4
	s_xor_b32 s17, s25, -1
	s_xor_b32 exec_lo, exec_lo, s26
	s_cbranch_execz .LBB692_122
.LBB692_167:
	global_load_ubyte v32, v[98:99], off offset:576
	s_mov_b32 s5, 0
	s_waitcnt vmcnt(0)
	v_and_b32_e32 v32, 1, v32
	v_cmp_eq_u32_e64 s4, 1, v32
	v_mov_b32_e32 v63, v31
	v_mov_b32_e32 v51, v19
	;; [unrolled: 1-line block ×34, first 2 shown]
	s_xor_b32 s4, s4, -1
	s_and_saveexec_b32 s5, s4
	s_xor_b32 s25, exec_lo, s5
	s_cbranch_execz .LBB692_169
; %bb.168:
	v_add_f64 v[18:19], v[18:19], -v[100:101]
	s_mov_b32 s4, 0x652b82fe
	s_mov_b32 s5, 0x3ff71547
	s_mov_b32 s28, 0x6a5dcb37
	s_mov_b32 s29, 0x3e5ade15
	v_mul_f64 v[32:33], v[18:19], s[4:5]
	s_mov_b32 s4, 0xfefa39ef
	s_mov_b32 s5, 0xbfe62e42
	v_rndne_f64_e32 v[32:33], v[32:33]
	v_fma_f64 v[34:35], v[32:33], s[4:5], v[18:19]
	s_mov_b32 s4, 0x3b39803f
	s_mov_b32 s5, 0xbc7abc9e
	v_cvt_i32_f64_e32 v38, v[32:33]
	v_fma_f64 v[34:35], v[32:33], s[4:5], v[34:35]
	s_mov_b32 s4, 0xfca7ab0c
	s_mov_b32 s5, 0x3e928af3
	v_fma_f64 v[36:37], v[34:35], s[28:29], s[4:5]
	s_mov_b32 s4, 0x623fde64
	s_mov_b32 s5, 0x3ec71dee
	;; [unrolled: 3-line block ×9, first 2 shown]
	v_fma_f64 v[36:37], v[34:35], v[36:37], s[4:5]
	v_cmp_nlt_f64_e64 s4, 0x40900000, v[18:19]
	v_cmp_ngt_f64_e64 s5, 0xc090cc00, v[18:19]
	v_fma_f64 v[36:37], v[34:35], v[36:37], 1.0
	v_fma_f64 v[32:33], v[34:35], v[36:37], 1.0
	v_ldexp_f64 v[32:33], v[32:33], v38
	v_cndmask_b32_e64 v33, 0x7ff00000, v33, s4
	s_and_b32 s4, s5, s4
	v_cndmask_b32_e64 v18, 0, v32, s4
	v_cndmask_b32_e64 v19, 0, v33, s5
	v_mov_b32_e32 v63, v31
	v_mov_b32_e32 v62, v30
	;; [unrolled: 1-line block ×4, first 2 shown]
	v_add_f64 v[102:103], v[102:103], v[18:19]
	v_mov_b32_e32 v59, v27
	v_mov_b32_e32 v58, v26
	;; [unrolled: 1-line block ×28, first 2 shown]
.LBB692_169:
	s_andn2_saveexec_b32 s4, s25
	s_or_b32 exec_lo, exec_lo, s4
	s_or_b32 exec_lo, exec_lo, s26
                                        ; implicit-def: $vgpr0_vgpr1_vgpr2_vgpr3_vgpr4_vgpr5_vgpr6_vgpr7_vgpr8_vgpr9_vgpr10_vgpr11_vgpr12_vgpr13_vgpr14_vgpr15_vgpr16_vgpr17_vgpr18_vgpr19_vgpr20_vgpr21_vgpr22_vgpr23_vgpr24_vgpr25_vgpr26_vgpr27_vgpr28_vgpr29_vgpr30_vgpr31
	s_and_saveexec_b32 s4, s17
	s_xor_b32 s4, exec_lo, s4
	s_cbranch_execnz .LBB692_123
.LBB692_170:
	s_or_saveexec_b32 s25, s4
	s_xor_b32 s17, s24, -1
	s_xor_b32 exec_lo, exec_lo, s25
	s_cbranch_execz .LBB692_124
.LBB692_171:
	global_load_ubyte v0, v[98:99], off offset:640
	s_mov_b32 s5, 0
	s_waitcnt vmcnt(0)
	v_and_b32_e32 v0, 1, v0
	v_cmp_eq_u32_e64 s4, 1, v0
	v_mov_b32_e32 v0, v32
	v_mov_b32_e32 v20, v52
	;; [unrolled: 1-line block ×34, first 2 shown]
	s_xor_b32 s4, s4, -1
	s_and_saveexec_b32 s5, s4
	s_xor_b32 s24, exec_lo, s5
	s_cbranch_execz .LBB692_173
; %bb.172:
	v_add_f64 v[0:1], v[52:53], -v[100:101]
	s_mov_b32 s4, 0x652b82fe
	s_mov_b32 s5, 0x3ff71547
	;; [unrolled: 1-line block ×4, first 2 shown]
	v_mul_f64 v[2:3], v[0:1], s[4:5]
	s_mov_b32 s4, 0xfefa39ef
	s_mov_b32 s5, 0xbfe62e42
	v_rndne_f64_e32 v[2:3], v[2:3]
	v_fma_f64 v[4:5], v[2:3], s[4:5], v[0:1]
	s_mov_b32 s4, 0x3b39803f
	s_mov_b32 s5, 0xbc7abc9e
	v_cvt_i32_f64_e32 v8, v[2:3]
	v_fma_f64 v[4:5], v[2:3], s[4:5], v[4:5]
	s_mov_b32 s4, 0xfca7ab0c
	s_mov_b32 s5, 0x3e928af3
	v_fma_f64 v[6:7], v[4:5], s[26:27], s[4:5]
	s_mov_b32 s4, 0x623fde64
	s_mov_b32 s5, 0x3ec71dee
	;; [unrolled: 3-line block ×9, first 2 shown]
	v_fma_f64 v[6:7], v[4:5], v[6:7], s[4:5]
	v_cmp_nlt_f64_e64 s4, 0x40900000, v[0:1]
	v_cmp_ngt_f64_e64 s5, 0xc090cc00, v[0:1]
	v_fma_f64 v[6:7], v[4:5], v[6:7], 1.0
	v_fma_f64 v[2:3], v[4:5], v[6:7], 1.0
	v_ldexp_f64 v[2:3], v[2:3], v8
	v_cndmask_b32_e64 v3, 0x7ff00000, v3, s4
	s_and_b32 s4, s5, s4
	v_cndmask_b32_e64 v52, 0, v2, s4
	v_cndmask_b32_e64 v53, 0, v3, s5
	v_mov_b32_e32 v0, v32
	v_mov_b32_e32 v1, v33
	;; [unrolled: 1-line block ×4, first 2 shown]
	v_add_f64 v[102:103], v[102:103], v[52:53]
	v_mov_b32_e32 v4, v36
	v_mov_b32_e32 v5, v37
	;; [unrolled: 1-line block ×28, first 2 shown]
.LBB692_173:
	s_andn2_saveexec_b32 s4, s24
	s_or_b32 exec_lo, exec_lo, s4
	s_or_b32 exec_lo, exec_lo, s25
                                        ; implicit-def: $vgpr32_vgpr33_vgpr34_vgpr35_vgpr36_vgpr37_vgpr38_vgpr39_vgpr40_vgpr41_vgpr42_vgpr43_vgpr44_vgpr45_vgpr46_vgpr47_vgpr48_vgpr49_vgpr50_vgpr51_vgpr52_vgpr53_vgpr54_vgpr55_vgpr56_vgpr57_vgpr58_vgpr59_vgpr60_vgpr61_vgpr62_vgpr63
	s_and_saveexec_b32 s4, s17
	s_xor_b32 s4, exec_lo, s4
	s_cbranch_execnz .LBB692_125
.LBB692_174:
	s_or_saveexec_b32 s24, s4
	s_xor_b32 s17, s23, -1
	s_xor_b32 exec_lo, exec_lo, s24
	s_cbranch_execz .LBB692_126
.LBB692_175:
	global_load_ubyte v32, v[98:99], off offset:704
	s_mov_b32 s5, 0
	s_waitcnt vmcnt(0)
	v_and_b32_e32 v32, 1, v32
	v_cmp_eq_u32_e64 s4, 1, v32
	v_mov_b32_e32 v63, v31
	v_mov_b32_e32 v55, v23
	;; [unrolled: 1-line block ×34, first 2 shown]
	s_xor_b32 s4, s4, -1
	s_and_saveexec_b32 s5, s4
	s_xor_b32 s23, exec_lo, s5
	s_cbranch_execz .LBB692_177
; %bb.176:
	v_add_f64 v[22:23], v[22:23], -v[100:101]
	s_mov_b32 s4, 0x652b82fe
	s_mov_b32 s5, 0x3ff71547
	;; [unrolled: 1-line block ×4, first 2 shown]
	v_mul_f64 v[32:33], v[22:23], s[4:5]
	s_mov_b32 s4, 0xfefa39ef
	s_mov_b32 s5, 0xbfe62e42
	v_rndne_f64_e32 v[32:33], v[32:33]
	v_fma_f64 v[34:35], v[32:33], s[4:5], v[22:23]
	s_mov_b32 s4, 0x3b39803f
	s_mov_b32 s5, 0xbc7abc9e
	v_cvt_i32_f64_e32 v38, v[32:33]
	v_fma_f64 v[34:35], v[32:33], s[4:5], v[34:35]
	s_mov_b32 s4, 0xfca7ab0c
	s_mov_b32 s5, 0x3e928af3
	v_fma_f64 v[36:37], v[34:35], s[26:27], s[4:5]
	s_mov_b32 s4, 0x623fde64
	s_mov_b32 s5, 0x3ec71dee
	v_fma_f64 v[36:37], v[34:35], v[36:37], s[4:5]
	s_mov_b32 s4, 0x7c89e6b0
	s_mov_b32 s5, 0x3efa0199
	v_fma_f64 v[36:37], v[34:35], v[36:37], s[4:5]
	s_mov_b32 s4, 0x14761f6e
	s_mov_b32 s5, 0x3f2a01a0
	v_fma_f64 v[36:37], v[34:35], v[36:37], s[4:5]
	s_mov_b32 s4, 0x1852b7b0
	s_mov_b32 s5, 0x3f56c16c
	v_fma_f64 v[36:37], v[34:35], v[36:37], s[4:5]
	s_mov_b32 s4, 0x11122322
	s_mov_b32 s5, 0x3f811111
	v_fma_f64 v[36:37], v[34:35], v[36:37], s[4:5]
	s_mov_b32 s4, 0x555502a1
	s_mov_b32 s5, 0x3fa55555
	v_fma_f64 v[36:37], v[34:35], v[36:37], s[4:5]
	s_mov_b32 s4, 0x55555511
	s_mov_b32 s5, 0x3fc55555
	v_fma_f64 v[36:37], v[34:35], v[36:37], s[4:5]
	s_mov_b32 s4, 11
	s_mov_b32 s5, 0x3fe00000
	v_fma_f64 v[36:37], v[34:35], v[36:37], s[4:5]
	v_cmp_nlt_f64_e64 s4, 0x40900000, v[22:23]
	v_cmp_ngt_f64_e64 s5, 0xc090cc00, v[22:23]
	v_fma_f64 v[36:37], v[34:35], v[36:37], 1.0
	v_fma_f64 v[32:33], v[34:35], v[36:37], 1.0
	v_ldexp_f64 v[32:33], v[32:33], v38
	v_cndmask_b32_e64 v33, 0x7ff00000, v33, s4
	s_and_b32 s4, s5, s4
	v_cndmask_b32_e64 v22, 0, v32, s4
	v_cndmask_b32_e64 v23, 0, v33, s5
	v_mov_b32_e32 v63, v31
	v_mov_b32_e32 v62, v30
	;; [unrolled: 1-line block ×4, first 2 shown]
	v_add_f64 v[102:103], v[102:103], v[22:23]
	v_mov_b32_e32 v59, v27
	v_mov_b32_e32 v58, v26
	;; [unrolled: 1-line block ×28, first 2 shown]
.LBB692_177:
	s_andn2_saveexec_b32 s4, s23
	s_or_b32 exec_lo, exec_lo, s4
	s_or_b32 exec_lo, exec_lo, s24
                                        ; implicit-def: $vgpr0_vgpr1_vgpr2_vgpr3_vgpr4_vgpr5_vgpr6_vgpr7_vgpr8_vgpr9_vgpr10_vgpr11_vgpr12_vgpr13_vgpr14_vgpr15_vgpr16_vgpr17_vgpr18_vgpr19_vgpr20_vgpr21_vgpr22_vgpr23_vgpr24_vgpr25_vgpr26_vgpr27_vgpr28_vgpr29_vgpr30_vgpr31
	s_and_saveexec_b32 s4, s17
	s_xor_b32 s4, exec_lo, s4
	s_cbranch_execnz .LBB692_127
.LBB692_178:
	s_or_saveexec_b32 s23, s4
	s_xor_b32 s17, s22, -1
	s_xor_b32 exec_lo, exec_lo, s23
	s_cbranch_execz .LBB692_128
.LBB692_179:
	global_load_ubyte v0, v[98:99], off offset:768
	s_mov_b32 s5, 0
	s_waitcnt vmcnt(0)
	v_and_b32_e32 v0, 1, v0
	v_cmp_eq_u32_e64 s4, 1, v0
	v_mov_b32_e32 v0, v32
	v_mov_b32_e32 v24, v56
	;; [unrolled: 1-line block ×34, first 2 shown]
	s_xor_b32 s4, s4, -1
	s_and_saveexec_b32 s5, s4
	s_xor_b32 s22, exec_lo, s5
	s_cbranch_execz .LBB692_181
; %bb.180:
	v_add_f64 v[0:1], v[56:57], -v[100:101]
	s_mov_b32 s4, 0x652b82fe
	s_mov_b32 s5, 0x3ff71547
	;; [unrolled: 1-line block ×4, first 2 shown]
	v_mul_f64 v[2:3], v[0:1], s[4:5]
	s_mov_b32 s4, 0xfefa39ef
	s_mov_b32 s5, 0xbfe62e42
	v_rndne_f64_e32 v[2:3], v[2:3]
	v_fma_f64 v[4:5], v[2:3], s[4:5], v[0:1]
	s_mov_b32 s4, 0x3b39803f
	s_mov_b32 s5, 0xbc7abc9e
	v_cvt_i32_f64_e32 v8, v[2:3]
	v_fma_f64 v[4:5], v[2:3], s[4:5], v[4:5]
	s_mov_b32 s4, 0xfca7ab0c
	s_mov_b32 s5, 0x3e928af3
	v_fma_f64 v[6:7], v[4:5], s[24:25], s[4:5]
	s_mov_b32 s4, 0x623fde64
	s_mov_b32 s5, 0x3ec71dee
	;; [unrolled: 3-line block ×9, first 2 shown]
	v_fma_f64 v[6:7], v[4:5], v[6:7], s[4:5]
	v_cmp_nlt_f64_e64 s4, 0x40900000, v[0:1]
	v_cmp_ngt_f64_e64 s5, 0xc090cc00, v[0:1]
	v_fma_f64 v[6:7], v[4:5], v[6:7], 1.0
	v_fma_f64 v[2:3], v[4:5], v[6:7], 1.0
	v_ldexp_f64 v[2:3], v[2:3], v8
	v_cndmask_b32_e64 v3, 0x7ff00000, v3, s4
	s_and_b32 s4, s5, s4
	v_cndmask_b32_e64 v56, 0, v2, s4
	v_cndmask_b32_e64 v57, 0, v3, s5
	v_mov_b32_e32 v0, v32
	v_mov_b32_e32 v1, v33
	;; [unrolled: 1-line block ×4, first 2 shown]
	v_add_f64 v[102:103], v[102:103], v[56:57]
	v_mov_b32_e32 v4, v36
	v_mov_b32_e32 v5, v37
	;; [unrolled: 1-line block ×28, first 2 shown]
.LBB692_181:
	s_andn2_saveexec_b32 s4, s22
	s_or_b32 exec_lo, exec_lo, s4
	s_or_b32 exec_lo, exec_lo, s23
                                        ; implicit-def: $vgpr64_vgpr65_vgpr66_vgpr67_vgpr68_vgpr69_vgpr70_vgpr71_vgpr72_vgpr73_vgpr74_vgpr75_vgpr76_vgpr77_vgpr78_vgpr79_vgpr80_vgpr81_vgpr82_vgpr83_vgpr84_vgpr85_vgpr86_vgpr87_vgpr88_vgpr89_vgpr90_vgpr91_vgpr92_vgpr93_vgpr94_vgpr95
	s_and_saveexec_b32 s4, s17
	s_xor_b32 s4, exec_lo, s4
	s_cbranch_execnz .LBB692_129
.LBB692_182:
	s_or_saveexec_b32 s22, s4
	s_xor_b32 s17, s19, -1
	s_xor_b32 exec_lo, exec_lo, s22
	s_cbranch_execz .LBB692_130
.LBB692_183:
	global_load_ubyte v32, v[98:99], off offset:832
	s_mov_b32 s5, 0
	v_mov_b32_e32 v95, v31
	v_mov_b32_e32 v91, v27
	;; [unrolled: 1-line block ×34, first 2 shown]
	s_waitcnt vmcnt(0)
	v_and_b32_e32 v32, 1, v32
	v_cmp_eq_u32_e64 s4, 1, v32
	s_xor_b32 s4, s4, -1
	s_and_saveexec_b32 s5, s4
	s_xor_b32 s19, exec_lo, s5
	s_cbranch_execz .LBB692_185
; %bb.184:
	v_add_f64 v[26:27], v[26:27], -v[100:101]
	s_mov_b32 s4, 0x652b82fe
	s_mov_b32 s5, 0x3ff71547
	;; [unrolled: 1-line block ×4, first 2 shown]
	v_mul_f64 v[32:33], v[26:27], s[4:5]
	s_mov_b32 s4, 0xfefa39ef
	s_mov_b32 s5, 0xbfe62e42
	v_rndne_f64_e32 v[32:33], v[32:33]
	v_fma_f64 v[34:35], v[32:33], s[4:5], v[26:27]
	s_mov_b32 s4, 0x3b39803f
	s_mov_b32 s5, 0xbc7abc9e
	v_cvt_i32_f64_e32 v38, v[32:33]
	v_fma_f64 v[34:35], v[32:33], s[4:5], v[34:35]
	s_mov_b32 s4, 0xfca7ab0c
	s_mov_b32 s5, 0x3e928af3
	v_fma_f64 v[36:37], v[34:35], s[24:25], s[4:5]
	s_mov_b32 s4, 0x623fde64
	s_mov_b32 s5, 0x3ec71dee
	;; [unrolled: 3-line block ×9, first 2 shown]
	v_fma_f64 v[36:37], v[34:35], v[36:37], s[4:5]
	v_cmp_nlt_f64_e64 s4, 0x40900000, v[26:27]
	v_cmp_ngt_f64_e64 s5, 0xc090cc00, v[26:27]
	v_fma_f64 v[36:37], v[34:35], v[36:37], 1.0
	v_fma_f64 v[32:33], v[34:35], v[36:37], 1.0
	v_ldexp_f64 v[32:33], v[32:33], v38
	v_cndmask_b32_e64 v33, 0x7ff00000, v33, s4
	s_and_b32 s4, s5, s4
	v_cndmask_b32_e64 v26, 0, v32, s4
	v_cndmask_b32_e64 v27, 0, v33, s5
	v_mov_b32_e32 v95, v31
	v_mov_b32_e32 v94, v30
	;; [unrolled: 1-line block ×4, first 2 shown]
	v_add_f64 v[102:103], v[102:103], v[26:27]
	v_mov_b32_e32 v91, v27
	v_mov_b32_e32 v90, v26
	;; [unrolled: 1-line block ×28, first 2 shown]
.LBB692_185:
	s_andn2_saveexec_b32 s4, s19
	s_or_b32 exec_lo, exec_lo, s4
	s_or_b32 exec_lo, exec_lo, s22
                                        ; implicit-def: $vgpr32_vgpr33_vgpr34_vgpr35_vgpr36_vgpr37_vgpr38_vgpr39_vgpr40_vgpr41_vgpr42_vgpr43_vgpr44_vgpr45_vgpr46_vgpr47_vgpr48_vgpr49_vgpr50_vgpr51_vgpr52_vgpr53_vgpr54_vgpr55_vgpr56_vgpr57_vgpr58_vgpr59_vgpr60_vgpr61_vgpr62_vgpr63
	s_and_saveexec_b32 s4, s17
	s_xor_b32 s4, exec_lo, s4
	s_cbranch_execnz .LBB692_131
.LBB692_186:
	s_or_saveexec_b32 s19, s4
	s_xor_b32 s17, s18, -1
	s_xor_b32 exec_lo, exec_lo, s19
	s_cbranch_execz .LBB692_132
.LBB692_187:
	global_load_ubyte v0, v[98:99], off offset:896
	s_mov_b32 s5, 0
	v_mov_b32_e32 v32, v64
	v_mov_b32_e32 v60, v92
	;; [unrolled: 1-line block ×34, first 2 shown]
	s_waitcnt vmcnt(0)
	v_and_b32_e32 v0, 1, v0
	v_cmp_eq_u32_e64 s4, 1, v0
	s_xor_b32 s4, s4, -1
	s_and_saveexec_b32 s5, s4
	s_xor_b32 s18, exec_lo, s5
	s_cbranch_execz .LBB692_189
; %bb.188:
	v_add_f64 v[0:1], v[92:93], -v[100:101]
	s_mov_b32 s4, 0x652b82fe
	s_mov_b32 s5, 0x3ff71547
	;; [unrolled: 1-line block ×4, first 2 shown]
	v_mul_f64 v[2:3], v[0:1], s[4:5]
	s_mov_b32 s4, 0xfefa39ef
	s_mov_b32 s5, 0xbfe62e42
	v_rndne_f64_e32 v[2:3], v[2:3]
	v_fma_f64 v[4:5], v[2:3], s[4:5], v[0:1]
	s_mov_b32 s4, 0x3b39803f
	s_mov_b32 s5, 0xbc7abc9e
	v_cvt_i32_f64_e32 v8, v[2:3]
	v_fma_f64 v[4:5], v[2:3], s[4:5], v[4:5]
	s_mov_b32 s4, 0xfca7ab0c
	s_mov_b32 s5, 0x3e928af3
	v_fma_f64 v[6:7], v[4:5], s[22:23], s[4:5]
	s_mov_b32 s4, 0x623fde64
	s_mov_b32 s5, 0x3ec71dee
	v_fma_f64 v[6:7], v[4:5], v[6:7], s[4:5]
	s_mov_b32 s4, 0x7c89e6b0
	s_mov_b32 s5, 0x3efa0199
	v_fma_f64 v[6:7], v[4:5], v[6:7], s[4:5]
	s_mov_b32 s4, 0x14761f6e
	s_mov_b32 s5, 0x3f2a01a0
	v_fma_f64 v[6:7], v[4:5], v[6:7], s[4:5]
	s_mov_b32 s4, 0x1852b7b0
	s_mov_b32 s5, 0x3f56c16c
	v_fma_f64 v[6:7], v[4:5], v[6:7], s[4:5]
	s_mov_b32 s4, 0x11122322
	s_mov_b32 s5, 0x3f811111
	v_fma_f64 v[6:7], v[4:5], v[6:7], s[4:5]
	s_mov_b32 s4, 0x555502a1
	s_mov_b32 s5, 0x3fa55555
	v_fma_f64 v[6:7], v[4:5], v[6:7], s[4:5]
	s_mov_b32 s4, 0x55555511
	s_mov_b32 s5, 0x3fc55555
	v_fma_f64 v[6:7], v[4:5], v[6:7], s[4:5]
	s_mov_b32 s4, 11
	s_mov_b32 s5, 0x3fe00000
	v_fma_f64 v[6:7], v[4:5], v[6:7], s[4:5]
	v_cmp_nlt_f64_e64 s4, 0x40900000, v[0:1]
	v_cmp_ngt_f64_e64 s5, 0xc090cc00, v[0:1]
	v_fma_f64 v[6:7], v[4:5], v[6:7], 1.0
	v_fma_f64 v[2:3], v[4:5], v[6:7], 1.0
	v_ldexp_f64 v[2:3], v[2:3], v8
	v_cndmask_b32_e64 v3, 0x7ff00000, v3, s4
	s_and_b32 s4, s5, s4
	v_cndmask_b32_e64 v92, 0, v2, s4
	v_cndmask_b32_e64 v93, 0, v3, s5
	v_mov_b32_e32 v32, v64
	v_mov_b32_e32 v33, v65
	;; [unrolled: 1-line block ×4, first 2 shown]
	v_add_f64 v[102:103], v[102:103], v[92:93]
	v_mov_b32_e32 v36, v68
	v_mov_b32_e32 v37, v69
	;; [unrolled: 1-line block ×28, first 2 shown]
.LBB692_189:
	s_andn2_saveexec_b32 s4, s18
	s_or_b32 exec_lo, exec_lo, s4
	s_or_b32 exec_lo, exec_lo, s19
                                        ; implicit-def: $vgpr0_vgpr1_vgpr2_vgpr3_vgpr4_vgpr5_vgpr6_vgpr7_vgpr8_vgpr9_vgpr10_vgpr11_vgpr12_vgpr13_vgpr14_vgpr15_vgpr16_vgpr17_vgpr18_vgpr19_vgpr20_vgpr21_vgpr22_vgpr23_vgpr24_vgpr25_vgpr26_vgpr27_vgpr28_vgpr29_vgpr30_vgpr31
	s_and_saveexec_b32 s4, s17
	s_xor_b32 s4, exec_lo, s4
	s_cbranch_execnz .LBB692_133
.LBB692_190:
	s_andn2_saveexec_b32 s17, s4
	s_cbranch_execz .LBB692_194
.LBB692_191:
	global_load_ubyte v0, v[98:99], off offset:960
	s_mov_b32 s5, 0
	s_waitcnt vmcnt(0)
	v_and_b32_e32 v0, 1, v0
	v_cmp_eq_u32_e64 s4, 1, v0
	v_mov_b32_e32 v0, v32
	v_mov_b32_e32 v30, v62
	;; [unrolled: 1-line block ×34, first 2 shown]
	s_xor_b32 s4, s4, -1
	s_and_saveexec_b32 s5, s4
	s_xor_b32 s18, exec_lo, s5
	s_cbranch_execz .LBB692_193
; %bb.192:
	v_add_f64 v[0:1], v[62:63], -v[100:101]
	s_mov_b32 s4, 0x652b82fe
	s_mov_b32 s5, 0x3ff71547
	;; [unrolled: 1-line block ×4, first 2 shown]
	v_mul_f64 v[2:3], v[0:1], s[4:5]
	s_mov_b32 s4, 0xfefa39ef
	s_mov_b32 s5, 0xbfe62e42
	v_rndne_f64_e32 v[2:3], v[2:3]
	v_fma_f64 v[4:5], v[2:3], s[4:5], v[0:1]
	s_mov_b32 s4, 0x3b39803f
	s_mov_b32 s5, 0xbc7abc9e
	v_cvt_i32_f64_e32 v8, v[2:3]
	v_fma_f64 v[4:5], v[2:3], s[4:5], v[4:5]
	s_mov_b32 s4, 0xfca7ab0c
	s_mov_b32 s5, 0x3e928af3
	v_fma_f64 v[6:7], v[4:5], s[22:23], s[4:5]
	s_mov_b32 s4, 0x623fde64
	s_mov_b32 s5, 0x3ec71dee
	;; [unrolled: 3-line block ×9, first 2 shown]
	v_fma_f64 v[6:7], v[4:5], v[6:7], s[4:5]
	v_cmp_nlt_f64_e64 s4, 0x40900000, v[0:1]
	v_cmp_ngt_f64_e64 s5, 0xc090cc00, v[0:1]
	v_fma_f64 v[6:7], v[4:5], v[6:7], 1.0
	v_fma_f64 v[2:3], v[4:5], v[6:7], 1.0
	v_ldexp_f64 v[2:3], v[2:3], v8
	v_cndmask_b32_e64 v3, 0x7ff00000, v3, s4
	s_and_b32 s4, s5, s4
	v_cndmask_b32_e64 v62, 0, v2, s4
	v_cndmask_b32_e64 v63, 0, v3, s5
	v_mov_b32_e32 v0, v32
	v_mov_b32_e32 v1, v33
	;; [unrolled: 1-line block ×4, first 2 shown]
	v_add_f64 v[102:103], v[102:103], v[62:63]
	v_mov_b32_e32 v4, v36
	v_mov_b32_e32 v5, v37
	;; [unrolled: 1-line block ×28, first 2 shown]
.LBB692_193:
	s_andn2_saveexec_b32 s4, s18
	s_or_b32 exec_lo, exec_lo, s4
.LBB692_194:
	s_or_b32 exec_lo, exec_lo, s17
	ds_bpermute_b32 v32, v105, v102
	ds_bpermute_b32 v33, v105, v103
	s_mov_b32 s5, exec_lo
	s_waitcnt lgkmcnt(0)
	v_add_f64 v[32:33], v[102:103], v[32:33]
	ds_bpermute_b32 v34, v106, v32
	ds_bpermute_b32 v35, v106, v33
	s_waitcnt lgkmcnt(0)
	v_add_f64 v[32:33], v[32:33], v[34:35]
	ds_bpermute_b32 v34, v107, v32
	ds_bpermute_b32 v35, v107, v33
	;; [unrolled: 4-line block ×5, first 2 shown]
	v_cmpx_lt_i32_e32 0, v104
	s_cbranch_execz .LBB692_244
; %bb.195:
	s_and_b32 exec_lo, exec_lo, vcc_lo
	s_cbranch_execz .LBB692_244
; %bb.196:
	s_waitcnt lgkmcnt(0)
	v_add_f64 v[32:33], v[32:33], v[34:35]
	v_mov_b32_e32 v34, 0
	v_mov_b32_e32 v35, 0x7ff80000
	v_cmp_neq_f64_e64 s4, 0, v[32:33]
	s_and_saveexec_b32 s5, s4
	s_cbranch_execz .LBB692_198
; %bb.197:
	v_div_scale_f64 v[34:35], null, v[32:33], v[32:33], v[0:1]
	v_rcp_f64_e32 v[36:37], v[34:35]
	v_fma_f64 v[38:39], -v[34:35], v[36:37], 1.0
	v_fma_f64 v[36:37], v[36:37], v[38:39], v[36:37]
	v_fma_f64 v[38:39], -v[34:35], v[36:37], 1.0
	v_fma_f64 v[36:37], v[36:37], v[38:39], v[36:37]
	v_div_scale_f64 v[38:39], vcc_lo, v[0:1], v[32:33], v[0:1]
	v_mul_f64 v[40:41], v[38:39], v[36:37]
	v_fma_f64 v[34:35], -v[34:35], v[40:41], v[38:39]
	v_div_fmas_f64 v[34:35], v[34:35], v[36:37], v[40:41]
	v_div_fixup_f64 v[34:35], v[34:35], v[32:33], v[0:1]
.LBB692_198:
	s_or_b32 exec_lo, exec_lo, s5
	v_add_co_u32 v0, vcc_lo, s20, v96
	v_add_co_ci_u32_e64 v1, null, s21, v97, vcc_lo
	global_store_dwordx2 v[0:1], v[34:35], off
	s_and_b32 exec_lo, exec_lo, s16
	s_cbranch_execz .LBB692_244
; %bb.199:
	v_mov_b32_e32 v34, 0
	v_mov_b32_e32 v35, 0x7ff80000
	s_and_saveexec_b32 s5, s4
	s_cbranch_execz .LBB692_201
; %bb.200:
	v_div_scale_f64 v[34:35], null, v[32:33], v[32:33], v[2:3]
	v_rcp_f64_e32 v[36:37], v[34:35]
	v_fma_f64 v[38:39], -v[34:35], v[36:37], 1.0
	v_fma_f64 v[36:37], v[36:37], v[38:39], v[36:37]
	v_fma_f64 v[38:39], -v[34:35], v[36:37], 1.0
	v_fma_f64 v[36:37], v[36:37], v[38:39], v[36:37]
	v_div_scale_f64 v[38:39], vcc_lo, v[2:3], v[32:33], v[2:3]
	v_mul_f64 v[40:41], v[38:39], v[36:37]
	v_fma_f64 v[34:35], -v[34:35], v[40:41], v[38:39]
	v_div_fmas_f64 v[34:35], v[34:35], v[36:37], v[40:41]
	v_div_fixup_f64 v[34:35], v[34:35], v[32:33], v[2:3]
.LBB692_201:
	s_or_b32 exec_lo, exec_lo, s5
	global_store_dwordx2 v[0:1], v[34:35], off offset:512
	s_and_b32 exec_lo, exec_lo, s15
	s_cbranch_execz .LBB692_244
; %bb.202:
	v_mov_b32_e32 v2, 0
	v_mov_b32_e32 v3, 0x7ff80000
	s_and_saveexec_b32 s5, s4
	s_cbranch_execz .LBB692_204
; %bb.203:
	v_div_scale_f64 v[2:3], null, v[32:33], v[32:33], v[4:5]
	v_rcp_f64_e32 v[34:35], v[2:3]
	v_fma_f64 v[36:37], -v[2:3], v[34:35], 1.0
	v_fma_f64 v[34:35], v[34:35], v[36:37], v[34:35]
	v_fma_f64 v[36:37], -v[2:3], v[34:35], 1.0
	v_fma_f64 v[34:35], v[34:35], v[36:37], v[34:35]
	v_div_scale_f64 v[36:37], vcc_lo, v[4:5], v[32:33], v[4:5]
	v_mul_f64 v[38:39], v[36:37], v[34:35]
	v_fma_f64 v[2:3], -v[2:3], v[38:39], v[36:37]
	v_div_fmas_f64 v[2:3], v[2:3], v[34:35], v[38:39]
	v_div_fixup_f64 v[2:3], v[2:3], v[32:33], v[4:5]
.LBB692_204:
	s_or_b32 exec_lo, exec_lo, s5
	global_store_dwordx2 v[0:1], v[2:3], off offset:1024
	;; [unrolled: 22-line block ×3, first 2 shown]
	s_and_b32 exec_lo, exec_lo, s13
	s_cbranch_execz .LBB692_244
; %bb.208:
	v_mov_b32_e32 v4, 0
	v_mov_b32_e32 v5, 0x7ff80000
	s_and_saveexec_b32 s5, s4
	s_cbranch_execz .LBB692_210
; %bb.209:
	v_div_scale_f64 v[2:3], null, v[32:33], v[32:33], v[8:9]
	v_rcp_f64_e32 v[4:5], v[2:3]
	v_fma_f64 v[6:7], -v[2:3], v[4:5], 1.0
	v_fma_f64 v[4:5], v[4:5], v[6:7], v[4:5]
	v_fma_f64 v[6:7], -v[2:3], v[4:5], 1.0
	v_fma_f64 v[4:5], v[4:5], v[6:7], v[4:5]
	v_div_scale_f64 v[6:7], vcc_lo, v[8:9], v[32:33], v[8:9]
	v_mul_f64 v[34:35], v[6:7], v[4:5]
	v_fma_f64 v[2:3], -v[2:3], v[34:35], v[6:7]
	v_div_fmas_f64 v[2:3], v[2:3], v[4:5], v[34:35]
	v_div_fixup_f64 v[4:5], v[2:3], v[32:33], v[8:9]
.LBB692_210:
	s_or_b32 exec_lo, exec_lo, s5
	v_add_co_u32 v2, vcc_lo, 0x800, v0
	v_add_co_ci_u32_e64 v3, null, 0, v1, vcc_lo
	global_store_dwordx2 v[2:3], v[4:5], off
	s_and_b32 exec_lo, exec_lo, s12
	s_cbranch_execz .LBB692_244
; %bb.211:
	v_mov_b32_e32 v4, 0
	v_mov_b32_e32 v5, 0x7ff80000
	s_and_saveexec_b32 s5, s4
	s_cbranch_execz .LBB692_213
; %bb.212:
	v_div_scale_f64 v[4:5], null, v[32:33], v[32:33], v[10:11]
	v_rcp_f64_e32 v[6:7], v[4:5]
	v_fma_f64 v[8:9], -v[4:5], v[6:7], 1.0
	v_fma_f64 v[6:7], v[6:7], v[8:9], v[6:7]
	v_fma_f64 v[8:9], -v[4:5], v[6:7], 1.0
	v_fma_f64 v[6:7], v[6:7], v[8:9], v[6:7]
	v_div_scale_f64 v[8:9], vcc_lo, v[10:11], v[32:33], v[10:11]
	v_mul_f64 v[34:35], v[8:9], v[6:7]
	v_fma_f64 v[4:5], -v[4:5], v[34:35], v[8:9]
	v_div_fmas_f64 v[4:5], v[4:5], v[6:7], v[34:35]
	v_div_fixup_f64 v[4:5], v[4:5], v[32:33], v[10:11]
.LBB692_213:
	s_or_b32 exec_lo, exec_lo, s5
	global_store_dwordx2 v[2:3], v[4:5], off offset:512
	s_and_b32 exec_lo, exec_lo, s11
	s_cbranch_execz .LBB692_244
; %bb.214:
	v_mov_b32_e32 v4, 0
	v_mov_b32_e32 v5, 0x7ff80000
	s_and_saveexec_b32 s5, s4
	s_cbranch_execz .LBB692_216
; %bb.215:
	v_div_scale_f64 v[4:5], null, v[32:33], v[32:33], v[12:13]
	v_rcp_f64_e32 v[6:7], v[4:5]
	v_fma_f64 v[8:9], -v[4:5], v[6:7], 1.0
	v_fma_f64 v[6:7], v[6:7], v[8:9], v[6:7]
	v_fma_f64 v[8:9], -v[4:5], v[6:7], 1.0
	v_fma_f64 v[6:7], v[6:7], v[8:9], v[6:7]
	v_div_scale_f64 v[8:9], vcc_lo, v[12:13], v[32:33], v[12:13]
	v_mul_f64 v[10:11], v[8:9], v[6:7]
	v_fma_f64 v[4:5], -v[4:5], v[10:11], v[8:9]
	v_div_fmas_f64 v[4:5], v[4:5], v[6:7], v[10:11]
	v_div_fixup_f64 v[4:5], v[4:5], v[32:33], v[12:13]
.LBB692_216:
	s_or_b32 exec_lo, exec_lo, s5
	global_store_dwordx2 v[2:3], v[4:5], off offset:1024
	;; [unrolled: 22-line block ×3, first 2 shown]
	s_and_b32 exec_lo, exec_lo, s9
	s_cbranch_execz .LBB692_244
; %bb.220:
	v_mov_b32_e32 v4, 0
	v_mov_b32_e32 v5, 0x7ff80000
	s_and_saveexec_b32 s5, s4
	s_cbranch_execz .LBB692_222
; %bb.221:
	v_div_scale_f64 v[2:3], null, v[32:33], v[32:33], v[16:17]
	v_rcp_f64_e32 v[4:5], v[2:3]
	v_fma_f64 v[6:7], -v[2:3], v[4:5], 1.0
	v_fma_f64 v[4:5], v[4:5], v[6:7], v[4:5]
	v_fma_f64 v[6:7], -v[2:3], v[4:5], 1.0
	v_fma_f64 v[4:5], v[4:5], v[6:7], v[4:5]
	v_div_scale_f64 v[6:7], vcc_lo, v[16:17], v[32:33], v[16:17]
	v_mul_f64 v[8:9], v[6:7], v[4:5]
	v_fma_f64 v[2:3], -v[2:3], v[8:9], v[6:7]
	v_div_fmas_f64 v[2:3], v[2:3], v[4:5], v[8:9]
	v_div_fixup_f64 v[4:5], v[2:3], v[32:33], v[16:17]
.LBB692_222:
	s_or_b32 exec_lo, exec_lo, s5
	v_add_co_u32 v2, vcc_lo, 0x1000, v0
	v_add_co_ci_u32_e64 v3, null, 0, v1, vcc_lo
	global_store_dwordx2 v[2:3], v[4:5], off
	s_and_b32 exec_lo, exec_lo, s8
	s_cbranch_execz .LBB692_244
; %bb.223:
	v_mov_b32_e32 v4, 0
	v_mov_b32_e32 v5, 0x7ff80000
	s_and_saveexec_b32 s5, s4
	s_cbranch_execz .LBB692_225
; %bb.224:
	v_div_scale_f64 v[4:5], null, v[32:33], v[32:33], v[18:19]
	v_rcp_f64_e32 v[6:7], v[4:5]
	v_fma_f64 v[8:9], -v[4:5], v[6:7], 1.0
	v_fma_f64 v[6:7], v[6:7], v[8:9], v[6:7]
	v_fma_f64 v[8:9], -v[4:5], v[6:7], 1.0
	v_fma_f64 v[6:7], v[6:7], v[8:9], v[6:7]
	v_div_scale_f64 v[8:9], vcc_lo, v[18:19], v[32:33], v[18:19]
	v_mul_f64 v[10:11], v[8:9], v[6:7]
	v_fma_f64 v[4:5], -v[4:5], v[10:11], v[8:9]
	v_div_fmas_f64 v[4:5], v[4:5], v[6:7], v[10:11]
	v_div_fixup_f64 v[4:5], v[4:5], v[32:33], v[18:19]
.LBB692_225:
	s_or_b32 exec_lo, exec_lo, s5
	global_store_dwordx2 v[2:3], v[4:5], off offset:512
	s_and_b32 exec_lo, exec_lo, s7
	s_cbranch_execz .LBB692_244
; %bb.226:
	v_mov_b32_e32 v4, 0
	v_mov_b32_e32 v5, 0x7ff80000
	s_and_saveexec_b32 s5, s4
	s_cbranch_execz .LBB692_228
; %bb.227:
	v_div_scale_f64 v[4:5], null, v[32:33], v[32:33], v[20:21]
	v_rcp_f64_e32 v[6:7], v[4:5]
	v_fma_f64 v[8:9], -v[4:5], v[6:7], 1.0
	v_fma_f64 v[6:7], v[6:7], v[8:9], v[6:7]
	v_fma_f64 v[8:9], -v[4:5], v[6:7], 1.0
	v_fma_f64 v[6:7], v[6:7], v[8:9], v[6:7]
	v_div_scale_f64 v[8:9], vcc_lo, v[20:21], v[32:33], v[20:21]
	v_mul_f64 v[10:11], v[8:9], v[6:7]
	v_fma_f64 v[4:5], -v[4:5], v[10:11], v[8:9]
	v_div_fmas_f64 v[4:5], v[4:5], v[6:7], v[10:11]
	v_div_fixup_f64 v[4:5], v[4:5], v[32:33], v[20:21]
.LBB692_228:
	s_or_b32 exec_lo, exec_lo, s5
	global_store_dwordx2 v[2:3], v[4:5], off offset:1024
	;; [unrolled: 22-line block ×3, first 2 shown]
	s_and_b32 exec_lo, exec_lo, s3
	s_cbranch_execz .LBB692_244
; %bb.232:
	v_mov_b32_e32 v2, 0
	v_mov_b32_e32 v3, 0x7ff80000
	s_and_saveexec_b32 s3, s4
	s_cbranch_execz .LBB692_234
; %bb.233:
	v_div_scale_f64 v[2:3], null, v[32:33], v[32:33], v[24:25]
	v_rcp_f64_e32 v[4:5], v[2:3]
	v_fma_f64 v[6:7], -v[2:3], v[4:5], 1.0
	v_fma_f64 v[4:5], v[4:5], v[6:7], v[4:5]
	v_fma_f64 v[6:7], -v[2:3], v[4:5], 1.0
	v_fma_f64 v[4:5], v[4:5], v[6:7], v[4:5]
	v_div_scale_f64 v[6:7], vcc_lo, v[24:25], v[32:33], v[24:25]
	v_mul_f64 v[8:9], v[6:7], v[4:5]
	v_fma_f64 v[2:3], -v[2:3], v[8:9], v[6:7]
	v_div_fmas_f64 v[2:3], v[2:3], v[4:5], v[8:9]
	v_div_fixup_f64 v[2:3], v[2:3], v[32:33], v[24:25]
.LBB692_234:
	s_or_b32 exec_lo, exec_lo, s3
	v_add_co_u32 v0, vcc_lo, 0x1800, v0
	v_add_co_ci_u32_e64 v1, null, 0, v1, vcc_lo
	global_store_dwordx2 v[0:1], v[2:3], off
	s_and_b32 exec_lo, exec_lo, s2
	s_cbranch_execz .LBB692_244
; %bb.235:
	v_mov_b32_e32 v2, 0
	v_mov_b32_e32 v3, 0x7ff80000
	s_and_saveexec_b32 s2, s4
	s_cbranch_execz .LBB692_237
; %bb.236:
	v_div_scale_f64 v[2:3], null, v[32:33], v[32:33], v[26:27]
	v_rcp_f64_e32 v[4:5], v[2:3]
	v_fma_f64 v[6:7], -v[2:3], v[4:5], 1.0
	v_fma_f64 v[4:5], v[4:5], v[6:7], v[4:5]
	v_fma_f64 v[6:7], -v[2:3], v[4:5], 1.0
	v_fma_f64 v[4:5], v[4:5], v[6:7], v[4:5]
	v_div_scale_f64 v[6:7], vcc_lo, v[26:27], v[32:33], v[26:27]
	v_mul_f64 v[8:9], v[6:7], v[4:5]
	v_fma_f64 v[2:3], -v[2:3], v[8:9], v[6:7]
	v_div_fmas_f64 v[2:3], v[2:3], v[4:5], v[8:9]
	v_div_fixup_f64 v[2:3], v[2:3], v[32:33], v[26:27]
.LBB692_237:
	s_or_b32 exec_lo, exec_lo, s2
	global_store_dwordx2 v[0:1], v[2:3], off offset:512
	s_and_b32 exec_lo, exec_lo, s1
	s_cbranch_execz .LBB692_244
; %bb.238:
	v_mov_b32_e32 v2, 0
	v_mov_b32_e32 v3, 0x7ff80000
	s_and_saveexec_b32 s1, s4
	s_cbranch_execz .LBB692_240
; %bb.239:
	v_div_scale_f64 v[2:3], null, v[32:33], v[32:33], v[28:29]
	v_rcp_f64_e32 v[4:5], v[2:3]
	v_fma_f64 v[6:7], -v[2:3], v[4:5], 1.0
	v_fma_f64 v[4:5], v[4:5], v[6:7], v[4:5]
	v_fma_f64 v[6:7], -v[2:3], v[4:5], 1.0
	v_fma_f64 v[4:5], v[4:5], v[6:7], v[4:5]
	v_div_scale_f64 v[6:7], vcc_lo, v[28:29], v[32:33], v[28:29]
	v_mul_f64 v[8:9], v[6:7], v[4:5]
	v_fma_f64 v[2:3], -v[2:3], v[8:9], v[6:7]
	v_div_fmas_f64 v[2:3], v[2:3], v[4:5], v[8:9]
	v_div_fixup_f64 v[2:3], v[2:3], v[32:33], v[28:29]
.LBB692_240:
	s_or_b32 exec_lo, exec_lo, s1
	global_store_dwordx2 v[0:1], v[2:3], off offset:1024
	;; [unrolled: 22-line block ×3, first 2 shown]
.LBB692_244:
	s_endpgm
	.section	.rodata,"a",@progbits
	.p2align	6, 0x0
	.amdhsa_kernel _ZN12_GLOBAL__N_120softmax_warp_forwardIdddLi10ELb0ELb1ELi64EEEvPT0_PKT_iiiPKbib
		.amdhsa_group_segment_fixed_size 0
		.amdhsa_private_segment_fixed_size 0
		.amdhsa_kernarg_size 304
		.amdhsa_user_sgpr_count 6
		.amdhsa_user_sgpr_private_segment_buffer 1
		.amdhsa_user_sgpr_dispatch_ptr 0
		.amdhsa_user_sgpr_queue_ptr 0
		.amdhsa_user_sgpr_kernarg_segment_ptr 1
		.amdhsa_user_sgpr_dispatch_id 0
		.amdhsa_user_sgpr_flat_scratch_init 0
		.amdhsa_user_sgpr_private_segment_size 0
		.amdhsa_wavefront_size32 1
		.amdhsa_uses_dynamic_stack 0
		.amdhsa_system_sgpr_private_segment_wavefront_offset 0
		.amdhsa_system_sgpr_workgroup_id_x 1
		.amdhsa_system_sgpr_workgroup_id_y 0
		.amdhsa_system_sgpr_workgroup_id_z 0
		.amdhsa_system_sgpr_workgroup_info 0
		.amdhsa_system_vgpr_workitem_id 1
		.amdhsa_next_free_vgpr 111
		.amdhsa_next_free_sgpr 40
		.amdhsa_reserve_vcc 1
		.amdhsa_reserve_flat_scratch 0
		.amdhsa_float_round_mode_32 0
		.amdhsa_float_round_mode_16_64 0
		.amdhsa_float_denorm_mode_32 3
		.amdhsa_float_denorm_mode_16_64 3
		.amdhsa_dx10_clamp 1
		.amdhsa_ieee_mode 1
		.amdhsa_fp16_overflow 0
		.amdhsa_workgroup_processor_mode 1
		.amdhsa_memory_ordered 1
		.amdhsa_forward_progress 1
		.amdhsa_shared_vgpr_count 0
		.amdhsa_exception_fp_ieee_invalid_op 0
		.amdhsa_exception_fp_denorm_src 0
		.amdhsa_exception_fp_ieee_div_zero 0
		.amdhsa_exception_fp_ieee_overflow 0
		.amdhsa_exception_fp_ieee_underflow 0
		.amdhsa_exception_fp_ieee_inexact 0
		.amdhsa_exception_int_div_zero 0
	.end_amdhsa_kernel
	.section	.text._ZN12_GLOBAL__N_120softmax_warp_forwardIdddLi10ELb0ELb1ELi64EEEvPT0_PKT_iiiPKbib,"axG",@progbits,_ZN12_GLOBAL__N_120softmax_warp_forwardIdddLi10ELb0ELb1ELi64EEEvPT0_PKT_iiiPKbib,comdat
.Lfunc_end692:
	.size	_ZN12_GLOBAL__N_120softmax_warp_forwardIdddLi10ELb0ELb1ELi64EEEvPT0_PKT_iiiPKbib, .Lfunc_end692-_ZN12_GLOBAL__N_120softmax_warp_forwardIdddLi10ELb0ELb1ELi64EEEvPT0_PKT_iiiPKbib
                                        ; -- End function
	.set _ZN12_GLOBAL__N_120softmax_warp_forwardIdddLi10ELb0ELb1ELi64EEEvPT0_PKT_iiiPKbib.num_vgpr, 111
	.set _ZN12_GLOBAL__N_120softmax_warp_forwardIdddLi10ELb0ELb1ELi64EEEvPT0_PKT_iiiPKbib.num_agpr, 0
	.set _ZN12_GLOBAL__N_120softmax_warp_forwardIdddLi10ELb0ELb1ELi64EEEvPT0_PKT_iiiPKbib.numbered_sgpr, 40
	.set _ZN12_GLOBAL__N_120softmax_warp_forwardIdddLi10ELb0ELb1ELi64EEEvPT0_PKT_iiiPKbib.num_named_barrier, 0
	.set _ZN12_GLOBAL__N_120softmax_warp_forwardIdddLi10ELb0ELb1ELi64EEEvPT0_PKT_iiiPKbib.private_seg_size, 0
	.set _ZN12_GLOBAL__N_120softmax_warp_forwardIdddLi10ELb0ELb1ELi64EEEvPT0_PKT_iiiPKbib.uses_vcc, 1
	.set _ZN12_GLOBAL__N_120softmax_warp_forwardIdddLi10ELb0ELb1ELi64EEEvPT0_PKT_iiiPKbib.uses_flat_scratch, 0
	.set _ZN12_GLOBAL__N_120softmax_warp_forwardIdddLi10ELb0ELb1ELi64EEEvPT0_PKT_iiiPKbib.has_dyn_sized_stack, 0
	.set _ZN12_GLOBAL__N_120softmax_warp_forwardIdddLi10ELb0ELb1ELi64EEEvPT0_PKT_iiiPKbib.has_recursion, 0
	.set _ZN12_GLOBAL__N_120softmax_warp_forwardIdddLi10ELb0ELb1ELi64EEEvPT0_PKT_iiiPKbib.has_indirect_call, 0
	.section	.AMDGPU.csdata,"",@progbits
; Kernel info:
; codeLenInByte = 20132
; TotalNumSgprs: 42
; NumVgprs: 111
; ScratchSize: 0
; MemoryBound: 1
; FloatMode: 240
; IeeeMode: 1
; LDSByteSize: 0 bytes/workgroup (compile time only)
; SGPRBlocks: 0
; VGPRBlocks: 13
; NumSGPRsForWavesPerEU: 42
; NumVGPRsForWavesPerEU: 111
; Occupancy: 9
; WaveLimiterHint : 0
; COMPUTE_PGM_RSRC2:SCRATCH_EN: 0
; COMPUTE_PGM_RSRC2:USER_SGPR: 6
; COMPUTE_PGM_RSRC2:TRAP_HANDLER: 0
; COMPUTE_PGM_RSRC2:TGID_X_EN: 1
; COMPUTE_PGM_RSRC2:TGID_Y_EN: 0
; COMPUTE_PGM_RSRC2:TGID_Z_EN: 0
; COMPUTE_PGM_RSRC2:TIDIG_COMP_CNT: 1
	.section	.text._ZN12_GLOBAL__N_120softmax_warp_forwardIdddLi10ELb0ELb1ELi32EEEvPT0_PKT_iiiPKbib,"axG",@progbits,_ZN12_GLOBAL__N_120softmax_warp_forwardIdddLi10ELb0ELb1ELi32EEEvPT0_PKT_iiiPKbib,comdat
	.globl	_ZN12_GLOBAL__N_120softmax_warp_forwardIdddLi10ELb0ELb1ELi32EEEvPT0_PKT_iiiPKbib ; -- Begin function _ZN12_GLOBAL__N_120softmax_warp_forwardIdddLi10ELb0ELb1ELi32EEEvPT0_PKT_iiiPKbib
	.p2align	8
	.type	_ZN12_GLOBAL__N_120softmax_warp_forwardIdddLi10ELb0ELb1ELi32EEEvPT0_PKT_iiiPKbib,@function
_ZN12_GLOBAL__N_120softmax_warp_forwardIdddLi10ELb0ELb1ELi32EEEvPT0_PKT_iiiPKbib: ; @_ZN12_GLOBAL__N_120softmax_warp_forwardIdddLi10ELb0ELb1ELi32EEEvPT0_PKT_iiiPKbib
; %bb.0:
	s_clause 0x1
	s_load_dword s0, s[4:5], 0x3c
	s_load_dwordx4 s[40:43], s[4:5], 0x10
	s_waitcnt lgkmcnt(0)
	s_lshr_b32 s0, s0, 16
	v_mad_u64_u32 v[1:2], null, s6, s0, v[1:2]
	s_load_dwordx2 s[0:1], s[4:5], 0x28
	v_mul_lo_u32 v4, v1, s41
	v_add_nc_u32_e32 v2, v4, v0
	v_ashrrev_i32_e32 v3, 31, v2
	s_waitcnt lgkmcnt(0)
	s_bitcmp0_b32 s1, 0
	v_mov_b32_e32 v6, v3
	v_mov_b32_e32 v5, v2
	s_cbranch_scc1 .LBB693_2
; %bb.1:
	s_abs_i32 s1, s0
	v_sub_nc_u32_e32 v7, 0, v4
	v_cvt_f32_u32_e32 v5, s1
	s_sub_i32 s2, 0, s1
	v_max_i32_e32 v7, v4, v7
	v_rcp_iflag_f32_e32 v5, v5
	v_xor_b32_e32 v4, s0, v4
	v_ashrrev_i32_e32 v4, 31, v4
	v_mul_f32_e32 v5, 0x4f7ffffe, v5
	v_cvt_u32_f32_e32 v5, v5
	v_mul_lo_u32 v6, s2, v5
	v_mul_hi_u32 v6, v5, v6
	v_add_nc_u32_e32 v5, v5, v6
	v_mul_hi_u32 v5, v7, v5
	v_mul_lo_u32 v6, v5, s1
	v_sub_nc_u32_e32 v6, v7, v6
	v_add_nc_u32_e32 v7, 1, v5
	v_subrev_nc_u32_e32 v8, s1, v6
	v_cmp_le_u32_e32 vcc_lo, s1, v6
	v_cndmask_b32_e32 v5, v5, v7, vcc_lo
	v_cndmask_b32_e32 v6, v6, v8, vcc_lo
	v_add_nc_u32_e32 v7, 1, v5
	v_cmp_le_u32_e32 vcc_lo, s1, v6
	v_cndmask_b32_e32 v5, v5, v7, vcc_lo
	v_xor_b32_e32 v5, v5, v4
	v_sub_nc_u32_e32 v4, v5, v4
	v_mad_u64_u32 v[5:6], null, v4, s41, v[0:1]
	v_ashrrev_i32_e32 v6, 31, v5
.LBB693_2:
	s_load_dwordx4 s[36:39], s[4:5], 0x0
	v_sub_nc_u32_e32 v77, s40, v1
	v_lshlrev_b64 v[1:2], 3, v[2:3]
	v_cmp_gt_i32_e32 vcc_lo, s42, v0
	v_mov_b32_e32 v43, 0
	v_mov_b32_e32 v45, 0
	v_cmp_lt_i32_e64 s34, 0, v77
	v_mov_b32_e32 v44, 0xfff00000
	v_mov_b32_e32 v46, 0xfff00000
	s_and_b32 s69, s34, vcc_lo
	s_waitcnt lgkmcnt(0)
	v_add_co_u32 v31, s0, s38, v1
	v_add_co_ci_u32_e64 v32, null, s39, v2, s0
	s_and_saveexec_b32 s0, s69
	s_cbranch_execz .LBB693_4
; %bb.3:
	global_load_dwordx2 v[45:46], v[31:32], off
.LBB693_4:
	s_or_b32 exec_lo, exec_lo, s0
	v_add_nc_u32_e32 v3, 32, v0
	v_cmp_gt_i32_e64 s33, s42, v3
	s_and_b32 s68, s34, s33
	s_and_saveexec_b32 s0, s68
	s_cbranch_execz .LBB693_6
; %bb.5:
	global_load_dwordx2 v[43:44], v[31:32], off offset:256
.LBB693_6:
	s_or_b32 exec_lo, exec_lo, s0
	v_add_nc_u32_e32 v3, 64, v0
	v_mov_b32_e32 v51, 0
	v_mov_b32_e32 v53, 0
	v_mov_b32_e32 v52, 0xfff00000
	v_mov_b32_e32 v54, 0xfff00000
	v_cmp_gt_i32_e64 s31, s42, v3
	s_and_b32 s67, s34, s31
	s_and_saveexec_b32 s0, s67
	s_cbranch_execz .LBB693_8
; %bb.7:
	global_load_dwordx2 v[53:54], v[31:32], off offset:512
.LBB693_8:
	s_or_b32 exec_lo, exec_lo, s0
	v_add_nc_u32_e32 v3, 0x60, v0
	v_cmp_gt_i32_e64 s30, s42, v3
	s_and_b32 s66, s34, s30
	s_and_saveexec_b32 s0, s66
	s_cbranch_execz .LBB693_10
; %bb.9:
	global_load_dwordx2 v[51:52], v[31:32], off offset:768
.LBB693_10:
	s_or_b32 exec_lo, exec_lo, s0
	v_add_nc_u32_e32 v3, 0x80, v0
	v_mov_b32_e32 v59, 0
	v_mov_b32_e32 v61, 0
	v_mov_b32_e32 v60, 0xfff00000
	v_mov_b32_e32 v62, 0xfff00000
	v_cmp_gt_i32_e64 s29, s42, v3
	s_and_b32 s65, s34, s29
	s_and_saveexec_b32 s0, s65
	s_cbranch_execz .LBB693_12
; %bb.11:
	global_load_dwordx2 v[61:62], v[31:32], off offset:1024
.LBB693_12:
	;; [unrolled: 22-line block ×3, first 2 shown]
	s_or_b32 exec_lo, exec_lo, s0
	v_add_nc_u32_e32 v3, 0xe0, v0
	v_cmp_gt_i32_e64 s26, s42, v3
	s_and_b32 s62, s34, s26
	s_and_saveexec_b32 s0, s62
	s_cbranch_execz .LBB693_18
; %bb.17:
	global_load_dwordx2 v[67:68], v[31:32], off offset:1792
.LBB693_18:
	s_or_b32 exec_lo, exec_lo, s0
	v_add_nc_u32_e32 v3, 0x100, v0
	v_mov_b32_e32 v73, 0
	v_mov_b32_e32 v75, 0
	;; [unrolled: 1-line block ×4, first 2 shown]
	v_cmp_gt_i32_e64 s25, s42, v3
	s_and_b32 s61, s34, s25
	s_and_saveexec_b32 s1, s61
	s_cbranch_execz .LBB693_20
; %bb.19:
	v_add_co_u32 v3, s0, 0x800, v31
	v_add_co_ci_u32_e64 v4, null, 0, v32, s0
	global_load_dwordx2 v[75:76], v[3:4], off
.LBB693_20:
	s_or_b32 exec_lo, exec_lo, s1
	v_add_nc_u32_e32 v3, 0x120, v0
	v_cmp_gt_i32_e64 s24, s42, v3
	s_and_b32 s60, s34, s24
	s_and_saveexec_b32 s1, s60
	s_cbranch_execz .LBB693_22
; %bb.21:
	v_add_co_u32 v3, s0, 0x800, v31
	v_add_co_ci_u32_e64 v4, null, 0, v32, s0
	global_load_dwordx2 v[73:74], v[3:4], off offset:256
.LBB693_22:
	s_or_b32 exec_lo, exec_lo, s1
	v_add_nc_u32_e32 v3, 0x140, v0
	v_mov_b32_e32 v65, 0
	v_mov_b32_e32 v71, 0
	v_mov_b32_e32 v66, 0xfff00000
	v_mov_b32_e32 v72, 0xfff00000
	v_cmp_gt_i32_e64 s23, s42, v3
	s_and_b32 s59, s34, s23
	s_and_saveexec_b32 s1, s59
	s_cbranch_execz .LBB693_24
; %bb.23:
	v_add_co_u32 v3, s0, 0x800, v31
	v_add_co_ci_u32_e64 v4, null, 0, v32, s0
	global_load_dwordx2 v[71:72], v[3:4], off offset:512
.LBB693_24:
	s_or_b32 exec_lo, exec_lo, s1
	v_add_nc_u32_e32 v3, 0x160, v0
	v_cmp_gt_i32_e64 s22, s42, v3
	s_and_b32 s58, s34, s22
	s_and_saveexec_b32 s1, s58
	s_cbranch_execz .LBB693_26
; %bb.25:
	v_add_co_u32 v3, s0, 0x800, v31
	v_add_co_ci_u32_e64 v4, null, 0, v32, s0
	global_load_dwordx2 v[65:66], v[3:4], off offset:768
.LBB693_26:
	s_or_b32 exec_lo, exec_lo, s1
	v_add_nc_u32_e32 v3, 0x180, v0
	v_mov_b32_e32 v57, 0
	v_mov_b32_e32 v63, 0
	v_mov_b32_e32 v58, 0xfff00000
	v_mov_b32_e32 v64, 0xfff00000
	v_cmp_gt_i32_e64 s21, s42, v3
	s_and_b32 s57, s34, s21
	s_and_saveexec_b32 s1, s57
	s_cbranch_execz .LBB693_28
; %bb.27:
	v_add_co_u32 v3, s0, 0x800, v31
	v_add_co_ci_u32_e64 v4, null, 0, v32, s0
	global_load_dwordx2 v[63:64], v[3:4], off offset:1024
.LBB693_28:
	;; [unrolled: 26-line block ×3, first 2 shown]
	s_or_b32 exec_lo, exec_lo, s1
	v_add_nc_u32_e32 v3, 0x1e0, v0
	v_cmp_gt_i32_e64 s18, s42, v3
	s_and_b32 s54, s34, s18
	s_and_saveexec_b32 s1, s54
	s_cbranch_execz .LBB693_34
; %bb.33:
	v_add_co_u32 v3, s0, 0x800, v31
	v_add_co_ci_u32_e64 v4, null, 0, v32, s0
	global_load_dwordx2 v[49:50], v[3:4], off offset:1792
.LBB693_34:
	s_or_b32 exec_lo, exec_lo, s1
	v_add_nc_u32_e32 v3, 0x200, v0
	v_mov_b32_e32 v41, 0
	v_mov_b32_e32 v47, 0
	v_mov_b32_e32 v42, 0xfff00000
	v_mov_b32_e32 v48, 0xfff00000
	v_cmp_gt_i32_e64 s17, s42, v3
	s_and_b32 s53, s34, s17
	s_and_saveexec_b32 s1, s53
	s_cbranch_execz .LBB693_36
; %bb.35:
	v_add_co_u32 v3, s0, 0x1000, v31
	v_add_co_ci_u32_e64 v4, null, 0, v32, s0
	global_load_dwordx2 v[47:48], v[3:4], off
.LBB693_36:
	s_or_b32 exec_lo, exec_lo, s1
	v_add_nc_u32_e32 v3, 0x220, v0
	v_cmp_gt_i32_e64 s16, s42, v3
	s_and_b32 s52, s34, s16
	s_and_saveexec_b32 s1, s52
	s_cbranch_execz .LBB693_38
; %bb.37:
	v_add_co_u32 v3, s0, 0x1000, v31
	v_add_co_ci_u32_e64 v4, null, 0, v32, s0
	global_load_dwordx2 v[41:42], v[3:4], off offset:256
.LBB693_38:
	s_or_b32 exec_lo, exec_lo, s1
	v_add_nc_u32_e32 v3, 0x240, v0
	v_mov_b32_e32 v29, 0
	v_mov_b32_e32 v35, 0
	v_mov_b32_e32 v30, 0xfff00000
	v_mov_b32_e32 v36, 0xfff00000
	v_cmp_gt_i32_e64 s15, s42, v3
	s_and_b32 s51, s34, s15
	s_and_saveexec_b32 s1, s51
	s_cbranch_execz .LBB693_40
; %bb.39:
	v_add_co_u32 v3, s0, 0x1000, v31
	v_add_co_ci_u32_e64 v4, null, 0, v32, s0
	global_load_dwordx2 v[35:36], v[3:4], off offset:512
.LBB693_40:
	s_or_b32 exec_lo, exec_lo, s1
	v_add_nc_u32_e32 v3, 0x260, v0
	v_cmp_gt_i32_e64 s14, s42, v3
	s_and_b32 s50, s34, s14
	s_and_saveexec_b32 s1, s50
	s_cbranch_execz .LBB693_42
; %bb.41:
	v_add_co_u32 v3, s0, 0x1000, v31
	v_add_co_ci_u32_e64 v4, null, 0, v32, s0
	global_load_dwordx2 v[29:30], v[3:4], off offset:768
.LBB693_42:
	s_or_b32 exec_lo, exec_lo, s1
	v_add_nc_u32_e32 v3, 0x280, v0
	v_mov_b32_e32 v25, 0
	v_mov_b32_e32 v27, 0
	v_mov_b32_e32 v26, 0xfff00000
	v_mov_b32_e32 v28, 0xfff00000
	v_cmp_gt_i32_e64 s13, s42, v3
	s_and_b32 s49, s34, s13
	s_and_saveexec_b32 s1, s49
	s_cbranch_execz .LBB693_44
; %bb.43:
	v_add_co_u32 v3, s0, 0x1000, v31
	v_add_co_ci_u32_e64 v4, null, 0, v32, s0
	global_load_dwordx2 v[27:28], v[3:4], off offset:1024
.LBB693_44:
	;; [unrolled: 26-line block ×3, first 2 shown]
	s_or_b32 exec_lo, exec_lo, s1
	v_add_nc_u32_e32 v3, 0x2e0, v0
	v_cmp_gt_i32_e64 s10, s42, v3
	s_and_b32 s46, s34, s10
	s_and_saveexec_b32 s1, s46
	s_cbranch_execz .LBB693_50
; %bb.49:
	v_add_co_u32 v3, s0, 0x1000, v31
	v_add_co_ci_u32_e64 v4, null, 0, v32, s0
	global_load_dwordx2 v[21:22], v[3:4], off offset:1792
.LBB693_50:
	s_or_b32 exec_lo, exec_lo, s1
	v_add_nc_u32_e32 v3, 0x300, v0
	v_mov_b32_e32 v17, 0
	v_mov_b32_e32 v19, 0
	;; [unrolled: 1-line block ×4, first 2 shown]
	v_cmp_gt_i32_e64 s9, s42, v3
	s_and_b32 s45, s34, s9
	s_and_saveexec_b32 s1, s45
	s_cbranch_execz .LBB693_52
; %bb.51:
	v_add_co_u32 v3, s0, 0x1800, v31
	v_add_co_ci_u32_e64 v4, null, 0, v32, s0
	global_load_dwordx2 v[19:20], v[3:4], off
.LBB693_52:
	s_or_b32 exec_lo, exec_lo, s1
	v_add_nc_u32_e32 v3, 0x320, v0
	v_cmp_gt_i32_e64 s8, s42, v3
	s_and_b32 s44, s34, s8
	s_and_saveexec_b32 s1, s44
	s_cbranch_execz .LBB693_54
; %bb.53:
	v_add_co_u32 v3, s0, 0x1800, v31
	v_add_co_ci_u32_e64 v4, null, 0, v32, s0
	global_load_dwordx2 v[17:18], v[3:4], off offset:256
.LBB693_54:
	s_or_b32 exec_lo, exec_lo, s1
	v_add_nc_u32_e32 v3, 0x340, v0
	v_mov_b32_e32 v13, 0
	v_mov_b32_e32 v15, 0
	;; [unrolled: 1-line block ×4, first 2 shown]
	v_cmp_gt_i32_e64 s7, s42, v3
	s_and_b32 s43, s34, s7
	s_and_saveexec_b32 s1, s43
	s_cbranch_execz .LBB693_56
; %bb.55:
	v_add_co_u32 v3, s0, 0x1800, v31
	v_add_co_ci_u32_e64 v4, null, 0, v32, s0
	global_load_dwordx2 v[15:16], v[3:4], off offset:512
.LBB693_56:
	s_or_b32 exec_lo, exec_lo, s1
	v_add_nc_u32_e32 v3, 0x360, v0
	v_cmp_gt_i32_e64 s6, s42, v3
	s_and_b32 s41, s34, s6
	s_and_saveexec_b32 s1, s41
	s_cbranch_execz .LBB693_58
; %bb.57:
	v_add_co_u32 v3, s0, 0x1800, v31
	v_add_co_ci_u32_e64 v4, null, 0, v32, s0
	global_load_dwordx2 v[13:14], v[3:4], off offset:768
.LBB693_58:
	s_or_b32 exec_lo, exec_lo, s1
	v_add_nc_u32_e32 v3, 0x380, v0
	v_mov_b32_e32 v9, 0
	v_mov_b32_e32 v11, 0
	v_mov_b32_e32 v10, 0xfff00000
	v_mov_b32_e32 v12, 0xfff00000
	v_cmp_gt_i32_e64 s3, s42, v3
	s_and_b32 s40, s34, s3
	s_and_saveexec_b32 s1, s40
	s_cbranch_execz .LBB693_60
; %bb.59:
	v_add_co_u32 v3, s0, 0x1800, v31
	v_add_co_ci_u32_e64 v4, null, 0, v32, s0
	global_load_dwordx2 v[11:12], v[3:4], off offset:1024
.LBB693_60:
	s_or_b32 exec_lo, exec_lo, s1
	v_add_nc_u32_e32 v3, 0x3a0, v0
	v_cmp_gt_i32_e64 s2, s42, v3
	s_and_b32 s39, s34, s2
	s_and_saveexec_b32 s1, s39
	s_cbranch_execz .LBB693_62
; %bb.61:
	v_add_co_u32 v3, s0, 0x1800, v31
	v_add_co_ci_u32_e64 v4, null, 0, v32, s0
	global_load_dwordx2 v[9:10], v[3:4], off offset:1280
.LBB693_62:
	s_or_b32 exec_lo, exec_lo, s1
	v_add_nc_u32_e32 v3, 0x3c0, v0
	v_mov_b32_e32 v7, 0
	v_mov_b32_e32 v8, 0xfff00000
	v_cmp_gt_i32_e64 s1, s42, v3
	v_mov_b32_e32 v3, 0
	v_mov_b32_e32 v4, 0xfff00000
	s_and_b32 s38, s34, s1
	s_and_saveexec_b32 s35, s38
	s_cbranch_execz .LBB693_64
; %bb.63:
	v_add_co_u32 v7, s0, 0x1800, v31
	v_add_co_ci_u32_e64 v8, null, 0, v32, s0
	global_load_dwordx2 v[7:8], v[7:8], off offset:1536
.LBB693_64:
	s_or_b32 exec_lo, exec_lo, s35
	v_add_nc_u32_e32 v0, 0x3e0, v0
	v_cmp_gt_i32_e64 s0, s42, v0
	s_and_b32 s35, s34, s0
	s_and_saveexec_b32 s42, s35
	s_cbranch_execz .LBB693_66
; %bb.65:
	v_add_co_u32 v3, s34, 0x1800, v31
	v_add_co_ci_u32_e64 v4, null, 0, v32, s34
	global_load_dwordx2 v[3:4], v[3:4], off offset:1792
.LBB693_66:
	s_or_b32 exec_lo, exec_lo, s42
	s_load_dwordx2 s[4:5], s[4:5], 0x20
	s_waitcnt lgkmcnt(0)
	v_add_co_u32 v5, s4, s4, v5
	v_add_co_ci_u32_e64 v6, null, s5, v6, s4
	s_mov_b32 s5, 0
	s_and_saveexec_b32 s34, s69
	s_cbranch_execz .LBB693_68
; %bb.67:
	global_load_ubyte v0, v[5:6], off
	s_waitcnt vmcnt(0)
	v_and_b32_e32 v0, 1, v0
	v_cmp_eq_u32_e64 s4, 1, v0
	s_xor_b32 s4, s4, -1
	s_and_b32 s5, s4, exec_lo
.LBB693_68:
	s_or_b32 exec_lo, exec_lo, s34
	s_waitcnt vmcnt(0)
	v_mov_b32_e32 v31, v45
	v_mov_b32_e32 v32, v46
	s_and_saveexec_b32 s34, s68
	s_cbranch_execnz .LBB693_99
; %bb.69:
	s_or_b32 exec_lo, exec_lo, s34
	s_and_saveexec_b32 s34, s67
	s_cbranch_execnz .LBB693_102
.LBB693_70:
	s_or_b32 exec_lo, exec_lo, s34
	s_and_saveexec_b32 s34, s66
	s_cbranch_execnz .LBB693_105
.LBB693_71:
	s_or_b32 exec_lo, exec_lo, s34
	s_and_saveexec_b32 s34, s65
	s_cbranch_execnz .LBB693_108
.LBB693_72:
	s_or_b32 exec_lo, exec_lo, s34
	s_and_saveexec_b32 s34, s64
	s_cbranch_execnz .LBB693_111
.LBB693_73:
	s_or_b32 exec_lo, exec_lo, s34
	s_and_saveexec_b32 s34, s63
	s_cbranch_execnz .LBB693_114
.LBB693_74:
	s_or_b32 exec_lo, exec_lo, s34
	s_and_saveexec_b32 s34, s62
	s_cbranch_execnz .LBB693_117
.LBB693_75:
	s_or_b32 exec_lo, exec_lo, s34
	s_and_saveexec_b32 s34, s61
	s_cbranch_execnz .LBB693_120
.LBB693_76:
	s_or_b32 exec_lo, exec_lo, s34
	s_and_saveexec_b32 s34, s60
	s_cbranch_execnz .LBB693_123
.LBB693_77:
	s_or_b32 exec_lo, exec_lo, s34
	s_and_saveexec_b32 s34, s59
	s_cbranch_execnz .LBB693_126
.LBB693_78:
	s_or_b32 exec_lo, exec_lo, s34
	s_and_saveexec_b32 s34, s58
	s_cbranch_execnz .LBB693_129
.LBB693_79:
	s_or_b32 exec_lo, exec_lo, s34
	s_and_saveexec_b32 s34, s57
	s_cbranch_execnz .LBB693_132
.LBB693_80:
	s_or_b32 exec_lo, exec_lo, s34
	s_and_saveexec_b32 s34, s56
	s_cbranch_execnz .LBB693_135
.LBB693_81:
	s_or_b32 exec_lo, exec_lo, s34
	s_and_saveexec_b32 s34, s55
	s_cbranch_execnz .LBB693_138
.LBB693_82:
	s_or_b32 exec_lo, exec_lo, s34
	s_and_saveexec_b32 s34, s54
	s_cbranch_execnz .LBB693_141
.LBB693_83:
	s_or_b32 exec_lo, exec_lo, s34
	s_and_saveexec_b32 s34, s53
	s_cbranch_execnz .LBB693_144
.LBB693_84:
	s_or_b32 exec_lo, exec_lo, s34
	s_and_saveexec_b32 s34, s52
	s_cbranch_execnz .LBB693_147
.LBB693_85:
	s_or_b32 exec_lo, exec_lo, s34
	s_and_saveexec_b32 s34, s51
	s_cbranch_execnz .LBB693_150
.LBB693_86:
	s_or_b32 exec_lo, exec_lo, s34
	s_and_saveexec_b32 s34, s50
	s_cbranch_execnz .LBB693_153
.LBB693_87:
	s_or_b32 exec_lo, exec_lo, s34
	s_and_saveexec_b32 s34, s49
	s_cbranch_execnz .LBB693_156
.LBB693_88:
	s_or_b32 exec_lo, exec_lo, s34
	s_and_saveexec_b32 s34, s48
	s_cbranch_execnz .LBB693_159
.LBB693_89:
	s_or_b32 exec_lo, exec_lo, s34
	s_and_saveexec_b32 s34, s47
	s_cbranch_execnz .LBB693_162
.LBB693_90:
	s_or_b32 exec_lo, exec_lo, s34
	s_and_saveexec_b32 s34, s46
	s_cbranch_execnz .LBB693_165
.LBB693_91:
	s_or_b32 exec_lo, exec_lo, s34
	s_and_saveexec_b32 s34, s45
	s_cbranch_execnz .LBB693_168
.LBB693_92:
	s_or_b32 exec_lo, exec_lo, s34
	s_and_saveexec_b32 s34, s44
	s_cbranch_execnz .LBB693_171
.LBB693_93:
	s_or_b32 exec_lo, exec_lo, s34
	s_and_saveexec_b32 s34, s43
	s_cbranch_execnz .LBB693_174
.LBB693_94:
	s_or_b32 exec_lo, exec_lo, s34
	s_and_saveexec_b32 s34, s41
	s_cbranch_execnz .LBB693_177
.LBB693_95:
	s_or_b32 exec_lo, exec_lo, s34
	s_and_saveexec_b32 s34, s40
	s_cbranch_execnz .LBB693_180
.LBB693_96:
	s_or_b32 exec_lo, exec_lo, s34
	s_and_saveexec_b32 s34, s39
	s_cbranch_execnz .LBB693_183
.LBB693_97:
	s_or_b32 exec_lo, exec_lo, s34
	s_and_saveexec_b32 s34, s38
	s_cbranch_execnz .LBB693_186
.LBB693_98:
	s_or_b32 exec_lo, exec_lo, s34
	s_and_saveexec_b32 s34, s35
	s_cbranch_execnz .LBB693_189
	s_branch .LBB693_192
.LBB693_99:
	global_load_ubyte v0, v[5:6], off offset:32
	v_mov_b32_e32 v31, v45
	v_mov_b32_e32 v32, v46
	s_waitcnt vmcnt(0)
	v_and_b32_e32 v0, 1, v0
	v_cmp_eq_u32_e64 s4, 1, v0
	s_xor_b32 s70, s4, -1
	s_mov_b32 s4, s5
	s_and_saveexec_b32 s42, s70
	s_cbranch_execz .LBB693_101
; %bb.100:
	v_cmp_gt_f64_e64 s4, v[45:46], v[43:44]
	s_and_b32 s4, s5, s4
	v_cndmask_b32_e64 v32, v44, v46, s4
	v_cndmask_b32_e64 v31, v43, v45, s4
	s_or_b32 s4, s5, exec_lo
.LBB693_101:
	s_or_b32 exec_lo, exec_lo, s42
	s_andn2_b32 s5, s5, exec_lo
	s_and_b32 s4, s4, exec_lo
	s_or_b32 s5, s5, s4
	s_or_b32 exec_lo, exec_lo, s34
	s_and_saveexec_b32 s34, s67
	s_cbranch_execz .LBB693_70
.LBB693_102:
	global_load_ubyte v0, v[5:6], off offset:64
	s_waitcnt vmcnt(0)
	v_and_b32_e32 v0, 1, v0
	v_cmp_eq_u32_e64 s4, 1, v0
	s_xor_b32 s70, s4, -1
	s_mov_b32 s4, s5
	s_and_saveexec_b32 s42, s70
	s_cbranch_execz .LBB693_104
; %bb.103:
	v_cmp_gt_f64_e64 s4, v[31:32], v[53:54]
	s_and_b32 s4, s5, s4
	v_cndmask_b32_e64 v32, v54, v32, s4
	v_cndmask_b32_e64 v31, v53, v31, s4
	s_or_b32 s4, s5, exec_lo
.LBB693_104:
	s_or_b32 exec_lo, exec_lo, s42
	s_andn2_b32 s5, s5, exec_lo
	s_and_b32 s4, s4, exec_lo
	s_or_b32 s5, s5, s4
	s_or_b32 exec_lo, exec_lo, s34
	s_and_saveexec_b32 s34, s66
	s_cbranch_execz .LBB693_71
.LBB693_105:
	global_load_ubyte v0, v[5:6], off offset:96
	s_waitcnt vmcnt(0)
	v_and_b32_e32 v0, 1, v0
	v_cmp_eq_u32_e64 s4, 1, v0
	s_xor_b32 s70, s4, -1
	s_mov_b32 s4, s5
	s_and_saveexec_b32 s42, s70
	s_cbranch_execz .LBB693_107
; %bb.106:
	v_cmp_gt_f64_e64 s4, v[31:32], v[51:52]
	s_and_b32 s4, s5, s4
	v_cndmask_b32_e64 v32, v52, v32, s4
	v_cndmask_b32_e64 v31, v51, v31, s4
	s_or_b32 s4, s5, exec_lo
.LBB693_107:
	s_or_b32 exec_lo, exec_lo, s42
	s_andn2_b32 s5, s5, exec_lo
	s_and_b32 s4, s4, exec_lo
	s_or_b32 s5, s5, s4
	s_or_b32 exec_lo, exec_lo, s34
	s_and_saveexec_b32 s34, s65
	s_cbranch_execz .LBB693_72
.LBB693_108:
	global_load_ubyte v0, v[5:6], off offset:128
	s_waitcnt vmcnt(0)
	v_and_b32_e32 v0, 1, v0
	v_cmp_eq_u32_e64 s4, 1, v0
	s_xor_b32 s70, s4, -1
	s_mov_b32 s4, s5
	s_and_saveexec_b32 s42, s70
	s_cbranch_execz .LBB693_110
; %bb.109:
	v_cmp_gt_f64_e64 s4, v[31:32], v[61:62]
	s_and_b32 s4, s5, s4
	v_cndmask_b32_e64 v32, v62, v32, s4
	v_cndmask_b32_e64 v31, v61, v31, s4
	s_or_b32 s4, s5, exec_lo
.LBB693_110:
	s_or_b32 exec_lo, exec_lo, s42
	s_andn2_b32 s5, s5, exec_lo
	s_and_b32 s4, s4, exec_lo
	s_or_b32 s5, s5, s4
	s_or_b32 exec_lo, exec_lo, s34
	s_and_saveexec_b32 s34, s64
	s_cbranch_execz .LBB693_73
.LBB693_111:
	global_load_ubyte v0, v[5:6], off offset:160
	s_waitcnt vmcnt(0)
	v_and_b32_e32 v0, 1, v0
	v_cmp_eq_u32_e64 s4, 1, v0
	s_xor_b32 s70, s4, -1
	s_mov_b32 s4, s5
	s_and_saveexec_b32 s42, s70
	s_cbranch_execz .LBB693_113
; %bb.112:
	v_cmp_gt_f64_e64 s4, v[31:32], v[59:60]
	s_and_b32 s4, s5, s4
	v_cndmask_b32_e64 v32, v60, v32, s4
	v_cndmask_b32_e64 v31, v59, v31, s4
	s_or_b32 s4, s5, exec_lo
.LBB693_113:
	s_or_b32 exec_lo, exec_lo, s42
	s_andn2_b32 s5, s5, exec_lo
	s_and_b32 s4, s4, exec_lo
	s_or_b32 s5, s5, s4
	s_or_b32 exec_lo, exec_lo, s34
	s_and_saveexec_b32 s34, s63
	s_cbranch_execz .LBB693_74
.LBB693_114:
	global_load_ubyte v0, v[5:6], off offset:192
	s_waitcnt vmcnt(0)
	v_and_b32_e32 v0, 1, v0
	v_cmp_eq_u32_e64 s4, 1, v0
	s_xor_b32 s70, s4, -1
	s_mov_b32 s4, s5
	s_and_saveexec_b32 s42, s70
	s_cbranch_execz .LBB693_116
; %bb.115:
	v_cmp_gt_f64_e64 s4, v[31:32], v[69:70]
	s_and_b32 s4, s5, s4
	v_cndmask_b32_e64 v32, v70, v32, s4
	v_cndmask_b32_e64 v31, v69, v31, s4
	s_or_b32 s4, s5, exec_lo
.LBB693_116:
	s_or_b32 exec_lo, exec_lo, s42
	s_andn2_b32 s5, s5, exec_lo
	s_and_b32 s4, s4, exec_lo
	s_or_b32 s5, s5, s4
	s_or_b32 exec_lo, exec_lo, s34
	s_and_saveexec_b32 s34, s62
	s_cbranch_execz .LBB693_75
.LBB693_117:
	global_load_ubyte v0, v[5:6], off offset:224
	s_waitcnt vmcnt(0)
	v_and_b32_e32 v0, 1, v0
	v_cmp_eq_u32_e64 s4, 1, v0
	s_xor_b32 s70, s4, -1
	s_mov_b32 s4, s5
	s_and_saveexec_b32 s42, s70
	s_cbranch_execz .LBB693_119
; %bb.118:
	v_cmp_gt_f64_e64 s4, v[31:32], v[67:68]
	s_and_b32 s4, s5, s4
	v_cndmask_b32_e64 v32, v68, v32, s4
	v_cndmask_b32_e64 v31, v67, v31, s4
	s_or_b32 s4, s5, exec_lo
.LBB693_119:
	s_or_b32 exec_lo, exec_lo, s42
	s_andn2_b32 s5, s5, exec_lo
	s_and_b32 s4, s4, exec_lo
	s_or_b32 s5, s5, s4
	s_or_b32 exec_lo, exec_lo, s34
	s_and_saveexec_b32 s34, s61
	s_cbranch_execz .LBB693_76
.LBB693_120:
	global_load_ubyte v0, v[5:6], off offset:256
	s_waitcnt vmcnt(0)
	v_and_b32_e32 v0, 1, v0
	v_cmp_eq_u32_e64 s4, 1, v0
	s_xor_b32 s70, s4, -1
	s_mov_b32 s4, s5
	s_and_saveexec_b32 s42, s70
	s_cbranch_execz .LBB693_122
; %bb.121:
	v_cmp_gt_f64_e64 s4, v[31:32], v[75:76]
	s_and_b32 s4, s5, s4
	v_cndmask_b32_e64 v32, v76, v32, s4
	v_cndmask_b32_e64 v31, v75, v31, s4
	s_or_b32 s4, s5, exec_lo
.LBB693_122:
	s_or_b32 exec_lo, exec_lo, s42
	s_andn2_b32 s5, s5, exec_lo
	s_and_b32 s4, s4, exec_lo
	s_or_b32 s5, s5, s4
	s_or_b32 exec_lo, exec_lo, s34
	s_and_saveexec_b32 s34, s60
	s_cbranch_execz .LBB693_77
.LBB693_123:
	global_load_ubyte v0, v[5:6], off offset:288
	s_waitcnt vmcnt(0)
	v_and_b32_e32 v0, 1, v0
	v_cmp_eq_u32_e64 s4, 1, v0
	s_xor_b32 s70, s4, -1
	s_mov_b32 s4, s5
	s_and_saveexec_b32 s42, s70
	s_cbranch_execz .LBB693_125
; %bb.124:
	v_cmp_gt_f64_e64 s4, v[31:32], v[73:74]
	s_and_b32 s4, s5, s4
	v_cndmask_b32_e64 v32, v74, v32, s4
	v_cndmask_b32_e64 v31, v73, v31, s4
	s_or_b32 s4, s5, exec_lo
.LBB693_125:
	s_or_b32 exec_lo, exec_lo, s42
	s_andn2_b32 s5, s5, exec_lo
	s_and_b32 s4, s4, exec_lo
	s_or_b32 s5, s5, s4
	s_or_b32 exec_lo, exec_lo, s34
	s_and_saveexec_b32 s34, s59
	s_cbranch_execz .LBB693_78
.LBB693_126:
	global_load_ubyte v0, v[5:6], off offset:320
	s_waitcnt vmcnt(0)
	v_and_b32_e32 v0, 1, v0
	v_cmp_eq_u32_e64 s4, 1, v0
	s_xor_b32 s70, s4, -1
	s_mov_b32 s4, s5
	s_and_saveexec_b32 s42, s70
	s_cbranch_execz .LBB693_128
; %bb.127:
	v_cmp_gt_f64_e64 s4, v[31:32], v[71:72]
	s_and_b32 s4, s5, s4
	v_cndmask_b32_e64 v32, v72, v32, s4
	v_cndmask_b32_e64 v31, v71, v31, s4
	s_or_b32 s4, s5, exec_lo
.LBB693_128:
	s_or_b32 exec_lo, exec_lo, s42
	s_andn2_b32 s5, s5, exec_lo
	s_and_b32 s4, s4, exec_lo
	s_or_b32 s5, s5, s4
	s_or_b32 exec_lo, exec_lo, s34
	s_and_saveexec_b32 s34, s58
	s_cbranch_execz .LBB693_79
.LBB693_129:
	global_load_ubyte v0, v[5:6], off offset:352
	s_waitcnt vmcnt(0)
	v_and_b32_e32 v0, 1, v0
	v_cmp_eq_u32_e64 s4, 1, v0
	s_xor_b32 s70, s4, -1
	s_mov_b32 s4, s5
	s_and_saveexec_b32 s42, s70
	s_cbranch_execz .LBB693_131
; %bb.130:
	v_cmp_gt_f64_e64 s4, v[31:32], v[65:66]
	s_and_b32 s4, s5, s4
	v_cndmask_b32_e64 v32, v66, v32, s4
	v_cndmask_b32_e64 v31, v65, v31, s4
	s_or_b32 s4, s5, exec_lo
.LBB693_131:
	s_or_b32 exec_lo, exec_lo, s42
	s_andn2_b32 s5, s5, exec_lo
	s_and_b32 s4, s4, exec_lo
	s_or_b32 s5, s5, s4
	s_or_b32 exec_lo, exec_lo, s34
	s_and_saveexec_b32 s34, s57
	s_cbranch_execz .LBB693_80
.LBB693_132:
	global_load_ubyte v0, v[5:6], off offset:384
	s_waitcnt vmcnt(0)
	v_and_b32_e32 v0, 1, v0
	v_cmp_eq_u32_e64 s4, 1, v0
	s_xor_b32 s70, s4, -1
	s_mov_b32 s4, s5
	s_and_saveexec_b32 s42, s70
	s_cbranch_execz .LBB693_134
; %bb.133:
	v_cmp_gt_f64_e64 s4, v[31:32], v[63:64]
	s_and_b32 s4, s5, s4
	v_cndmask_b32_e64 v32, v64, v32, s4
	v_cndmask_b32_e64 v31, v63, v31, s4
	s_or_b32 s4, s5, exec_lo
.LBB693_134:
	s_or_b32 exec_lo, exec_lo, s42
	s_andn2_b32 s5, s5, exec_lo
	s_and_b32 s4, s4, exec_lo
	s_or_b32 s5, s5, s4
	s_or_b32 exec_lo, exec_lo, s34
	s_and_saveexec_b32 s34, s56
	s_cbranch_execz .LBB693_81
.LBB693_135:
	global_load_ubyte v0, v[5:6], off offset:416
	s_waitcnt vmcnt(0)
	v_and_b32_e32 v0, 1, v0
	v_cmp_eq_u32_e64 s4, 1, v0
	s_xor_b32 s70, s4, -1
	s_mov_b32 s4, s5
	s_and_saveexec_b32 s42, s70
	s_cbranch_execz .LBB693_137
; %bb.136:
	v_cmp_gt_f64_e64 s4, v[31:32], v[57:58]
	s_and_b32 s4, s5, s4
	v_cndmask_b32_e64 v32, v58, v32, s4
	v_cndmask_b32_e64 v31, v57, v31, s4
	s_or_b32 s4, s5, exec_lo
.LBB693_137:
	s_or_b32 exec_lo, exec_lo, s42
	s_andn2_b32 s5, s5, exec_lo
	s_and_b32 s4, s4, exec_lo
	s_or_b32 s5, s5, s4
	s_or_b32 exec_lo, exec_lo, s34
	s_and_saveexec_b32 s34, s55
	s_cbranch_execz .LBB693_82
.LBB693_138:
	global_load_ubyte v0, v[5:6], off offset:448
	s_waitcnt vmcnt(0)
	v_and_b32_e32 v0, 1, v0
	v_cmp_eq_u32_e64 s4, 1, v0
	s_xor_b32 s70, s4, -1
	s_mov_b32 s4, s5
	s_and_saveexec_b32 s42, s70
	s_cbranch_execz .LBB693_140
; %bb.139:
	v_cmp_gt_f64_e64 s4, v[31:32], v[55:56]
	s_and_b32 s4, s5, s4
	v_cndmask_b32_e64 v32, v56, v32, s4
	v_cndmask_b32_e64 v31, v55, v31, s4
	s_or_b32 s4, s5, exec_lo
.LBB693_140:
	s_or_b32 exec_lo, exec_lo, s42
	s_andn2_b32 s5, s5, exec_lo
	s_and_b32 s4, s4, exec_lo
	s_or_b32 s5, s5, s4
	s_or_b32 exec_lo, exec_lo, s34
	s_and_saveexec_b32 s34, s54
	s_cbranch_execz .LBB693_83
.LBB693_141:
	global_load_ubyte v0, v[5:6], off offset:480
	s_waitcnt vmcnt(0)
	v_and_b32_e32 v0, 1, v0
	v_cmp_eq_u32_e64 s4, 1, v0
	s_xor_b32 s70, s4, -1
	s_mov_b32 s4, s5
	s_and_saveexec_b32 s42, s70
	s_cbranch_execz .LBB693_143
; %bb.142:
	v_cmp_gt_f64_e64 s4, v[31:32], v[49:50]
	s_and_b32 s4, s5, s4
	v_cndmask_b32_e64 v32, v50, v32, s4
	v_cndmask_b32_e64 v31, v49, v31, s4
	s_or_b32 s4, s5, exec_lo
.LBB693_143:
	s_or_b32 exec_lo, exec_lo, s42
	s_andn2_b32 s5, s5, exec_lo
	s_and_b32 s4, s4, exec_lo
	s_or_b32 s5, s5, s4
	s_or_b32 exec_lo, exec_lo, s34
	s_and_saveexec_b32 s34, s53
	s_cbranch_execz .LBB693_84
.LBB693_144:
	global_load_ubyte v0, v[5:6], off offset:512
	s_waitcnt vmcnt(0)
	v_and_b32_e32 v0, 1, v0
	v_cmp_eq_u32_e64 s4, 1, v0
	s_xor_b32 s70, s4, -1
	s_mov_b32 s4, s5
	s_and_saveexec_b32 s42, s70
	s_cbranch_execz .LBB693_146
; %bb.145:
	v_cmp_gt_f64_e64 s4, v[31:32], v[47:48]
	s_and_b32 s4, s5, s4
	v_cndmask_b32_e64 v32, v48, v32, s4
	v_cndmask_b32_e64 v31, v47, v31, s4
	s_or_b32 s4, s5, exec_lo
.LBB693_146:
	s_or_b32 exec_lo, exec_lo, s42
	s_andn2_b32 s5, s5, exec_lo
	s_and_b32 s4, s4, exec_lo
	s_or_b32 s5, s5, s4
	s_or_b32 exec_lo, exec_lo, s34
	s_and_saveexec_b32 s34, s52
	s_cbranch_execz .LBB693_85
.LBB693_147:
	global_load_ubyte v0, v[5:6], off offset:544
	s_waitcnt vmcnt(0)
	v_and_b32_e32 v0, 1, v0
	v_cmp_eq_u32_e64 s4, 1, v0
	s_xor_b32 s70, s4, -1
	s_mov_b32 s4, s5
	s_and_saveexec_b32 s42, s70
	s_cbranch_execz .LBB693_149
; %bb.148:
	v_cmp_gt_f64_e64 s4, v[31:32], v[41:42]
	s_and_b32 s4, s5, s4
	v_cndmask_b32_e64 v32, v42, v32, s4
	v_cndmask_b32_e64 v31, v41, v31, s4
	s_or_b32 s4, s5, exec_lo
.LBB693_149:
	s_or_b32 exec_lo, exec_lo, s42
	s_andn2_b32 s5, s5, exec_lo
	s_and_b32 s4, s4, exec_lo
	s_or_b32 s5, s5, s4
	s_or_b32 exec_lo, exec_lo, s34
	s_and_saveexec_b32 s34, s51
	s_cbranch_execz .LBB693_86
.LBB693_150:
	global_load_ubyte v0, v[5:6], off offset:576
	s_waitcnt vmcnt(0)
	v_and_b32_e32 v0, 1, v0
	v_cmp_eq_u32_e64 s4, 1, v0
	s_xor_b32 s70, s4, -1
	s_mov_b32 s4, s5
	s_and_saveexec_b32 s42, s70
	s_cbranch_execz .LBB693_152
; %bb.151:
	v_cmp_gt_f64_e64 s4, v[31:32], v[35:36]
	s_and_b32 s4, s5, s4
	v_cndmask_b32_e64 v32, v36, v32, s4
	v_cndmask_b32_e64 v31, v35, v31, s4
	s_or_b32 s4, s5, exec_lo
.LBB693_152:
	s_or_b32 exec_lo, exec_lo, s42
	s_andn2_b32 s5, s5, exec_lo
	s_and_b32 s4, s4, exec_lo
	s_or_b32 s5, s5, s4
	s_or_b32 exec_lo, exec_lo, s34
	s_and_saveexec_b32 s34, s50
	s_cbranch_execz .LBB693_87
.LBB693_153:
	global_load_ubyte v0, v[5:6], off offset:608
	s_waitcnt vmcnt(0)
	v_and_b32_e32 v0, 1, v0
	v_cmp_eq_u32_e64 s4, 1, v0
	s_xor_b32 s70, s4, -1
	s_mov_b32 s4, s5
	s_and_saveexec_b32 s42, s70
	s_cbranch_execz .LBB693_155
; %bb.154:
	v_cmp_gt_f64_e64 s4, v[31:32], v[29:30]
	s_and_b32 s4, s5, s4
	v_cndmask_b32_e64 v32, v30, v32, s4
	v_cndmask_b32_e64 v31, v29, v31, s4
	s_or_b32 s4, s5, exec_lo
.LBB693_155:
	s_or_b32 exec_lo, exec_lo, s42
	s_andn2_b32 s5, s5, exec_lo
	s_and_b32 s4, s4, exec_lo
	s_or_b32 s5, s5, s4
	s_or_b32 exec_lo, exec_lo, s34
	s_and_saveexec_b32 s34, s49
	s_cbranch_execz .LBB693_88
.LBB693_156:
	global_load_ubyte v0, v[5:6], off offset:640
	s_waitcnt vmcnt(0)
	v_and_b32_e32 v0, 1, v0
	v_cmp_eq_u32_e64 s4, 1, v0
	s_xor_b32 s70, s4, -1
	s_mov_b32 s4, s5
	s_and_saveexec_b32 s42, s70
	s_cbranch_execz .LBB693_158
; %bb.157:
	v_cmp_gt_f64_e64 s4, v[31:32], v[27:28]
	s_and_b32 s4, s5, s4
	v_cndmask_b32_e64 v32, v28, v32, s4
	v_cndmask_b32_e64 v31, v27, v31, s4
	s_or_b32 s4, s5, exec_lo
.LBB693_158:
	s_or_b32 exec_lo, exec_lo, s42
	s_andn2_b32 s5, s5, exec_lo
	s_and_b32 s4, s4, exec_lo
	s_or_b32 s5, s5, s4
	s_or_b32 exec_lo, exec_lo, s34
	s_and_saveexec_b32 s34, s48
	s_cbranch_execz .LBB693_89
.LBB693_159:
	global_load_ubyte v0, v[5:6], off offset:672
	s_waitcnt vmcnt(0)
	v_and_b32_e32 v0, 1, v0
	v_cmp_eq_u32_e64 s4, 1, v0
	s_xor_b32 s70, s4, -1
	s_mov_b32 s4, s5
	s_and_saveexec_b32 s42, s70
	s_cbranch_execz .LBB693_161
; %bb.160:
	v_cmp_gt_f64_e64 s4, v[31:32], v[25:26]
	s_and_b32 s4, s5, s4
	v_cndmask_b32_e64 v32, v26, v32, s4
	v_cndmask_b32_e64 v31, v25, v31, s4
	s_or_b32 s4, s5, exec_lo
.LBB693_161:
	s_or_b32 exec_lo, exec_lo, s42
	s_andn2_b32 s5, s5, exec_lo
	s_and_b32 s4, s4, exec_lo
	s_or_b32 s5, s5, s4
	s_or_b32 exec_lo, exec_lo, s34
	s_and_saveexec_b32 s34, s47
	s_cbranch_execz .LBB693_90
.LBB693_162:
	global_load_ubyte v0, v[5:6], off offset:704
	s_waitcnt vmcnt(0)
	v_and_b32_e32 v0, 1, v0
	v_cmp_eq_u32_e64 s4, 1, v0
	s_xor_b32 s70, s4, -1
	s_mov_b32 s4, s5
	s_and_saveexec_b32 s42, s70
	s_cbranch_execz .LBB693_164
; %bb.163:
	v_cmp_gt_f64_e64 s4, v[31:32], v[23:24]
	s_and_b32 s4, s5, s4
	v_cndmask_b32_e64 v32, v24, v32, s4
	v_cndmask_b32_e64 v31, v23, v31, s4
	s_or_b32 s4, s5, exec_lo
.LBB693_164:
	s_or_b32 exec_lo, exec_lo, s42
	s_andn2_b32 s5, s5, exec_lo
	s_and_b32 s4, s4, exec_lo
	s_or_b32 s5, s5, s4
	s_or_b32 exec_lo, exec_lo, s34
	s_and_saveexec_b32 s34, s46
	s_cbranch_execz .LBB693_91
.LBB693_165:
	global_load_ubyte v0, v[5:6], off offset:736
	s_waitcnt vmcnt(0)
	v_and_b32_e32 v0, 1, v0
	v_cmp_eq_u32_e64 s4, 1, v0
	s_xor_b32 s70, s4, -1
	s_mov_b32 s4, s5
	s_and_saveexec_b32 s42, s70
	s_cbranch_execz .LBB693_167
; %bb.166:
	v_cmp_gt_f64_e64 s4, v[31:32], v[21:22]
	s_and_b32 s4, s5, s4
	v_cndmask_b32_e64 v32, v22, v32, s4
	v_cndmask_b32_e64 v31, v21, v31, s4
	s_or_b32 s4, s5, exec_lo
.LBB693_167:
	s_or_b32 exec_lo, exec_lo, s42
	s_andn2_b32 s5, s5, exec_lo
	s_and_b32 s4, s4, exec_lo
	s_or_b32 s5, s5, s4
	s_or_b32 exec_lo, exec_lo, s34
	s_and_saveexec_b32 s34, s45
	s_cbranch_execz .LBB693_92
.LBB693_168:
	global_load_ubyte v0, v[5:6], off offset:768
	s_waitcnt vmcnt(0)
	v_and_b32_e32 v0, 1, v0
	v_cmp_eq_u32_e64 s4, 1, v0
	s_xor_b32 s70, s4, -1
	s_mov_b32 s4, s5
	s_and_saveexec_b32 s42, s70
	s_cbranch_execz .LBB693_170
; %bb.169:
	v_cmp_gt_f64_e64 s4, v[31:32], v[19:20]
	s_and_b32 s4, s5, s4
	v_cndmask_b32_e64 v32, v20, v32, s4
	v_cndmask_b32_e64 v31, v19, v31, s4
	s_or_b32 s4, s5, exec_lo
.LBB693_170:
	s_or_b32 exec_lo, exec_lo, s42
	s_andn2_b32 s5, s5, exec_lo
	s_and_b32 s4, s4, exec_lo
	s_or_b32 s5, s5, s4
	s_or_b32 exec_lo, exec_lo, s34
	s_and_saveexec_b32 s34, s44
	s_cbranch_execz .LBB693_93
.LBB693_171:
	global_load_ubyte v0, v[5:6], off offset:800
	s_waitcnt vmcnt(0)
	v_and_b32_e32 v0, 1, v0
	v_cmp_eq_u32_e64 s4, 1, v0
	s_xor_b32 s70, s4, -1
	s_mov_b32 s4, s5
	s_and_saveexec_b32 s42, s70
	s_cbranch_execz .LBB693_173
; %bb.172:
	v_cmp_gt_f64_e64 s4, v[31:32], v[17:18]
	s_and_b32 s4, s5, s4
	v_cndmask_b32_e64 v32, v18, v32, s4
	v_cndmask_b32_e64 v31, v17, v31, s4
	s_or_b32 s4, s5, exec_lo
.LBB693_173:
	s_or_b32 exec_lo, exec_lo, s42
	s_andn2_b32 s5, s5, exec_lo
	s_and_b32 s4, s4, exec_lo
	s_or_b32 s5, s5, s4
	s_or_b32 exec_lo, exec_lo, s34
	s_and_saveexec_b32 s34, s43
	s_cbranch_execz .LBB693_94
.LBB693_174:
	global_load_ubyte v0, v[5:6], off offset:832
	s_waitcnt vmcnt(0)
	v_and_b32_e32 v0, 1, v0
	v_cmp_eq_u32_e64 s4, 1, v0
	s_xor_b32 s70, s4, -1
	s_mov_b32 s4, s5
	s_and_saveexec_b32 s42, s70
	s_cbranch_execz .LBB693_176
; %bb.175:
	v_cmp_gt_f64_e64 s4, v[31:32], v[15:16]
	s_and_b32 s4, s5, s4
	v_cndmask_b32_e64 v32, v16, v32, s4
	v_cndmask_b32_e64 v31, v15, v31, s4
	s_or_b32 s4, s5, exec_lo
.LBB693_176:
	s_or_b32 exec_lo, exec_lo, s42
	s_andn2_b32 s5, s5, exec_lo
	s_and_b32 s4, s4, exec_lo
	s_or_b32 s5, s5, s4
	s_or_b32 exec_lo, exec_lo, s34
	s_and_saveexec_b32 s34, s41
	s_cbranch_execz .LBB693_95
.LBB693_177:
	global_load_ubyte v0, v[5:6], off offset:864
	s_waitcnt vmcnt(0)
	v_and_b32_e32 v0, 1, v0
	v_cmp_eq_u32_e64 s4, 1, v0
	s_xor_b32 s70, s4, -1
	s_mov_b32 s4, s5
	s_and_saveexec_b32 s42, s70
	s_cbranch_execz .LBB693_179
; %bb.178:
	v_cmp_gt_f64_e64 s4, v[31:32], v[13:14]
	s_and_b32 s4, s5, s4
	v_cndmask_b32_e64 v32, v14, v32, s4
	v_cndmask_b32_e64 v31, v13, v31, s4
	s_or_b32 s4, s5, exec_lo
.LBB693_179:
	s_or_b32 exec_lo, exec_lo, s42
	s_andn2_b32 s5, s5, exec_lo
	s_and_b32 s4, s4, exec_lo
	s_or_b32 s5, s5, s4
	s_or_b32 exec_lo, exec_lo, s34
	s_and_saveexec_b32 s34, s40
	s_cbranch_execz .LBB693_96
.LBB693_180:
	global_load_ubyte v0, v[5:6], off offset:896
	s_waitcnt vmcnt(0)
	v_and_b32_e32 v0, 1, v0
	v_cmp_eq_u32_e64 s4, 1, v0
	s_xor_b32 s70, s4, -1
	s_mov_b32 s4, s5
	s_and_saveexec_b32 s42, s70
	s_cbranch_execz .LBB693_182
; %bb.181:
	v_cmp_gt_f64_e64 s4, v[31:32], v[11:12]
	s_and_b32 s4, s5, s4
	v_cndmask_b32_e64 v32, v12, v32, s4
	v_cndmask_b32_e64 v31, v11, v31, s4
	s_or_b32 s4, s5, exec_lo
.LBB693_182:
	s_or_b32 exec_lo, exec_lo, s42
	s_andn2_b32 s5, s5, exec_lo
	s_and_b32 s4, s4, exec_lo
	s_or_b32 s5, s5, s4
	s_or_b32 exec_lo, exec_lo, s34
	s_and_saveexec_b32 s34, s39
	s_cbranch_execz .LBB693_97
.LBB693_183:
	global_load_ubyte v0, v[5:6], off offset:928
	s_waitcnt vmcnt(0)
	v_and_b32_e32 v0, 1, v0
	v_cmp_eq_u32_e64 s4, 1, v0
	s_xor_b32 s70, s4, -1
	s_mov_b32 s4, s5
	s_and_saveexec_b32 s42, s70
	s_cbranch_execz .LBB693_185
; %bb.184:
	v_cmp_gt_f64_e64 s4, v[31:32], v[9:10]
	s_and_b32 s4, s5, s4
	v_cndmask_b32_e64 v32, v10, v32, s4
	v_cndmask_b32_e64 v31, v9, v31, s4
	s_or_b32 s4, s5, exec_lo
.LBB693_185:
	s_or_b32 exec_lo, exec_lo, s42
	s_andn2_b32 s5, s5, exec_lo
	s_and_b32 s4, s4, exec_lo
	s_or_b32 s5, s5, s4
	s_or_b32 exec_lo, exec_lo, s34
	s_and_saveexec_b32 s34, s38
	s_cbranch_execz .LBB693_98
.LBB693_186:
	global_load_ubyte v0, v[5:6], off offset:960
	s_waitcnt vmcnt(0)
	v_and_b32_e32 v0, 1, v0
	v_cmp_eq_u32_e64 s4, 1, v0
	s_xor_b32 s70, s4, -1
	s_mov_b32 s4, s5
	s_and_saveexec_b32 s42, s70
	s_cbranch_execz .LBB693_188
; %bb.187:
	v_cmp_gt_f64_e64 s4, v[31:32], v[7:8]
	s_and_b32 s4, s5, s4
	v_cndmask_b32_e64 v32, v8, v32, s4
	v_cndmask_b32_e64 v31, v7, v31, s4
	s_or_b32 s4, s5, exec_lo
.LBB693_188:
	s_or_b32 exec_lo, exec_lo, s42
	s_andn2_b32 s5, s5, exec_lo
	s_and_b32 s4, s4, exec_lo
	s_or_b32 s5, s5, s4
	s_or_b32 exec_lo, exec_lo, s34
	s_and_saveexec_b32 s34, s35
	s_cbranch_execz .LBB693_192
.LBB693_189:
	global_load_ubyte v0, v[5:6], off offset:992
	s_waitcnt vmcnt(0)
	v_and_b32_e32 v0, 1, v0
	v_cmp_eq_u32_e64 s4, 1, v0
	s_xor_b32 s70, s4, -1
	s_mov_b32 s4, s5
	s_and_saveexec_b32 s42, s70
	s_cbranch_execz .LBB693_191
; %bb.190:
	v_cmp_gt_f64_e64 s4, v[31:32], v[3:4]
	s_and_b32 s4, s5, s4
	v_cndmask_b32_e64 v32, v4, v32, s4
	v_cndmask_b32_e64 v31, v3, v31, s4
	s_or_b32 s4, s5, exec_lo
.LBB693_191:
	s_or_b32 exec_lo, exec_lo, s42
	s_andn2_b32 s5, s5, exec_lo
	s_and_b32 s4, s4, exec_lo
	s_or_b32 s5, s5, s4
.LBB693_192:
	s_or_b32 exec_lo, exec_lo, s34
	v_mbcnt_lo_u32_b32 v37, -1, 0
	v_cndmask_b32_e64 v31, 0, v31, s5
	v_cndmask_b32_e64 v32, 0xfff00000, v32, s5
	v_xor_b32_e32 v0, 16, v37
	v_xor_b32_e32 v38, 8, v37
	v_cmp_gt_i32_e64 s4, 32, v0
	v_cmp_gt_i32_e64 s5, 32, v38
	v_cndmask_b32_e64 v0, v37, v0, s4
	v_cndmask_b32_e64 v38, v37, v38, s5
	v_lshlrev_b32_e32 v0, 2, v0
	v_lshlrev_b32_e32 v78, 2, v38
	v_xor_b32_e32 v38, 4, v37
	ds_bpermute_b32 v33, v0, v31
	ds_bpermute_b32 v34, v0, v32
	v_cmp_gt_i32_e64 s5, 32, v38
	v_cndmask_b32_e64 v38, v37, v38, s5
	v_lshlrev_b32_e32 v79, 2, v38
	v_xor_b32_e32 v38, 2, v37
	v_cmp_gt_i32_e64 s5, 32, v38
	s_waitcnt lgkmcnt(0)
	v_cmp_lt_f64_e64 s4, v[31:32], v[33:34]
	v_cndmask_b32_e64 v38, v37, v38, s5
	v_lshlrev_b32_e32 v80, 2, v38
	v_xor_b32_e32 v38, 1, v37
	v_cmp_gt_i32_e64 s5, 32, v38
	v_cndmask_b32_e64 v37, v37, v38, s5
	v_cndmask_b32_e64 v32, v32, v34, s4
	;; [unrolled: 1-line block ×3, first 2 shown]
	v_lshlrev_b32_e32 v81, 2, v37
	v_mov_b32_e32 v37, 0
	v_mov_b32_e32 v38, 0
	ds_bpermute_b32 v34, v78, v32
	ds_bpermute_b32 v33, v78, v31
	s_waitcnt lgkmcnt(0)
	v_cmp_lt_f64_e64 s4, v[31:32], v[33:34]
	v_cndmask_b32_e64 v32, v32, v34, s4
	v_cndmask_b32_e64 v31, v31, v33, s4
	ds_bpermute_b32 v34, v79, v32
	ds_bpermute_b32 v33, v79, v31
	s_waitcnt lgkmcnt(0)
	v_cmp_lt_f64_e64 s4, v[31:32], v[33:34]
	v_cndmask_b32_e64 v32, v32, v34, s4
	v_cndmask_b32_e64 v31, v31, v33, s4
	;; [unrolled: 6-line block ×3, first 2 shown]
	v_mov_b32_e32 v31, 0
	v_mov_b32_e32 v33, 0
	;; [unrolled: 1-line block ×3, first 2 shown]
	ds_bpermute_b32 v83, v81, v40
	ds_bpermute_b32 v82, v81, v39
	v_mov_b32_e32 v34, 0
	s_waitcnt lgkmcnt(0)
	v_cmp_lt_f64_e64 s4, v[39:40], v[82:83]
	v_cndmask_b32_e64 v40, v40, v83, s4
	v_cndmask_b32_e64 v39, v39, v82, s4
	s_and_saveexec_b32 s34, s69
	s_cbranch_execz .LBB693_196
; %bb.193:
	global_load_ubyte v33, v[5:6], off
	v_mov_b32_e32 v37, 0
	v_mov_b32_e32 v38, 0
	s_waitcnt vmcnt(0)
	v_and_b32_e32 v33, 1, v33
	v_cmp_eq_u32_e64 s4, 1, v33
	v_mov_b32_e32 v33, 0
	v_mov_b32_e32 v34, 0
	s_xor_b32 s4, s4, -1
	s_and_saveexec_b32 s42, s4
	s_cbranch_execz .LBB693_195
; %bb.194:
	v_add_f64 v[33:34], v[45:46], -v[39:40]
	s_mov_b32 s4, 0x652b82fe
	s_mov_b32 s5, 0x3ff71547
	;; [unrolled: 1-line block ×4, first 2 shown]
	v_mul_f64 v[37:38], v[33:34], s[4:5]
	s_mov_b32 s4, 0xfefa39ef
	s_mov_b32 s5, 0xbfe62e42
	v_rndne_f64_e32 v[37:38], v[37:38]
	v_fma_f64 v[45:46], v[37:38], s[4:5], v[33:34]
	s_mov_b32 s4, 0x3b39803f
	s_mov_b32 s5, 0xbc7abc9e
	v_cvt_i32_f64_e32 v84, v[37:38]
	v_fma_f64 v[45:46], v[37:38], s[4:5], v[45:46]
	s_mov_b32 s4, 0xfca7ab0c
	s_mov_b32 s5, 0x3e928af3
	v_fma_f64 v[82:83], v[45:46], s[70:71], s[4:5]
	s_mov_b32 s4, 0x623fde64
	s_mov_b32 s5, 0x3ec71dee
	;; [unrolled: 3-line block ×9, first 2 shown]
	v_fma_f64 v[82:83], v[45:46], v[82:83], s[4:5]
	v_cmp_nlt_f64_e64 s4, 0x40900000, v[33:34]
	v_cmp_ngt_f64_e64 s5, 0xc090cc00, v[33:34]
	v_fma_f64 v[82:83], v[45:46], v[82:83], 1.0
	v_fma_f64 v[37:38], v[45:46], v[82:83], 1.0
	v_ldexp_f64 v[37:38], v[37:38], v84
	v_cndmask_b32_e64 v38, 0x7ff00000, v38, s4
	s_and_b32 s4, s5, s4
	v_cndmask_b32_e64 v33, 0, v37, s4
	v_cndmask_b32_e64 v34, 0, v38, s5
	v_add_f64 v[37:38], v[33:34], 0
.LBB693_195:
	s_or_b32 exec_lo, exec_lo, s42
.LBB693_196:
	s_or_b32 exec_lo, exec_lo, s34
	s_and_saveexec_b32 s34, s68
	s_cbranch_execz .LBB693_200
; %bb.197:
	global_load_ubyte v31, v[5:6], off offset:32
	s_waitcnt vmcnt(0)
	v_and_b32_e32 v31, 1, v31
	v_cmp_eq_u32_e64 s4, 1, v31
	v_mov_b32_e32 v31, 0
	v_mov_b32_e32 v32, 0
	s_xor_b32 s4, s4, -1
	s_and_saveexec_b32 s42, s4
	s_cbranch_execz .LBB693_199
; %bb.198:
	v_add_f64 v[31:32], v[43:44], -v[39:40]
	s_mov_b32 s4, 0x652b82fe
	s_mov_b32 s5, 0x3ff71547
	;; [unrolled: 1-line block ×4, first 2 shown]
	v_mul_f64 v[43:44], v[31:32], s[4:5]
	s_mov_b32 s4, 0xfefa39ef
	s_mov_b32 s5, 0xbfe62e42
	v_rndne_f64_e32 v[43:44], v[43:44]
	v_fma_f64 v[45:46], v[43:44], s[4:5], v[31:32]
	s_mov_b32 s4, 0x3b39803f
	s_mov_b32 s5, 0xbc7abc9e
	v_cvt_i32_f64_e32 v84, v[43:44]
	v_fma_f64 v[45:46], v[43:44], s[4:5], v[45:46]
	s_mov_b32 s4, 0xfca7ab0c
	s_mov_b32 s5, 0x3e928af3
	v_fma_f64 v[82:83], v[45:46], s[68:69], s[4:5]
	s_mov_b32 s4, 0x623fde64
	s_mov_b32 s5, 0x3ec71dee
	;; [unrolled: 3-line block ×9, first 2 shown]
	v_fma_f64 v[82:83], v[45:46], v[82:83], s[4:5]
	v_cmp_nlt_f64_e64 s4, 0x40900000, v[31:32]
	v_cmp_ngt_f64_e64 s5, 0xc090cc00, v[31:32]
	v_fma_f64 v[82:83], v[45:46], v[82:83], 1.0
	v_fma_f64 v[43:44], v[45:46], v[82:83], 1.0
	v_ldexp_f64 v[43:44], v[43:44], v84
	v_cndmask_b32_e64 v44, 0x7ff00000, v44, s4
	s_and_b32 s4, s5, s4
	v_cndmask_b32_e64 v31, 0, v43, s4
	v_cndmask_b32_e64 v32, 0, v44, s5
	v_add_f64 v[37:38], v[37:38], v[31:32]
.LBB693_199:
	s_or_b32 exec_lo, exec_lo, s42
.LBB693_200:
	s_or_b32 exec_lo, exec_lo, s34
	v_mov_b32_e32 v43, 0
	v_mov_b32_e32 v45, 0
	;; [unrolled: 1-line block ×4, first 2 shown]
	s_and_saveexec_b32 s34, s67
	s_cbranch_execz .LBB693_204
; %bb.201:
	global_load_ubyte v45, v[5:6], off offset:64
	s_waitcnt vmcnt(0)
	v_and_b32_e32 v45, 1, v45
	v_cmp_eq_u32_e64 s4, 1, v45
	v_mov_b32_e32 v45, 0
	v_mov_b32_e32 v46, 0
	s_xor_b32 s4, s4, -1
	s_and_saveexec_b32 s42, s4
	s_cbranch_execz .LBB693_203
; %bb.202:
	v_add_f64 v[45:46], v[53:54], -v[39:40]
	s_mov_b32 s4, 0x652b82fe
	s_mov_b32 s5, 0x3ff71547
	;; [unrolled: 1-line block ×4, first 2 shown]
	v_mul_f64 v[53:54], v[45:46], s[4:5]
	s_mov_b32 s4, 0xfefa39ef
	s_mov_b32 s5, 0xbfe62e42
	v_rndne_f64_e32 v[53:54], v[53:54]
	v_fma_f64 v[82:83], v[53:54], s[4:5], v[45:46]
	s_mov_b32 s4, 0x3b39803f
	s_mov_b32 s5, 0xbc7abc9e
	v_cvt_i32_f64_e32 v86, v[53:54]
	v_fma_f64 v[82:83], v[53:54], s[4:5], v[82:83]
	s_mov_b32 s4, 0xfca7ab0c
	s_mov_b32 s5, 0x3e928af3
	v_fma_f64 v[84:85], v[82:83], s[68:69], s[4:5]
	s_mov_b32 s4, 0x623fde64
	s_mov_b32 s5, 0x3ec71dee
	;; [unrolled: 3-line block ×9, first 2 shown]
	v_fma_f64 v[84:85], v[82:83], v[84:85], s[4:5]
	v_cmp_nlt_f64_e64 s4, 0x40900000, v[45:46]
	v_cmp_ngt_f64_e64 s5, 0xc090cc00, v[45:46]
	v_fma_f64 v[84:85], v[82:83], v[84:85], 1.0
	v_fma_f64 v[53:54], v[82:83], v[84:85], 1.0
	v_ldexp_f64 v[53:54], v[53:54], v86
	v_cndmask_b32_e64 v54, 0x7ff00000, v54, s4
	s_and_b32 s4, s5, s4
	v_cndmask_b32_e64 v45, 0, v53, s4
	v_cndmask_b32_e64 v46, 0, v54, s5
	v_add_f64 v[37:38], v[37:38], v[45:46]
.LBB693_203:
	s_or_b32 exec_lo, exec_lo, s42
.LBB693_204:
	s_or_b32 exec_lo, exec_lo, s34
	s_and_saveexec_b32 s34, s66
	s_cbranch_execz .LBB693_208
; %bb.205:
	global_load_ubyte v43, v[5:6], off offset:96
	s_waitcnt vmcnt(0)
	v_and_b32_e32 v43, 1, v43
	v_cmp_eq_u32_e64 s4, 1, v43
	v_mov_b32_e32 v43, 0
	v_mov_b32_e32 v44, 0
	s_xor_b32 s4, s4, -1
	s_and_saveexec_b32 s42, s4
	s_cbranch_execz .LBB693_207
; %bb.206:
	v_add_f64 v[43:44], v[51:52], -v[39:40]
	s_mov_b32 s4, 0x652b82fe
	s_mov_b32 s5, 0x3ff71547
	;; [unrolled: 1-line block ×4, first 2 shown]
	v_mul_f64 v[51:52], v[43:44], s[4:5]
	s_mov_b32 s4, 0xfefa39ef
	s_mov_b32 s5, 0xbfe62e42
	v_rndne_f64_e32 v[51:52], v[51:52]
	v_fma_f64 v[53:54], v[51:52], s[4:5], v[43:44]
	s_mov_b32 s4, 0x3b39803f
	s_mov_b32 s5, 0xbc7abc9e
	v_cvt_i32_f64_e32 v84, v[51:52]
	v_fma_f64 v[53:54], v[51:52], s[4:5], v[53:54]
	s_mov_b32 s4, 0xfca7ab0c
	s_mov_b32 s5, 0x3e928af3
	v_fma_f64 v[82:83], v[53:54], s[66:67], s[4:5]
	s_mov_b32 s4, 0x623fde64
	s_mov_b32 s5, 0x3ec71dee
	;; [unrolled: 3-line block ×9, first 2 shown]
	v_fma_f64 v[82:83], v[53:54], v[82:83], s[4:5]
	v_cmp_nlt_f64_e64 s4, 0x40900000, v[43:44]
	v_cmp_ngt_f64_e64 s5, 0xc090cc00, v[43:44]
	v_fma_f64 v[82:83], v[53:54], v[82:83], 1.0
	v_fma_f64 v[51:52], v[53:54], v[82:83], 1.0
	v_ldexp_f64 v[51:52], v[51:52], v84
	v_cndmask_b32_e64 v52, 0x7ff00000, v52, s4
	s_and_b32 s4, s5, s4
	v_cndmask_b32_e64 v43, 0, v51, s4
	v_cndmask_b32_e64 v44, 0, v52, s5
	v_add_f64 v[37:38], v[37:38], v[43:44]
.LBB693_207:
	s_or_b32 exec_lo, exec_lo, s42
.LBB693_208:
	s_or_b32 exec_lo, exec_lo, s34
	v_mov_b32_e32 v51, 0
	v_mov_b32_e32 v53, 0
	v_mov_b32_e32 v52, 0
	v_mov_b32_e32 v54, 0
	s_and_saveexec_b32 s34, s65
	s_cbranch_execz .LBB693_212
; %bb.209:
	global_load_ubyte v53, v[5:6], off offset:128
	s_waitcnt vmcnt(0)
	v_and_b32_e32 v53, 1, v53
	v_cmp_eq_u32_e64 s4, 1, v53
	v_mov_b32_e32 v53, 0
	v_mov_b32_e32 v54, 0
	s_xor_b32 s4, s4, -1
	s_and_saveexec_b32 s42, s4
	s_cbranch_execz .LBB693_211
; %bb.210:
	v_add_f64 v[53:54], v[61:62], -v[39:40]
	s_mov_b32 s4, 0x652b82fe
	s_mov_b32 s5, 0x3ff71547
	;; [unrolled: 1-line block ×4, first 2 shown]
	v_mul_f64 v[61:62], v[53:54], s[4:5]
	s_mov_b32 s4, 0xfefa39ef
	s_mov_b32 s5, 0xbfe62e42
	v_rndne_f64_e32 v[61:62], v[61:62]
	v_fma_f64 v[82:83], v[61:62], s[4:5], v[53:54]
	s_mov_b32 s4, 0x3b39803f
	s_mov_b32 s5, 0xbc7abc9e
	v_cvt_i32_f64_e32 v86, v[61:62]
	v_fma_f64 v[82:83], v[61:62], s[4:5], v[82:83]
	s_mov_b32 s4, 0xfca7ab0c
	s_mov_b32 s5, 0x3e928af3
	v_fma_f64 v[84:85], v[82:83], s[66:67], s[4:5]
	s_mov_b32 s4, 0x623fde64
	s_mov_b32 s5, 0x3ec71dee
	;; [unrolled: 3-line block ×9, first 2 shown]
	v_fma_f64 v[84:85], v[82:83], v[84:85], s[4:5]
	v_cmp_nlt_f64_e64 s4, 0x40900000, v[53:54]
	v_cmp_ngt_f64_e64 s5, 0xc090cc00, v[53:54]
	v_fma_f64 v[84:85], v[82:83], v[84:85], 1.0
	v_fma_f64 v[61:62], v[82:83], v[84:85], 1.0
	v_ldexp_f64 v[61:62], v[61:62], v86
	v_cndmask_b32_e64 v62, 0x7ff00000, v62, s4
	s_and_b32 s4, s5, s4
	v_cndmask_b32_e64 v53, 0, v61, s4
	v_cndmask_b32_e64 v54, 0, v62, s5
	v_add_f64 v[37:38], v[37:38], v[53:54]
.LBB693_211:
	s_or_b32 exec_lo, exec_lo, s42
.LBB693_212:
	s_or_b32 exec_lo, exec_lo, s34
	s_and_saveexec_b32 s34, s64
	s_cbranch_execz .LBB693_216
; %bb.213:
	global_load_ubyte v51, v[5:6], off offset:160
	s_waitcnt vmcnt(0)
	v_and_b32_e32 v51, 1, v51
	v_cmp_eq_u32_e64 s4, 1, v51
	v_mov_b32_e32 v51, 0
	v_mov_b32_e32 v52, 0
	s_xor_b32 s4, s4, -1
	s_and_saveexec_b32 s42, s4
	s_cbranch_execz .LBB693_215
; %bb.214:
	v_add_f64 v[51:52], v[59:60], -v[39:40]
	s_mov_b32 s4, 0x652b82fe
	s_mov_b32 s5, 0x3ff71547
	;; [unrolled: 1-line block ×4, first 2 shown]
	v_mul_f64 v[59:60], v[51:52], s[4:5]
	s_mov_b32 s4, 0xfefa39ef
	s_mov_b32 s5, 0xbfe62e42
	v_rndne_f64_e32 v[59:60], v[59:60]
	v_fma_f64 v[61:62], v[59:60], s[4:5], v[51:52]
	s_mov_b32 s4, 0x3b39803f
	s_mov_b32 s5, 0xbc7abc9e
	v_cvt_i32_f64_e32 v84, v[59:60]
	v_fma_f64 v[61:62], v[59:60], s[4:5], v[61:62]
	s_mov_b32 s4, 0xfca7ab0c
	s_mov_b32 s5, 0x3e928af3
	v_fma_f64 v[82:83], v[61:62], s[64:65], s[4:5]
	s_mov_b32 s4, 0x623fde64
	s_mov_b32 s5, 0x3ec71dee
	;; [unrolled: 3-line block ×9, first 2 shown]
	v_fma_f64 v[82:83], v[61:62], v[82:83], s[4:5]
	v_cmp_nlt_f64_e64 s4, 0x40900000, v[51:52]
	v_cmp_ngt_f64_e64 s5, 0xc090cc00, v[51:52]
	v_fma_f64 v[82:83], v[61:62], v[82:83], 1.0
	v_fma_f64 v[59:60], v[61:62], v[82:83], 1.0
	v_ldexp_f64 v[59:60], v[59:60], v84
	v_cndmask_b32_e64 v60, 0x7ff00000, v60, s4
	s_and_b32 s4, s5, s4
	v_cndmask_b32_e64 v51, 0, v59, s4
	v_cndmask_b32_e64 v52, 0, v60, s5
	v_add_f64 v[37:38], v[37:38], v[51:52]
.LBB693_215:
	s_or_b32 exec_lo, exec_lo, s42
.LBB693_216:
	s_or_b32 exec_lo, exec_lo, s34
	v_mov_b32_e32 v59, 0
	v_mov_b32_e32 v61, 0
	;; [unrolled: 1-line block ×4, first 2 shown]
	s_and_saveexec_b32 s34, s63
	s_cbranch_execz .LBB693_220
; %bb.217:
	global_load_ubyte v61, v[5:6], off offset:192
	s_waitcnt vmcnt(0)
	v_and_b32_e32 v61, 1, v61
	v_cmp_eq_u32_e64 s4, 1, v61
	v_mov_b32_e32 v61, 0
	v_mov_b32_e32 v62, 0
	s_xor_b32 s4, s4, -1
	s_and_saveexec_b32 s42, s4
	s_cbranch_execz .LBB693_219
; %bb.218:
	v_add_f64 v[61:62], v[69:70], -v[39:40]
	s_mov_b32 s4, 0x652b82fe
	s_mov_b32 s5, 0x3ff71547
	;; [unrolled: 1-line block ×4, first 2 shown]
	v_mul_f64 v[69:70], v[61:62], s[4:5]
	s_mov_b32 s4, 0xfefa39ef
	s_mov_b32 s5, 0xbfe62e42
	v_rndne_f64_e32 v[69:70], v[69:70]
	v_fma_f64 v[82:83], v[69:70], s[4:5], v[61:62]
	s_mov_b32 s4, 0x3b39803f
	s_mov_b32 s5, 0xbc7abc9e
	v_cvt_i32_f64_e32 v86, v[69:70]
	v_fma_f64 v[82:83], v[69:70], s[4:5], v[82:83]
	s_mov_b32 s4, 0xfca7ab0c
	s_mov_b32 s5, 0x3e928af3
	v_fma_f64 v[84:85], v[82:83], s[64:65], s[4:5]
	s_mov_b32 s4, 0x623fde64
	s_mov_b32 s5, 0x3ec71dee
	;; [unrolled: 3-line block ×9, first 2 shown]
	v_fma_f64 v[84:85], v[82:83], v[84:85], s[4:5]
	v_cmp_nlt_f64_e64 s4, 0x40900000, v[61:62]
	v_cmp_ngt_f64_e64 s5, 0xc090cc00, v[61:62]
	v_fma_f64 v[84:85], v[82:83], v[84:85], 1.0
	v_fma_f64 v[69:70], v[82:83], v[84:85], 1.0
	v_ldexp_f64 v[69:70], v[69:70], v86
	v_cndmask_b32_e64 v70, 0x7ff00000, v70, s4
	s_and_b32 s4, s5, s4
	v_cndmask_b32_e64 v61, 0, v69, s4
	v_cndmask_b32_e64 v62, 0, v70, s5
	v_add_f64 v[37:38], v[37:38], v[61:62]
.LBB693_219:
	s_or_b32 exec_lo, exec_lo, s42
.LBB693_220:
	s_or_b32 exec_lo, exec_lo, s34
	s_and_saveexec_b32 s34, s62
	s_cbranch_execz .LBB693_224
; %bb.221:
	global_load_ubyte v59, v[5:6], off offset:224
	s_waitcnt vmcnt(0)
	v_and_b32_e32 v59, 1, v59
	v_cmp_eq_u32_e64 s4, 1, v59
	v_mov_b32_e32 v59, 0
	v_mov_b32_e32 v60, 0
	s_xor_b32 s4, s4, -1
	s_and_saveexec_b32 s42, s4
	s_cbranch_execz .LBB693_223
; %bb.222:
	v_add_f64 v[59:60], v[67:68], -v[39:40]
	s_mov_b32 s4, 0x652b82fe
	s_mov_b32 s5, 0x3ff71547
	;; [unrolled: 1-line block ×4, first 2 shown]
	v_mul_f64 v[67:68], v[59:60], s[4:5]
	s_mov_b32 s4, 0xfefa39ef
	s_mov_b32 s5, 0xbfe62e42
	v_rndne_f64_e32 v[67:68], v[67:68]
	v_fma_f64 v[69:70], v[67:68], s[4:5], v[59:60]
	s_mov_b32 s4, 0x3b39803f
	s_mov_b32 s5, 0xbc7abc9e
	v_cvt_i32_f64_e32 v84, v[67:68]
	v_fma_f64 v[69:70], v[67:68], s[4:5], v[69:70]
	s_mov_b32 s4, 0xfca7ab0c
	s_mov_b32 s5, 0x3e928af3
	v_fma_f64 v[82:83], v[69:70], s[62:63], s[4:5]
	s_mov_b32 s4, 0x623fde64
	s_mov_b32 s5, 0x3ec71dee
	;; [unrolled: 3-line block ×9, first 2 shown]
	v_fma_f64 v[82:83], v[69:70], v[82:83], s[4:5]
	v_cmp_nlt_f64_e64 s4, 0x40900000, v[59:60]
	v_cmp_ngt_f64_e64 s5, 0xc090cc00, v[59:60]
	v_fma_f64 v[82:83], v[69:70], v[82:83], 1.0
	v_fma_f64 v[67:68], v[69:70], v[82:83], 1.0
	v_ldexp_f64 v[67:68], v[67:68], v84
	v_cndmask_b32_e64 v68, 0x7ff00000, v68, s4
	s_and_b32 s4, s5, s4
	v_cndmask_b32_e64 v59, 0, v67, s4
	v_cndmask_b32_e64 v60, 0, v68, s5
	v_add_f64 v[37:38], v[37:38], v[59:60]
.LBB693_223:
	s_or_b32 exec_lo, exec_lo, s42
.LBB693_224:
	s_or_b32 exec_lo, exec_lo, s34
	v_mov_b32_e32 v67, 0
	v_mov_b32_e32 v69, 0
	;; [unrolled: 1-line block ×4, first 2 shown]
	s_and_saveexec_b32 s34, s61
	s_cbranch_execz .LBB693_228
; %bb.225:
	global_load_ubyte v69, v[5:6], off offset:256
	s_waitcnt vmcnt(0)
	v_and_b32_e32 v69, 1, v69
	v_cmp_eq_u32_e64 s4, 1, v69
	v_mov_b32_e32 v69, 0
	v_mov_b32_e32 v70, 0
	s_xor_b32 s4, s4, -1
	s_and_saveexec_b32 s42, s4
	s_cbranch_execz .LBB693_227
; %bb.226:
	v_add_f64 v[69:70], v[75:76], -v[39:40]
	s_mov_b32 s4, 0x652b82fe
	s_mov_b32 s5, 0x3ff71547
	;; [unrolled: 1-line block ×4, first 2 shown]
	v_mul_f64 v[75:76], v[69:70], s[4:5]
	s_mov_b32 s4, 0xfefa39ef
	s_mov_b32 s5, 0xbfe62e42
	v_rndne_f64_e32 v[75:76], v[75:76]
	v_fma_f64 v[82:83], v[75:76], s[4:5], v[69:70]
	s_mov_b32 s4, 0x3b39803f
	s_mov_b32 s5, 0xbc7abc9e
	v_cvt_i32_f64_e32 v86, v[75:76]
	v_fma_f64 v[82:83], v[75:76], s[4:5], v[82:83]
	s_mov_b32 s4, 0xfca7ab0c
	s_mov_b32 s5, 0x3e928af3
	v_fma_f64 v[84:85], v[82:83], s[62:63], s[4:5]
	s_mov_b32 s4, 0x623fde64
	s_mov_b32 s5, 0x3ec71dee
	v_fma_f64 v[84:85], v[82:83], v[84:85], s[4:5]
	s_mov_b32 s4, 0x7c89e6b0
	s_mov_b32 s5, 0x3efa0199
	v_fma_f64 v[84:85], v[82:83], v[84:85], s[4:5]
	s_mov_b32 s4, 0x14761f6e
	s_mov_b32 s5, 0x3f2a01a0
	v_fma_f64 v[84:85], v[82:83], v[84:85], s[4:5]
	s_mov_b32 s4, 0x1852b7b0
	s_mov_b32 s5, 0x3f56c16c
	v_fma_f64 v[84:85], v[82:83], v[84:85], s[4:5]
	s_mov_b32 s4, 0x11122322
	s_mov_b32 s5, 0x3f811111
	v_fma_f64 v[84:85], v[82:83], v[84:85], s[4:5]
	s_mov_b32 s4, 0x555502a1
	s_mov_b32 s5, 0x3fa55555
	v_fma_f64 v[84:85], v[82:83], v[84:85], s[4:5]
	s_mov_b32 s4, 0x55555511
	s_mov_b32 s5, 0x3fc55555
	v_fma_f64 v[84:85], v[82:83], v[84:85], s[4:5]
	s_mov_b32 s4, 11
	s_mov_b32 s5, 0x3fe00000
	v_fma_f64 v[84:85], v[82:83], v[84:85], s[4:5]
	v_cmp_nlt_f64_e64 s4, 0x40900000, v[69:70]
	v_cmp_ngt_f64_e64 s5, 0xc090cc00, v[69:70]
	v_fma_f64 v[84:85], v[82:83], v[84:85], 1.0
	v_fma_f64 v[75:76], v[82:83], v[84:85], 1.0
	v_ldexp_f64 v[75:76], v[75:76], v86
	v_cndmask_b32_e64 v76, 0x7ff00000, v76, s4
	s_and_b32 s4, s5, s4
	v_cndmask_b32_e64 v69, 0, v75, s4
	v_cndmask_b32_e64 v70, 0, v76, s5
	v_add_f64 v[37:38], v[37:38], v[69:70]
.LBB693_227:
	s_or_b32 exec_lo, exec_lo, s42
.LBB693_228:
	s_or_b32 exec_lo, exec_lo, s34
	s_and_saveexec_b32 s34, s60
	s_cbranch_execz .LBB693_232
; %bb.229:
	global_load_ubyte v67, v[5:6], off offset:288
	s_waitcnt vmcnt(0)
	v_and_b32_e32 v67, 1, v67
	v_cmp_eq_u32_e64 s4, 1, v67
	v_mov_b32_e32 v67, 0
	v_mov_b32_e32 v68, 0
	s_xor_b32 s4, s4, -1
	s_and_saveexec_b32 s42, s4
	s_cbranch_execz .LBB693_231
; %bb.230:
	v_add_f64 v[67:68], v[73:74], -v[39:40]
	s_mov_b32 s4, 0x652b82fe
	s_mov_b32 s5, 0x3ff71547
	;; [unrolled: 1-line block ×4, first 2 shown]
	v_mul_f64 v[73:74], v[67:68], s[4:5]
	s_mov_b32 s4, 0xfefa39ef
	s_mov_b32 s5, 0xbfe62e42
	v_rndne_f64_e32 v[73:74], v[73:74]
	v_fma_f64 v[75:76], v[73:74], s[4:5], v[67:68]
	s_mov_b32 s4, 0x3b39803f
	s_mov_b32 s5, 0xbc7abc9e
	v_cvt_i32_f64_e32 v84, v[73:74]
	v_fma_f64 v[75:76], v[73:74], s[4:5], v[75:76]
	s_mov_b32 s4, 0xfca7ab0c
	s_mov_b32 s5, 0x3e928af3
	v_fma_f64 v[82:83], v[75:76], s[60:61], s[4:5]
	s_mov_b32 s4, 0x623fde64
	s_mov_b32 s5, 0x3ec71dee
	;; [unrolled: 3-line block ×9, first 2 shown]
	v_fma_f64 v[82:83], v[75:76], v[82:83], s[4:5]
	v_cmp_nlt_f64_e64 s4, 0x40900000, v[67:68]
	v_cmp_ngt_f64_e64 s5, 0xc090cc00, v[67:68]
	v_fma_f64 v[82:83], v[75:76], v[82:83], 1.0
	v_fma_f64 v[73:74], v[75:76], v[82:83], 1.0
	v_ldexp_f64 v[73:74], v[73:74], v84
	v_cndmask_b32_e64 v74, 0x7ff00000, v74, s4
	s_and_b32 s4, s5, s4
	v_cndmask_b32_e64 v67, 0, v73, s4
	v_cndmask_b32_e64 v68, 0, v74, s5
	v_add_f64 v[37:38], v[37:38], v[67:68]
.LBB693_231:
	s_or_b32 exec_lo, exec_lo, s42
.LBB693_232:
	s_or_b32 exec_lo, exec_lo, s34
	v_mov_b32_e32 v73, 0
	v_mov_b32_e32 v75, 0
	;; [unrolled: 1-line block ×4, first 2 shown]
	s_and_saveexec_b32 s34, s59
	s_cbranch_execz .LBB693_236
; %bb.233:
	global_load_ubyte v75, v[5:6], off offset:320
	s_waitcnt vmcnt(0)
	v_and_b32_e32 v75, 1, v75
	v_cmp_eq_u32_e64 s4, 1, v75
	v_mov_b32_e32 v75, 0
	v_mov_b32_e32 v76, 0
	s_xor_b32 s4, s4, -1
	s_and_saveexec_b32 s42, s4
	s_cbranch_execz .LBB693_235
; %bb.234:
	v_add_f64 v[71:72], v[71:72], -v[39:40]
	s_mov_b32 s4, 0x652b82fe
	s_mov_b32 s5, 0x3ff71547
	;; [unrolled: 1-line block ×4, first 2 shown]
	v_mul_f64 v[75:76], v[71:72], s[4:5]
	s_mov_b32 s4, 0xfefa39ef
	s_mov_b32 s5, 0xbfe62e42
	v_rndne_f64_e32 v[75:76], v[75:76]
	v_fma_f64 v[82:83], v[75:76], s[4:5], v[71:72]
	s_mov_b32 s4, 0x3b39803f
	s_mov_b32 s5, 0xbc7abc9e
	v_cvt_i32_f64_e32 v86, v[75:76]
	v_fma_f64 v[82:83], v[75:76], s[4:5], v[82:83]
	s_mov_b32 s4, 0xfca7ab0c
	s_mov_b32 s5, 0x3e928af3
	v_fma_f64 v[84:85], v[82:83], s[60:61], s[4:5]
	s_mov_b32 s4, 0x623fde64
	s_mov_b32 s5, 0x3ec71dee
	;; [unrolled: 3-line block ×9, first 2 shown]
	v_fma_f64 v[84:85], v[82:83], v[84:85], s[4:5]
	v_cmp_nlt_f64_e64 s4, 0x40900000, v[71:72]
	v_cmp_ngt_f64_e64 s5, 0xc090cc00, v[71:72]
	v_fma_f64 v[84:85], v[82:83], v[84:85], 1.0
	v_fma_f64 v[75:76], v[82:83], v[84:85], 1.0
	v_ldexp_f64 v[75:76], v[75:76], v86
	v_cndmask_b32_e64 v76, 0x7ff00000, v76, s4
	s_and_b32 s4, s5, s4
	v_cndmask_b32_e64 v75, 0, v75, s4
	v_cndmask_b32_e64 v76, 0, v76, s5
	v_add_f64 v[37:38], v[37:38], v[75:76]
.LBB693_235:
	s_or_b32 exec_lo, exec_lo, s42
.LBB693_236:
	s_or_b32 exec_lo, exec_lo, s34
	s_and_saveexec_b32 s34, s58
	s_cbranch_execz .LBB693_240
; %bb.237:
	global_load_ubyte v71, v[5:6], off offset:352
	v_mov_b32_e32 v73, 0
	v_mov_b32_e32 v74, 0
	s_waitcnt vmcnt(0)
	v_and_b32_e32 v71, 1, v71
	v_cmp_eq_u32_e64 s4, 1, v71
	s_xor_b32 s4, s4, -1
	s_and_saveexec_b32 s42, s4
	s_cbranch_execz .LBB693_239
; %bb.238:
	v_add_f64 v[65:66], v[65:66], -v[39:40]
	s_mov_b32 s4, 0x652b82fe
	s_mov_b32 s5, 0x3ff71547
	;; [unrolled: 1-line block ×4, first 2 shown]
	v_mul_f64 v[71:72], v[65:66], s[4:5]
	s_mov_b32 s4, 0xfefa39ef
	s_mov_b32 s5, 0xbfe62e42
	v_rndne_f64_e32 v[71:72], v[71:72]
	v_fma_f64 v[73:74], v[71:72], s[4:5], v[65:66]
	s_mov_b32 s4, 0x3b39803f
	s_mov_b32 s5, 0xbc7abc9e
	v_cvt_i32_f64_e32 v84, v[71:72]
	v_fma_f64 v[73:74], v[71:72], s[4:5], v[73:74]
	s_mov_b32 s4, 0xfca7ab0c
	s_mov_b32 s5, 0x3e928af3
	v_fma_f64 v[82:83], v[73:74], s[58:59], s[4:5]
	s_mov_b32 s4, 0x623fde64
	s_mov_b32 s5, 0x3ec71dee
	;; [unrolled: 3-line block ×9, first 2 shown]
	v_fma_f64 v[82:83], v[73:74], v[82:83], s[4:5]
	v_cmp_nlt_f64_e64 s4, 0x40900000, v[65:66]
	v_cmp_ngt_f64_e64 s5, 0xc090cc00, v[65:66]
	v_fma_f64 v[82:83], v[73:74], v[82:83], 1.0
	v_fma_f64 v[71:72], v[73:74], v[82:83], 1.0
	v_ldexp_f64 v[71:72], v[71:72], v84
	v_cndmask_b32_e64 v72, 0x7ff00000, v72, s4
	s_and_b32 s4, s5, s4
	v_cndmask_b32_e64 v73, 0, v71, s4
	v_cndmask_b32_e64 v74, 0, v72, s5
	v_add_f64 v[37:38], v[37:38], v[73:74]
.LBB693_239:
	s_or_b32 exec_lo, exec_lo, s42
.LBB693_240:
	s_or_b32 exec_lo, exec_lo, s34
	v_mov_b32_e32 v65, 0
	v_mov_b32_e32 v71, 0
	;; [unrolled: 1-line block ×4, first 2 shown]
	s_and_saveexec_b32 s34, s57
	s_cbranch_execz .LBB693_244
; %bb.241:
	global_load_ubyte v71, v[5:6], off offset:384
	s_waitcnt vmcnt(0)
	v_and_b32_e32 v71, 1, v71
	v_cmp_eq_u32_e64 s4, 1, v71
	v_mov_b32_e32 v71, 0
	v_mov_b32_e32 v72, 0
	s_xor_b32 s4, s4, -1
	s_and_saveexec_b32 s42, s4
	s_cbranch_execz .LBB693_243
; %bb.242:
	v_add_f64 v[63:64], v[63:64], -v[39:40]
	s_mov_b32 s4, 0x652b82fe
	s_mov_b32 s5, 0x3ff71547
	;; [unrolled: 1-line block ×4, first 2 shown]
	v_mul_f64 v[71:72], v[63:64], s[4:5]
	s_mov_b32 s4, 0xfefa39ef
	s_mov_b32 s5, 0xbfe62e42
	v_rndne_f64_e32 v[71:72], v[71:72]
	v_fma_f64 v[82:83], v[71:72], s[4:5], v[63:64]
	s_mov_b32 s4, 0x3b39803f
	s_mov_b32 s5, 0xbc7abc9e
	v_cvt_i32_f64_e32 v86, v[71:72]
	v_fma_f64 v[82:83], v[71:72], s[4:5], v[82:83]
	s_mov_b32 s4, 0xfca7ab0c
	s_mov_b32 s5, 0x3e928af3
	v_fma_f64 v[84:85], v[82:83], s[58:59], s[4:5]
	s_mov_b32 s4, 0x623fde64
	s_mov_b32 s5, 0x3ec71dee
	v_fma_f64 v[84:85], v[82:83], v[84:85], s[4:5]
	s_mov_b32 s4, 0x7c89e6b0
	s_mov_b32 s5, 0x3efa0199
	v_fma_f64 v[84:85], v[82:83], v[84:85], s[4:5]
	s_mov_b32 s4, 0x14761f6e
	s_mov_b32 s5, 0x3f2a01a0
	v_fma_f64 v[84:85], v[82:83], v[84:85], s[4:5]
	s_mov_b32 s4, 0x1852b7b0
	s_mov_b32 s5, 0x3f56c16c
	v_fma_f64 v[84:85], v[82:83], v[84:85], s[4:5]
	s_mov_b32 s4, 0x11122322
	s_mov_b32 s5, 0x3f811111
	v_fma_f64 v[84:85], v[82:83], v[84:85], s[4:5]
	s_mov_b32 s4, 0x555502a1
	s_mov_b32 s5, 0x3fa55555
	v_fma_f64 v[84:85], v[82:83], v[84:85], s[4:5]
	s_mov_b32 s4, 0x55555511
	s_mov_b32 s5, 0x3fc55555
	v_fma_f64 v[84:85], v[82:83], v[84:85], s[4:5]
	s_mov_b32 s4, 11
	s_mov_b32 s5, 0x3fe00000
	v_fma_f64 v[84:85], v[82:83], v[84:85], s[4:5]
	v_cmp_nlt_f64_e64 s4, 0x40900000, v[63:64]
	v_cmp_ngt_f64_e64 s5, 0xc090cc00, v[63:64]
	v_fma_f64 v[84:85], v[82:83], v[84:85], 1.0
	v_fma_f64 v[71:72], v[82:83], v[84:85], 1.0
	v_ldexp_f64 v[71:72], v[71:72], v86
	v_cndmask_b32_e64 v72, 0x7ff00000, v72, s4
	s_and_b32 s4, s5, s4
	v_cndmask_b32_e64 v71, 0, v71, s4
	v_cndmask_b32_e64 v72, 0, v72, s5
	v_add_f64 v[37:38], v[37:38], v[71:72]
.LBB693_243:
	s_or_b32 exec_lo, exec_lo, s42
.LBB693_244:
	s_or_b32 exec_lo, exec_lo, s34
	s_and_saveexec_b32 s34, s56
	s_cbranch_execz .LBB693_248
; %bb.245:
	global_load_ubyte v63, v[5:6], off offset:416
	v_mov_b32_e32 v65, 0
	v_mov_b32_e32 v66, 0
	s_waitcnt vmcnt(0)
	v_and_b32_e32 v63, 1, v63
	v_cmp_eq_u32_e64 s4, 1, v63
	s_xor_b32 s4, s4, -1
	s_and_saveexec_b32 s42, s4
	s_cbranch_execz .LBB693_247
; %bb.246:
	v_add_f64 v[57:58], v[57:58], -v[39:40]
	s_mov_b32 s4, 0x652b82fe
	s_mov_b32 s5, 0x3ff71547
	s_mov_b32 s56, 0x6a5dcb37
	s_mov_b32 s57, 0x3e5ade15
	v_mul_f64 v[63:64], v[57:58], s[4:5]
	s_mov_b32 s4, 0xfefa39ef
	s_mov_b32 s5, 0xbfe62e42
	v_rndne_f64_e32 v[63:64], v[63:64]
	v_fma_f64 v[65:66], v[63:64], s[4:5], v[57:58]
	s_mov_b32 s4, 0x3b39803f
	s_mov_b32 s5, 0xbc7abc9e
	v_cvt_i32_f64_e32 v84, v[63:64]
	v_fma_f64 v[65:66], v[63:64], s[4:5], v[65:66]
	s_mov_b32 s4, 0xfca7ab0c
	s_mov_b32 s5, 0x3e928af3
	v_fma_f64 v[82:83], v[65:66], s[56:57], s[4:5]
	s_mov_b32 s4, 0x623fde64
	s_mov_b32 s5, 0x3ec71dee
	;; [unrolled: 3-line block ×9, first 2 shown]
	v_fma_f64 v[82:83], v[65:66], v[82:83], s[4:5]
	v_cmp_nlt_f64_e64 s4, 0x40900000, v[57:58]
	v_cmp_ngt_f64_e64 s5, 0xc090cc00, v[57:58]
	v_fma_f64 v[82:83], v[65:66], v[82:83], 1.0
	v_fma_f64 v[63:64], v[65:66], v[82:83], 1.0
	v_ldexp_f64 v[63:64], v[63:64], v84
	v_cndmask_b32_e64 v64, 0x7ff00000, v64, s4
	s_and_b32 s4, s5, s4
	v_cndmask_b32_e64 v65, 0, v63, s4
	v_cndmask_b32_e64 v66, 0, v64, s5
	v_add_f64 v[37:38], v[37:38], v[65:66]
.LBB693_247:
	s_or_b32 exec_lo, exec_lo, s42
.LBB693_248:
	s_or_b32 exec_lo, exec_lo, s34
	v_mov_b32_e32 v57, 0
	v_mov_b32_e32 v63, 0
	;; [unrolled: 1-line block ×4, first 2 shown]
	s_and_saveexec_b32 s34, s55
	s_cbranch_execz .LBB693_252
; %bb.249:
	global_load_ubyte v63, v[5:6], off offset:448
	s_waitcnt vmcnt(0)
	v_and_b32_e32 v63, 1, v63
	v_cmp_eq_u32_e64 s4, 1, v63
	v_mov_b32_e32 v63, 0
	v_mov_b32_e32 v64, 0
	s_xor_b32 s4, s4, -1
	s_and_saveexec_b32 s42, s4
	s_cbranch_execz .LBB693_251
; %bb.250:
	v_add_f64 v[55:56], v[55:56], -v[39:40]
	s_mov_b32 s4, 0x652b82fe
	s_mov_b32 s5, 0x3ff71547
	;; [unrolled: 1-line block ×4, first 2 shown]
	v_mul_f64 v[63:64], v[55:56], s[4:5]
	s_mov_b32 s4, 0xfefa39ef
	s_mov_b32 s5, 0xbfe62e42
	v_rndne_f64_e32 v[63:64], v[63:64]
	v_fma_f64 v[82:83], v[63:64], s[4:5], v[55:56]
	s_mov_b32 s4, 0x3b39803f
	s_mov_b32 s5, 0xbc7abc9e
	v_cvt_i32_f64_e32 v86, v[63:64]
	v_fma_f64 v[82:83], v[63:64], s[4:5], v[82:83]
	s_mov_b32 s4, 0xfca7ab0c
	s_mov_b32 s5, 0x3e928af3
	v_fma_f64 v[84:85], v[82:83], s[56:57], s[4:5]
	s_mov_b32 s4, 0x623fde64
	s_mov_b32 s5, 0x3ec71dee
	;; [unrolled: 3-line block ×9, first 2 shown]
	v_fma_f64 v[84:85], v[82:83], v[84:85], s[4:5]
	v_cmp_nlt_f64_e64 s4, 0x40900000, v[55:56]
	v_cmp_ngt_f64_e64 s5, 0xc090cc00, v[55:56]
	v_fma_f64 v[84:85], v[82:83], v[84:85], 1.0
	v_fma_f64 v[63:64], v[82:83], v[84:85], 1.0
	v_ldexp_f64 v[63:64], v[63:64], v86
	v_cndmask_b32_e64 v64, 0x7ff00000, v64, s4
	s_and_b32 s4, s5, s4
	v_cndmask_b32_e64 v63, 0, v63, s4
	v_cndmask_b32_e64 v64, 0, v64, s5
	v_add_f64 v[37:38], v[37:38], v[63:64]
.LBB693_251:
	s_or_b32 exec_lo, exec_lo, s42
.LBB693_252:
	s_or_b32 exec_lo, exec_lo, s34
	s_and_saveexec_b32 s34, s54
	s_cbranch_execz .LBB693_256
; %bb.253:
	global_load_ubyte v55, v[5:6], off offset:480
	v_mov_b32_e32 v57, 0
	v_mov_b32_e32 v58, 0
	s_waitcnt vmcnt(0)
	v_and_b32_e32 v55, 1, v55
	v_cmp_eq_u32_e64 s4, 1, v55
	s_xor_b32 s4, s4, -1
	s_and_saveexec_b32 s42, s4
	s_cbranch_execz .LBB693_255
; %bb.254:
	v_add_f64 v[49:50], v[49:50], -v[39:40]
	s_mov_b32 s4, 0x652b82fe
	s_mov_b32 s5, 0x3ff71547
	;; [unrolled: 1-line block ×4, first 2 shown]
	v_mul_f64 v[55:56], v[49:50], s[4:5]
	s_mov_b32 s4, 0xfefa39ef
	s_mov_b32 s5, 0xbfe62e42
	v_rndne_f64_e32 v[55:56], v[55:56]
	v_fma_f64 v[57:58], v[55:56], s[4:5], v[49:50]
	s_mov_b32 s4, 0x3b39803f
	s_mov_b32 s5, 0xbc7abc9e
	v_cvt_i32_f64_e32 v84, v[55:56]
	v_fma_f64 v[57:58], v[55:56], s[4:5], v[57:58]
	s_mov_b32 s4, 0xfca7ab0c
	s_mov_b32 s5, 0x3e928af3
	v_fma_f64 v[82:83], v[57:58], s[54:55], s[4:5]
	s_mov_b32 s4, 0x623fde64
	s_mov_b32 s5, 0x3ec71dee
	;; [unrolled: 3-line block ×9, first 2 shown]
	v_fma_f64 v[82:83], v[57:58], v[82:83], s[4:5]
	v_cmp_nlt_f64_e64 s4, 0x40900000, v[49:50]
	v_cmp_ngt_f64_e64 s5, 0xc090cc00, v[49:50]
	v_fma_f64 v[82:83], v[57:58], v[82:83], 1.0
	v_fma_f64 v[55:56], v[57:58], v[82:83], 1.0
	v_ldexp_f64 v[55:56], v[55:56], v84
	v_cndmask_b32_e64 v56, 0x7ff00000, v56, s4
	s_and_b32 s4, s5, s4
	v_cndmask_b32_e64 v57, 0, v55, s4
	v_cndmask_b32_e64 v58, 0, v56, s5
	v_add_f64 v[37:38], v[37:38], v[57:58]
.LBB693_255:
	s_or_b32 exec_lo, exec_lo, s42
.LBB693_256:
	s_or_b32 exec_lo, exec_lo, s34
	v_mov_b32_e32 v49, 0
	v_mov_b32_e32 v55, 0
	;; [unrolled: 1-line block ×4, first 2 shown]
	s_and_saveexec_b32 s34, s53
	s_cbranch_execz .LBB693_260
; %bb.257:
	global_load_ubyte v55, v[5:6], off offset:512
	s_waitcnt vmcnt(0)
	v_and_b32_e32 v55, 1, v55
	v_cmp_eq_u32_e64 s4, 1, v55
	v_mov_b32_e32 v55, 0
	v_mov_b32_e32 v56, 0
	s_xor_b32 s4, s4, -1
	s_and_saveexec_b32 s42, s4
	s_cbranch_execz .LBB693_259
; %bb.258:
	v_add_f64 v[47:48], v[47:48], -v[39:40]
	s_mov_b32 s4, 0x652b82fe
	s_mov_b32 s5, 0x3ff71547
	;; [unrolled: 1-line block ×4, first 2 shown]
	v_mul_f64 v[55:56], v[47:48], s[4:5]
	s_mov_b32 s4, 0xfefa39ef
	s_mov_b32 s5, 0xbfe62e42
	v_rndne_f64_e32 v[55:56], v[55:56]
	v_fma_f64 v[82:83], v[55:56], s[4:5], v[47:48]
	s_mov_b32 s4, 0x3b39803f
	s_mov_b32 s5, 0xbc7abc9e
	v_cvt_i32_f64_e32 v86, v[55:56]
	v_fma_f64 v[82:83], v[55:56], s[4:5], v[82:83]
	s_mov_b32 s4, 0xfca7ab0c
	s_mov_b32 s5, 0x3e928af3
	v_fma_f64 v[84:85], v[82:83], s[54:55], s[4:5]
	s_mov_b32 s4, 0x623fde64
	s_mov_b32 s5, 0x3ec71dee
	;; [unrolled: 3-line block ×9, first 2 shown]
	v_fma_f64 v[84:85], v[82:83], v[84:85], s[4:5]
	v_cmp_nlt_f64_e64 s4, 0x40900000, v[47:48]
	v_cmp_ngt_f64_e64 s5, 0xc090cc00, v[47:48]
	v_fma_f64 v[84:85], v[82:83], v[84:85], 1.0
	v_fma_f64 v[55:56], v[82:83], v[84:85], 1.0
	v_ldexp_f64 v[55:56], v[55:56], v86
	v_cndmask_b32_e64 v56, 0x7ff00000, v56, s4
	s_and_b32 s4, s5, s4
	v_cndmask_b32_e64 v55, 0, v55, s4
	v_cndmask_b32_e64 v56, 0, v56, s5
	v_add_f64 v[37:38], v[37:38], v[55:56]
.LBB693_259:
	s_or_b32 exec_lo, exec_lo, s42
.LBB693_260:
	s_or_b32 exec_lo, exec_lo, s34
	s_and_saveexec_b32 s34, s52
	s_cbranch_execz .LBB693_264
; %bb.261:
	global_load_ubyte v47, v[5:6], off offset:544
	v_mov_b32_e32 v49, 0
	v_mov_b32_e32 v50, 0
	s_waitcnt vmcnt(0)
	v_and_b32_e32 v47, 1, v47
	v_cmp_eq_u32_e64 s4, 1, v47
	s_xor_b32 s4, s4, -1
	s_and_saveexec_b32 s42, s4
	s_cbranch_execz .LBB693_263
; %bb.262:
	v_add_f64 v[41:42], v[41:42], -v[39:40]
	s_mov_b32 s4, 0x652b82fe
	s_mov_b32 s5, 0x3ff71547
	;; [unrolled: 1-line block ×4, first 2 shown]
	v_mul_f64 v[47:48], v[41:42], s[4:5]
	s_mov_b32 s4, 0xfefa39ef
	s_mov_b32 s5, 0xbfe62e42
	v_rndne_f64_e32 v[47:48], v[47:48]
	v_fma_f64 v[49:50], v[47:48], s[4:5], v[41:42]
	s_mov_b32 s4, 0x3b39803f
	s_mov_b32 s5, 0xbc7abc9e
	v_cvt_i32_f64_e32 v84, v[47:48]
	v_fma_f64 v[49:50], v[47:48], s[4:5], v[49:50]
	s_mov_b32 s4, 0xfca7ab0c
	s_mov_b32 s5, 0x3e928af3
	v_fma_f64 v[82:83], v[49:50], s[52:53], s[4:5]
	s_mov_b32 s4, 0x623fde64
	s_mov_b32 s5, 0x3ec71dee
	;; [unrolled: 3-line block ×9, first 2 shown]
	v_fma_f64 v[82:83], v[49:50], v[82:83], s[4:5]
	v_cmp_nlt_f64_e64 s4, 0x40900000, v[41:42]
	v_cmp_ngt_f64_e64 s5, 0xc090cc00, v[41:42]
	v_fma_f64 v[82:83], v[49:50], v[82:83], 1.0
	v_fma_f64 v[47:48], v[49:50], v[82:83], 1.0
	v_ldexp_f64 v[47:48], v[47:48], v84
	v_cndmask_b32_e64 v48, 0x7ff00000, v48, s4
	s_and_b32 s4, s5, s4
	v_cndmask_b32_e64 v49, 0, v47, s4
	v_cndmask_b32_e64 v50, 0, v48, s5
	v_add_f64 v[37:38], v[37:38], v[49:50]
.LBB693_263:
	s_or_b32 exec_lo, exec_lo, s42
.LBB693_264:
	s_or_b32 exec_lo, exec_lo, s34
	v_mov_b32_e32 v41, 0
	v_mov_b32_e32 v47, 0
	v_mov_b32_e32 v42, 0
	v_mov_b32_e32 v48, 0
	s_and_saveexec_b32 s34, s51
	s_cbranch_execz .LBB693_268
; %bb.265:
	global_load_ubyte v47, v[5:6], off offset:576
	s_waitcnt vmcnt(0)
	v_and_b32_e32 v47, 1, v47
	v_cmp_eq_u32_e64 s4, 1, v47
	v_mov_b32_e32 v47, 0
	v_mov_b32_e32 v48, 0
	s_xor_b32 s4, s4, -1
	s_and_saveexec_b32 s42, s4
	s_cbranch_execz .LBB693_267
; %bb.266:
	v_add_f64 v[35:36], v[35:36], -v[39:40]
	s_mov_b32 s4, 0x652b82fe
	s_mov_b32 s5, 0x3ff71547
	;; [unrolled: 1-line block ×4, first 2 shown]
	v_mul_f64 v[47:48], v[35:36], s[4:5]
	s_mov_b32 s4, 0xfefa39ef
	s_mov_b32 s5, 0xbfe62e42
	v_rndne_f64_e32 v[47:48], v[47:48]
	v_fma_f64 v[82:83], v[47:48], s[4:5], v[35:36]
	s_mov_b32 s4, 0x3b39803f
	s_mov_b32 s5, 0xbc7abc9e
	v_cvt_i32_f64_e32 v86, v[47:48]
	v_fma_f64 v[82:83], v[47:48], s[4:5], v[82:83]
	s_mov_b32 s4, 0xfca7ab0c
	s_mov_b32 s5, 0x3e928af3
	v_fma_f64 v[84:85], v[82:83], s[52:53], s[4:5]
	s_mov_b32 s4, 0x623fde64
	s_mov_b32 s5, 0x3ec71dee
	;; [unrolled: 3-line block ×9, first 2 shown]
	v_fma_f64 v[84:85], v[82:83], v[84:85], s[4:5]
	v_cmp_nlt_f64_e64 s4, 0x40900000, v[35:36]
	v_cmp_ngt_f64_e64 s5, 0xc090cc00, v[35:36]
	v_fma_f64 v[84:85], v[82:83], v[84:85], 1.0
	v_fma_f64 v[47:48], v[82:83], v[84:85], 1.0
	v_ldexp_f64 v[47:48], v[47:48], v86
	v_cndmask_b32_e64 v48, 0x7ff00000, v48, s4
	s_and_b32 s4, s5, s4
	v_cndmask_b32_e64 v47, 0, v47, s4
	v_cndmask_b32_e64 v48, 0, v48, s5
	v_add_f64 v[37:38], v[37:38], v[47:48]
.LBB693_267:
	s_or_b32 exec_lo, exec_lo, s42
.LBB693_268:
	s_or_b32 exec_lo, exec_lo, s34
	s_and_saveexec_b32 s34, s50
	s_cbranch_execz .LBB693_272
; %bb.269:
	global_load_ubyte v35, v[5:6], off offset:608
	v_mov_b32_e32 v41, 0
	v_mov_b32_e32 v42, 0
	s_waitcnt vmcnt(0)
	v_and_b32_e32 v35, 1, v35
	v_cmp_eq_u32_e64 s4, 1, v35
	s_xor_b32 s4, s4, -1
	s_and_saveexec_b32 s42, s4
	s_cbranch_execz .LBB693_271
; %bb.270:
	v_add_f64 v[29:30], v[29:30], -v[39:40]
	s_mov_b32 s4, 0x652b82fe
	s_mov_b32 s5, 0x3ff71547
	;; [unrolled: 1-line block ×4, first 2 shown]
	v_mul_f64 v[35:36], v[29:30], s[4:5]
	s_mov_b32 s4, 0xfefa39ef
	s_mov_b32 s5, 0xbfe62e42
	v_rndne_f64_e32 v[35:36], v[35:36]
	v_fma_f64 v[41:42], v[35:36], s[4:5], v[29:30]
	s_mov_b32 s4, 0x3b39803f
	s_mov_b32 s5, 0xbc7abc9e
	v_cvt_i32_f64_e32 v84, v[35:36]
	v_fma_f64 v[41:42], v[35:36], s[4:5], v[41:42]
	s_mov_b32 s4, 0xfca7ab0c
	s_mov_b32 s5, 0x3e928af3
	v_fma_f64 v[82:83], v[41:42], s[50:51], s[4:5]
	s_mov_b32 s4, 0x623fde64
	s_mov_b32 s5, 0x3ec71dee
	;; [unrolled: 3-line block ×9, first 2 shown]
	v_fma_f64 v[82:83], v[41:42], v[82:83], s[4:5]
	v_cmp_nlt_f64_e64 s4, 0x40900000, v[29:30]
	v_cmp_ngt_f64_e64 s5, 0xc090cc00, v[29:30]
	v_fma_f64 v[82:83], v[41:42], v[82:83], 1.0
	v_fma_f64 v[35:36], v[41:42], v[82:83], 1.0
	v_ldexp_f64 v[35:36], v[35:36], v84
	v_cndmask_b32_e64 v36, 0x7ff00000, v36, s4
	s_and_b32 s4, s5, s4
	v_cndmask_b32_e64 v41, 0, v35, s4
	v_cndmask_b32_e64 v42, 0, v36, s5
	v_add_f64 v[37:38], v[37:38], v[41:42]
.LBB693_271:
	s_or_b32 exec_lo, exec_lo, s42
.LBB693_272:
	s_or_b32 exec_lo, exec_lo, s34
	v_mov_b32_e32 v29, 0
	v_mov_b32_e32 v35, 0
	;; [unrolled: 1-line block ×4, first 2 shown]
	s_and_saveexec_b32 s34, s49
	s_cbranch_execz .LBB693_276
; %bb.273:
	global_load_ubyte v35, v[5:6], off offset:640
	s_waitcnt vmcnt(0)
	v_and_b32_e32 v35, 1, v35
	v_cmp_eq_u32_e64 s4, 1, v35
	v_mov_b32_e32 v35, 0
	v_mov_b32_e32 v36, 0
	s_xor_b32 s4, s4, -1
	s_and_saveexec_b32 s42, s4
	s_cbranch_execz .LBB693_275
; %bb.274:
	v_add_f64 v[27:28], v[27:28], -v[39:40]
	s_mov_b32 s4, 0x652b82fe
	s_mov_b32 s5, 0x3ff71547
	;; [unrolled: 1-line block ×4, first 2 shown]
	v_mul_f64 v[35:36], v[27:28], s[4:5]
	s_mov_b32 s4, 0xfefa39ef
	s_mov_b32 s5, 0xbfe62e42
	v_rndne_f64_e32 v[35:36], v[35:36]
	v_fma_f64 v[82:83], v[35:36], s[4:5], v[27:28]
	s_mov_b32 s4, 0x3b39803f
	s_mov_b32 s5, 0xbc7abc9e
	v_cvt_i32_f64_e32 v86, v[35:36]
	v_fma_f64 v[82:83], v[35:36], s[4:5], v[82:83]
	s_mov_b32 s4, 0xfca7ab0c
	s_mov_b32 s5, 0x3e928af3
	v_fma_f64 v[84:85], v[82:83], s[50:51], s[4:5]
	s_mov_b32 s4, 0x623fde64
	s_mov_b32 s5, 0x3ec71dee
	;; [unrolled: 3-line block ×9, first 2 shown]
	v_fma_f64 v[84:85], v[82:83], v[84:85], s[4:5]
	v_cmp_nlt_f64_e64 s4, 0x40900000, v[27:28]
	v_cmp_ngt_f64_e64 s5, 0xc090cc00, v[27:28]
	v_fma_f64 v[84:85], v[82:83], v[84:85], 1.0
	v_fma_f64 v[35:36], v[82:83], v[84:85], 1.0
	v_ldexp_f64 v[35:36], v[35:36], v86
	v_cndmask_b32_e64 v36, 0x7ff00000, v36, s4
	s_and_b32 s4, s5, s4
	v_cndmask_b32_e64 v35, 0, v35, s4
	v_cndmask_b32_e64 v36, 0, v36, s5
	v_add_f64 v[37:38], v[37:38], v[35:36]
.LBB693_275:
	s_or_b32 exec_lo, exec_lo, s42
.LBB693_276:
	s_or_b32 exec_lo, exec_lo, s34
	s_and_saveexec_b32 s34, s48
	s_cbranch_execz .LBB693_280
; %bb.277:
	global_load_ubyte v27, v[5:6], off offset:672
	v_mov_b32_e32 v29, 0
	v_mov_b32_e32 v30, 0
	s_waitcnt vmcnt(0)
	v_and_b32_e32 v27, 1, v27
	v_cmp_eq_u32_e64 s4, 1, v27
	s_xor_b32 s4, s4, -1
	s_and_saveexec_b32 s42, s4
	s_cbranch_execz .LBB693_279
; %bb.278:
	v_add_f64 v[25:26], v[25:26], -v[39:40]
	s_mov_b32 s4, 0x652b82fe
	s_mov_b32 s5, 0x3ff71547
	s_mov_b32 s48, 0x6a5dcb37
	s_mov_b32 s49, 0x3e5ade15
	v_mul_f64 v[27:28], v[25:26], s[4:5]
	s_mov_b32 s4, 0xfefa39ef
	s_mov_b32 s5, 0xbfe62e42
	v_rndne_f64_e32 v[27:28], v[27:28]
	v_fma_f64 v[29:30], v[27:28], s[4:5], v[25:26]
	s_mov_b32 s4, 0x3b39803f
	s_mov_b32 s5, 0xbc7abc9e
	v_cvt_i32_f64_e32 v84, v[27:28]
	v_fma_f64 v[29:30], v[27:28], s[4:5], v[29:30]
	s_mov_b32 s4, 0xfca7ab0c
	s_mov_b32 s5, 0x3e928af3
	v_fma_f64 v[82:83], v[29:30], s[48:49], s[4:5]
	s_mov_b32 s4, 0x623fde64
	s_mov_b32 s5, 0x3ec71dee
	;; [unrolled: 3-line block ×9, first 2 shown]
	v_fma_f64 v[82:83], v[29:30], v[82:83], s[4:5]
	v_cmp_nlt_f64_e64 s4, 0x40900000, v[25:26]
	v_cmp_ngt_f64_e64 s5, 0xc090cc00, v[25:26]
	v_fma_f64 v[82:83], v[29:30], v[82:83], 1.0
	v_fma_f64 v[27:28], v[29:30], v[82:83], 1.0
	v_ldexp_f64 v[27:28], v[27:28], v84
	v_cndmask_b32_e64 v28, 0x7ff00000, v28, s4
	s_and_b32 s4, s5, s4
	v_cndmask_b32_e64 v29, 0, v27, s4
	v_cndmask_b32_e64 v30, 0, v28, s5
	v_add_f64 v[37:38], v[37:38], v[29:30]
.LBB693_279:
	s_or_b32 exec_lo, exec_lo, s42
.LBB693_280:
	s_or_b32 exec_lo, exec_lo, s34
	v_mov_b32_e32 v25, 0
	v_mov_b32_e32 v27, 0
	;; [unrolled: 1-line block ×4, first 2 shown]
	s_and_saveexec_b32 s34, s47
	s_cbranch_execz .LBB693_284
; %bb.281:
	global_load_ubyte v27, v[5:6], off offset:704
	s_waitcnt vmcnt(0)
	v_and_b32_e32 v27, 1, v27
	v_cmp_eq_u32_e64 s4, 1, v27
	v_mov_b32_e32 v27, 0
	v_mov_b32_e32 v28, 0
	s_xor_b32 s4, s4, -1
	s_and_saveexec_b32 s42, s4
	s_cbranch_execz .LBB693_283
; %bb.282:
	v_add_f64 v[23:24], v[23:24], -v[39:40]
	s_mov_b32 s4, 0x652b82fe
	s_mov_b32 s5, 0x3ff71547
	;; [unrolled: 1-line block ×4, first 2 shown]
	v_mul_f64 v[27:28], v[23:24], s[4:5]
	s_mov_b32 s4, 0xfefa39ef
	s_mov_b32 s5, 0xbfe62e42
	v_rndne_f64_e32 v[27:28], v[27:28]
	v_fma_f64 v[82:83], v[27:28], s[4:5], v[23:24]
	s_mov_b32 s4, 0x3b39803f
	s_mov_b32 s5, 0xbc7abc9e
	v_cvt_i32_f64_e32 v86, v[27:28]
	v_fma_f64 v[82:83], v[27:28], s[4:5], v[82:83]
	s_mov_b32 s4, 0xfca7ab0c
	s_mov_b32 s5, 0x3e928af3
	v_fma_f64 v[84:85], v[82:83], s[48:49], s[4:5]
	s_mov_b32 s4, 0x623fde64
	s_mov_b32 s5, 0x3ec71dee
	;; [unrolled: 3-line block ×9, first 2 shown]
	v_fma_f64 v[84:85], v[82:83], v[84:85], s[4:5]
	v_cmp_nlt_f64_e64 s4, 0x40900000, v[23:24]
	v_cmp_ngt_f64_e64 s5, 0xc090cc00, v[23:24]
	v_fma_f64 v[84:85], v[82:83], v[84:85], 1.0
	v_fma_f64 v[27:28], v[82:83], v[84:85], 1.0
	v_ldexp_f64 v[27:28], v[27:28], v86
	v_cndmask_b32_e64 v28, 0x7ff00000, v28, s4
	s_and_b32 s4, s5, s4
	v_cndmask_b32_e64 v27, 0, v27, s4
	v_cndmask_b32_e64 v28, 0, v28, s5
	v_add_f64 v[37:38], v[37:38], v[27:28]
.LBB693_283:
	s_or_b32 exec_lo, exec_lo, s42
.LBB693_284:
	s_or_b32 exec_lo, exec_lo, s34
	s_and_saveexec_b32 s34, s46
	s_cbranch_execz .LBB693_288
; %bb.285:
	global_load_ubyte v23, v[5:6], off offset:736
	v_mov_b32_e32 v25, 0
	v_mov_b32_e32 v26, 0
	s_waitcnt vmcnt(0)
	v_and_b32_e32 v23, 1, v23
	v_cmp_eq_u32_e64 s4, 1, v23
	s_xor_b32 s4, s4, -1
	s_and_saveexec_b32 s42, s4
	s_cbranch_execz .LBB693_287
; %bb.286:
	v_add_f64 v[21:22], v[21:22], -v[39:40]
	s_mov_b32 s4, 0x652b82fe
	s_mov_b32 s5, 0x3ff71547
	;; [unrolled: 1-line block ×4, first 2 shown]
	v_mul_f64 v[23:24], v[21:22], s[4:5]
	s_mov_b32 s4, 0xfefa39ef
	s_mov_b32 s5, 0xbfe62e42
	v_rndne_f64_e32 v[23:24], v[23:24]
	v_fma_f64 v[25:26], v[23:24], s[4:5], v[21:22]
	s_mov_b32 s4, 0x3b39803f
	s_mov_b32 s5, 0xbc7abc9e
	v_cvt_i32_f64_e32 v84, v[23:24]
	v_fma_f64 v[25:26], v[23:24], s[4:5], v[25:26]
	s_mov_b32 s4, 0xfca7ab0c
	s_mov_b32 s5, 0x3e928af3
	v_fma_f64 v[82:83], v[25:26], s[46:47], s[4:5]
	s_mov_b32 s4, 0x623fde64
	s_mov_b32 s5, 0x3ec71dee
	;; [unrolled: 3-line block ×9, first 2 shown]
	v_fma_f64 v[82:83], v[25:26], v[82:83], s[4:5]
	v_cmp_nlt_f64_e64 s4, 0x40900000, v[21:22]
	v_cmp_ngt_f64_e64 s5, 0xc090cc00, v[21:22]
	v_fma_f64 v[82:83], v[25:26], v[82:83], 1.0
	v_fma_f64 v[23:24], v[25:26], v[82:83], 1.0
	v_ldexp_f64 v[23:24], v[23:24], v84
	v_cndmask_b32_e64 v24, 0x7ff00000, v24, s4
	s_and_b32 s4, s5, s4
	v_cndmask_b32_e64 v25, 0, v23, s4
	v_cndmask_b32_e64 v26, 0, v24, s5
	v_add_f64 v[37:38], v[37:38], v[25:26]
.LBB693_287:
	s_or_b32 exec_lo, exec_lo, s42
.LBB693_288:
	s_or_b32 exec_lo, exec_lo, s34
	v_mov_b32_e32 v21, 0
	v_mov_b32_e32 v23, 0
	;; [unrolled: 1-line block ×4, first 2 shown]
	s_and_saveexec_b32 s34, s45
	s_cbranch_execz .LBB693_292
; %bb.289:
	global_load_ubyte v23, v[5:6], off offset:768
	s_waitcnt vmcnt(0)
	v_and_b32_e32 v23, 1, v23
	v_cmp_eq_u32_e64 s4, 1, v23
	v_mov_b32_e32 v23, 0
	v_mov_b32_e32 v24, 0
	s_xor_b32 s4, s4, -1
	s_and_saveexec_b32 s42, s4
	s_cbranch_execz .LBB693_291
; %bb.290:
	v_add_f64 v[19:20], v[19:20], -v[39:40]
	s_mov_b32 s4, 0x652b82fe
	s_mov_b32 s5, 0x3ff71547
	;; [unrolled: 1-line block ×4, first 2 shown]
	v_mul_f64 v[23:24], v[19:20], s[4:5]
	s_mov_b32 s4, 0xfefa39ef
	s_mov_b32 s5, 0xbfe62e42
	v_rndne_f64_e32 v[23:24], v[23:24]
	v_fma_f64 v[82:83], v[23:24], s[4:5], v[19:20]
	s_mov_b32 s4, 0x3b39803f
	s_mov_b32 s5, 0xbc7abc9e
	v_cvt_i32_f64_e32 v86, v[23:24]
	v_fma_f64 v[82:83], v[23:24], s[4:5], v[82:83]
	s_mov_b32 s4, 0xfca7ab0c
	s_mov_b32 s5, 0x3e928af3
	v_fma_f64 v[84:85], v[82:83], s[46:47], s[4:5]
	s_mov_b32 s4, 0x623fde64
	s_mov_b32 s5, 0x3ec71dee
	;; [unrolled: 3-line block ×9, first 2 shown]
	v_fma_f64 v[84:85], v[82:83], v[84:85], s[4:5]
	v_cmp_nlt_f64_e64 s4, 0x40900000, v[19:20]
	v_cmp_ngt_f64_e64 s5, 0xc090cc00, v[19:20]
	v_fma_f64 v[84:85], v[82:83], v[84:85], 1.0
	v_fma_f64 v[23:24], v[82:83], v[84:85], 1.0
	v_ldexp_f64 v[23:24], v[23:24], v86
	v_cndmask_b32_e64 v24, 0x7ff00000, v24, s4
	s_and_b32 s4, s5, s4
	v_cndmask_b32_e64 v23, 0, v23, s4
	v_cndmask_b32_e64 v24, 0, v24, s5
	v_add_f64 v[37:38], v[37:38], v[23:24]
.LBB693_291:
	s_or_b32 exec_lo, exec_lo, s42
.LBB693_292:
	s_or_b32 exec_lo, exec_lo, s34
	s_and_saveexec_b32 s34, s44
	s_cbranch_execz .LBB693_296
; %bb.293:
	global_load_ubyte v19, v[5:6], off offset:800
	v_mov_b32_e32 v21, 0
	v_mov_b32_e32 v22, 0
	s_waitcnt vmcnt(0)
	v_and_b32_e32 v19, 1, v19
	v_cmp_eq_u32_e64 s4, 1, v19
	s_xor_b32 s4, s4, -1
	s_and_saveexec_b32 s42, s4
	s_cbranch_execz .LBB693_295
; %bb.294:
	v_add_f64 v[17:18], v[17:18], -v[39:40]
	s_mov_b32 s4, 0x652b82fe
	s_mov_b32 s5, 0x3ff71547
	;; [unrolled: 1-line block ×4, first 2 shown]
	v_mul_f64 v[19:20], v[17:18], s[4:5]
	s_mov_b32 s4, 0xfefa39ef
	s_mov_b32 s5, 0xbfe62e42
	v_rndne_f64_e32 v[19:20], v[19:20]
	v_fma_f64 v[21:22], v[19:20], s[4:5], v[17:18]
	s_mov_b32 s4, 0x3b39803f
	s_mov_b32 s5, 0xbc7abc9e
	v_cvt_i32_f64_e32 v84, v[19:20]
	v_fma_f64 v[21:22], v[19:20], s[4:5], v[21:22]
	s_mov_b32 s4, 0xfca7ab0c
	s_mov_b32 s5, 0x3e928af3
	v_fma_f64 v[82:83], v[21:22], s[44:45], s[4:5]
	s_mov_b32 s4, 0x623fde64
	s_mov_b32 s5, 0x3ec71dee
	;; [unrolled: 3-line block ×9, first 2 shown]
	v_fma_f64 v[82:83], v[21:22], v[82:83], s[4:5]
	v_cmp_nlt_f64_e64 s4, 0x40900000, v[17:18]
	v_cmp_ngt_f64_e64 s5, 0xc090cc00, v[17:18]
	v_fma_f64 v[82:83], v[21:22], v[82:83], 1.0
	v_fma_f64 v[19:20], v[21:22], v[82:83], 1.0
	v_ldexp_f64 v[19:20], v[19:20], v84
	v_cndmask_b32_e64 v20, 0x7ff00000, v20, s4
	s_and_b32 s4, s5, s4
	v_cndmask_b32_e64 v21, 0, v19, s4
	v_cndmask_b32_e64 v22, 0, v20, s5
	v_add_f64 v[37:38], v[37:38], v[21:22]
.LBB693_295:
	s_or_b32 exec_lo, exec_lo, s42
.LBB693_296:
	s_or_b32 exec_lo, exec_lo, s34
	v_mov_b32_e32 v17, 0
	v_mov_b32_e32 v19, 0
	;; [unrolled: 1-line block ×4, first 2 shown]
	s_and_saveexec_b32 s34, s43
	s_cbranch_execz .LBB693_300
; %bb.297:
	global_load_ubyte v19, v[5:6], off offset:832
	s_waitcnt vmcnt(0)
	v_and_b32_e32 v19, 1, v19
	v_cmp_eq_u32_e64 s4, 1, v19
	v_mov_b32_e32 v19, 0
	v_mov_b32_e32 v20, 0
	s_xor_b32 s4, s4, -1
	s_and_saveexec_b32 s42, s4
	s_cbranch_execz .LBB693_299
; %bb.298:
	v_add_f64 v[15:16], v[15:16], -v[39:40]
	s_mov_b32 s4, 0x652b82fe
	s_mov_b32 s5, 0x3ff71547
	;; [unrolled: 1-line block ×4, first 2 shown]
	v_mul_f64 v[19:20], v[15:16], s[4:5]
	s_mov_b32 s4, 0xfefa39ef
	s_mov_b32 s5, 0xbfe62e42
	v_rndne_f64_e32 v[19:20], v[19:20]
	v_fma_f64 v[82:83], v[19:20], s[4:5], v[15:16]
	s_mov_b32 s4, 0x3b39803f
	s_mov_b32 s5, 0xbc7abc9e
	v_cvt_i32_f64_e32 v86, v[19:20]
	v_fma_f64 v[82:83], v[19:20], s[4:5], v[82:83]
	s_mov_b32 s4, 0xfca7ab0c
	s_mov_b32 s5, 0x3e928af3
	v_fma_f64 v[84:85], v[82:83], s[44:45], s[4:5]
	s_mov_b32 s4, 0x623fde64
	s_mov_b32 s5, 0x3ec71dee
	;; [unrolled: 3-line block ×9, first 2 shown]
	v_fma_f64 v[84:85], v[82:83], v[84:85], s[4:5]
	v_cmp_nlt_f64_e64 s4, 0x40900000, v[15:16]
	v_cmp_ngt_f64_e64 s5, 0xc090cc00, v[15:16]
	v_fma_f64 v[84:85], v[82:83], v[84:85], 1.0
	v_fma_f64 v[19:20], v[82:83], v[84:85], 1.0
	v_ldexp_f64 v[19:20], v[19:20], v86
	v_cndmask_b32_e64 v20, 0x7ff00000, v20, s4
	s_and_b32 s4, s5, s4
	v_cndmask_b32_e64 v19, 0, v19, s4
	v_cndmask_b32_e64 v20, 0, v20, s5
	v_add_f64 v[37:38], v[37:38], v[19:20]
.LBB693_299:
	s_or_b32 exec_lo, exec_lo, s42
.LBB693_300:
	s_or_b32 exec_lo, exec_lo, s34
	s_and_saveexec_b32 s34, s41
	s_cbranch_execz .LBB693_304
; %bb.301:
	global_load_ubyte v15, v[5:6], off offset:864
	v_mov_b32_e32 v17, 0
	v_mov_b32_e32 v18, 0
	s_waitcnt vmcnt(0)
	v_and_b32_e32 v15, 1, v15
	v_cmp_eq_u32_e64 s4, 1, v15
	s_xor_b32 s4, s4, -1
	s_and_saveexec_b32 s41, s4
	s_cbranch_execz .LBB693_303
; %bb.302:
	v_add_f64 v[13:14], v[13:14], -v[39:40]
	s_mov_b32 s4, 0x652b82fe
	s_mov_b32 s5, 0x3ff71547
	;; [unrolled: 1-line block ×4, first 2 shown]
	v_mul_f64 v[15:16], v[13:14], s[4:5]
	s_mov_b32 s4, 0xfefa39ef
	s_mov_b32 s5, 0xbfe62e42
	v_rndne_f64_e32 v[15:16], v[15:16]
	v_fma_f64 v[17:18], v[15:16], s[4:5], v[13:14]
	s_mov_b32 s4, 0x3b39803f
	s_mov_b32 s5, 0xbc7abc9e
	v_cvt_i32_f64_e32 v84, v[15:16]
	v_fma_f64 v[17:18], v[15:16], s[4:5], v[17:18]
	s_mov_b32 s4, 0xfca7ab0c
	s_mov_b32 s5, 0x3e928af3
	v_fma_f64 v[82:83], v[17:18], s[42:43], s[4:5]
	s_mov_b32 s4, 0x623fde64
	s_mov_b32 s5, 0x3ec71dee
	;; [unrolled: 3-line block ×9, first 2 shown]
	v_fma_f64 v[82:83], v[17:18], v[82:83], s[4:5]
	v_cmp_nlt_f64_e64 s4, 0x40900000, v[13:14]
	v_cmp_ngt_f64_e64 s5, 0xc090cc00, v[13:14]
	v_fma_f64 v[82:83], v[17:18], v[82:83], 1.0
	v_fma_f64 v[15:16], v[17:18], v[82:83], 1.0
	v_ldexp_f64 v[15:16], v[15:16], v84
	v_cndmask_b32_e64 v16, 0x7ff00000, v16, s4
	s_and_b32 s4, s5, s4
	v_cndmask_b32_e64 v17, 0, v15, s4
	v_cndmask_b32_e64 v18, 0, v16, s5
	v_add_f64 v[37:38], v[37:38], v[17:18]
.LBB693_303:
	s_or_b32 exec_lo, exec_lo, s41
.LBB693_304:
	s_or_b32 exec_lo, exec_lo, s34
	v_mov_b32_e32 v13, 0
	v_mov_b32_e32 v15, 0
	;; [unrolled: 1-line block ×4, first 2 shown]
	s_and_saveexec_b32 s34, s40
	s_cbranch_execz .LBB693_308
; %bb.305:
	global_load_ubyte v15, v[5:6], off offset:896
	s_waitcnt vmcnt(0)
	v_and_b32_e32 v15, 1, v15
	v_cmp_eq_u32_e64 s4, 1, v15
	v_mov_b32_e32 v15, 0
	v_mov_b32_e32 v16, 0
	s_xor_b32 s4, s4, -1
	s_and_saveexec_b32 s40, s4
	s_cbranch_execz .LBB693_307
; %bb.306:
	v_add_f64 v[11:12], v[11:12], -v[39:40]
	s_mov_b32 s4, 0x652b82fe
	s_mov_b32 s5, 0x3ff71547
	;; [unrolled: 1-line block ×4, first 2 shown]
	v_mul_f64 v[15:16], v[11:12], s[4:5]
	s_mov_b32 s4, 0xfefa39ef
	s_mov_b32 s5, 0xbfe62e42
	v_rndne_f64_e32 v[15:16], v[15:16]
	v_fma_f64 v[82:83], v[15:16], s[4:5], v[11:12]
	s_mov_b32 s4, 0x3b39803f
	s_mov_b32 s5, 0xbc7abc9e
	v_cvt_i32_f64_e32 v86, v[15:16]
	v_fma_f64 v[82:83], v[15:16], s[4:5], v[82:83]
	s_mov_b32 s4, 0xfca7ab0c
	s_mov_b32 s5, 0x3e928af3
	v_fma_f64 v[84:85], v[82:83], s[42:43], s[4:5]
	s_mov_b32 s4, 0x623fde64
	s_mov_b32 s5, 0x3ec71dee
	;; [unrolled: 3-line block ×9, first 2 shown]
	v_fma_f64 v[84:85], v[82:83], v[84:85], s[4:5]
	v_cmp_nlt_f64_e64 s4, 0x40900000, v[11:12]
	v_cmp_ngt_f64_e64 s5, 0xc090cc00, v[11:12]
	v_fma_f64 v[84:85], v[82:83], v[84:85], 1.0
	v_fma_f64 v[15:16], v[82:83], v[84:85], 1.0
	v_ldexp_f64 v[15:16], v[15:16], v86
	v_cndmask_b32_e64 v16, 0x7ff00000, v16, s4
	s_and_b32 s4, s5, s4
	v_cndmask_b32_e64 v15, 0, v15, s4
	v_cndmask_b32_e64 v16, 0, v16, s5
	v_add_f64 v[37:38], v[37:38], v[15:16]
.LBB693_307:
	s_or_b32 exec_lo, exec_lo, s40
.LBB693_308:
	s_or_b32 exec_lo, exec_lo, s34
	s_and_saveexec_b32 s34, s39
	s_cbranch_execz .LBB693_312
; %bb.309:
	global_load_ubyte v11, v[5:6], off offset:928
	v_mov_b32_e32 v13, 0
	v_mov_b32_e32 v14, 0
	s_waitcnt vmcnt(0)
	v_and_b32_e32 v11, 1, v11
	v_cmp_eq_u32_e64 s4, 1, v11
	s_xor_b32 s4, s4, -1
	s_and_saveexec_b32 s39, s4
	s_cbranch_execz .LBB693_311
; %bb.310:
	v_add_f64 v[9:10], v[9:10], -v[39:40]
	s_mov_b32 s4, 0x652b82fe
	s_mov_b32 s5, 0x3ff71547
	;; [unrolled: 1-line block ×4, first 2 shown]
	v_mul_f64 v[11:12], v[9:10], s[4:5]
	s_mov_b32 s4, 0xfefa39ef
	s_mov_b32 s5, 0xbfe62e42
	v_rndne_f64_e32 v[11:12], v[11:12]
	v_fma_f64 v[13:14], v[11:12], s[4:5], v[9:10]
	s_mov_b32 s4, 0x3b39803f
	s_mov_b32 s5, 0xbc7abc9e
	v_cvt_i32_f64_e32 v84, v[11:12]
	v_fma_f64 v[13:14], v[11:12], s[4:5], v[13:14]
	s_mov_b32 s4, 0xfca7ab0c
	s_mov_b32 s5, 0x3e928af3
	v_fma_f64 v[82:83], v[13:14], s[40:41], s[4:5]
	s_mov_b32 s4, 0x623fde64
	s_mov_b32 s5, 0x3ec71dee
	;; [unrolled: 3-line block ×9, first 2 shown]
	v_fma_f64 v[82:83], v[13:14], v[82:83], s[4:5]
	v_cmp_nlt_f64_e64 s4, 0x40900000, v[9:10]
	v_cmp_ngt_f64_e64 s5, 0xc090cc00, v[9:10]
	v_fma_f64 v[82:83], v[13:14], v[82:83], 1.0
	v_fma_f64 v[11:12], v[13:14], v[82:83], 1.0
	v_ldexp_f64 v[11:12], v[11:12], v84
	v_cndmask_b32_e64 v12, 0x7ff00000, v12, s4
	s_and_b32 s4, s5, s4
	v_cndmask_b32_e64 v13, 0, v11, s4
	v_cndmask_b32_e64 v14, 0, v12, s5
	v_add_f64 v[37:38], v[37:38], v[13:14]
.LBB693_311:
	s_or_b32 exec_lo, exec_lo, s39
.LBB693_312:
	s_or_b32 exec_lo, exec_lo, s34
	v_mov_b32_e32 v9, 0
	v_mov_b32_e32 v11, 0
	;; [unrolled: 1-line block ×4, first 2 shown]
	s_and_saveexec_b32 s34, s38
	s_cbranch_execz .LBB693_316
; %bb.313:
	global_load_ubyte v11, v[5:6], off offset:960
	s_waitcnt vmcnt(0)
	v_and_b32_e32 v11, 1, v11
	v_cmp_eq_u32_e64 s4, 1, v11
	v_mov_b32_e32 v11, 0
	v_mov_b32_e32 v12, 0
	s_xor_b32 s4, s4, -1
	s_and_saveexec_b32 s38, s4
	s_cbranch_execz .LBB693_315
; %bb.314:
	v_add_f64 v[7:8], v[7:8], -v[39:40]
	s_mov_b32 s4, 0x652b82fe
	s_mov_b32 s5, 0x3ff71547
	;; [unrolled: 1-line block ×4, first 2 shown]
	v_mul_f64 v[11:12], v[7:8], s[4:5]
	s_mov_b32 s4, 0xfefa39ef
	s_mov_b32 s5, 0xbfe62e42
	v_rndne_f64_e32 v[11:12], v[11:12]
	v_fma_f64 v[82:83], v[11:12], s[4:5], v[7:8]
	s_mov_b32 s4, 0x3b39803f
	s_mov_b32 s5, 0xbc7abc9e
	v_cvt_i32_f64_e32 v86, v[11:12]
	v_fma_f64 v[82:83], v[11:12], s[4:5], v[82:83]
	s_mov_b32 s4, 0xfca7ab0c
	s_mov_b32 s5, 0x3e928af3
	v_fma_f64 v[84:85], v[82:83], s[40:41], s[4:5]
	s_mov_b32 s4, 0x623fde64
	s_mov_b32 s5, 0x3ec71dee
	;; [unrolled: 3-line block ×9, first 2 shown]
	v_fma_f64 v[84:85], v[82:83], v[84:85], s[4:5]
	v_cmp_nlt_f64_e64 s4, 0x40900000, v[7:8]
	v_cmp_ngt_f64_e64 s5, 0xc090cc00, v[7:8]
	v_fma_f64 v[84:85], v[82:83], v[84:85], 1.0
	v_fma_f64 v[11:12], v[82:83], v[84:85], 1.0
	v_ldexp_f64 v[11:12], v[11:12], v86
	v_cndmask_b32_e64 v12, 0x7ff00000, v12, s4
	s_and_b32 s4, s5, s4
	v_cndmask_b32_e64 v11, 0, v11, s4
	v_cndmask_b32_e64 v12, 0, v12, s5
	v_add_f64 v[37:38], v[37:38], v[11:12]
.LBB693_315:
	s_or_b32 exec_lo, exec_lo, s38
.LBB693_316:
	s_or_b32 exec_lo, exec_lo, s34
	s_and_saveexec_b32 s34, s35
	s_cbranch_execz .LBB693_320
; %bb.317:
	global_load_ubyte v5, v[5:6], off offset:992
	v_mov_b32_e32 v9, 0
	v_mov_b32_e32 v10, 0
	s_waitcnt vmcnt(0)
	v_and_b32_e32 v5, 1, v5
	v_cmp_eq_u32_e64 s4, 1, v5
	s_xor_b32 s4, s4, -1
	s_and_saveexec_b32 s35, s4
	s_cbranch_execz .LBB693_319
; %bb.318:
	v_add_f64 v[3:4], v[3:4], -v[39:40]
	s_mov_b32 s4, 0x652b82fe
	s_mov_b32 s5, 0x3ff71547
	;; [unrolled: 1-line block ×4, first 2 shown]
	v_mul_f64 v[5:6], v[3:4], s[4:5]
	s_mov_b32 s4, 0xfefa39ef
	s_mov_b32 s5, 0xbfe62e42
	v_rndne_f64_e32 v[5:6], v[5:6]
	v_fma_f64 v[7:8], v[5:6], s[4:5], v[3:4]
	s_mov_b32 s4, 0x3b39803f
	s_mov_b32 s5, 0xbc7abc9e
	v_cvt_i32_f64_e32 v39, v[5:6]
	v_fma_f64 v[7:8], v[5:6], s[4:5], v[7:8]
	s_mov_b32 s4, 0xfca7ab0c
	s_mov_b32 s5, 0x3e928af3
	v_fma_f64 v[9:10], v[7:8], s[38:39], s[4:5]
	s_mov_b32 s4, 0x623fde64
	s_mov_b32 s5, 0x3ec71dee
	;; [unrolled: 3-line block ×9, first 2 shown]
	v_fma_f64 v[9:10], v[7:8], v[9:10], s[4:5]
	v_cmp_nlt_f64_e64 s4, 0x40900000, v[3:4]
	v_cmp_ngt_f64_e64 s5, 0xc090cc00, v[3:4]
	v_fma_f64 v[9:10], v[7:8], v[9:10], 1.0
	v_fma_f64 v[5:6], v[7:8], v[9:10], 1.0
	v_ldexp_f64 v[5:6], v[5:6], v39
	v_cndmask_b32_e64 v6, 0x7ff00000, v6, s4
	s_and_b32 s4, s5, s4
	v_cndmask_b32_e64 v9, 0, v5, s4
	v_cndmask_b32_e64 v10, 0, v6, s5
	v_add_f64 v[37:38], v[37:38], v[9:10]
.LBB693_319:
	s_or_b32 exec_lo, exec_lo, s35
.LBB693_320:
	s_or_b32 exec_lo, exec_lo, s34
	ds_bpermute_b32 v3, v0, v37
	ds_bpermute_b32 v4, v0, v38
	s_mov_b32 s5, exec_lo
	s_waitcnt lgkmcnt(0)
	v_add_f64 v[3:4], v[37:38], v[3:4]
	ds_bpermute_b32 v5, v78, v3
	ds_bpermute_b32 v6, v78, v4
	s_waitcnt lgkmcnt(0)
	v_add_f64 v[3:4], v[3:4], v[5:6]
	ds_bpermute_b32 v5, v79, v3
	ds_bpermute_b32 v6, v79, v4
	;; [unrolled: 4-line block ×4, first 2 shown]
	v_cmpx_lt_i32_e32 0, v77
	s_cbranch_execz .LBB693_354
; %bb.321:
	s_and_b32 exec_lo, exec_lo, vcc_lo
	s_cbranch_execz .LBB693_354
; %bb.322:
	s_waitcnt lgkmcnt(0)
	v_add_f64 v[3:4], v[3:4], v[5:6]
	v_div_scale_f64 v[5:6], null, v[3:4], v[3:4], v[33:34]
	v_div_scale_f64 v[39:40], vcc_lo, v[33:34], v[3:4], v[33:34]
	v_cmp_eq_f64_e64 s4, 0, v[3:4]
	v_rcp_f64_e32 v[7:8], v[5:6]
	v_fma_f64 v[37:38], -v[5:6], v[7:8], 1.0
	v_fma_f64 v[7:8], v[7:8], v[37:38], v[7:8]
	v_fma_f64 v[37:38], -v[5:6], v[7:8], 1.0
	v_fma_f64 v[7:8], v[7:8], v[37:38], v[7:8]
	v_mul_f64 v[37:38], v[39:40], v[7:8]
	v_fma_f64 v[5:6], -v[5:6], v[37:38], v[39:40]
	v_div_fmas_f64 v[5:6], v[5:6], v[7:8], v[37:38]
	v_add_co_u32 v0, vcc_lo, s36, v1
	v_add_co_ci_u32_e64 v1, null, s37, v2, vcc_lo
	v_div_fixup_f64 v[5:6], v[5:6], v[3:4], v[33:34]
	v_cndmask_b32_e64 v6, v6, 0x7ff80000, s4
	v_cndmask_b32_e64 v5, v5, 0, s4
	global_store_dwordx2 v[0:1], v[5:6], off
	s_and_b32 exec_lo, exec_lo, s33
	s_cbranch_execz .LBB693_354
; %bb.323:
	v_div_scale_f64 v[5:6], null, v[3:4], v[3:4], v[31:32]
	v_div_scale_f64 v[37:38], vcc_lo, v[31:32], v[3:4], v[31:32]
	v_rcp_f64_e32 v[7:8], v[5:6]
	v_fma_f64 v[33:34], -v[5:6], v[7:8], 1.0
	v_fma_f64 v[7:8], v[7:8], v[33:34], v[7:8]
	v_fma_f64 v[33:34], -v[5:6], v[7:8], 1.0
	v_fma_f64 v[7:8], v[7:8], v[33:34], v[7:8]
	v_mul_f64 v[33:34], v[37:38], v[7:8]
	v_fma_f64 v[5:6], -v[5:6], v[33:34], v[37:38]
	v_div_fmas_f64 v[5:6], v[5:6], v[7:8], v[33:34]
	v_div_fixup_f64 v[5:6], v[5:6], v[3:4], v[31:32]
	v_cndmask_b32_e64 v6, v6, 0x7ff80000, s4
	v_cndmask_b32_e64 v5, v5, 0, s4
	global_store_dwordx2 v[0:1], v[5:6], off offset:256
	s_and_b32 exec_lo, exec_lo, s31
	s_cbranch_execz .LBB693_354
; %bb.324:
	v_div_scale_f64 v[5:6], null, v[3:4], v[3:4], v[45:46]
	v_div_scale_f64 v[33:34], vcc_lo, v[45:46], v[3:4], v[45:46]
	v_rcp_f64_e32 v[7:8], v[5:6]
	v_fma_f64 v[31:32], -v[5:6], v[7:8], 1.0
	v_fma_f64 v[7:8], v[7:8], v[31:32], v[7:8]
	v_fma_f64 v[31:32], -v[5:6], v[7:8], 1.0
	v_fma_f64 v[7:8], v[7:8], v[31:32], v[7:8]
	v_mul_f64 v[31:32], v[33:34], v[7:8]
	v_fma_f64 v[5:6], -v[5:6], v[31:32], v[33:34]
	v_div_fmas_f64 v[5:6], v[5:6], v[7:8], v[31:32]
	v_div_fixup_f64 v[5:6], v[5:6], v[3:4], v[45:46]
	v_cndmask_b32_e64 v6, v6, 0x7ff80000, s4
	v_cndmask_b32_e64 v5, v5, 0, s4
	global_store_dwordx2 v[0:1], v[5:6], off offset:512
	;; [unrolled: 17-line block ×7, first 2 shown]
	s_and_b32 exec_lo, exec_lo, s25
	s_cbranch_execz .LBB693_354
; %bb.330:
	v_div_scale_f64 v[5:6], null, v[3:4], v[3:4], v[69:70]
	v_div_scale_f64 v[33:34], vcc_lo, v[69:70], v[3:4], v[69:70]
	v_rcp_f64_e32 v[7:8], v[5:6]
	v_fma_f64 v[31:32], -v[5:6], v[7:8], 1.0
	v_fma_f64 v[7:8], v[7:8], v[31:32], v[7:8]
	v_fma_f64 v[31:32], -v[5:6], v[7:8], 1.0
	v_fma_f64 v[7:8], v[7:8], v[31:32], v[7:8]
	v_mul_f64 v[31:32], v[33:34], v[7:8]
	v_fma_f64 v[5:6], -v[5:6], v[31:32], v[33:34]
	v_div_fmas_f64 v[5:6], v[5:6], v[7:8], v[31:32]
	v_div_fixup_f64 v[5:6], v[5:6], v[3:4], v[69:70]
	v_cndmask_b32_e64 v7, v5, 0, s4
	v_add_co_u32 v5, vcc_lo, 0x800, v0
	v_cndmask_b32_e64 v8, v6, 0x7ff80000, s4
	v_add_co_ci_u32_e64 v6, null, 0, v1, vcc_lo
	global_store_dwordx2 v[5:6], v[7:8], off
	s_and_b32 exec_lo, exec_lo, s24
	s_cbranch_execz .LBB693_354
; %bb.331:
	v_div_scale_f64 v[7:8], null, v[3:4], v[3:4], v[67:68]
	v_div_scale_f64 v[37:38], vcc_lo, v[67:68], v[3:4], v[67:68]
	v_rcp_f64_e32 v[31:32], v[7:8]
	v_fma_f64 v[33:34], -v[7:8], v[31:32], 1.0
	v_fma_f64 v[31:32], v[31:32], v[33:34], v[31:32]
	v_fma_f64 v[33:34], -v[7:8], v[31:32], 1.0
	v_fma_f64 v[31:32], v[31:32], v[33:34], v[31:32]
	v_mul_f64 v[33:34], v[37:38], v[31:32]
	v_fma_f64 v[7:8], -v[7:8], v[33:34], v[37:38]
	v_div_fmas_f64 v[7:8], v[7:8], v[31:32], v[33:34]
	v_div_fixup_f64 v[7:8], v[7:8], v[3:4], v[67:68]
	v_cndmask_b32_e64 v8, v8, 0x7ff80000, s4
	v_cndmask_b32_e64 v7, v7, 0, s4
	global_store_dwordx2 v[5:6], v[7:8], off offset:256
	s_and_b32 exec_lo, exec_lo, s23
	s_cbranch_execz .LBB693_354
; %bb.332:
	v_div_scale_f64 v[7:8], null, v[3:4], v[3:4], v[75:76]
	v_div_scale_f64 v[37:38], vcc_lo, v[75:76], v[3:4], v[75:76]
	v_rcp_f64_e32 v[31:32], v[7:8]
	v_fma_f64 v[33:34], -v[7:8], v[31:32], 1.0
	v_fma_f64 v[31:32], v[31:32], v[33:34], v[31:32]
	v_fma_f64 v[33:34], -v[7:8], v[31:32], 1.0
	v_fma_f64 v[31:32], v[31:32], v[33:34], v[31:32]
	v_mul_f64 v[33:34], v[37:38], v[31:32]
	v_fma_f64 v[7:8], -v[7:8], v[33:34], v[37:38]
	v_div_fmas_f64 v[7:8], v[7:8], v[31:32], v[33:34]
	v_div_fixup_f64 v[7:8], v[7:8], v[3:4], v[75:76]
	v_cndmask_b32_e64 v8, v8, 0x7ff80000, s4
	v_cndmask_b32_e64 v7, v7, 0, s4
	global_store_dwordx2 v[5:6], v[7:8], off offset:512
	;; [unrolled: 17-line block ×7, first 2 shown]
	s_and_b32 exec_lo, exec_lo, s17
	s_cbranch_execz .LBB693_354
; %bb.338:
	v_div_scale_f64 v[5:6], null, v[3:4], v[3:4], v[55:56]
	v_div_scale_f64 v[33:34], vcc_lo, v[55:56], v[3:4], v[55:56]
	v_rcp_f64_e32 v[7:8], v[5:6]
	v_fma_f64 v[31:32], -v[5:6], v[7:8], 1.0
	v_fma_f64 v[7:8], v[7:8], v[31:32], v[7:8]
	v_fma_f64 v[31:32], -v[5:6], v[7:8], 1.0
	v_fma_f64 v[7:8], v[7:8], v[31:32], v[7:8]
	v_mul_f64 v[31:32], v[33:34], v[7:8]
	v_fma_f64 v[5:6], -v[5:6], v[31:32], v[33:34]
	v_div_fmas_f64 v[5:6], v[5:6], v[7:8], v[31:32]
	v_div_fixup_f64 v[5:6], v[5:6], v[3:4], v[55:56]
	v_cndmask_b32_e64 v7, v5, 0, s4
	v_add_co_u32 v5, vcc_lo, 0x1000, v0
	v_cndmask_b32_e64 v8, v6, 0x7ff80000, s4
	v_add_co_ci_u32_e64 v6, null, 0, v1, vcc_lo
	global_store_dwordx2 v[5:6], v[7:8], off
	s_and_b32 exec_lo, exec_lo, s16
	s_cbranch_execz .LBB693_354
; %bb.339:
	v_div_scale_f64 v[7:8], null, v[3:4], v[3:4], v[49:50]
	v_div_scale_f64 v[37:38], vcc_lo, v[49:50], v[3:4], v[49:50]
	v_rcp_f64_e32 v[31:32], v[7:8]
	v_fma_f64 v[33:34], -v[7:8], v[31:32], 1.0
	v_fma_f64 v[31:32], v[31:32], v[33:34], v[31:32]
	v_fma_f64 v[33:34], -v[7:8], v[31:32], 1.0
	v_fma_f64 v[31:32], v[31:32], v[33:34], v[31:32]
	v_mul_f64 v[33:34], v[37:38], v[31:32]
	v_fma_f64 v[7:8], -v[7:8], v[33:34], v[37:38]
	v_div_fmas_f64 v[7:8], v[7:8], v[31:32], v[33:34]
	v_div_fixup_f64 v[7:8], v[7:8], v[3:4], v[49:50]
	v_cndmask_b32_e64 v8, v8, 0x7ff80000, s4
	v_cndmask_b32_e64 v7, v7, 0, s4
	global_store_dwordx2 v[5:6], v[7:8], off offset:256
	s_and_b32 exec_lo, exec_lo, s15
	s_cbranch_execz .LBB693_354
; %bb.340:
	v_div_scale_f64 v[7:8], null, v[3:4], v[3:4], v[47:48]
	v_div_scale_f64 v[37:38], vcc_lo, v[47:48], v[3:4], v[47:48]
	v_rcp_f64_e32 v[31:32], v[7:8]
	v_fma_f64 v[33:34], -v[7:8], v[31:32], 1.0
	v_fma_f64 v[31:32], v[31:32], v[33:34], v[31:32]
	v_fma_f64 v[33:34], -v[7:8], v[31:32], 1.0
	v_fma_f64 v[31:32], v[31:32], v[33:34], v[31:32]
	v_mul_f64 v[33:34], v[37:38], v[31:32]
	v_fma_f64 v[7:8], -v[7:8], v[33:34], v[37:38]
	v_div_fmas_f64 v[7:8], v[7:8], v[31:32], v[33:34]
	v_div_fixup_f64 v[7:8], v[7:8], v[3:4], v[47:48]
	v_cndmask_b32_e64 v8, v8, 0x7ff80000, s4
	v_cndmask_b32_e64 v7, v7, 0, s4
	global_store_dwordx2 v[5:6], v[7:8], off offset:512
	;; [unrolled: 17-line block ×7, first 2 shown]
	s_and_b32 exec_lo, exec_lo, s9
	s_cbranch_execz .LBB693_354
; %bb.346:
	v_div_scale_f64 v[5:6], null, v[3:4], v[3:4], v[23:24]
	v_div_scale_f64 v[27:28], vcc_lo, v[23:24], v[3:4], v[23:24]
	v_rcp_f64_e32 v[7:8], v[5:6]
	v_fma_f64 v[25:26], -v[5:6], v[7:8], 1.0
	v_fma_f64 v[7:8], v[7:8], v[25:26], v[7:8]
	v_fma_f64 v[25:26], -v[5:6], v[7:8], 1.0
	v_fma_f64 v[7:8], v[7:8], v[25:26], v[7:8]
	v_mul_f64 v[25:26], v[27:28], v[7:8]
	v_fma_f64 v[5:6], -v[5:6], v[25:26], v[27:28]
	v_div_fmas_f64 v[5:6], v[5:6], v[7:8], v[25:26]
	v_add_co_u32 v0, vcc_lo, 0x1800, v0
	v_add_co_ci_u32_e64 v1, null, 0, v1, vcc_lo
	v_div_fixup_f64 v[5:6], v[5:6], v[3:4], v[23:24]
	v_cndmask_b32_e64 v6, v6, 0x7ff80000, s4
	v_cndmask_b32_e64 v5, v5, 0, s4
	global_store_dwordx2 v[0:1], v[5:6], off
	s_and_b32 exec_lo, exec_lo, s8
	s_cbranch_execz .LBB693_354
; %bb.347:
	v_div_scale_f64 v[5:6], null, v[3:4], v[3:4], v[21:22]
	v_div_scale_f64 v[25:26], vcc_lo, v[21:22], v[3:4], v[21:22]
	v_rcp_f64_e32 v[7:8], v[5:6]
	v_fma_f64 v[23:24], -v[5:6], v[7:8], 1.0
	v_fma_f64 v[7:8], v[7:8], v[23:24], v[7:8]
	v_fma_f64 v[23:24], -v[5:6], v[7:8], 1.0
	v_fma_f64 v[7:8], v[7:8], v[23:24], v[7:8]
	v_mul_f64 v[23:24], v[25:26], v[7:8]
	v_fma_f64 v[5:6], -v[5:6], v[23:24], v[25:26]
	v_div_fmas_f64 v[5:6], v[5:6], v[7:8], v[23:24]
	v_div_fixup_f64 v[5:6], v[5:6], v[3:4], v[21:22]
	v_cndmask_b32_e64 v6, v6, 0x7ff80000, s4
	v_cndmask_b32_e64 v5, v5, 0, s4
	global_store_dwordx2 v[0:1], v[5:6], off offset:256
	s_and_b32 exec_lo, exec_lo, s7
	s_cbranch_execz .LBB693_354
; %bb.348:
	v_div_scale_f64 v[5:6], null, v[3:4], v[3:4], v[19:20]
	v_div_scale_f64 v[23:24], vcc_lo, v[19:20], v[3:4], v[19:20]
	v_rcp_f64_e32 v[7:8], v[5:6]
	v_fma_f64 v[21:22], -v[5:6], v[7:8], 1.0
	v_fma_f64 v[7:8], v[7:8], v[21:22], v[7:8]
	v_fma_f64 v[21:22], -v[5:6], v[7:8], 1.0
	v_fma_f64 v[7:8], v[7:8], v[21:22], v[7:8]
	v_mul_f64 v[21:22], v[23:24], v[7:8]
	v_fma_f64 v[5:6], -v[5:6], v[21:22], v[23:24]
	v_div_fmas_f64 v[5:6], v[5:6], v[7:8], v[21:22]
	v_div_fixup_f64 v[5:6], v[5:6], v[3:4], v[19:20]
	v_cndmask_b32_e64 v6, v6, 0x7ff80000, s4
	v_cndmask_b32_e64 v5, v5, 0, s4
	global_store_dwordx2 v[0:1], v[5:6], off offset:512
	;; [unrolled: 17-line block ×7, first 2 shown]
.LBB693_354:
	s_endpgm
	.section	.rodata,"a",@progbits
	.p2align	6, 0x0
	.amdhsa_kernel _ZN12_GLOBAL__N_120softmax_warp_forwardIdddLi10ELb0ELb1ELi32EEEvPT0_PKT_iiiPKbib
		.amdhsa_group_segment_fixed_size 0
		.amdhsa_private_segment_fixed_size 0
		.amdhsa_kernarg_size 304
		.amdhsa_user_sgpr_count 6
		.amdhsa_user_sgpr_private_segment_buffer 1
		.amdhsa_user_sgpr_dispatch_ptr 0
		.amdhsa_user_sgpr_queue_ptr 0
		.amdhsa_user_sgpr_kernarg_segment_ptr 1
		.amdhsa_user_sgpr_dispatch_id 0
		.amdhsa_user_sgpr_flat_scratch_init 0
		.amdhsa_user_sgpr_private_segment_size 0
		.amdhsa_wavefront_size32 1
		.amdhsa_uses_dynamic_stack 0
		.amdhsa_system_sgpr_private_segment_wavefront_offset 0
		.amdhsa_system_sgpr_workgroup_id_x 1
		.amdhsa_system_sgpr_workgroup_id_y 0
		.amdhsa_system_sgpr_workgroup_id_z 0
		.amdhsa_system_sgpr_workgroup_info 0
		.amdhsa_system_vgpr_workitem_id 1
		.amdhsa_next_free_vgpr 87
		.amdhsa_next_free_sgpr 72
		.amdhsa_reserve_vcc 1
		.amdhsa_reserve_flat_scratch 0
		.amdhsa_float_round_mode_32 0
		.amdhsa_float_round_mode_16_64 0
		.amdhsa_float_denorm_mode_32 3
		.amdhsa_float_denorm_mode_16_64 3
		.amdhsa_dx10_clamp 1
		.amdhsa_ieee_mode 1
		.amdhsa_fp16_overflow 0
		.amdhsa_workgroup_processor_mode 1
		.amdhsa_memory_ordered 1
		.amdhsa_forward_progress 1
		.amdhsa_shared_vgpr_count 0
		.amdhsa_exception_fp_ieee_invalid_op 0
		.amdhsa_exception_fp_denorm_src 0
		.amdhsa_exception_fp_ieee_div_zero 0
		.amdhsa_exception_fp_ieee_overflow 0
		.amdhsa_exception_fp_ieee_underflow 0
		.amdhsa_exception_fp_ieee_inexact 0
		.amdhsa_exception_int_div_zero 0
	.end_amdhsa_kernel
	.section	.text._ZN12_GLOBAL__N_120softmax_warp_forwardIdddLi10ELb0ELb1ELi32EEEvPT0_PKT_iiiPKbib,"axG",@progbits,_ZN12_GLOBAL__N_120softmax_warp_forwardIdddLi10ELb0ELb1ELi32EEEvPT0_PKT_iiiPKbib,comdat
.Lfunc_end693:
	.size	_ZN12_GLOBAL__N_120softmax_warp_forwardIdddLi10ELb0ELb1ELi32EEEvPT0_PKT_iiiPKbib, .Lfunc_end693-_ZN12_GLOBAL__N_120softmax_warp_forwardIdddLi10ELb0ELb1ELi32EEEvPT0_PKT_iiiPKbib
                                        ; -- End function
	.set _ZN12_GLOBAL__N_120softmax_warp_forwardIdddLi10ELb0ELb1ELi32EEEvPT0_PKT_iiiPKbib.num_vgpr, 87
	.set _ZN12_GLOBAL__N_120softmax_warp_forwardIdddLi10ELb0ELb1ELi32EEEvPT0_PKT_iiiPKbib.num_agpr, 0
	.set _ZN12_GLOBAL__N_120softmax_warp_forwardIdddLi10ELb0ELb1ELi32EEEvPT0_PKT_iiiPKbib.numbered_sgpr, 72
	.set _ZN12_GLOBAL__N_120softmax_warp_forwardIdddLi10ELb0ELb1ELi32EEEvPT0_PKT_iiiPKbib.num_named_barrier, 0
	.set _ZN12_GLOBAL__N_120softmax_warp_forwardIdddLi10ELb0ELb1ELi32EEEvPT0_PKT_iiiPKbib.private_seg_size, 0
	.set _ZN12_GLOBAL__N_120softmax_warp_forwardIdddLi10ELb0ELb1ELi32EEEvPT0_PKT_iiiPKbib.uses_vcc, 1
	.set _ZN12_GLOBAL__N_120softmax_warp_forwardIdddLi10ELb0ELb1ELi32EEEvPT0_PKT_iiiPKbib.uses_flat_scratch, 0
	.set _ZN12_GLOBAL__N_120softmax_warp_forwardIdddLi10ELb0ELb1ELi32EEEvPT0_PKT_iiiPKbib.has_dyn_sized_stack, 0
	.set _ZN12_GLOBAL__N_120softmax_warp_forwardIdddLi10ELb0ELb1ELi32EEEvPT0_PKT_iiiPKbib.has_recursion, 0
	.set _ZN12_GLOBAL__N_120softmax_warp_forwardIdddLi10ELb0ELb1ELi32EEEvPT0_PKT_iiiPKbib.has_indirect_call, 0
	.section	.AMDGPU.csdata,"",@progbits
; Kernel info:
; codeLenInByte = 25516
; TotalNumSgprs: 74
; NumVgprs: 87
; ScratchSize: 0
; MemoryBound: 0
; FloatMode: 240
; IeeeMode: 1
; LDSByteSize: 0 bytes/workgroup (compile time only)
; SGPRBlocks: 0
; VGPRBlocks: 10
; NumSGPRsForWavesPerEU: 74
; NumVGPRsForWavesPerEU: 87
; Occupancy: 10
; WaveLimiterHint : 0
; COMPUTE_PGM_RSRC2:SCRATCH_EN: 0
; COMPUTE_PGM_RSRC2:USER_SGPR: 6
; COMPUTE_PGM_RSRC2:TRAP_HANDLER: 0
; COMPUTE_PGM_RSRC2:TGID_X_EN: 1
; COMPUTE_PGM_RSRC2:TGID_Y_EN: 0
; COMPUTE_PGM_RSRC2:TGID_Z_EN: 0
; COMPUTE_PGM_RSRC2:TIDIG_COMP_CNT: 1
	.section	.text._ZN12_GLOBAL__N_120softmax_warp_forwardIdddLi11ELb0ELb1ELi64EEEvPT0_PKT_iiiPKbib,"axG",@progbits,_ZN12_GLOBAL__N_120softmax_warp_forwardIdddLi11ELb0ELb1ELi64EEEvPT0_PKT_iiiPKbib,comdat
	.globl	_ZN12_GLOBAL__N_120softmax_warp_forwardIdddLi11ELb0ELb1ELi64EEEvPT0_PKT_iiiPKbib ; -- Begin function _ZN12_GLOBAL__N_120softmax_warp_forwardIdddLi11ELb0ELb1ELi64EEEvPT0_PKT_iiiPKbib
	.p2align	8
	.type	_ZN12_GLOBAL__N_120softmax_warp_forwardIdddLi11ELb0ELb1ELi64EEEvPT0_PKT_iiiPKbib,@function
_ZN12_GLOBAL__N_120softmax_warp_forwardIdddLi11ELb0ELb1ELi64EEEvPT0_PKT_iiiPKbib: ; @_ZN12_GLOBAL__N_120softmax_warp_forwardIdddLi11ELb0ELb1ELi64EEEvPT0_PKT_iiiPKbib
; %bb.0:
	s_clause 0x1
	s_load_dword s0, s[4:5], 0x3c
	s_load_dwordx4 s[40:43], s[4:5], 0x10
	s_waitcnt lgkmcnt(0)
	s_lshr_b32 s0, s0, 16
	v_mad_u64_u32 v[1:2], null, s6, s0, v[1:2]
	s_load_dwordx2 s[0:1], s[4:5], 0x28
	v_mul_lo_u32 v4, v1, s41
	v_add_nc_u32_e32 v2, v4, v0
	v_ashrrev_i32_e32 v3, 31, v2
	s_waitcnt lgkmcnt(0)
	s_bitcmp0_b32 s1, 0
	v_mov_b32_e32 v6, v3
	v_mov_b32_e32 v5, v2
	s_cbranch_scc1 .LBB694_2
; %bb.1:
	s_abs_i32 s1, s0
	v_sub_nc_u32_e32 v7, 0, v4
	v_cvt_f32_u32_e32 v5, s1
	s_sub_i32 s2, 0, s1
	v_max_i32_e32 v7, v4, v7
	v_rcp_iflag_f32_e32 v5, v5
	v_xor_b32_e32 v4, s0, v4
	v_ashrrev_i32_e32 v4, 31, v4
	v_mul_f32_e32 v5, 0x4f7ffffe, v5
	v_cvt_u32_f32_e32 v5, v5
	v_mul_lo_u32 v6, s2, v5
	v_mul_hi_u32 v6, v5, v6
	v_add_nc_u32_e32 v5, v5, v6
	v_mul_hi_u32 v5, v7, v5
	v_mul_lo_u32 v6, v5, s1
	v_sub_nc_u32_e32 v6, v7, v6
	v_add_nc_u32_e32 v7, 1, v5
	v_subrev_nc_u32_e32 v8, s1, v6
	v_cmp_le_u32_e32 vcc_lo, s1, v6
	v_cndmask_b32_e32 v5, v5, v7, vcc_lo
	v_cndmask_b32_e32 v6, v6, v8, vcc_lo
	v_add_nc_u32_e32 v7, 1, v5
	v_cmp_le_u32_e32 vcc_lo, s1, v6
	v_cndmask_b32_e32 v5, v5, v7, vcc_lo
	v_xor_b32_e32 v5, v5, v4
	v_sub_nc_u32_e32 v4, v5, v4
	v_mad_u64_u32 v[5:6], null, v4, s41, v[0:1]
	v_ashrrev_i32_e32 v6, 31, v5
.LBB694_2:
	s_load_dwordx4 s[36:39], s[4:5], 0x0
	v_sub_nc_u32_e32 v77, s40, v1
	v_lshlrev_b64 v[1:2], 3, v[2:3]
	v_cmp_gt_i32_e32 vcc_lo, s42, v0
	v_mov_b32_e32 v43, 0
	v_mov_b32_e32 v45, 0
	v_cmp_lt_i32_e64 s34, 0, v77
	v_mov_b32_e32 v44, 0xfff00000
	v_mov_b32_e32 v46, 0xfff00000
	s_and_b32 s69, s34, vcc_lo
	s_waitcnt lgkmcnt(0)
	v_add_co_u32 v31, s0, s38, v1
	v_add_co_ci_u32_e64 v32, null, s39, v2, s0
	s_and_saveexec_b32 s0, s69
	s_cbranch_execz .LBB694_4
; %bb.3:
	global_load_dwordx2 v[45:46], v[31:32], off
.LBB694_4:
	s_or_b32 exec_lo, exec_lo, s0
	v_add_nc_u32_e32 v3, 64, v0
	v_cmp_gt_i32_e64 s33, s42, v3
	s_and_b32 s68, s34, s33
	s_and_saveexec_b32 s0, s68
	s_cbranch_execz .LBB694_6
; %bb.5:
	global_load_dwordx2 v[43:44], v[31:32], off offset:512
.LBB694_6:
	s_or_b32 exec_lo, exec_lo, s0
	v_add_nc_u32_e32 v3, 0x80, v0
	v_mov_b32_e32 v51, 0
	v_mov_b32_e32 v53, 0
	;; [unrolled: 1-line block ×4, first 2 shown]
	v_cmp_gt_i32_e64 s31, s42, v3
	s_and_b32 s67, s34, s31
	s_and_saveexec_b32 s0, s67
	s_cbranch_execz .LBB694_8
; %bb.7:
	global_load_dwordx2 v[53:54], v[31:32], off offset:1024
.LBB694_8:
	s_or_b32 exec_lo, exec_lo, s0
	v_add_nc_u32_e32 v3, 0xc0, v0
	v_cmp_gt_i32_e64 s30, s42, v3
	s_and_b32 s66, s34, s30
	s_and_saveexec_b32 s0, s66
	s_cbranch_execz .LBB694_10
; %bb.9:
	global_load_dwordx2 v[51:52], v[31:32], off offset:1536
.LBB694_10:
	s_or_b32 exec_lo, exec_lo, s0
	v_add_nc_u32_e32 v3, 0x100, v0
	v_mov_b32_e32 v59, 0
	v_mov_b32_e32 v61, 0
	v_mov_b32_e32 v60, 0xfff00000
	v_mov_b32_e32 v62, 0xfff00000
	v_cmp_gt_i32_e64 s29, s42, v3
	s_and_b32 s65, s34, s29
	s_and_saveexec_b32 s1, s65
	s_cbranch_execz .LBB694_12
; %bb.11:
	v_add_co_u32 v3, s0, 0x800, v31
	v_add_co_ci_u32_e64 v4, null, 0, v32, s0
	global_load_dwordx2 v[61:62], v[3:4], off
.LBB694_12:
	s_or_b32 exec_lo, exec_lo, s1
	v_add_nc_u32_e32 v3, 0x140, v0
	v_cmp_gt_i32_e64 s28, s42, v3
	s_and_b32 s64, s34, s28
	s_and_saveexec_b32 s1, s64
	s_cbranch_execz .LBB694_14
; %bb.13:
	v_add_co_u32 v3, s0, 0x800, v31
	v_add_co_ci_u32_e64 v4, null, 0, v32, s0
	global_load_dwordx2 v[59:60], v[3:4], off offset:512
.LBB694_14:
	s_or_b32 exec_lo, exec_lo, s1
	v_add_nc_u32_e32 v3, 0x180, v0
	v_mov_b32_e32 v67, 0
	v_mov_b32_e32 v69, 0
	v_mov_b32_e32 v68, 0xfff00000
	v_mov_b32_e32 v70, 0xfff00000
	v_cmp_gt_i32_e64 s27, s42, v3
	s_and_b32 s63, s34, s27
	s_and_saveexec_b32 s1, s63
	s_cbranch_execz .LBB694_16
; %bb.15:
	v_add_co_u32 v3, s0, 0x800, v31
	v_add_co_ci_u32_e64 v4, null, 0, v32, s0
	global_load_dwordx2 v[69:70], v[3:4], off offset:1024
.LBB694_16:
	s_or_b32 exec_lo, exec_lo, s1
	v_add_nc_u32_e32 v3, 0x1c0, v0
	v_cmp_gt_i32_e64 s26, s42, v3
	s_and_b32 s62, s34, s26
	s_and_saveexec_b32 s1, s62
	s_cbranch_execz .LBB694_18
; %bb.17:
	v_add_co_u32 v3, s0, 0x800, v31
	v_add_co_ci_u32_e64 v4, null, 0, v32, s0
	global_load_dwordx2 v[67:68], v[3:4], off offset:1536
.LBB694_18:
	s_or_b32 exec_lo, exec_lo, s1
	v_add_nc_u32_e32 v3, 0x200, v0
	v_mov_b32_e32 v73, 0
	v_mov_b32_e32 v75, 0
	v_mov_b32_e32 v74, 0xfff00000
	v_mov_b32_e32 v76, 0xfff00000
	v_cmp_gt_i32_e64 s25, s42, v3
	s_and_b32 s61, s34, s25
	s_and_saveexec_b32 s1, s61
	s_cbranch_execz .LBB694_20
; %bb.19:
	v_add_co_u32 v3, s0, 0x1000, v31
	v_add_co_ci_u32_e64 v4, null, 0, v32, s0
	global_load_dwordx2 v[75:76], v[3:4], off
.LBB694_20:
	s_or_b32 exec_lo, exec_lo, s1
	v_add_nc_u32_e32 v3, 0x240, v0
	v_cmp_gt_i32_e64 s24, s42, v3
	s_and_b32 s60, s34, s24
	s_and_saveexec_b32 s1, s60
	s_cbranch_execz .LBB694_22
; %bb.21:
	v_add_co_u32 v3, s0, 0x1000, v31
	v_add_co_ci_u32_e64 v4, null, 0, v32, s0
	global_load_dwordx2 v[73:74], v[3:4], off offset:512
.LBB694_22:
	s_or_b32 exec_lo, exec_lo, s1
	v_add_nc_u32_e32 v3, 0x280, v0
	v_mov_b32_e32 v65, 0
	v_mov_b32_e32 v71, 0
	v_mov_b32_e32 v66, 0xfff00000
	v_mov_b32_e32 v72, 0xfff00000
	v_cmp_gt_i32_e64 s23, s42, v3
	s_and_b32 s59, s34, s23
	s_and_saveexec_b32 s1, s59
	s_cbranch_execz .LBB694_24
; %bb.23:
	v_add_co_u32 v3, s0, 0x1000, v31
	v_add_co_ci_u32_e64 v4, null, 0, v32, s0
	global_load_dwordx2 v[71:72], v[3:4], off offset:1024
.LBB694_24:
	s_or_b32 exec_lo, exec_lo, s1
	v_add_nc_u32_e32 v3, 0x2c0, v0
	v_cmp_gt_i32_e64 s22, s42, v3
	s_and_b32 s58, s34, s22
	s_and_saveexec_b32 s1, s58
	s_cbranch_execz .LBB694_26
; %bb.25:
	v_add_co_u32 v3, s0, 0x1000, v31
	v_add_co_ci_u32_e64 v4, null, 0, v32, s0
	global_load_dwordx2 v[65:66], v[3:4], off offset:1536
.LBB694_26:
	;; [unrolled: 52-line block ×3, first 2 shown]
	s_or_b32 exec_lo, exec_lo, s1
	v_or_b32_e32 v3, 0x400, v0
	v_mov_b32_e32 v41, 0
	v_mov_b32_e32 v47, 0
	v_mov_b32_e32 v42, 0xfff00000
	v_mov_b32_e32 v48, 0xfff00000
	v_cmp_gt_i32_e64 s17, s42, v3
	s_and_b32 s53, s34, s17
	s_and_saveexec_b32 s1, s53
	s_cbranch_execz .LBB694_36
; %bb.35:
	v_add_co_u32 v3, s0, 0x2000, v31
	v_add_co_ci_u32_e64 v4, null, 0, v32, s0
	global_load_dwordx2 v[47:48], v[3:4], off
.LBB694_36:
	s_or_b32 exec_lo, exec_lo, s1
	v_add_nc_u32_e32 v3, 0x440, v0
	v_cmp_gt_i32_e64 s16, s42, v3
	s_and_b32 s52, s34, s16
	s_and_saveexec_b32 s1, s52
	s_cbranch_execz .LBB694_38
; %bb.37:
	v_add_co_u32 v3, s0, 0x2000, v31
	v_add_co_ci_u32_e64 v4, null, 0, v32, s0
	global_load_dwordx2 v[41:42], v[3:4], off offset:512
.LBB694_38:
	s_or_b32 exec_lo, exec_lo, s1
	v_add_nc_u32_e32 v3, 0x480, v0
	v_mov_b32_e32 v29, 0
	v_mov_b32_e32 v35, 0
	v_mov_b32_e32 v30, 0xfff00000
	v_mov_b32_e32 v36, 0xfff00000
	v_cmp_gt_i32_e64 s15, s42, v3
	s_and_b32 s51, s34, s15
	s_and_saveexec_b32 s1, s51
	s_cbranch_execz .LBB694_40
; %bb.39:
	v_add_co_u32 v3, s0, 0x2000, v31
	v_add_co_ci_u32_e64 v4, null, 0, v32, s0
	global_load_dwordx2 v[35:36], v[3:4], off offset:1024
.LBB694_40:
	s_or_b32 exec_lo, exec_lo, s1
	v_add_nc_u32_e32 v3, 0x4c0, v0
	v_cmp_gt_i32_e64 s14, s42, v3
	s_and_b32 s50, s34, s14
	s_and_saveexec_b32 s1, s50
	s_cbranch_execz .LBB694_42
; %bb.41:
	v_add_co_u32 v3, s0, 0x2000, v31
	v_add_co_ci_u32_e64 v4, null, 0, v32, s0
	global_load_dwordx2 v[29:30], v[3:4], off offset:1536
.LBB694_42:
	s_or_b32 exec_lo, exec_lo, s1
	v_add_nc_u32_e32 v3, 0x500, v0
	v_mov_b32_e32 v25, 0
	v_mov_b32_e32 v27, 0
	v_mov_b32_e32 v26, 0xfff00000
	v_mov_b32_e32 v28, 0xfff00000
	v_cmp_gt_i32_e64 s13, s42, v3
	s_and_b32 s49, s34, s13
	s_and_saveexec_b32 s1, s49
	s_cbranch_execz .LBB694_44
; %bb.43:
	v_add_co_u32 v3, s0, 0x2800, v31
	v_add_co_ci_u32_e64 v4, null, 0, v32, s0
	global_load_dwordx2 v[27:28], v[3:4], off
.LBB694_44:
	s_or_b32 exec_lo, exec_lo, s1
	v_add_nc_u32_e32 v3, 0x540, v0
	v_cmp_gt_i32_e64 s12, s42, v3
	s_and_b32 s48, s34, s12
	s_and_saveexec_b32 s1, s48
	s_cbranch_execz .LBB694_46
; %bb.45:
	v_add_co_u32 v3, s0, 0x2800, v31
	v_add_co_ci_u32_e64 v4, null, 0, v32, s0
	global_load_dwordx2 v[25:26], v[3:4], off offset:512
.LBB694_46:
	s_or_b32 exec_lo, exec_lo, s1
	v_add_nc_u32_e32 v3, 0x580, v0
	v_mov_b32_e32 v21, 0
	v_mov_b32_e32 v23, 0
	v_mov_b32_e32 v22, 0xfff00000
	v_mov_b32_e32 v24, 0xfff00000
	v_cmp_gt_i32_e64 s11, s42, v3
	s_and_b32 s47, s34, s11
	s_and_saveexec_b32 s1, s47
	s_cbranch_execz .LBB694_48
; %bb.47:
	v_add_co_u32 v3, s0, 0x2800, v31
	v_add_co_ci_u32_e64 v4, null, 0, v32, s0
	global_load_dwordx2 v[23:24], v[3:4], off offset:1024
.LBB694_48:
	s_or_b32 exec_lo, exec_lo, s1
	v_add_nc_u32_e32 v3, 0x5c0, v0
	v_cmp_gt_i32_e64 s10, s42, v3
	s_and_b32 s46, s34, s10
	s_and_saveexec_b32 s1, s46
	s_cbranch_execz .LBB694_50
; %bb.49:
	v_add_co_u32 v3, s0, 0x2800, v31
	v_add_co_ci_u32_e64 v4, null, 0, v32, s0
	global_load_dwordx2 v[21:22], v[3:4], off offset:1536
.LBB694_50:
	s_or_b32 exec_lo, exec_lo, s1
	v_add_nc_u32_e32 v3, 0x600, v0
	;; [unrolled: 52-line block ×3, first 2 shown]
	v_mov_b32_e32 v9, 0
	v_mov_b32_e32 v11, 0
	;; [unrolled: 1-line block ×4, first 2 shown]
	v_cmp_gt_i32_e64 s3, s42, v3
	s_and_b32 s40, s34, s3
	s_and_saveexec_b32 s1, s40
	s_cbranch_execz .LBB694_60
; %bb.59:
	v_add_co_u32 v3, s0, 0x3800, v31
	v_add_co_ci_u32_e64 v4, null, 0, v32, s0
	global_load_dwordx2 v[11:12], v[3:4], off
.LBB694_60:
	s_or_b32 exec_lo, exec_lo, s1
	v_add_nc_u32_e32 v3, 0x740, v0
	v_cmp_gt_i32_e64 s2, s42, v3
	s_and_b32 s39, s34, s2
	s_and_saveexec_b32 s1, s39
	s_cbranch_execz .LBB694_62
; %bb.61:
	v_add_co_u32 v3, s0, 0x3800, v31
	v_add_co_ci_u32_e64 v4, null, 0, v32, s0
	global_load_dwordx2 v[9:10], v[3:4], off offset:512
.LBB694_62:
	s_or_b32 exec_lo, exec_lo, s1
	v_add_nc_u32_e32 v3, 0x780, v0
	v_mov_b32_e32 v7, 0
	v_mov_b32_e32 v8, 0xfff00000
	v_cmp_gt_i32_e64 s1, s42, v3
	v_mov_b32_e32 v3, 0
	v_mov_b32_e32 v4, 0xfff00000
	s_and_b32 s38, s34, s1
	s_and_saveexec_b32 s35, s38
	s_cbranch_execz .LBB694_64
; %bb.63:
	v_add_co_u32 v7, s0, 0x3800, v31
	v_add_co_ci_u32_e64 v8, null, 0, v32, s0
	global_load_dwordx2 v[7:8], v[7:8], off offset:1024
.LBB694_64:
	s_or_b32 exec_lo, exec_lo, s35
	v_add_nc_u32_e32 v0, 0x7c0, v0
	v_cmp_gt_i32_e64 s0, s42, v0
	s_and_b32 s35, s34, s0
	s_and_saveexec_b32 s42, s35
	s_cbranch_execz .LBB694_66
; %bb.65:
	v_add_co_u32 v3, s34, 0x3800, v31
	v_add_co_ci_u32_e64 v4, null, 0, v32, s34
	global_load_dwordx2 v[3:4], v[3:4], off offset:1536
.LBB694_66:
	s_or_b32 exec_lo, exec_lo, s42
	s_load_dwordx2 s[4:5], s[4:5], 0x20
	s_waitcnt lgkmcnt(0)
	v_add_co_u32 v5, s4, s4, v5
	v_add_co_ci_u32_e64 v6, null, s5, v6, s4
	s_mov_b32 s5, 0
	s_and_saveexec_b32 s34, s69
	s_cbranch_execz .LBB694_68
; %bb.67:
	global_load_ubyte v0, v[5:6], off
	s_waitcnt vmcnt(0)
	v_and_b32_e32 v0, 1, v0
	v_cmp_eq_u32_e64 s4, 1, v0
	s_xor_b32 s4, s4, -1
	s_and_b32 s5, s4, exec_lo
.LBB694_68:
	s_or_b32 exec_lo, exec_lo, s34
	s_waitcnt vmcnt(0)
	v_mov_b32_e32 v31, v45
	v_mov_b32_e32 v32, v46
	s_and_saveexec_b32 s34, s68
	s_cbranch_execnz .LBB694_99
; %bb.69:
	s_or_b32 exec_lo, exec_lo, s34
	s_and_saveexec_b32 s34, s67
	s_cbranch_execnz .LBB694_102
.LBB694_70:
	s_or_b32 exec_lo, exec_lo, s34
	s_and_saveexec_b32 s34, s66
	s_cbranch_execnz .LBB694_105
.LBB694_71:
	s_or_b32 exec_lo, exec_lo, s34
	s_and_saveexec_b32 s34, s65
	s_cbranch_execnz .LBB694_108
.LBB694_72:
	s_or_b32 exec_lo, exec_lo, s34
	s_and_saveexec_b32 s34, s64
	s_cbranch_execnz .LBB694_111
.LBB694_73:
	s_or_b32 exec_lo, exec_lo, s34
	s_and_saveexec_b32 s34, s63
	s_cbranch_execnz .LBB694_114
.LBB694_74:
	s_or_b32 exec_lo, exec_lo, s34
	s_and_saveexec_b32 s34, s62
	s_cbranch_execnz .LBB694_117
.LBB694_75:
	s_or_b32 exec_lo, exec_lo, s34
	s_and_saveexec_b32 s34, s61
	s_cbranch_execnz .LBB694_120
.LBB694_76:
	s_or_b32 exec_lo, exec_lo, s34
	s_and_saveexec_b32 s34, s60
	s_cbranch_execnz .LBB694_123
.LBB694_77:
	s_or_b32 exec_lo, exec_lo, s34
	s_and_saveexec_b32 s34, s59
	s_cbranch_execnz .LBB694_126
.LBB694_78:
	s_or_b32 exec_lo, exec_lo, s34
	s_and_saveexec_b32 s34, s58
	s_cbranch_execnz .LBB694_129
.LBB694_79:
	s_or_b32 exec_lo, exec_lo, s34
	s_and_saveexec_b32 s34, s57
	s_cbranch_execnz .LBB694_132
.LBB694_80:
	s_or_b32 exec_lo, exec_lo, s34
	s_and_saveexec_b32 s34, s56
	s_cbranch_execnz .LBB694_135
.LBB694_81:
	s_or_b32 exec_lo, exec_lo, s34
	s_and_saveexec_b32 s34, s55
	s_cbranch_execnz .LBB694_138
.LBB694_82:
	s_or_b32 exec_lo, exec_lo, s34
	s_and_saveexec_b32 s34, s54
	s_cbranch_execnz .LBB694_141
.LBB694_83:
	s_or_b32 exec_lo, exec_lo, s34
	s_and_saveexec_b32 s34, s53
	s_cbranch_execnz .LBB694_144
.LBB694_84:
	s_or_b32 exec_lo, exec_lo, s34
	s_and_saveexec_b32 s34, s52
	s_cbranch_execnz .LBB694_147
.LBB694_85:
	s_or_b32 exec_lo, exec_lo, s34
	s_and_saveexec_b32 s34, s51
	s_cbranch_execnz .LBB694_150
.LBB694_86:
	s_or_b32 exec_lo, exec_lo, s34
	s_and_saveexec_b32 s34, s50
	s_cbranch_execnz .LBB694_153
.LBB694_87:
	s_or_b32 exec_lo, exec_lo, s34
	s_and_saveexec_b32 s34, s49
	s_cbranch_execnz .LBB694_156
.LBB694_88:
	s_or_b32 exec_lo, exec_lo, s34
	s_and_saveexec_b32 s34, s48
	s_cbranch_execnz .LBB694_159
.LBB694_89:
	s_or_b32 exec_lo, exec_lo, s34
	s_and_saveexec_b32 s34, s47
	s_cbranch_execnz .LBB694_162
.LBB694_90:
	s_or_b32 exec_lo, exec_lo, s34
	s_and_saveexec_b32 s34, s46
	s_cbranch_execnz .LBB694_165
.LBB694_91:
	s_or_b32 exec_lo, exec_lo, s34
	s_and_saveexec_b32 s34, s45
	s_cbranch_execnz .LBB694_168
.LBB694_92:
	s_or_b32 exec_lo, exec_lo, s34
	s_and_saveexec_b32 s34, s44
	s_cbranch_execnz .LBB694_171
.LBB694_93:
	s_or_b32 exec_lo, exec_lo, s34
	s_and_saveexec_b32 s34, s43
	s_cbranch_execnz .LBB694_174
.LBB694_94:
	s_or_b32 exec_lo, exec_lo, s34
	s_and_saveexec_b32 s34, s41
	s_cbranch_execnz .LBB694_177
.LBB694_95:
	s_or_b32 exec_lo, exec_lo, s34
	s_and_saveexec_b32 s34, s40
	s_cbranch_execnz .LBB694_180
.LBB694_96:
	s_or_b32 exec_lo, exec_lo, s34
	s_and_saveexec_b32 s34, s39
	s_cbranch_execnz .LBB694_183
.LBB694_97:
	s_or_b32 exec_lo, exec_lo, s34
	s_and_saveexec_b32 s34, s38
	s_cbranch_execnz .LBB694_186
.LBB694_98:
	s_or_b32 exec_lo, exec_lo, s34
	s_and_saveexec_b32 s34, s35
	s_cbranch_execnz .LBB694_189
	s_branch .LBB694_192
.LBB694_99:
	global_load_ubyte v0, v[5:6], off offset:64
	v_mov_b32_e32 v31, v45
	v_mov_b32_e32 v32, v46
	s_waitcnt vmcnt(0)
	v_and_b32_e32 v0, 1, v0
	v_cmp_eq_u32_e64 s4, 1, v0
	s_xor_b32 s70, s4, -1
	s_mov_b32 s4, s5
	s_and_saveexec_b32 s42, s70
	s_cbranch_execz .LBB694_101
; %bb.100:
	v_cmp_gt_f64_e64 s4, v[45:46], v[43:44]
	s_and_b32 s4, s5, s4
	v_cndmask_b32_e64 v32, v44, v46, s4
	v_cndmask_b32_e64 v31, v43, v45, s4
	s_or_b32 s4, s5, exec_lo
.LBB694_101:
	s_or_b32 exec_lo, exec_lo, s42
	s_andn2_b32 s5, s5, exec_lo
	s_and_b32 s4, s4, exec_lo
	s_or_b32 s5, s5, s4
	s_or_b32 exec_lo, exec_lo, s34
	s_and_saveexec_b32 s34, s67
	s_cbranch_execz .LBB694_70
.LBB694_102:
	global_load_ubyte v0, v[5:6], off offset:128
	s_waitcnt vmcnt(0)
	v_and_b32_e32 v0, 1, v0
	v_cmp_eq_u32_e64 s4, 1, v0
	s_xor_b32 s70, s4, -1
	s_mov_b32 s4, s5
	s_and_saveexec_b32 s42, s70
	s_cbranch_execz .LBB694_104
; %bb.103:
	v_cmp_gt_f64_e64 s4, v[31:32], v[53:54]
	s_and_b32 s4, s5, s4
	v_cndmask_b32_e64 v32, v54, v32, s4
	v_cndmask_b32_e64 v31, v53, v31, s4
	s_or_b32 s4, s5, exec_lo
.LBB694_104:
	s_or_b32 exec_lo, exec_lo, s42
	s_andn2_b32 s5, s5, exec_lo
	s_and_b32 s4, s4, exec_lo
	s_or_b32 s5, s5, s4
	s_or_b32 exec_lo, exec_lo, s34
	s_and_saveexec_b32 s34, s66
	s_cbranch_execz .LBB694_71
.LBB694_105:
	global_load_ubyte v0, v[5:6], off offset:192
	s_waitcnt vmcnt(0)
	v_and_b32_e32 v0, 1, v0
	v_cmp_eq_u32_e64 s4, 1, v0
	s_xor_b32 s70, s4, -1
	s_mov_b32 s4, s5
	s_and_saveexec_b32 s42, s70
	s_cbranch_execz .LBB694_107
; %bb.106:
	v_cmp_gt_f64_e64 s4, v[31:32], v[51:52]
	s_and_b32 s4, s5, s4
	v_cndmask_b32_e64 v32, v52, v32, s4
	v_cndmask_b32_e64 v31, v51, v31, s4
	s_or_b32 s4, s5, exec_lo
.LBB694_107:
	s_or_b32 exec_lo, exec_lo, s42
	s_andn2_b32 s5, s5, exec_lo
	s_and_b32 s4, s4, exec_lo
	s_or_b32 s5, s5, s4
	s_or_b32 exec_lo, exec_lo, s34
	s_and_saveexec_b32 s34, s65
	s_cbranch_execz .LBB694_72
.LBB694_108:
	global_load_ubyte v0, v[5:6], off offset:256
	s_waitcnt vmcnt(0)
	v_and_b32_e32 v0, 1, v0
	v_cmp_eq_u32_e64 s4, 1, v0
	s_xor_b32 s70, s4, -1
	s_mov_b32 s4, s5
	s_and_saveexec_b32 s42, s70
	s_cbranch_execz .LBB694_110
; %bb.109:
	v_cmp_gt_f64_e64 s4, v[31:32], v[61:62]
	s_and_b32 s4, s5, s4
	v_cndmask_b32_e64 v32, v62, v32, s4
	v_cndmask_b32_e64 v31, v61, v31, s4
	s_or_b32 s4, s5, exec_lo
.LBB694_110:
	s_or_b32 exec_lo, exec_lo, s42
	s_andn2_b32 s5, s5, exec_lo
	s_and_b32 s4, s4, exec_lo
	s_or_b32 s5, s5, s4
	s_or_b32 exec_lo, exec_lo, s34
	s_and_saveexec_b32 s34, s64
	s_cbranch_execz .LBB694_73
.LBB694_111:
	global_load_ubyte v0, v[5:6], off offset:320
	s_waitcnt vmcnt(0)
	v_and_b32_e32 v0, 1, v0
	v_cmp_eq_u32_e64 s4, 1, v0
	s_xor_b32 s70, s4, -1
	s_mov_b32 s4, s5
	s_and_saveexec_b32 s42, s70
	s_cbranch_execz .LBB694_113
; %bb.112:
	v_cmp_gt_f64_e64 s4, v[31:32], v[59:60]
	s_and_b32 s4, s5, s4
	v_cndmask_b32_e64 v32, v60, v32, s4
	v_cndmask_b32_e64 v31, v59, v31, s4
	s_or_b32 s4, s5, exec_lo
.LBB694_113:
	s_or_b32 exec_lo, exec_lo, s42
	s_andn2_b32 s5, s5, exec_lo
	s_and_b32 s4, s4, exec_lo
	s_or_b32 s5, s5, s4
	s_or_b32 exec_lo, exec_lo, s34
	s_and_saveexec_b32 s34, s63
	s_cbranch_execz .LBB694_74
.LBB694_114:
	global_load_ubyte v0, v[5:6], off offset:384
	s_waitcnt vmcnt(0)
	v_and_b32_e32 v0, 1, v0
	v_cmp_eq_u32_e64 s4, 1, v0
	s_xor_b32 s70, s4, -1
	s_mov_b32 s4, s5
	s_and_saveexec_b32 s42, s70
	s_cbranch_execz .LBB694_116
; %bb.115:
	v_cmp_gt_f64_e64 s4, v[31:32], v[69:70]
	s_and_b32 s4, s5, s4
	v_cndmask_b32_e64 v32, v70, v32, s4
	v_cndmask_b32_e64 v31, v69, v31, s4
	s_or_b32 s4, s5, exec_lo
.LBB694_116:
	s_or_b32 exec_lo, exec_lo, s42
	s_andn2_b32 s5, s5, exec_lo
	s_and_b32 s4, s4, exec_lo
	s_or_b32 s5, s5, s4
	s_or_b32 exec_lo, exec_lo, s34
	s_and_saveexec_b32 s34, s62
	s_cbranch_execz .LBB694_75
.LBB694_117:
	global_load_ubyte v0, v[5:6], off offset:448
	s_waitcnt vmcnt(0)
	v_and_b32_e32 v0, 1, v0
	v_cmp_eq_u32_e64 s4, 1, v0
	s_xor_b32 s70, s4, -1
	s_mov_b32 s4, s5
	s_and_saveexec_b32 s42, s70
	s_cbranch_execz .LBB694_119
; %bb.118:
	v_cmp_gt_f64_e64 s4, v[31:32], v[67:68]
	s_and_b32 s4, s5, s4
	v_cndmask_b32_e64 v32, v68, v32, s4
	v_cndmask_b32_e64 v31, v67, v31, s4
	s_or_b32 s4, s5, exec_lo
.LBB694_119:
	s_or_b32 exec_lo, exec_lo, s42
	s_andn2_b32 s5, s5, exec_lo
	s_and_b32 s4, s4, exec_lo
	s_or_b32 s5, s5, s4
	s_or_b32 exec_lo, exec_lo, s34
	s_and_saveexec_b32 s34, s61
	s_cbranch_execz .LBB694_76
.LBB694_120:
	global_load_ubyte v0, v[5:6], off offset:512
	s_waitcnt vmcnt(0)
	v_and_b32_e32 v0, 1, v0
	v_cmp_eq_u32_e64 s4, 1, v0
	s_xor_b32 s70, s4, -1
	s_mov_b32 s4, s5
	s_and_saveexec_b32 s42, s70
	s_cbranch_execz .LBB694_122
; %bb.121:
	v_cmp_gt_f64_e64 s4, v[31:32], v[75:76]
	s_and_b32 s4, s5, s4
	v_cndmask_b32_e64 v32, v76, v32, s4
	v_cndmask_b32_e64 v31, v75, v31, s4
	s_or_b32 s4, s5, exec_lo
.LBB694_122:
	s_or_b32 exec_lo, exec_lo, s42
	s_andn2_b32 s5, s5, exec_lo
	s_and_b32 s4, s4, exec_lo
	s_or_b32 s5, s5, s4
	s_or_b32 exec_lo, exec_lo, s34
	s_and_saveexec_b32 s34, s60
	s_cbranch_execz .LBB694_77
.LBB694_123:
	global_load_ubyte v0, v[5:6], off offset:576
	s_waitcnt vmcnt(0)
	v_and_b32_e32 v0, 1, v0
	v_cmp_eq_u32_e64 s4, 1, v0
	s_xor_b32 s70, s4, -1
	s_mov_b32 s4, s5
	s_and_saveexec_b32 s42, s70
	s_cbranch_execz .LBB694_125
; %bb.124:
	v_cmp_gt_f64_e64 s4, v[31:32], v[73:74]
	s_and_b32 s4, s5, s4
	v_cndmask_b32_e64 v32, v74, v32, s4
	v_cndmask_b32_e64 v31, v73, v31, s4
	s_or_b32 s4, s5, exec_lo
.LBB694_125:
	s_or_b32 exec_lo, exec_lo, s42
	s_andn2_b32 s5, s5, exec_lo
	s_and_b32 s4, s4, exec_lo
	s_or_b32 s5, s5, s4
	s_or_b32 exec_lo, exec_lo, s34
	s_and_saveexec_b32 s34, s59
	s_cbranch_execz .LBB694_78
.LBB694_126:
	global_load_ubyte v0, v[5:6], off offset:640
	s_waitcnt vmcnt(0)
	v_and_b32_e32 v0, 1, v0
	v_cmp_eq_u32_e64 s4, 1, v0
	s_xor_b32 s70, s4, -1
	s_mov_b32 s4, s5
	s_and_saveexec_b32 s42, s70
	s_cbranch_execz .LBB694_128
; %bb.127:
	v_cmp_gt_f64_e64 s4, v[31:32], v[71:72]
	s_and_b32 s4, s5, s4
	v_cndmask_b32_e64 v32, v72, v32, s4
	v_cndmask_b32_e64 v31, v71, v31, s4
	s_or_b32 s4, s5, exec_lo
.LBB694_128:
	s_or_b32 exec_lo, exec_lo, s42
	s_andn2_b32 s5, s5, exec_lo
	s_and_b32 s4, s4, exec_lo
	s_or_b32 s5, s5, s4
	s_or_b32 exec_lo, exec_lo, s34
	s_and_saveexec_b32 s34, s58
	s_cbranch_execz .LBB694_79
.LBB694_129:
	global_load_ubyte v0, v[5:6], off offset:704
	s_waitcnt vmcnt(0)
	v_and_b32_e32 v0, 1, v0
	v_cmp_eq_u32_e64 s4, 1, v0
	s_xor_b32 s70, s4, -1
	s_mov_b32 s4, s5
	s_and_saveexec_b32 s42, s70
	s_cbranch_execz .LBB694_131
; %bb.130:
	v_cmp_gt_f64_e64 s4, v[31:32], v[65:66]
	s_and_b32 s4, s5, s4
	v_cndmask_b32_e64 v32, v66, v32, s4
	v_cndmask_b32_e64 v31, v65, v31, s4
	s_or_b32 s4, s5, exec_lo
.LBB694_131:
	s_or_b32 exec_lo, exec_lo, s42
	s_andn2_b32 s5, s5, exec_lo
	s_and_b32 s4, s4, exec_lo
	s_or_b32 s5, s5, s4
	s_or_b32 exec_lo, exec_lo, s34
	s_and_saveexec_b32 s34, s57
	s_cbranch_execz .LBB694_80
.LBB694_132:
	global_load_ubyte v0, v[5:6], off offset:768
	s_waitcnt vmcnt(0)
	v_and_b32_e32 v0, 1, v0
	v_cmp_eq_u32_e64 s4, 1, v0
	s_xor_b32 s70, s4, -1
	s_mov_b32 s4, s5
	s_and_saveexec_b32 s42, s70
	s_cbranch_execz .LBB694_134
; %bb.133:
	v_cmp_gt_f64_e64 s4, v[31:32], v[63:64]
	s_and_b32 s4, s5, s4
	v_cndmask_b32_e64 v32, v64, v32, s4
	v_cndmask_b32_e64 v31, v63, v31, s4
	s_or_b32 s4, s5, exec_lo
.LBB694_134:
	s_or_b32 exec_lo, exec_lo, s42
	s_andn2_b32 s5, s5, exec_lo
	s_and_b32 s4, s4, exec_lo
	s_or_b32 s5, s5, s4
	s_or_b32 exec_lo, exec_lo, s34
	s_and_saveexec_b32 s34, s56
	s_cbranch_execz .LBB694_81
.LBB694_135:
	global_load_ubyte v0, v[5:6], off offset:832
	s_waitcnt vmcnt(0)
	v_and_b32_e32 v0, 1, v0
	v_cmp_eq_u32_e64 s4, 1, v0
	s_xor_b32 s70, s4, -1
	s_mov_b32 s4, s5
	s_and_saveexec_b32 s42, s70
	s_cbranch_execz .LBB694_137
; %bb.136:
	v_cmp_gt_f64_e64 s4, v[31:32], v[57:58]
	s_and_b32 s4, s5, s4
	v_cndmask_b32_e64 v32, v58, v32, s4
	v_cndmask_b32_e64 v31, v57, v31, s4
	s_or_b32 s4, s5, exec_lo
.LBB694_137:
	s_or_b32 exec_lo, exec_lo, s42
	s_andn2_b32 s5, s5, exec_lo
	s_and_b32 s4, s4, exec_lo
	s_or_b32 s5, s5, s4
	s_or_b32 exec_lo, exec_lo, s34
	s_and_saveexec_b32 s34, s55
	s_cbranch_execz .LBB694_82
.LBB694_138:
	global_load_ubyte v0, v[5:6], off offset:896
	s_waitcnt vmcnt(0)
	v_and_b32_e32 v0, 1, v0
	v_cmp_eq_u32_e64 s4, 1, v0
	s_xor_b32 s70, s4, -1
	s_mov_b32 s4, s5
	s_and_saveexec_b32 s42, s70
	s_cbranch_execz .LBB694_140
; %bb.139:
	v_cmp_gt_f64_e64 s4, v[31:32], v[55:56]
	s_and_b32 s4, s5, s4
	v_cndmask_b32_e64 v32, v56, v32, s4
	v_cndmask_b32_e64 v31, v55, v31, s4
	s_or_b32 s4, s5, exec_lo
.LBB694_140:
	s_or_b32 exec_lo, exec_lo, s42
	s_andn2_b32 s5, s5, exec_lo
	s_and_b32 s4, s4, exec_lo
	s_or_b32 s5, s5, s4
	s_or_b32 exec_lo, exec_lo, s34
	s_and_saveexec_b32 s34, s54
	s_cbranch_execz .LBB694_83
.LBB694_141:
	global_load_ubyte v0, v[5:6], off offset:960
	s_waitcnt vmcnt(0)
	v_and_b32_e32 v0, 1, v0
	v_cmp_eq_u32_e64 s4, 1, v0
	s_xor_b32 s70, s4, -1
	s_mov_b32 s4, s5
	s_and_saveexec_b32 s42, s70
	s_cbranch_execz .LBB694_143
; %bb.142:
	v_cmp_gt_f64_e64 s4, v[31:32], v[49:50]
	s_and_b32 s4, s5, s4
	v_cndmask_b32_e64 v32, v50, v32, s4
	v_cndmask_b32_e64 v31, v49, v31, s4
	s_or_b32 s4, s5, exec_lo
.LBB694_143:
	s_or_b32 exec_lo, exec_lo, s42
	s_andn2_b32 s5, s5, exec_lo
	s_and_b32 s4, s4, exec_lo
	s_or_b32 s5, s5, s4
	s_or_b32 exec_lo, exec_lo, s34
	s_and_saveexec_b32 s34, s53
	s_cbranch_execz .LBB694_84
.LBB694_144:
	global_load_ubyte v0, v[5:6], off offset:1024
	s_waitcnt vmcnt(0)
	v_and_b32_e32 v0, 1, v0
	v_cmp_eq_u32_e64 s4, 1, v0
	s_xor_b32 s70, s4, -1
	s_mov_b32 s4, s5
	s_and_saveexec_b32 s42, s70
	s_cbranch_execz .LBB694_146
; %bb.145:
	v_cmp_gt_f64_e64 s4, v[31:32], v[47:48]
	s_and_b32 s4, s5, s4
	v_cndmask_b32_e64 v32, v48, v32, s4
	v_cndmask_b32_e64 v31, v47, v31, s4
	s_or_b32 s4, s5, exec_lo
.LBB694_146:
	s_or_b32 exec_lo, exec_lo, s42
	s_andn2_b32 s5, s5, exec_lo
	s_and_b32 s4, s4, exec_lo
	s_or_b32 s5, s5, s4
	s_or_b32 exec_lo, exec_lo, s34
	s_and_saveexec_b32 s34, s52
	s_cbranch_execz .LBB694_85
.LBB694_147:
	global_load_ubyte v0, v[5:6], off offset:1088
	s_waitcnt vmcnt(0)
	v_and_b32_e32 v0, 1, v0
	v_cmp_eq_u32_e64 s4, 1, v0
	s_xor_b32 s70, s4, -1
	s_mov_b32 s4, s5
	s_and_saveexec_b32 s42, s70
	s_cbranch_execz .LBB694_149
; %bb.148:
	v_cmp_gt_f64_e64 s4, v[31:32], v[41:42]
	s_and_b32 s4, s5, s4
	v_cndmask_b32_e64 v32, v42, v32, s4
	v_cndmask_b32_e64 v31, v41, v31, s4
	s_or_b32 s4, s5, exec_lo
.LBB694_149:
	s_or_b32 exec_lo, exec_lo, s42
	s_andn2_b32 s5, s5, exec_lo
	s_and_b32 s4, s4, exec_lo
	s_or_b32 s5, s5, s4
	s_or_b32 exec_lo, exec_lo, s34
	s_and_saveexec_b32 s34, s51
	s_cbranch_execz .LBB694_86
.LBB694_150:
	global_load_ubyte v0, v[5:6], off offset:1152
	s_waitcnt vmcnt(0)
	v_and_b32_e32 v0, 1, v0
	v_cmp_eq_u32_e64 s4, 1, v0
	s_xor_b32 s70, s4, -1
	s_mov_b32 s4, s5
	s_and_saveexec_b32 s42, s70
	s_cbranch_execz .LBB694_152
; %bb.151:
	v_cmp_gt_f64_e64 s4, v[31:32], v[35:36]
	s_and_b32 s4, s5, s4
	v_cndmask_b32_e64 v32, v36, v32, s4
	v_cndmask_b32_e64 v31, v35, v31, s4
	s_or_b32 s4, s5, exec_lo
.LBB694_152:
	s_or_b32 exec_lo, exec_lo, s42
	s_andn2_b32 s5, s5, exec_lo
	s_and_b32 s4, s4, exec_lo
	s_or_b32 s5, s5, s4
	s_or_b32 exec_lo, exec_lo, s34
	s_and_saveexec_b32 s34, s50
	s_cbranch_execz .LBB694_87
.LBB694_153:
	global_load_ubyte v0, v[5:6], off offset:1216
	s_waitcnt vmcnt(0)
	v_and_b32_e32 v0, 1, v0
	v_cmp_eq_u32_e64 s4, 1, v0
	s_xor_b32 s70, s4, -1
	s_mov_b32 s4, s5
	s_and_saveexec_b32 s42, s70
	s_cbranch_execz .LBB694_155
; %bb.154:
	v_cmp_gt_f64_e64 s4, v[31:32], v[29:30]
	s_and_b32 s4, s5, s4
	v_cndmask_b32_e64 v32, v30, v32, s4
	v_cndmask_b32_e64 v31, v29, v31, s4
	s_or_b32 s4, s5, exec_lo
.LBB694_155:
	s_or_b32 exec_lo, exec_lo, s42
	s_andn2_b32 s5, s5, exec_lo
	s_and_b32 s4, s4, exec_lo
	s_or_b32 s5, s5, s4
	s_or_b32 exec_lo, exec_lo, s34
	s_and_saveexec_b32 s34, s49
	s_cbranch_execz .LBB694_88
.LBB694_156:
	global_load_ubyte v0, v[5:6], off offset:1280
	s_waitcnt vmcnt(0)
	v_and_b32_e32 v0, 1, v0
	v_cmp_eq_u32_e64 s4, 1, v0
	s_xor_b32 s70, s4, -1
	s_mov_b32 s4, s5
	s_and_saveexec_b32 s42, s70
	s_cbranch_execz .LBB694_158
; %bb.157:
	v_cmp_gt_f64_e64 s4, v[31:32], v[27:28]
	s_and_b32 s4, s5, s4
	v_cndmask_b32_e64 v32, v28, v32, s4
	v_cndmask_b32_e64 v31, v27, v31, s4
	s_or_b32 s4, s5, exec_lo
.LBB694_158:
	s_or_b32 exec_lo, exec_lo, s42
	s_andn2_b32 s5, s5, exec_lo
	s_and_b32 s4, s4, exec_lo
	s_or_b32 s5, s5, s4
	s_or_b32 exec_lo, exec_lo, s34
	s_and_saveexec_b32 s34, s48
	s_cbranch_execz .LBB694_89
.LBB694_159:
	global_load_ubyte v0, v[5:6], off offset:1344
	s_waitcnt vmcnt(0)
	v_and_b32_e32 v0, 1, v0
	v_cmp_eq_u32_e64 s4, 1, v0
	s_xor_b32 s70, s4, -1
	s_mov_b32 s4, s5
	s_and_saveexec_b32 s42, s70
	s_cbranch_execz .LBB694_161
; %bb.160:
	v_cmp_gt_f64_e64 s4, v[31:32], v[25:26]
	s_and_b32 s4, s5, s4
	v_cndmask_b32_e64 v32, v26, v32, s4
	v_cndmask_b32_e64 v31, v25, v31, s4
	s_or_b32 s4, s5, exec_lo
.LBB694_161:
	s_or_b32 exec_lo, exec_lo, s42
	s_andn2_b32 s5, s5, exec_lo
	s_and_b32 s4, s4, exec_lo
	s_or_b32 s5, s5, s4
	s_or_b32 exec_lo, exec_lo, s34
	s_and_saveexec_b32 s34, s47
	s_cbranch_execz .LBB694_90
.LBB694_162:
	global_load_ubyte v0, v[5:6], off offset:1408
	s_waitcnt vmcnt(0)
	v_and_b32_e32 v0, 1, v0
	v_cmp_eq_u32_e64 s4, 1, v0
	s_xor_b32 s70, s4, -1
	s_mov_b32 s4, s5
	s_and_saveexec_b32 s42, s70
	s_cbranch_execz .LBB694_164
; %bb.163:
	v_cmp_gt_f64_e64 s4, v[31:32], v[23:24]
	s_and_b32 s4, s5, s4
	v_cndmask_b32_e64 v32, v24, v32, s4
	v_cndmask_b32_e64 v31, v23, v31, s4
	s_or_b32 s4, s5, exec_lo
.LBB694_164:
	s_or_b32 exec_lo, exec_lo, s42
	s_andn2_b32 s5, s5, exec_lo
	s_and_b32 s4, s4, exec_lo
	s_or_b32 s5, s5, s4
	s_or_b32 exec_lo, exec_lo, s34
	s_and_saveexec_b32 s34, s46
	s_cbranch_execz .LBB694_91
.LBB694_165:
	global_load_ubyte v0, v[5:6], off offset:1472
	s_waitcnt vmcnt(0)
	v_and_b32_e32 v0, 1, v0
	v_cmp_eq_u32_e64 s4, 1, v0
	s_xor_b32 s70, s4, -1
	s_mov_b32 s4, s5
	s_and_saveexec_b32 s42, s70
	s_cbranch_execz .LBB694_167
; %bb.166:
	v_cmp_gt_f64_e64 s4, v[31:32], v[21:22]
	s_and_b32 s4, s5, s4
	v_cndmask_b32_e64 v32, v22, v32, s4
	v_cndmask_b32_e64 v31, v21, v31, s4
	s_or_b32 s4, s5, exec_lo
.LBB694_167:
	s_or_b32 exec_lo, exec_lo, s42
	s_andn2_b32 s5, s5, exec_lo
	s_and_b32 s4, s4, exec_lo
	s_or_b32 s5, s5, s4
	s_or_b32 exec_lo, exec_lo, s34
	s_and_saveexec_b32 s34, s45
	s_cbranch_execz .LBB694_92
.LBB694_168:
	global_load_ubyte v0, v[5:6], off offset:1536
	s_waitcnt vmcnt(0)
	v_and_b32_e32 v0, 1, v0
	v_cmp_eq_u32_e64 s4, 1, v0
	s_xor_b32 s70, s4, -1
	s_mov_b32 s4, s5
	s_and_saveexec_b32 s42, s70
	s_cbranch_execz .LBB694_170
; %bb.169:
	v_cmp_gt_f64_e64 s4, v[31:32], v[19:20]
	s_and_b32 s4, s5, s4
	v_cndmask_b32_e64 v32, v20, v32, s4
	v_cndmask_b32_e64 v31, v19, v31, s4
	s_or_b32 s4, s5, exec_lo
.LBB694_170:
	s_or_b32 exec_lo, exec_lo, s42
	s_andn2_b32 s5, s5, exec_lo
	s_and_b32 s4, s4, exec_lo
	s_or_b32 s5, s5, s4
	s_or_b32 exec_lo, exec_lo, s34
	s_and_saveexec_b32 s34, s44
	s_cbranch_execz .LBB694_93
.LBB694_171:
	global_load_ubyte v0, v[5:6], off offset:1600
	s_waitcnt vmcnt(0)
	v_and_b32_e32 v0, 1, v0
	v_cmp_eq_u32_e64 s4, 1, v0
	s_xor_b32 s70, s4, -1
	s_mov_b32 s4, s5
	s_and_saveexec_b32 s42, s70
	s_cbranch_execz .LBB694_173
; %bb.172:
	v_cmp_gt_f64_e64 s4, v[31:32], v[17:18]
	s_and_b32 s4, s5, s4
	v_cndmask_b32_e64 v32, v18, v32, s4
	v_cndmask_b32_e64 v31, v17, v31, s4
	s_or_b32 s4, s5, exec_lo
.LBB694_173:
	s_or_b32 exec_lo, exec_lo, s42
	s_andn2_b32 s5, s5, exec_lo
	s_and_b32 s4, s4, exec_lo
	s_or_b32 s5, s5, s4
	s_or_b32 exec_lo, exec_lo, s34
	s_and_saveexec_b32 s34, s43
	s_cbranch_execz .LBB694_94
.LBB694_174:
	global_load_ubyte v0, v[5:6], off offset:1664
	s_waitcnt vmcnt(0)
	v_and_b32_e32 v0, 1, v0
	v_cmp_eq_u32_e64 s4, 1, v0
	s_xor_b32 s70, s4, -1
	s_mov_b32 s4, s5
	s_and_saveexec_b32 s42, s70
	s_cbranch_execz .LBB694_176
; %bb.175:
	v_cmp_gt_f64_e64 s4, v[31:32], v[15:16]
	s_and_b32 s4, s5, s4
	v_cndmask_b32_e64 v32, v16, v32, s4
	v_cndmask_b32_e64 v31, v15, v31, s4
	s_or_b32 s4, s5, exec_lo
.LBB694_176:
	s_or_b32 exec_lo, exec_lo, s42
	s_andn2_b32 s5, s5, exec_lo
	s_and_b32 s4, s4, exec_lo
	s_or_b32 s5, s5, s4
	s_or_b32 exec_lo, exec_lo, s34
	s_and_saveexec_b32 s34, s41
	s_cbranch_execz .LBB694_95
.LBB694_177:
	global_load_ubyte v0, v[5:6], off offset:1728
	s_waitcnt vmcnt(0)
	v_and_b32_e32 v0, 1, v0
	v_cmp_eq_u32_e64 s4, 1, v0
	s_xor_b32 s70, s4, -1
	s_mov_b32 s4, s5
	s_and_saveexec_b32 s42, s70
	s_cbranch_execz .LBB694_179
; %bb.178:
	v_cmp_gt_f64_e64 s4, v[31:32], v[13:14]
	s_and_b32 s4, s5, s4
	v_cndmask_b32_e64 v32, v14, v32, s4
	v_cndmask_b32_e64 v31, v13, v31, s4
	s_or_b32 s4, s5, exec_lo
.LBB694_179:
	s_or_b32 exec_lo, exec_lo, s42
	s_andn2_b32 s5, s5, exec_lo
	s_and_b32 s4, s4, exec_lo
	s_or_b32 s5, s5, s4
	s_or_b32 exec_lo, exec_lo, s34
	s_and_saveexec_b32 s34, s40
	s_cbranch_execz .LBB694_96
.LBB694_180:
	global_load_ubyte v0, v[5:6], off offset:1792
	s_waitcnt vmcnt(0)
	v_and_b32_e32 v0, 1, v0
	v_cmp_eq_u32_e64 s4, 1, v0
	s_xor_b32 s70, s4, -1
	s_mov_b32 s4, s5
	s_and_saveexec_b32 s42, s70
	s_cbranch_execz .LBB694_182
; %bb.181:
	v_cmp_gt_f64_e64 s4, v[31:32], v[11:12]
	s_and_b32 s4, s5, s4
	v_cndmask_b32_e64 v32, v12, v32, s4
	v_cndmask_b32_e64 v31, v11, v31, s4
	s_or_b32 s4, s5, exec_lo
.LBB694_182:
	s_or_b32 exec_lo, exec_lo, s42
	s_andn2_b32 s5, s5, exec_lo
	s_and_b32 s4, s4, exec_lo
	s_or_b32 s5, s5, s4
	s_or_b32 exec_lo, exec_lo, s34
	s_and_saveexec_b32 s34, s39
	s_cbranch_execz .LBB694_97
.LBB694_183:
	global_load_ubyte v0, v[5:6], off offset:1856
	s_waitcnt vmcnt(0)
	v_and_b32_e32 v0, 1, v0
	v_cmp_eq_u32_e64 s4, 1, v0
	s_xor_b32 s70, s4, -1
	s_mov_b32 s4, s5
	s_and_saveexec_b32 s42, s70
	s_cbranch_execz .LBB694_185
; %bb.184:
	v_cmp_gt_f64_e64 s4, v[31:32], v[9:10]
	s_and_b32 s4, s5, s4
	v_cndmask_b32_e64 v32, v10, v32, s4
	v_cndmask_b32_e64 v31, v9, v31, s4
	s_or_b32 s4, s5, exec_lo
.LBB694_185:
	s_or_b32 exec_lo, exec_lo, s42
	s_andn2_b32 s5, s5, exec_lo
	s_and_b32 s4, s4, exec_lo
	s_or_b32 s5, s5, s4
	s_or_b32 exec_lo, exec_lo, s34
	s_and_saveexec_b32 s34, s38
	s_cbranch_execz .LBB694_98
.LBB694_186:
	global_load_ubyte v0, v[5:6], off offset:1920
	s_waitcnt vmcnt(0)
	v_and_b32_e32 v0, 1, v0
	v_cmp_eq_u32_e64 s4, 1, v0
	s_xor_b32 s70, s4, -1
	s_mov_b32 s4, s5
	s_and_saveexec_b32 s42, s70
	s_cbranch_execz .LBB694_188
; %bb.187:
	v_cmp_gt_f64_e64 s4, v[31:32], v[7:8]
	s_and_b32 s4, s5, s4
	v_cndmask_b32_e64 v32, v8, v32, s4
	v_cndmask_b32_e64 v31, v7, v31, s4
	s_or_b32 s4, s5, exec_lo
.LBB694_188:
	s_or_b32 exec_lo, exec_lo, s42
	s_andn2_b32 s5, s5, exec_lo
	s_and_b32 s4, s4, exec_lo
	s_or_b32 s5, s5, s4
	s_or_b32 exec_lo, exec_lo, s34
	s_and_saveexec_b32 s34, s35
	s_cbranch_execz .LBB694_192
.LBB694_189:
	global_load_ubyte v0, v[5:6], off offset:1984
	s_waitcnt vmcnt(0)
	v_and_b32_e32 v0, 1, v0
	v_cmp_eq_u32_e64 s4, 1, v0
	s_xor_b32 s70, s4, -1
	s_mov_b32 s4, s5
	s_and_saveexec_b32 s42, s70
	s_cbranch_execz .LBB694_191
; %bb.190:
	v_cmp_gt_f64_e64 s4, v[31:32], v[3:4]
	s_and_b32 s4, s5, s4
	v_cndmask_b32_e64 v32, v4, v32, s4
	v_cndmask_b32_e64 v31, v3, v31, s4
	s_or_b32 s4, s5, exec_lo
.LBB694_191:
	s_or_b32 exec_lo, exec_lo, s42
	s_andn2_b32 s5, s5, exec_lo
	s_and_b32 s4, s4, exec_lo
	s_or_b32 s5, s5, s4
.LBB694_192:
	s_or_b32 exec_lo, exec_lo, s34
	v_mbcnt_lo_u32_b32 v37, -1, 0
	v_cndmask_b32_e64 v31, 0, v31, s5
	v_cndmask_b32_e64 v32, 0xfff00000, v32, s5
	v_or_b32_e32 v0, 32, v37
	v_xor_b32_e32 v38, 16, v37
	v_cmp_gt_i32_e64 s4, 64, v0
	v_cmp_gt_i32_e64 s5, 64, v38
	v_cndmask_b32_e64 v0, v37, v0, s4
	v_cndmask_b32_e64 v38, v37, v38, s5
	v_lshlrev_b32_e32 v0, 2, v0
	v_lshlrev_b32_e32 v78, 2, v38
	v_xor_b32_e32 v38, 8, v37
	ds_bpermute_b32 v33, v0, v31
	ds_bpermute_b32 v34, v0, v32
	v_cmp_gt_i32_e64 s5, 64, v38
	v_cndmask_b32_e64 v38, v37, v38, s5
	v_lshlrev_b32_e32 v79, 2, v38
	v_xor_b32_e32 v38, 4, v37
	v_cmp_gt_i32_e64 s5, 64, v38
	s_waitcnt lgkmcnt(0)
	v_cmp_lt_f64_e64 s4, v[31:32], v[33:34]
	v_cndmask_b32_e64 v38, v37, v38, s5
	v_lshlrev_b32_e32 v80, 2, v38
	v_xor_b32_e32 v38, 2, v37
	v_cmp_gt_i32_e64 s5, 64, v38
	v_cndmask_b32_e64 v38, v37, v38, s5
	v_cndmask_b32_e64 v32, v32, v34, s4
	;; [unrolled: 1-line block ×3, first 2 shown]
	v_lshlrev_b32_e32 v81, 2, v38
	v_xor_b32_e32 v38, 1, v37
	ds_bpermute_b32 v34, v78, v32
	ds_bpermute_b32 v33, v78, v31
	v_cmp_gt_i32_e64 s5, 64, v38
	v_cndmask_b32_e64 v37, v37, v38, s5
	v_lshlrev_b32_e32 v82, 2, v37
	v_mov_b32_e32 v37, 0
	v_mov_b32_e32 v38, 0
	s_waitcnt lgkmcnt(0)
	v_cmp_lt_f64_e64 s4, v[31:32], v[33:34]
	v_cndmask_b32_e64 v32, v32, v34, s4
	v_cndmask_b32_e64 v31, v31, v33, s4
	ds_bpermute_b32 v34, v79, v32
	ds_bpermute_b32 v33, v79, v31
	s_waitcnt lgkmcnt(0)
	v_cmp_lt_f64_e64 s4, v[31:32], v[33:34]
	v_cndmask_b32_e64 v32, v32, v34, s4
	v_cndmask_b32_e64 v31, v31, v33, s4
	ds_bpermute_b32 v34, v80, v32
	ds_bpermute_b32 v33, v80, v31
	;; [unrolled: 6-line block ×3, first 2 shown]
	s_waitcnt lgkmcnt(0)
	v_cmp_lt_f64_e64 s4, v[31:32], v[33:34]
	v_cndmask_b32_e64 v40, v32, v34, s4
	v_cndmask_b32_e64 v39, v31, v33, s4
	v_mov_b32_e32 v31, 0
	v_mov_b32_e32 v33, 0
	;; [unrolled: 1-line block ×3, first 2 shown]
	ds_bpermute_b32 v84, v82, v40
	ds_bpermute_b32 v83, v82, v39
	v_mov_b32_e32 v34, 0
	s_waitcnt lgkmcnt(0)
	v_cmp_lt_f64_e64 s4, v[39:40], v[83:84]
	v_cndmask_b32_e64 v40, v40, v84, s4
	v_cndmask_b32_e64 v39, v39, v83, s4
	s_and_saveexec_b32 s34, s69
	s_cbranch_execz .LBB694_196
; %bb.193:
	global_load_ubyte v33, v[5:6], off
	v_mov_b32_e32 v37, 0
	v_mov_b32_e32 v38, 0
	s_waitcnt vmcnt(0)
	v_and_b32_e32 v33, 1, v33
	v_cmp_eq_u32_e64 s4, 1, v33
	v_mov_b32_e32 v33, 0
	v_mov_b32_e32 v34, 0
	s_xor_b32 s4, s4, -1
	s_and_saveexec_b32 s42, s4
	s_cbranch_execz .LBB694_195
; %bb.194:
	v_add_f64 v[33:34], v[45:46], -v[39:40]
	s_mov_b32 s4, 0x652b82fe
	s_mov_b32 s5, 0x3ff71547
	;; [unrolled: 1-line block ×4, first 2 shown]
	v_mul_f64 v[37:38], v[33:34], s[4:5]
	s_mov_b32 s4, 0xfefa39ef
	s_mov_b32 s5, 0xbfe62e42
	v_rndne_f64_e32 v[37:38], v[37:38]
	v_fma_f64 v[45:46], v[37:38], s[4:5], v[33:34]
	s_mov_b32 s4, 0x3b39803f
	s_mov_b32 s5, 0xbc7abc9e
	v_cvt_i32_f64_e32 v85, v[37:38]
	v_fma_f64 v[45:46], v[37:38], s[4:5], v[45:46]
	s_mov_b32 s4, 0xfca7ab0c
	s_mov_b32 s5, 0x3e928af3
	v_fma_f64 v[83:84], v[45:46], s[70:71], s[4:5]
	s_mov_b32 s4, 0x623fde64
	s_mov_b32 s5, 0x3ec71dee
	;; [unrolled: 3-line block ×9, first 2 shown]
	v_fma_f64 v[83:84], v[45:46], v[83:84], s[4:5]
	v_cmp_nlt_f64_e64 s4, 0x40900000, v[33:34]
	v_cmp_ngt_f64_e64 s5, 0xc090cc00, v[33:34]
	v_fma_f64 v[83:84], v[45:46], v[83:84], 1.0
	v_fma_f64 v[37:38], v[45:46], v[83:84], 1.0
	v_ldexp_f64 v[37:38], v[37:38], v85
	v_cndmask_b32_e64 v38, 0x7ff00000, v38, s4
	s_and_b32 s4, s5, s4
	v_cndmask_b32_e64 v33, 0, v37, s4
	v_cndmask_b32_e64 v34, 0, v38, s5
	v_add_f64 v[37:38], v[33:34], 0
.LBB694_195:
	s_or_b32 exec_lo, exec_lo, s42
.LBB694_196:
	s_or_b32 exec_lo, exec_lo, s34
	s_and_saveexec_b32 s34, s68
	s_cbranch_execz .LBB694_200
; %bb.197:
	global_load_ubyte v31, v[5:6], off offset:64
	s_waitcnt vmcnt(0)
	v_and_b32_e32 v31, 1, v31
	v_cmp_eq_u32_e64 s4, 1, v31
	v_mov_b32_e32 v31, 0
	v_mov_b32_e32 v32, 0
	s_xor_b32 s4, s4, -1
	s_and_saveexec_b32 s42, s4
	s_cbranch_execz .LBB694_199
; %bb.198:
	v_add_f64 v[31:32], v[43:44], -v[39:40]
	s_mov_b32 s4, 0x652b82fe
	s_mov_b32 s5, 0x3ff71547
	s_mov_b32 s68, 0x6a5dcb37
	s_mov_b32 s69, 0x3e5ade15
	v_mul_f64 v[43:44], v[31:32], s[4:5]
	s_mov_b32 s4, 0xfefa39ef
	s_mov_b32 s5, 0xbfe62e42
	v_rndne_f64_e32 v[43:44], v[43:44]
	v_fma_f64 v[45:46], v[43:44], s[4:5], v[31:32]
	s_mov_b32 s4, 0x3b39803f
	s_mov_b32 s5, 0xbc7abc9e
	v_cvt_i32_f64_e32 v85, v[43:44]
	v_fma_f64 v[45:46], v[43:44], s[4:5], v[45:46]
	s_mov_b32 s4, 0xfca7ab0c
	s_mov_b32 s5, 0x3e928af3
	v_fma_f64 v[83:84], v[45:46], s[68:69], s[4:5]
	s_mov_b32 s4, 0x623fde64
	s_mov_b32 s5, 0x3ec71dee
	;; [unrolled: 3-line block ×9, first 2 shown]
	v_fma_f64 v[83:84], v[45:46], v[83:84], s[4:5]
	v_cmp_nlt_f64_e64 s4, 0x40900000, v[31:32]
	v_cmp_ngt_f64_e64 s5, 0xc090cc00, v[31:32]
	v_fma_f64 v[83:84], v[45:46], v[83:84], 1.0
	v_fma_f64 v[43:44], v[45:46], v[83:84], 1.0
	v_ldexp_f64 v[43:44], v[43:44], v85
	v_cndmask_b32_e64 v44, 0x7ff00000, v44, s4
	s_and_b32 s4, s5, s4
	v_cndmask_b32_e64 v31, 0, v43, s4
	v_cndmask_b32_e64 v32, 0, v44, s5
	v_add_f64 v[37:38], v[37:38], v[31:32]
.LBB694_199:
	s_or_b32 exec_lo, exec_lo, s42
.LBB694_200:
	s_or_b32 exec_lo, exec_lo, s34
	v_mov_b32_e32 v43, 0
	v_mov_b32_e32 v45, 0
	;; [unrolled: 1-line block ×4, first 2 shown]
	s_and_saveexec_b32 s34, s67
	s_cbranch_execz .LBB694_204
; %bb.201:
	global_load_ubyte v45, v[5:6], off offset:128
	s_waitcnt vmcnt(0)
	v_and_b32_e32 v45, 1, v45
	v_cmp_eq_u32_e64 s4, 1, v45
	v_mov_b32_e32 v45, 0
	v_mov_b32_e32 v46, 0
	s_xor_b32 s4, s4, -1
	s_and_saveexec_b32 s42, s4
	s_cbranch_execz .LBB694_203
; %bb.202:
	v_add_f64 v[45:46], v[53:54], -v[39:40]
	s_mov_b32 s4, 0x652b82fe
	s_mov_b32 s5, 0x3ff71547
	;; [unrolled: 1-line block ×4, first 2 shown]
	v_mul_f64 v[53:54], v[45:46], s[4:5]
	s_mov_b32 s4, 0xfefa39ef
	s_mov_b32 s5, 0xbfe62e42
	v_rndne_f64_e32 v[53:54], v[53:54]
	v_fma_f64 v[83:84], v[53:54], s[4:5], v[45:46]
	s_mov_b32 s4, 0x3b39803f
	s_mov_b32 s5, 0xbc7abc9e
	v_cvt_i32_f64_e32 v87, v[53:54]
	v_fma_f64 v[83:84], v[53:54], s[4:5], v[83:84]
	s_mov_b32 s4, 0xfca7ab0c
	s_mov_b32 s5, 0x3e928af3
	v_fma_f64 v[85:86], v[83:84], s[68:69], s[4:5]
	s_mov_b32 s4, 0x623fde64
	s_mov_b32 s5, 0x3ec71dee
	;; [unrolled: 3-line block ×9, first 2 shown]
	v_fma_f64 v[85:86], v[83:84], v[85:86], s[4:5]
	v_cmp_nlt_f64_e64 s4, 0x40900000, v[45:46]
	v_cmp_ngt_f64_e64 s5, 0xc090cc00, v[45:46]
	v_fma_f64 v[85:86], v[83:84], v[85:86], 1.0
	v_fma_f64 v[53:54], v[83:84], v[85:86], 1.0
	v_ldexp_f64 v[53:54], v[53:54], v87
	v_cndmask_b32_e64 v54, 0x7ff00000, v54, s4
	s_and_b32 s4, s5, s4
	v_cndmask_b32_e64 v45, 0, v53, s4
	v_cndmask_b32_e64 v46, 0, v54, s5
	v_add_f64 v[37:38], v[37:38], v[45:46]
.LBB694_203:
	s_or_b32 exec_lo, exec_lo, s42
.LBB694_204:
	s_or_b32 exec_lo, exec_lo, s34
	s_and_saveexec_b32 s34, s66
	s_cbranch_execz .LBB694_208
; %bb.205:
	global_load_ubyte v43, v[5:6], off offset:192
	s_waitcnt vmcnt(0)
	v_and_b32_e32 v43, 1, v43
	v_cmp_eq_u32_e64 s4, 1, v43
	v_mov_b32_e32 v43, 0
	v_mov_b32_e32 v44, 0
	s_xor_b32 s4, s4, -1
	s_and_saveexec_b32 s42, s4
	s_cbranch_execz .LBB694_207
; %bb.206:
	v_add_f64 v[43:44], v[51:52], -v[39:40]
	s_mov_b32 s4, 0x652b82fe
	s_mov_b32 s5, 0x3ff71547
	;; [unrolled: 1-line block ×4, first 2 shown]
	v_mul_f64 v[51:52], v[43:44], s[4:5]
	s_mov_b32 s4, 0xfefa39ef
	s_mov_b32 s5, 0xbfe62e42
	v_rndne_f64_e32 v[51:52], v[51:52]
	v_fma_f64 v[53:54], v[51:52], s[4:5], v[43:44]
	s_mov_b32 s4, 0x3b39803f
	s_mov_b32 s5, 0xbc7abc9e
	v_cvt_i32_f64_e32 v85, v[51:52]
	v_fma_f64 v[53:54], v[51:52], s[4:5], v[53:54]
	s_mov_b32 s4, 0xfca7ab0c
	s_mov_b32 s5, 0x3e928af3
	v_fma_f64 v[83:84], v[53:54], s[66:67], s[4:5]
	s_mov_b32 s4, 0x623fde64
	s_mov_b32 s5, 0x3ec71dee
	;; [unrolled: 3-line block ×9, first 2 shown]
	v_fma_f64 v[83:84], v[53:54], v[83:84], s[4:5]
	v_cmp_nlt_f64_e64 s4, 0x40900000, v[43:44]
	v_cmp_ngt_f64_e64 s5, 0xc090cc00, v[43:44]
	v_fma_f64 v[83:84], v[53:54], v[83:84], 1.0
	v_fma_f64 v[51:52], v[53:54], v[83:84], 1.0
	v_ldexp_f64 v[51:52], v[51:52], v85
	v_cndmask_b32_e64 v52, 0x7ff00000, v52, s4
	s_and_b32 s4, s5, s4
	v_cndmask_b32_e64 v43, 0, v51, s4
	v_cndmask_b32_e64 v44, 0, v52, s5
	v_add_f64 v[37:38], v[37:38], v[43:44]
.LBB694_207:
	s_or_b32 exec_lo, exec_lo, s42
.LBB694_208:
	s_or_b32 exec_lo, exec_lo, s34
	v_mov_b32_e32 v51, 0
	v_mov_b32_e32 v53, 0
	;; [unrolled: 1-line block ×4, first 2 shown]
	s_and_saveexec_b32 s34, s65
	s_cbranch_execz .LBB694_212
; %bb.209:
	global_load_ubyte v53, v[5:6], off offset:256
	s_waitcnt vmcnt(0)
	v_and_b32_e32 v53, 1, v53
	v_cmp_eq_u32_e64 s4, 1, v53
	v_mov_b32_e32 v53, 0
	v_mov_b32_e32 v54, 0
	s_xor_b32 s4, s4, -1
	s_and_saveexec_b32 s42, s4
	s_cbranch_execz .LBB694_211
; %bb.210:
	v_add_f64 v[53:54], v[61:62], -v[39:40]
	s_mov_b32 s4, 0x652b82fe
	s_mov_b32 s5, 0x3ff71547
	;; [unrolled: 1-line block ×4, first 2 shown]
	v_mul_f64 v[61:62], v[53:54], s[4:5]
	s_mov_b32 s4, 0xfefa39ef
	s_mov_b32 s5, 0xbfe62e42
	v_rndne_f64_e32 v[61:62], v[61:62]
	v_fma_f64 v[83:84], v[61:62], s[4:5], v[53:54]
	s_mov_b32 s4, 0x3b39803f
	s_mov_b32 s5, 0xbc7abc9e
	v_cvt_i32_f64_e32 v87, v[61:62]
	v_fma_f64 v[83:84], v[61:62], s[4:5], v[83:84]
	s_mov_b32 s4, 0xfca7ab0c
	s_mov_b32 s5, 0x3e928af3
	v_fma_f64 v[85:86], v[83:84], s[66:67], s[4:5]
	s_mov_b32 s4, 0x623fde64
	s_mov_b32 s5, 0x3ec71dee
	;; [unrolled: 3-line block ×9, first 2 shown]
	v_fma_f64 v[85:86], v[83:84], v[85:86], s[4:5]
	v_cmp_nlt_f64_e64 s4, 0x40900000, v[53:54]
	v_cmp_ngt_f64_e64 s5, 0xc090cc00, v[53:54]
	v_fma_f64 v[85:86], v[83:84], v[85:86], 1.0
	v_fma_f64 v[61:62], v[83:84], v[85:86], 1.0
	v_ldexp_f64 v[61:62], v[61:62], v87
	v_cndmask_b32_e64 v62, 0x7ff00000, v62, s4
	s_and_b32 s4, s5, s4
	v_cndmask_b32_e64 v53, 0, v61, s4
	v_cndmask_b32_e64 v54, 0, v62, s5
	v_add_f64 v[37:38], v[37:38], v[53:54]
.LBB694_211:
	s_or_b32 exec_lo, exec_lo, s42
.LBB694_212:
	s_or_b32 exec_lo, exec_lo, s34
	s_and_saveexec_b32 s34, s64
	s_cbranch_execz .LBB694_216
; %bb.213:
	global_load_ubyte v51, v[5:6], off offset:320
	s_waitcnt vmcnt(0)
	v_and_b32_e32 v51, 1, v51
	v_cmp_eq_u32_e64 s4, 1, v51
	v_mov_b32_e32 v51, 0
	v_mov_b32_e32 v52, 0
	s_xor_b32 s4, s4, -1
	s_and_saveexec_b32 s42, s4
	s_cbranch_execz .LBB694_215
; %bb.214:
	v_add_f64 v[51:52], v[59:60], -v[39:40]
	s_mov_b32 s4, 0x652b82fe
	s_mov_b32 s5, 0x3ff71547
	;; [unrolled: 1-line block ×4, first 2 shown]
	v_mul_f64 v[59:60], v[51:52], s[4:5]
	s_mov_b32 s4, 0xfefa39ef
	s_mov_b32 s5, 0xbfe62e42
	v_rndne_f64_e32 v[59:60], v[59:60]
	v_fma_f64 v[61:62], v[59:60], s[4:5], v[51:52]
	s_mov_b32 s4, 0x3b39803f
	s_mov_b32 s5, 0xbc7abc9e
	v_cvt_i32_f64_e32 v85, v[59:60]
	v_fma_f64 v[61:62], v[59:60], s[4:5], v[61:62]
	s_mov_b32 s4, 0xfca7ab0c
	s_mov_b32 s5, 0x3e928af3
	v_fma_f64 v[83:84], v[61:62], s[64:65], s[4:5]
	s_mov_b32 s4, 0x623fde64
	s_mov_b32 s5, 0x3ec71dee
	;; [unrolled: 3-line block ×9, first 2 shown]
	v_fma_f64 v[83:84], v[61:62], v[83:84], s[4:5]
	v_cmp_nlt_f64_e64 s4, 0x40900000, v[51:52]
	v_cmp_ngt_f64_e64 s5, 0xc090cc00, v[51:52]
	v_fma_f64 v[83:84], v[61:62], v[83:84], 1.0
	v_fma_f64 v[59:60], v[61:62], v[83:84], 1.0
	v_ldexp_f64 v[59:60], v[59:60], v85
	v_cndmask_b32_e64 v60, 0x7ff00000, v60, s4
	s_and_b32 s4, s5, s4
	v_cndmask_b32_e64 v51, 0, v59, s4
	v_cndmask_b32_e64 v52, 0, v60, s5
	v_add_f64 v[37:38], v[37:38], v[51:52]
.LBB694_215:
	s_or_b32 exec_lo, exec_lo, s42
.LBB694_216:
	s_or_b32 exec_lo, exec_lo, s34
	v_mov_b32_e32 v59, 0
	v_mov_b32_e32 v61, 0
	;; [unrolled: 1-line block ×4, first 2 shown]
	s_and_saveexec_b32 s34, s63
	s_cbranch_execz .LBB694_220
; %bb.217:
	global_load_ubyte v61, v[5:6], off offset:384
	s_waitcnt vmcnt(0)
	v_and_b32_e32 v61, 1, v61
	v_cmp_eq_u32_e64 s4, 1, v61
	v_mov_b32_e32 v61, 0
	v_mov_b32_e32 v62, 0
	s_xor_b32 s4, s4, -1
	s_and_saveexec_b32 s42, s4
	s_cbranch_execz .LBB694_219
; %bb.218:
	v_add_f64 v[61:62], v[69:70], -v[39:40]
	s_mov_b32 s4, 0x652b82fe
	s_mov_b32 s5, 0x3ff71547
	;; [unrolled: 1-line block ×4, first 2 shown]
	v_mul_f64 v[69:70], v[61:62], s[4:5]
	s_mov_b32 s4, 0xfefa39ef
	s_mov_b32 s5, 0xbfe62e42
	v_rndne_f64_e32 v[69:70], v[69:70]
	v_fma_f64 v[83:84], v[69:70], s[4:5], v[61:62]
	s_mov_b32 s4, 0x3b39803f
	s_mov_b32 s5, 0xbc7abc9e
	v_cvt_i32_f64_e32 v87, v[69:70]
	v_fma_f64 v[83:84], v[69:70], s[4:5], v[83:84]
	s_mov_b32 s4, 0xfca7ab0c
	s_mov_b32 s5, 0x3e928af3
	v_fma_f64 v[85:86], v[83:84], s[64:65], s[4:5]
	s_mov_b32 s4, 0x623fde64
	s_mov_b32 s5, 0x3ec71dee
	;; [unrolled: 3-line block ×9, first 2 shown]
	v_fma_f64 v[85:86], v[83:84], v[85:86], s[4:5]
	v_cmp_nlt_f64_e64 s4, 0x40900000, v[61:62]
	v_cmp_ngt_f64_e64 s5, 0xc090cc00, v[61:62]
	v_fma_f64 v[85:86], v[83:84], v[85:86], 1.0
	v_fma_f64 v[69:70], v[83:84], v[85:86], 1.0
	v_ldexp_f64 v[69:70], v[69:70], v87
	v_cndmask_b32_e64 v70, 0x7ff00000, v70, s4
	s_and_b32 s4, s5, s4
	v_cndmask_b32_e64 v61, 0, v69, s4
	v_cndmask_b32_e64 v62, 0, v70, s5
	v_add_f64 v[37:38], v[37:38], v[61:62]
.LBB694_219:
	s_or_b32 exec_lo, exec_lo, s42
.LBB694_220:
	s_or_b32 exec_lo, exec_lo, s34
	s_and_saveexec_b32 s34, s62
	s_cbranch_execz .LBB694_224
; %bb.221:
	global_load_ubyte v59, v[5:6], off offset:448
	s_waitcnt vmcnt(0)
	v_and_b32_e32 v59, 1, v59
	v_cmp_eq_u32_e64 s4, 1, v59
	v_mov_b32_e32 v59, 0
	v_mov_b32_e32 v60, 0
	s_xor_b32 s4, s4, -1
	s_and_saveexec_b32 s42, s4
	s_cbranch_execz .LBB694_223
; %bb.222:
	v_add_f64 v[59:60], v[67:68], -v[39:40]
	s_mov_b32 s4, 0x652b82fe
	s_mov_b32 s5, 0x3ff71547
	;; [unrolled: 1-line block ×4, first 2 shown]
	v_mul_f64 v[67:68], v[59:60], s[4:5]
	s_mov_b32 s4, 0xfefa39ef
	s_mov_b32 s5, 0xbfe62e42
	v_rndne_f64_e32 v[67:68], v[67:68]
	v_fma_f64 v[69:70], v[67:68], s[4:5], v[59:60]
	s_mov_b32 s4, 0x3b39803f
	s_mov_b32 s5, 0xbc7abc9e
	v_cvt_i32_f64_e32 v85, v[67:68]
	v_fma_f64 v[69:70], v[67:68], s[4:5], v[69:70]
	s_mov_b32 s4, 0xfca7ab0c
	s_mov_b32 s5, 0x3e928af3
	v_fma_f64 v[83:84], v[69:70], s[62:63], s[4:5]
	s_mov_b32 s4, 0x623fde64
	s_mov_b32 s5, 0x3ec71dee
	;; [unrolled: 3-line block ×9, first 2 shown]
	v_fma_f64 v[83:84], v[69:70], v[83:84], s[4:5]
	v_cmp_nlt_f64_e64 s4, 0x40900000, v[59:60]
	v_cmp_ngt_f64_e64 s5, 0xc090cc00, v[59:60]
	v_fma_f64 v[83:84], v[69:70], v[83:84], 1.0
	v_fma_f64 v[67:68], v[69:70], v[83:84], 1.0
	v_ldexp_f64 v[67:68], v[67:68], v85
	v_cndmask_b32_e64 v68, 0x7ff00000, v68, s4
	s_and_b32 s4, s5, s4
	v_cndmask_b32_e64 v59, 0, v67, s4
	v_cndmask_b32_e64 v60, 0, v68, s5
	v_add_f64 v[37:38], v[37:38], v[59:60]
.LBB694_223:
	s_or_b32 exec_lo, exec_lo, s42
.LBB694_224:
	s_or_b32 exec_lo, exec_lo, s34
	v_mov_b32_e32 v67, 0
	v_mov_b32_e32 v69, 0
	;; [unrolled: 1-line block ×4, first 2 shown]
	s_and_saveexec_b32 s34, s61
	s_cbranch_execz .LBB694_228
; %bb.225:
	global_load_ubyte v69, v[5:6], off offset:512
	s_waitcnt vmcnt(0)
	v_and_b32_e32 v69, 1, v69
	v_cmp_eq_u32_e64 s4, 1, v69
	v_mov_b32_e32 v69, 0
	v_mov_b32_e32 v70, 0
	s_xor_b32 s4, s4, -1
	s_and_saveexec_b32 s42, s4
	s_cbranch_execz .LBB694_227
; %bb.226:
	v_add_f64 v[69:70], v[75:76], -v[39:40]
	s_mov_b32 s4, 0x652b82fe
	s_mov_b32 s5, 0x3ff71547
	;; [unrolled: 1-line block ×4, first 2 shown]
	v_mul_f64 v[75:76], v[69:70], s[4:5]
	s_mov_b32 s4, 0xfefa39ef
	s_mov_b32 s5, 0xbfe62e42
	v_rndne_f64_e32 v[75:76], v[75:76]
	v_fma_f64 v[83:84], v[75:76], s[4:5], v[69:70]
	s_mov_b32 s4, 0x3b39803f
	s_mov_b32 s5, 0xbc7abc9e
	v_cvt_i32_f64_e32 v87, v[75:76]
	v_fma_f64 v[83:84], v[75:76], s[4:5], v[83:84]
	s_mov_b32 s4, 0xfca7ab0c
	s_mov_b32 s5, 0x3e928af3
	v_fma_f64 v[85:86], v[83:84], s[62:63], s[4:5]
	s_mov_b32 s4, 0x623fde64
	s_mov_b32 s5, 0x3ec71dee
	;; [unrolled: 3-line block ×9, first 2 shown]
	v_fma_f64 v[85:86], v[83:84], v[85:86], s[4:5]
	v_cmp_nlt_f64_e64 s4, 0x40900000, v[69:70]
	v_cmp_ngt_f64_e64 s5, 0xc090cc00, v[69:70]
	v_fma_f64 v[85:86], v[83:84], v[85:86], 1.0
	v_fma_f64 v[75:76], v[83:84], v[85:86], 1.0
	v_ldexp_f64 v[75:76], v[75:76], v87
	v_cndmask_b32_e64 v76, 0x7ff00000, v76, s4
	s_and_b32 s4, s5, s4
	v_cndmask_b32_e64 v69, 0, v75, s4
	v_cndmask_b32_e64 v70, 0, v76, s5
	v_add_f64 v[37:38], v[37:38], v[69:70]
.LBB694_227:
	s_or_b32 exec_lo, exec_lo, s42
.LBB694_228:
	s_or_b32 exec_lo, exec_lo, s34
	s_and_saveexec_b32 s34, s60
	s_cbranch_execz .LBB694_232
; %bb.229:
	global_load_ubyte v67, v[5:6], off offset:576
	s_waitcnt vmcnt(0)
	v_and_b32_e32 v67, 1, v67
	v_cmp_eq_u32_e64 s4, 1, v67
	v_mov_b32_e32 v67, 0
	v_mov_b32_e32 v68, 0
	s_xor_b32 s4, s4, -1
	s_and_saveexec_b32 s42, s4
	s_cbranch_execz .LBB694_231
; %bb.230:
	v_add_f64 v[67:68], v[73:74], -v[39:40]
	s_mov_b32 s4, 0x652b82fe
	s_mov_b32 s5, 0x3ff71547
	s_mov_b32 s60, 0x6a5dcb37
	s_mov_b32 s61, 0x3e5ade15
	v_mul_f64 v[73:74], v[67:68], s[4:5]
	s_mov_b32 s4, 0xfefa39ef
	s_mov_b32 s5, 0xbfe62e42
	v_rndne_f64_e32 v[73:74], v[73:74]
	v_fma_f64 v[75:76], v[73:74], s[4:5], v[67:68]
	s_mov_b32 s4, 0x3b39803f
	s_mov_b32 s5, 0xbc7abc9e
	v_cvt_i32_f64_e32 v85, v[73:74]
	v_fma_f64 v[75:76], v[73:74], s[4:5], v[75:76]
	s_mov_b32 s4, 0xfca7ab0c
	s_mov_b32 s5, 0x3e928af3
	v_fma_f64 v[83:84], v[75:76], s[60:61], s[4:5]
	s_mov_b32 s4, 0x623fde64
	s_mov_b32 s5, 0x3ec71dee
	v_fma_f64 v[83:84], v[75:76], v[83:84], s[4:5]
	s_mov_b32 s4, 0x7c89e6b0
	s_mov_b32 s5, 0x3efa0199
	v_fma_f64 v[83:84], v[75:76], v[83:84], s[4:5]
	s_mov_b32 s4, 0x14761f6e
	s_mov_b32 s5, 0x3f2a01a0
	v_fma_f64 v[83:84], v[75:76], v[83:84], s[4:5]
	s_mov_b32 s4, 0x1852b7b0
	s_mov_b32 s5, 0x3f56c16c
	v_fma_f64 v[83:84], v[75:76], v[83:84], s[4:5]
	s_mov_b32 s4, 0x11122322
	s_mov_b32 s5, 0x3f811111
	v_fma_f64 v[83:84], v[75:76], v[83:84], s[4:5]
	s_mov_b32 s4, 0x555502a1
	s_mov_b32 s5, 0x3fa55555
	v_fma_f64 v[83:84], v[75:76], v[83:84], s[4:5]
	s_mov_b32 s4, 0x55555511
	s_mov_b32 s5, 0x3fc55555
	v_fma_f64 v[83:84], v[75:76], v[83:84], s[4:5]
	s_mov_b32 s4, 11
	s_mov_b32 s5, 0x3fe00000
	v_fma_f64 v[83:84], v[75:76], v[83:84], s[4:5]
	v_cmp_nlt_f64_e64 s4, 0x40900000, v[67:68]
	v_cmp_ngt_f64_e64 s5, 0xc090cc00, v[67:68]
	v_fma_f64 v[83:84], v[75:76], v[83:84], 1.0
	v_fma_f64 v[73:74], v[75:76], v[83:84], 1.0
	v_ldexp_f64 v[73:74], v[73:74], v85
	v_cndmask_b32_e64 v74, 0x7ff00000, v74, s4
	s_and_b32 s4, s5, s4
	v_cndmask_b32_e64 v67, 0, v73, s4
	v_cndmask_b32_e64 v68, 0, v74, s5
	v_add_f64 v[37:38], v[37:38], v[67:68]
.LBB694_231:
	s_or_b32 exec_lo, exec_lo, s42
.LBB694_232:
	s_or_b32 exec_lo, exec_lo, s34
	v_mov_b32_e32 v73, 0
	v_mov_b32_e32 v75, 0
	;; [unrolled: 1-line block ×4, first 2 shown]
	s_and_saveexec_b32 s34, s59
	s_cbranch_execz .LBB694_236
; %bb.233:
	global_load_ubyte v75, v[5:6], off offset:640
	s_waitcnt vmcnt(0)
	v_and_b32_e32 v75, 1, v75
	v_cmp_eq_u32_e64 s4, 1, v75
	v_mov_b32_e32 v75, 0
	v_mov_b32_e32 v76, 0
	s_xor_b32 s4, s4, -1
	s_and_saveexec_b32 s42, s4
	s_cbranch_execz .LBB694_235
; %bb.234:
	v_add_f64 v[71:72], v[71:72], -v[39:40]
	s_mov_b32 s4, 0x652b82fe
	s_mov_b32 s5, 0x3ff71547
	;; [unrolled: 1-line block ×4, first 2 shown]
	v_mul_f64 v[75:76], v[71:72], s[4:5]
	s_mov_b32 s4, 0xfefa39ef
	s_mov_b32 s5, 0xbfe62e42
	v_rndne_f64_e32 v[75:76], v[75:76]
	v_fma_f64 v[83:84], v[75:76], s[4:5], v[71:72]
	s_mov_b32 s4, 0x3b39803f
	s_mov_b32 s5, 0xbc7abc9e
	v_cvt_i32_f64_e32 v87, v[75:76]
	v_fma_f64 v[83:84], v[75:76], s[4:5], v[83:84]
	s_mov_b32 s4, 0xfca7ab0c
	s_mov_b32 s5, 0x3e928af3
	v_fma_f64 v[85:86], v[83:84], s[60:61], s[4:5]
	s_mov_b32 s4, 0x623fde64
	s_mov_b32 s5, 0x3ec71dee
	;; [unrolled: 3-line block ×9, first 2 shown]
	v_fma_f64 v[85:86], v[83:84], v[85:86], s[4:5]
	v_cmp_nlt_f64_e64 s4, 0x40900000, v[71:72]
	v_cmp_ngt_f64_e64 s5, 0xc090cc00, v[71:72]
	v_fma_f64 v[85:86], v[83:84], v[85:86], 1.0
	v_fma_f64 v[75:76], v[83:84], v[85:86], 1.0
	v_ldexp_f64 v[75:76], v[75:76], v87
	v_cndmask_b32_e64 v76, 0x7ff00000, v76, s4
	s_and_b32 s4, s5, s4
	v_cndmask_b32_e64 v75, 0, v75, s4
	v_cndmask_b32_e64 v76, 0, v76, s5
	v_add_f64 v[37:38], v[37:38], v[75:76]
.LBB694_235:
	s_or_b32 exec_lo, exec_lo, s42
.LBB694_236:
	s_or_b32 exec_lo, exec_lo, s34
	s_and_saveexec_b32 s34, s58
	s_cbranch_execz .LBB694_240
; %bb.237:
	global_load_ubyte v71, v[5:6], off offset:704
	v_mov_b32_e32 v73, 0
	v_mov_b32_e32 v74, 0
	s_waitcnt vmcnt(0)
	v_and_b32_e32 v71, 1, v71
	v_cmp_eq_u32_e64 s4, 1, v71
	s_xor_b32 s4, s4, -1
	s_and_saveexec_b32 s42, s4
	s_cbranch_execz .LBB694_239
; %bb.238:
	v_add_f64 v[65:66], v[65:66], -v[39:40]
	s_mov_b32 s4, 0x652b82fe
	s_mov_b32 s5, 0x3ff71547
	;; [unrolled: 1-line block ×4, first 2 shown]
	v_mul_f64 v[71:72], v[65:66], s[4:5]
	s_mov_b32 s4, 0xfefa39ef
	s_mov_b32 s5, 0xbfe62e42
	v_rndne_f64_e32 v[71:72], v[71:72]
	v_fma_f64 v[73:74], v[71:72], s[4:5], v[65:66]
	s_mov_b32 s4, 0x3b39803f
	s_mov_b32 s5, 0xbc7abc9e
	v_cvt_i32_f64_e32 v85, v[71:72]
	v_fma_f64 v[73:74], v[71:72], s[4:5], v[73:74]
	s_mov_b32 s4, 0xfca7ab0c
	s_mov_b32 s5, 0x3e928af3
	v_fma_f64 v[83:84], v[73:74], s[58:59], s[4:5]
	s_mov_b32 s4, 0x623fde64
	s_mov_b32 s5, 0x3ec71dee
	;; [unrolled: 3-line block ×9, first 2 shown]
	v_fma_f64 v[83:84], v[73:74], v[83:84], s[4:5]
	v_cmp_nlt_f64_e64 s4, 0x40900000, v[65:66]
	v_cmp_ngt_f64_e64 s5, 0xc090cc00, v[65:66]
	v_fma_f64 v[83:84], v[73:74], v[83:84], 1.0
	v_fma_f64 v[71:72], v[73:74], v[83:84], 1.0
	v_ldexp_f64 v[71:72], v[71:72], v85
	v_cndmask_b32_e64 v72, 0x7ff00000, v72, s4
	s_and_b32 s4, s5, s4
	v_cndmask_b32_e64 v73, 0, v71, s4
	v_cndmask_b32_e64 v74, 0, v72, s5
	v_add_f64 v[37:38], v[37:38], v[73:74]
.LBB694_239:
	s_or_b32 exec_lo, exec_lo, s42
.LBB694_240:
	s_or_b32 exec_lo, exec_lo, s34
	v_mov_b32_e32 v65, 0
	v_mov_b32_e32 v71, 0
	;; [unrolled: 1-line block ×4, first 2 shown]
	s_and_saveexec_b32 s34, s57
	s_cbranch_execz .LBB694_244
; %bb.241:
	global_load_ubyte v71, v[5:6], off offset:768
	s_waitcnt vmcnt(0)
	v_and_b32_e32 v71, 1, v71
	v_cmp_eq_u32_e64 s4, 1, v71
	v_mov_b32_e32 v71, 0
	v_mov_b32_e32 v72, 0
	s_xor_b32 s4, s4, -1
	s_and_saveexec_b32 s42, s4
	s_cbranch_execz .LBB694_243
; %bb.242:
	v_add_f64 v[63:64], v[63:64], -v[39:40]
	s_mov_b32 s4, 0x652b82fe
	s_mov_b32 s5, 0x3ff71547
	;; [unrolled: 1-line block ×4, first 2 shown]
	v_mul_f64 v[71:72], v[63:64], s[4:5]
	s_mov_b32 s4, 0xfefa39ef
	s_mov_b32 s5, 0xbfe62e42
	v_rndne_f64_e32 v[71:72], v[71:72]
	v_fma_f64 v[83:84], v[71:72], s[4:5], v[63:64]
	s_mov_b32 s4, 0x3b39803f
	s_mov_b32 s5, 0xbc7abc9e
	v_cvt_i32_f64_e32 v87, v[71:72]
	v_fma_f64 v[83:84], v[71:72], s[4:5], v[83:84]
	s_mov_b32 s4, 0xfca7ab0c
	s_mov_b32 s5, 0x3e928af3
	v_fma_f64 v[85:86], v[83:84], s[58:59], s[4:5]
	s_mov_b32 s4, 0x623fde64
	s_mov_b32 s5, 0x3ec71dee
	v_fma_f64 v[85:86], v[83:84], v[85:86], s[4:5]
	s_mov_b32 s4, 0x7c89e6b0
	s_mov_b32 s5, 0x3efa0199
	v_fma_f64 v[85:86], v[83:84], v[85:86], s[4:5]
	s_mov_b32 s4, 0x14761f6e
	s_mov_b32 s5, 0x3f2a01a0
	v_fma_f64 v[85:86], v[83:84], v[85:86], s[4:5]
	s_mov_b32 s4, 0x1852b7b0
	s_mov_b32 s5, 0x3f56c16c
	v_fma_f64 v[85:86], v[83:84], v[85:86], s[4:5]
	s_mov_b32 s4, 0x11122322
	s_mov_b32 s5, 0x3f811111
	v_fma_f64 v[85:86], v[83:84], v[85:86], s[4:5]
	s_mov_b32 s4, 0x555502a1
	s_mov_b32 s5, 0x3fa55555
	v_fma_f64 v[85:86], v[83:84], v[85:86], s[4:5]
	s_mov_b32 s4, 0x55555511
	s_mov_b32 s5, 0x3fc55555
	v_fma_f64 v[85:86], v[83:84], v[85:86], s[4:5]
	s_mov_b32 s4, 11
	s_mov_b32 s5, 0x3fe00000
	v_fma_f64 v[85:86], v[83:84], v[85:86], s[4:5]
	v_cmp_nlt_f64_e64 s4, 0x40900000, v[63:64]
	v_cmp_ngt_f64_e64 s5, 0xc090cc00, v[63:64]
	v_fma_f64 v[85:86], v[83:84], v[85:86], 1.0
	v_fma_f64 v[71:72], v[83:84], v[85:86], 1.0
	v_ldexp_f64 v[71:72], v[71:72], v87
	v_cndmask_b32_e64 v72, 0x7ff00000, v72, s4
	s_and_b32 s4, s5, s4
	v_cndmask_b32_e64 v71, 0, v71, s4
	v_cndmask_b32_e64 v72, 0, v72, s5
	v_add_f64 v[37:38], v[37:38], v[71:72]
.LBB694_243:
	s_or_b32 exec_lo, exec_lo, s42
.LBB694_244:
	s_or_b32 exec_lo, exec_lo, s34
	s_and_saveexec_b32 s34, s56
	s_cbranch_execz .LBB694_248
; %bb.245:
	global_load_ubyte v63, v[5:6], off offset:832
	v_mov_b32_e32 v65, 0
	v_mov_b32_e32 v66, 0
	s_waitcnt vmcnt(0)
	v_and_b32_e32 v63, 1, v63
	v_cmp_eq_u32_e64 s4, 1, v63
	s_xor_b32 s4, s4, -1
	s_and_saveexec_b32 s42, s4
	s_cbranch_execz .LBB694_247
; %bb.246:
	v_add_f64 v[57:58], v[57:58], -v[39:40]
	s_mov_b32 s4, 0x652b82fe
	s_mov_b32 s5, 0x3ff71547
	s_mov_b32 s56, 0x6a5dcb37
	s_mov_b32 s57, 0x3e5ade15
	v_mul_f64 v[63:64], v[57:58], s[4:5]
	s_mov_b32 s4, 0xfefa39ef
	s_mov_b32 s5, 0xbfe62e42
	v_rndne_f64_e32 v[63:64], v[63:64]
	v_fma_f64 v[65:66], v[63:64], s[4:5], v[57:58]
	s_mov_b32 s4, 0x3b39803f
	s_mov_b32 s5, 0xbc7abc9e
	v_cvt_i32_f64_e32 v85, v[63:64]
	v_fma_f64 v[65:66], v[63:64], s[4:5], v[65:66]
	s_mov_b32 s4, 0xfca7ab0c
	s_mov_b32 s5, 0x3e928af3
	v_fma_f64 v[83:84], v[65:66], s[56:57], s[4:5]
	s_mov_b32 s4, 0x623fde64
	s_mov_b32 s5, 0x3ec71dee
	;; [unrolled: 3-line block ×9, first 2 shown]
	v_fma_f64 v[83:84], v[65:66], v[83:84], s[4:5]
	v_cmp_nlt_f64_e64 s4, 0x40900000, v[57:58]
	v_cmp_ngt_f64_e64 s5, 0xc090cc00, v[57:58]
	v_fma_f64 v[83:84], v[65:66], v[83:84], 1.0
	v_fma_f64 v[63:64], v[65:66], v[83:84], 1.0
	v_ldexp_f64 v[63:64], v[63:64], v85
	v_cndmask_b32_e64 v64, 0x7ff00000, v64, s4
	s_and_b32 s4, s5, s4
	v_cndmask_b32_e64 v65, 0, v63, s4
	v_cndmask_b32_e64 v66, 0, v64, s5
	v_add_f64 v[37:38], v[37:38], v[65:66]
.LBB694_247:
	s_or_b32 exec_lo, exec_lo, s42
.LBB694_248:
	s_or_b32 exec_lo, exec_lo, s34
	v_mov_b32_e32 v57, 0
	v_mov_b32_e32 v63, 0
	;; [unrolled: 1-line block ×4, first 2 shown]
	s_and_saveexec_b32 s34, s55
	s_cbranch_execz .LBB694_252
; %bb.249:
	global_load_ubyte v63, v[5:6], off offset:896
	s_waitcnt vmcnt(0)
	v_and_b32_e32 v63, 1, v63
	v_cmp_eq_u32_e64 s4, 1, v63
	v_mov_b32_e32 v63, 0
	v_mov_b32_e32 v64, 0
	s_xor_b32 s4, s4, -1
	s_and_saveexec_b32 s42, s4
	s_cbranch_execz .LBB694_251
; %bb.250:
	v_add_f64 v[55:56], v[55:56], -v[39:40]
	s_mov_b32 s4, 0x652b82fe
	s_mov_b32 s5, 0x3ff71547
	;; [unrolled: 1-line block ×4, first 2 shown]
	v_mul_f64 v[63:64], v[55:56], s[4:5]
	s_mov_b32 s4, 0xfefa39ef
	s_mov_b32 s5, 0xbfe62e42
	v_rndne_f64_e32 v[63:64], v[63:64]
	v_fma_f64 v[83:84], v[63:64], s[4:5], v[55:56]
	s_mov_b32 s4, 0x3b39803f
	s_mov_b32 s5, 0xbc7abc9e
	v_cvt_i32_f64_e32 v87, v[63:64]
	v_fma_f64 v[83:84], v[63:64], s[4:5], v[83:84]
	s_mov_b32 s4, 0xfca7ab0c
	s_mov_b32 s5, 0x3e928af3
	v_fma_f64 v[85:86], v[83:84], s[56:57], s[4:5]
	s_mov_b32 s4, 0x623fde64
	s_mov_b32 s5, 0x3ec71dee
	;; [unrolled: 3-line block ×9, first 2 shown]
	v_fma_f64 v[85:86], v[83:84], v[85:86], s[4:5]
	v_cmp_nlt_f64_e64 s4, 0x40900000, v[55:56]
	v_cmp_ngt_f64_e64 s5, 0xc090cc00, v[55:56]
	v_fma_f64 v[85:86], v[83:84], v[85:86], 1.0
	v_fma_f64 v[63:64], v[83:84], v[85:86], 1.0
	v_ldexp_f64 v[63:64], v[63:64], v87
	v_cndmask_b32_e64 v64, 0x7ff00000, v64, s4
	s_and_b32 s4, s5, s4
	v_cndmask_b32_e64 v63, 0, v63, s4
	v_cndmask_b32_e64 v64, 0, v64, s5
	v_add_f64 v[37:38], v[37:38], v[63:64]
.LBB694_251:
	s_or_b32 exec_lo, exec_lo, s42
.LBB694_252:
	s_or_b32 exec_lo, exec_lo, s34
	s_and_saveexec_b32 s34, s54
	s_cbranch_execz .LBB694_256
; %bb.253:
	global_load_ubyte v55, v[5:6], off offset:960
	v_mov_b32_e32 v57, 0
	v_mov_b32_e32 v58, 0
	s_waitcnt vmcnt(0)
	v_and_b32_e32 v55, 1, v55
	v_cmp_eq_u32_e64 s4, 1, v55
	s_xor_b32 s4, s4, -1
	s_and_saveexec_b32 s42, s4
	s_cbranch_execz .LBB694_255
; %bb.254:
	v_add_f64 v[49:50], v[49:50], -v[39:40]
	s_mov_b32 s4, 0x652b82fe
	s_mov_b32 s5, 0x3ff71547
	;; [unrolled: 1-line block ×4, first 2 shown]
	v_mul_f64 v[55:56], v[49:50], s[4:5]
	s_mov_b32 s4, 0xfefa39ef
	s_mov_b32 s5, 0xbfe62e42
	v_rndne_f64_e32 v[55:56], v[55:56]
	v_fma_f64 v[57:58], v[55:56], s[4:5], v[49:50]
	s_mov_b32 s4, 0x3b39803f
	s_mov_b32 s5, 0xbc7abc9e
	v_cvt_i32_f64_e32 v85, v[55:56]
	v_fma_f64 v[57:58], v[55:56], s[4:5], v[57:58]
	s_mov_b32 s4, 0xfca7ab0c
	s_mov_b32 s5, 0x3e928af3
	v_fma_f64 v[83:84], v[57:58], s[54:55], s[4:5]
	s_mov_b32 s4, 0x623fde64
	s_mov_b32 s5, 0x3ec71dee
	;; [unrolled: 3-line block ×9, first 2 shown]
	v_fma_f64 v[83:84], v[57:58], v[83:84], s[4:5]
	v_cmp_nlt_f64_e64 s4, 0x40900000, v[49:50]
	v_cmp_ngt_f64_e64 s5, 0xc090cc00, v[49:50]
	v_fma_f64 v[83:84], v[57:58], v[83:84], 1.0
	v_fma_f64 v[55:56], v[57:58], v[83:84], 1.0
	v_ldexp_f64 v[55:56], v[55:56], v85
	v_cndmask_b32_e64 v56, 0x7ff00000, v56, s4
	s_and_b32 s4, s5, s4
	v_cndmask_b32_e64 v57, 0, v55, s4
	v_cndmask_b32_e64 v58, 0, v56, s5
	v_add_f64 v[37:38], v[37:38], v[57:58]
.LBB694_255:
	s_or_b32 exec_lo, exec_lo, s42
.LBB694_256:
	s_or_b32 exec_lo, exec_lo, s34
	v_mov_b32_e32 v49, 0
	v_mov_b32_e32 v55, 0
	;; [unrolled: 1-line block ×4, first 2 shown]
	s_and_saveexec_b32 s34, s53
	s_cbranch_execz .LBB694_260
; %bb.257:
	global_load_ubyte v55, v[5:6], off offset:1024
	s_waitcnt vmcnt(0)
	v_and_b32_e32 v55, 1, v55
	v_cmp_eq_u32_e64 s4, 1, v55
	v_mov_b32_e32 v55, 0
	v_mov_b32_e32 v56, 0
	s_xor_b32 s4, s4, -1
	s_and_saveexec_b32 s42, s4
	s_cbranch_execz .LBB694_259
; %bb.258:
	v_add_f64 v[47:48], v[47:48], -v[39:40]
	s_mov_b32 s4, 0x652b82fe
	s_mov_b32 s5, 0x3ff71547
	;; [unrolled: 1-line block ×4, first 2 shown]
	v_mul_f64 v[55:56], v[47:48], s[4:5]
	s_mov_b32 s4, 0xfefa39ef
	s_mov_b32 s5, 0xbfe62e42
	v_rndne_f64_e32 v[55:56], v[55:56]
	v_fma_f64 v[83:84], v[55:56], s[4:5], v[47:48]
	s_mov_b32 s4, 0x3b39803f
	s_mov_b32 s5, 0xbc7abc9e
	v_cvt_i32_f64_e32 v87, v[55:56]
	v_fma_f64 v[83:84], v[55:56], s[4:5], v[83:84]
	s_mov_b32 s4, 0xfca7ab0c
	s_mov_b32 s5, 0x3e928af3
	v_fma_f64 v[85:86], v[83:84], s[54:55], s[4:5]
	s_mov_b32 s4, 0x623fde64
	s_mov_b32 s5, 0x3ec71dee
	;; [unrolled: 3-line block ×9, first 2 shown]
	v_fma_f64 v[85:86], v[83:84], v[85:86], s[4:5]
	v_cmp_nlt_f64_e64 s4, 0x40900000, v[47:48]
	v_cmp_ngt_f64_e64 s5, 0xc090cc00, v[47:48]
	v_fma_f64 v[85:86], v[83:84], v[85:86], 1.0
	v_fma_f64 v[55:56], v[83:84], v[85:86], 1.0
	v_ldexp_f64 v[55:56], v[55:56], v87
	v_cndmask_b32_e64 v56, 0x7ff00000, v56, s4
	s_and_b32 s4, s5, s4
	v_cndmask_b32_e64 v55, 0, v55, s4
	v_cndmask_b32_e64 v56, 0, v56, s5
	v_add_f64 v[37:38], v[37:38], v[55:56]
.LBB694_259:
	s_or_b32 exec_lo, exec_lo, s42
.LBB694_260:
	s_or_b32 exec_lo, exec_lo, s34
	s_and_saveexec_b32 s34, s52
	s_cbranch_execz .LBB694_264
; %bb.261:
	global_load_ubyte v47, v[5:6], off offset:1088
	v_mov_b32_e32 v49, 0
	v_mov_b32_e32 v50, 0
	s_waitcnt vmcnt(0)
	v_and_b32_e32 v47, 1, v47
	v_cmp_eq_u32_e64 s4, 1, v47
	s_xor_b32 s4, s4, -1
	s_and_saveexec_b32 s42, s4
	s_cbranch_execz .LBB694_263
; %bb.262:
	v_add_f64 v[41:42], v[41:42], -v[39:40]
	s_mov_b32 s4, 0x652b82fe
	s_mov_b32 s5, 0x3ff71547
	s_mov_b32 s52, 0x6a5dcb37
	s_mov_b32 s53, 0x3e5ade15
	v_mul_f64 v[47:48], v[41:42], s[4:5]
	s_mov_b32 s4, 0xfefa39ef
	s_mov_b32 s5, 0xbfe62e42
	v_rndne_f64_e32 v[47:48], v[47:48]
	v_fma_f64 v[49:50], v[47:48], s[4:5], v[41:42]
	s_mov_b32 s4, 0x3b39803f
	s_mov_b32 s5, 0xbc7abc9e
	v_cvt_i32_f64_e32 v85, v[47:48]
	v_fma_f64 v[49:50], v[47:48], s[4:5], v[49:50]
	s_mov_b32 s4, 0xfca7ab0c
	s_mov_b32 s5, 0x3e928af3
	v_fma_f64 v[83:84], v[49:50], s[52:53], s[4:5]
	s_mov_b32 s4, 0x623fde64
	s_mov_b32 s5, 0x3ec71dee
	;; [unrolled: 3-line block ×9, first 2 shown]
	v_fma_f64 v[83:84], v[49:50], v[83:84], s[4:5]
	v_cmp_nlt_f64_e64 s4, 0x40900000, v[41:42]
	v_cmp_ngt_f64_e64 s5, 0xc090cc00, v[41:42]
	v_fma_f64 v[83:84], v[49:50], v[83:84], 1.0
	v_fma_f64 v[47:48], v[49:50], v[83:84], 1.0
	v_ldexp_f64 v[47:48], v[47:48], v85
	v_cndmask_b32_e64 v48, 0x7ff00000, v48, s4
	s_and_b32 s4, s5, s4
	v_cndmask_b32_e64 v49, 0, v47, s4
	v_cndmask_b32_e64 v50, 0, v48, s5
	v_add_f64 v[37:38], v[37:38], v[49:50]
.LBB694_263:
	s_or_b32 exec_lo, exec_lo, s42
.LBB694_264:
	s_or_b32 exec_lo, exec_lo, s34
	v_mov_b32_e32 v41, 0
	v_mov_b32_e32 v47, 0
	;; [unrolled: 1-line block ×4, first 2 shown]
	s_and_saveexec_b32 s34, s51
	s_cbranch_execz .LBB694_268
; %bb.265:
	global_load_ubyte v47, v[5:6], off offset:1152
	s_waitcnt vmcnt(0)
	v_and_b32_e32 v47, 1, v47
	v_cmp_eq_u32_e64 s4, 1, v47
	v_mov_b32_e32 v47, 0
	v_mov_b32_e32 v48, 0
	s_xor_b32 s4, s4, -1
	s_and_saveexec_b32 s42, s4
	s_cbranch_execz .LBB694_267
; %bb.266:
	v_add_f64 v[35:36], v[35:36], -v[39:40]
	s_mov_b32 s4, 0x652b82fe
	s_mov_b32 s5, 0x3ff71547
	;; [unrolled: 1-line block ×4, first 2 shown]
	v_mul_f64 v[47:48], v[35:36], s[4:5]
	s_mov_b32 s4, 0xfefa39ef
	s_mov_b32 s5, 0xbfe62e42
	v_rndne_f64_e32 v[47:48], v[47:48]
	v_fma_f64 v[83:84], v[47:48], s[4:5], v[35:36]
	s_mov_b32 s4, 0x3b39803f
	s_mov_b32 s5, 0xbc7abc9e
	v_cvt_i32_f64_e32 v87, v[47:48]
	v_fma_f64 v[83:84], v[47:48], s[4:5], v[83:84]
	s_mov_b32 s4, 0xfca7ab0c
	s_mov_b32 s5, 0x3e928af3
	v_fma_f64 v[85:86], v[83:84], s[52:53], s[4:5]
	s_mov_b32 s4, 0x623fde64
	s_mov_b32 s5, 0x3ec71dee
	;; [unrolled: 3-line block ×9, first 2 shown]
	v_fma_f64 v[85:86], v[83:84], v[85:86], s[4:5]
	v_cmp_nlt_f64_e64 s4, 0x40900000, v[35:36]
	v_cmp_ngt_f64_e64 s5, 0xc090cc00, v[35:36]
	v_fma_f64 v[85:86], v[83:84], v[85:86], 1.0
	v_fma_f64 v[47:48], v[83:84], v[85:86], 1.0
	v_ldexp_f64 v[47:48], v[47:48], v87
	v_cndmask_b32_e64 v48, 0x7ff00000, v48, s4
	s_and_b32 s4, s5, s4
	v_cndmask_b32_e64 v47, 0, v47, s4
	v_cndmask_b32_e64 v48, 0, v48, s5
	v_add_f64 v[37:38], v[37:38], v[47:48]
.LBB694_267:
	s_or_b32 exec_lo, exec_lo, s42
.LBB694_268:
	s_or_b32 exec_lo, exec_lo, s34
	s_and_saveexec_b32 s34, s50
	s_cbranch_execz .LBB694_272
; %bb.269:
	global_load_ubyte v35, v[5:6], off offset:1216
	v_mov_b32_e32 v41, 0
	v_mov_b32_e32 v42, 0
	s_waitcnt vmcnt(0)
	v_and_b32_e32 v35, 1, v35
	v_cmp_eq_u32_e64 s4, 1, v35
	s_xor_b32 s4, s4, -1
	s_and_saveexec_b32 s42, s4
	s_cbranch_execz .LBB694_271
; %bb.270:
	v_add_f64 v[29:30], v[29:30], -v[39:40]
	s_mov_b32 s4, 0x652b82fe
	s_mov_b32 s5, 0x3ff71547
	;; [unrolled: 1-line block ×4, first 2 shown]
	v_mul_f64 v[35:36], v[29:30], s[4:5]
	s_mov_b32 s4, 0xfefa39ef
	s_mov_b32 s5, 0xbfe62e42
	v_rndne_f64_e32 v[35:36], v[35:36]
	v_fma_f64 v[41:42], v[35:36], s[4:5], v[29:30]
	s_mov_b32 s4, 0x3b39803f
	s_mov_b32 s5, 0xbc7abc9e
	v_cvt_i32_f64_e32 v85, v[35:36]
	v_fma_f64 v[41:42], v[35:36], s[4:5], v[41:42]
	s_mov_b32 s4, 0xfca7ab0c
	s_mov_b32 s5, 0x3e928af3
	v_fma_f64 v[83:84], v[41:42], s[50:51], s[4:5]
	s_mov_b32 s4, 0x623fde64
	s_mov_b32 s5, 0x3ec71dee
	;; [unrolled: 3-line block ×9, first 2 shown]
	v_fma_f64 v[83:84], v[41:42], v[83:84], s[4:5]
	v_cmp_nlt_f64_e64 s4, 0x40900000, v[29:30]
	v_cmp_ngt_f64_e64 s5, 0xc090cc00, v[29:30]
	v_fma_f64 v[83:84], v[41:42], v[83:84], 1.0
	v_fma_f64 v[35:36], v[41:42], v[83:84], 1.0
	v_ldexp_f64 v[35:36], v[35:36], v85
	v_cndmask_b32_e64 v36, 0x7ff00000, v36, s4
	s_and_b32 s4, s5, s4
	v_cndmask_b32_e64 v41, 0, v35, s4
	v_cndmask_b32_e64 v42, 0, v36, s5
	v_add_f64 v[37:38], v[37:38], v[41:42]
.LBB694_271:
	s_or_b32 exec_lo, exec_lo, s42
.LBB694_272:
	s_or_b32 exec_lo, exec_lo, s34
	v_mov_b32_e32 v29, 0
	v_mov_b32_e32 v35, 0
	;; [unrolled: 1-line block ×4, first 2 shown]
	s_and_saveexec_b32 s34, s49
	s_cbranch_execz .LBB694_276
; %bb.273:
	global_load_ubyte v35, v[5:6], off offset:1280
	s_waitcnt vmcnt(0)
	v_and_b32_e32 v35, 1, v35
	v_cmp_eq_u32_e64 s4, 1, v35
	v_mov_b32_e32 v35, 0
	v_mov_b32_e32 v36, 0
	s_xor_b32 s4, s4, -1
	s_and_saveexec_b32 s42, s4
	s_cbranch_execz .LBB694_275
; %bb.274:
	v_add_f64 v[27:28], v[27:28], -v[39:40]
	s_mov_b32 s4, 0x652b82fe
	s_mov_b32 s5, 0x3ff71547
	;; [unrolled: 1-line block ×4, first 2 shown]
	v_mul_f64 v[35:36], v[27:28], s[4:5]
	s_mov_b32 s4, 0xfefa39ef
	s_mov_b32 s5, 0xbfe62e42
	v_rndne_f64_e32 v[35:36], v[35:36]
	v_fma_f64 v[83:84], v[35:36], s[4:5], v[27:28]
	s_mov_b32 s4, 0x3b39803f
	s_mov_b32 s5, 0xbc7abc9e
	v_cvt_i32_f64_e32 v87, v[35:36]
	v_fma_f64 v[83:84], v[35:36], s[4:5], v[83:84]
	s_mov_b32 s4, 0xfca7ab0c
	s_mov_b32 s5, 0x3e928af3
	v_fma_f64 v[85:86], v[83:84], s[50:51], s[4:5]
	s_mov_b32 s4, 0x623fde64
	s_mov_b32 s5, 0x3ec71dee
	v_fma_f64 v[85:86], v[83:84], v[85:86], s[4:5]
	s_mov_b32 s4, 0x7c89e6b0
	s_mov_b32 s5, 0x3efa0199
	v_fma_f64 v[85:86], v[83:84], v[85:86], s[4:5]
	s_mov_b32 s4, 0x14761f6e
	s_mov_b32 s5, 0x3f2a01a0
	v_fma_f64 v[85:86], v[83:84], v[85:86], s[4:5]
	s_mov_b32 s4, 0x1852b7b0
	s_mov_b32 s5, 0x3f56c16c
	v_fma_f64 v[85:86], v[83:84], v[85:86], s[4:5]
	s_mov_b32 s4, 0x11122322
	s_mov_b32 s5, 0x3f811111
	v_fma_f64 v[85:86], v[83:84], v[85:86], s[4:5]
	s_mov_b32 s4, 0x555502a1
	s_mov_b32 s5, 0x3fa55555
	v_fma_f64 v[85:86], v[83:84], v[85:86], s[4:5]
	s_mov_b32 s4, 0x55555511
	s_mov_b32 s5, 0x3fc55555
	v_fma_f64 v[85:86], v[83:84], v[85:86], s[4:5]
	s_mov_b32 s4, 11
	s_mov_b32 s5, 0x3fe00000
	v_fma_f64 v[85:86], v[83:84], v[85:86], s[4:5]
	v_cmp_nlt_f64_e64 s4, 0x40900000, v[27:28]
	v_cmp_ngt_f64_e64 s5, 0xc090cc00, v[27:28]
	v_fma_f64 v[85:86], v[83:84], v[85:86], 1.0
	v_fma_f64 v[35:36], v[83:84], v[85:86], 1.0
	v_ldexp_f64 v[35:36], v[35:36], v87
	v_cndmask_b32_e64 v36, 0x7ff00000, v36, s4
	s_and_b32 s4, s5, s4
	v_cndmask_b32_e64 v35, 0, v35, s4
	v_cndmask_b32_e64 v36, 0, v36, s5
	v_add_f64 v[37:38], v[37:38], v[35:36]
.LBB694_275:
	s_or_b32 exec_lo, exec_lo, s42
.LBB694_276:
	s_or_b32 exec_lo, exec_lo, s34
	s_and_saveexec_b32 s34, s48
	s_cbranch_execz .LBB694_280
; %bb.277:
	global_load_ubyte v27, v[5:6], off offset:1344
	v_mov_b32_e32 v29, 0
	v_mov_b32_e32 v30, 0
	s_waitcnt vmcnt(0)
	v_and_b32_e32 v27, 1, v27
	v_cmp_eq_u32_e64 s4, 1, v27
	s_xor_b32 s4, s4, -1
	s_and_saveexec_b32 s42, s4
	s_cbranch_execz .LBB694_279
; %bb.278:
	v_add_f64 v[25:26], v[25:26], -v[39:40]
	s_mov_b32 s4, 0x652b82fe
	s_mov_b32 s5, 0x3ff71547
	;; [unrolled: 1-line block ×4, first 2 shown]
	v_mul_f64 v[27:28], v[25:26], s[4:5]
	s_mov_b32 s4, 0xfefa39ef
	s_mov_b32 s5, 0xbfe62e42
	v_rndne_f64_e32 v[27:28], v[27:28]
	v_fma_f64 v[29:30], v[27:28], s[4:5], v[25:26]
	s_mov_b32 s4, 0x3b39803f
	s_mov_b32 s5, 0xbc7abc9e
	v_cvt_i32_f64_e32 v85, v[27:28]
	v_fma_f64 v[29:30], v[27:28], s[4:5], v[29:30]
	s_mov_b32 s4, 0xfca7ab0c
	s_mov_b32 s5, 0x3e928af3
	v_fma_f64 v[83:84], v[29:30], s[48:49], s[4:5]
	s_mov_b32 s4, 0x623fde64
	s_mov_b32 s5, 0x3ec71dee
	;; [unrolled: 3-line block ×9, first 2 shown]
	v_fma_f64 v[83:84], v[29:30], v[83:84], s[4:5]
	v_cmp_nlt_f64_e64 s4, 0x40900000, v[25:26]
	v_cmp_ngt_f64_e64 s5, 0xc090cc00, v[25:26]
	v_fma_f64 v[83:84], v[29:30], v[83:84], 1.0
	v_fma_f64 v[27:28], v[29:30], v[83:84], 1.0
	v_ldexp_f64 v[27:28], v[27:28], v85
	v_cndmask_b32_e64 v28, 0x7ff00000, v28, s4
	s_and_b32 s4, s5, s4
	v_cndmask_b32_e64 v29, 0, v27, s4
	v_cndmask_b32_e64 v30, 0, v28, s5
	v_add_f64 v[37:38], v[37:38], v[29:30]
.LBB694_279:
	s_or_b32 exec_lo, exec_lo, s42
.LBB694_280:
	s_or_b32 exec_lo, exec_lo, s34
	v_mov_b32_e32 v25, 0
	v_mov_b32_e32 v27, 0
	v_mov_b32_e32 v26, 0
	v_mov_b32_e32 v28, 0
	s_and_saveexec_b32 s34, s47
	s_cbranch_execz .LBB694_284
; %bb.281:
	global_load_ubyte v27, v[5:6], off offset:1408
	s_waitcnt vmcnt(0)
	v_and_b32_e32 v27, 1, v27
	v_cmp_eq_u32_e64 s4, 1, v27
	v_mov_b32_e32 v27, 0
	v_mov_b32_e32 v28, 0
	s_xor_b32 s4, s4, -1
	s_and_saveexec_b32 s42, s4
	s_cbranch_execz .LBB694_283
; %bb.282:
	v_add_f64 v[23:24], v[23:24], -v[39:40]
	s_mov_b32 s4, 0x652b82fe
	s_mov_b32 s5, 0x3ff71547
	;; [unrolled: 1-line block ×4, first 2 shown]
	v_mul_f64 v[27:28], v[23:24], s[4:5]
	s_mov_b32 s4, 0xfefa39ef
	s_mov_b32 s5, 0xbfe62e42
	v_rndne_f64_e32 v[27:28], v[27:28]
	v_fma_f64 v[83:84], v[27:28], s[4:5], v[23:24]
	s_mov_b32 s4, 0x3b39803f
	s_mov_b32 s5, 0xbc7abc9e
	v_cvt_i32_f64_e32 v87, v[27:28]
	v_fma_f64 v[83:84], v[27:28], s[4:5], v[83:84]
	s_mov_b32 s4, 0xfca7ab0c
	s_mov_b32 s5, 0x3e928af3
	v_fma_f64 v[85:86], v[83:84], s[48:49], s[4:5]
	s_mov_b32 s4, 0x623fde64
	s_mov_b32 s5, 0x3ec71dee
	;; [unrolled: 3-line block ×9, first 2 shown]
	v_fma_f64 v[85:86], v[83:84], v[85:86], s[4:5]
	v_cmp_nlt_f64_e64 s4, 0x40900000, v[23:24]
	v_cmp_ngt_f64_e64 s5, 0xc090cc00, v[23:24]
	v_fma_f64 v[85:86], v[83:84], v[85:86], 1.0
	v_fma_f64 v[27:28], v[83:84], v[85:86], 1.0
	v_ldexp_f64 v[27:28], v[27:28], v87
	v_cndmask_b32_e64 v28, 0x7ff00000, v28, s4
	s_and_b32 s4, s5, s4
	v_cndmask_b32_e64 v27, 0, v27, s4
	v_cndmask_b32_e64 v28, 0, v28, s5
	v_add_f64 v[37:38], v[37:38], v[27:28]
.LBB694_283:
	s_or_b32 exec_lo, exec_lo, s42
.LBB694_284:
	s_or_b32 exec_lo, exec_lo, s34
	s_and_saveexec_b32 s34, s46
	s_cbranch_execz .LBB694_288
; %bb.285:
	global_load_ubyte v23, v[5:6], off offset:1472
	v_mov_b32_e32 v25, 0
	v_mov_b32_e32 v26, 0
	s_waitcnt vmcnt(0)
	v_and_b32_e32 v23, 1, v23
	v_cmp_eq_u32_e64 s4, 1, v23
	s_xor_b32 s4, s4, -1
	s_and_saveexec_b32 s42, s4
	s_cbranch_execz .LBB694_287
; %bb.286:
	v_add_f64 v[21:22], v[21:22], -v[39:40]
	s_mov_b32 s4, 0x652b82fe
	s_mov_b32 s5, 0x3ff71547
	;; [unrolled: 1-line block ×4, first 2 shown]
	v_mul_f64 v[23:24], v[21:22], s[4:5]
	s_mov_b32 s4, 0xfefa39ef
	s_mov_b32 s5, 0xbfe62e42
	v_rndne_f64_e32 v[23:24], v[23:24]
	v_fma_f64 v[25:26], v[23:24], s[4:5], v[21:22]
	s_mov_b32 s4, 0x3b39803f
	s_mov_b32 s5, 0xbc7abc9e
	v_cvt_i32_f64_e32 v85, v[23:24]
	v_fma_f64 v[25:26], v[23:24], s[4:5], v[25:26]
	s_mov_b32 s4, 0xfca7ab0c
	s_mov_b32 s5, 0x3e928af3
	v_fma_f64 v[83:84], v[25:26], s[46:47], s[4:5]
	s_mov_b32 s4, 0x623fde64
	s_mov_b32 s5, 0x3ec71dee
	;; [unrolled: 3-line block ×9, first 2 shown]
	v_fma_f64 v[83:84], v[25:26], v[83:84], s[4:5]
	v_cmp_nlt_f64_e64 s4, 0x40900000, v[21:22]
	v_cmp_ngt_f64_e64 s5, 0xc090cc00, v[21:22]
	v_fma_f64 v[83:84], v[25:26], v[83:84], 1.0
	v_fma_f64 v[23:24], v[25:26], v[83:84], 1.0
	v_ldexp_f64 v[23:24], v[23:24], v85
	v_cndmask_b32_e64 v24, 0x7ff00000, v24, s4
	s_and_b32 s4, s5, s4
	v_cndmask_b32_e64 v25, 0, v23, s4
	v_cndmask_b32_e64 v26, 0, v24, s5
	v_add_f64 v[37:38], v[37:38], v[25:26]
.LBB694_287:
	s_or_b32 exec_lo, exec_lo, s42
.LBB694_288:
	s_or_b32 exec_lo, exec_lo, s34
	v_mov_b32_e32 v21, 0
	v_mov_b32_e32 v23, 0
	;; [unrolled: 1-line block ×4, first 2 shown]
	s_and_saveexec_b32 s34, s45
	s_cbranch_execz .LBB694_292
; %bb.289:
	global_load_ubyte v23, v[5:6], off offset:1536
	s_waitcnt vmcnt(0)
	v_and_b32_e32 v23, 1, v23
	v_cmp_eq_u32_e64 s4, 1, v23
	v_mov_b32_e32 v23, 0
	v_mov_b32_e32 v24, 0
	s_xor_b32 s4, s4, -1
	s_and_saveexec_b32 s42, s4
	s_cbranch_execz .LBB694_291
; %bb.290:
	v_add_f64 v[19:20], v[19:20], -v[39:40]
	s_mov_b32 s4, 0x652b82fe
	s_mov_b32 s5, 0x3ff71547
	;; [unrolled: 1-line block ×4, first 2 shown]
	v_mul_f64 v[23:24], v[19:20], s[4:5]
	s_mov_b32 s4, 0xfefa39ef
	s_mov_b32 s5, 0xbfe62e42
	v_rndne_f64_e32 v[23:24], v[23:24]
	v_fma_f64 v[83:84], v[23:24], s[4:5], v[19:20]
	s_mov_b32 s4, 0x3b39803f
	s_mov_b32 s5, 0xbc7abc9e
	v_cvt_i32_f64_e32 v87, v[23:24]
	v_fma_f64 v[83:84], v[23:24], s[4:5], v[83:84]
	s_mov_b32 s4, 0xfca7ab0c
	s_mov_b32 s5, 0x3e928af3
	v_fma_f64 v[85:86], v[83:84], s[46:47], s[4:5]
	s_mov_b32 s4, 0x623fde64
	s_mov_b32 s5, 0x3ec71dee
	;; [unrolled: 3-line block ×9, first 2 shown]
	v_fma_f64 v[85:86], v[83:84], v[85:86], s[4:5]
	v_cmp_nlt_f64_e64 s4, 0x40900000, v[19:20]
	v_cmp_ngt_f64_e64 s5, 0xc090cc00, v[19:20]
	v_fma_f64 v[85:86], v[83:84], v[85:86], 1.0
	v_fma_f64 v[23:24], v[83:84], v[85:86], 1.0
	v_ldexp_f64 v[23:24], v[23:24], v87
	v_cndmask_b32_e64 v24, 0x7ff00000, v24, s4
	s_and_b32 s4, s5, s4
	v_cndmask_b32_e64 v23, 0, v23, s4
	v_cndmask_b32_e64 v24, 0, v24, s5
	v_add_f64 v[37:38], v[37:38], v[23:24]
.LBB694_291:
	s_or_b32 exec_lo, exec_lo, s42
.LBB694_292:
	s_or_b32 exec_lo, exec_lo, s34
	s_and_saveexec_b32 s34, s44
	s_cbranch_execz .LBB694_296
; %bb.293:
	global_load_ubyte v19, v[5:6], off offset:1600
	v_mov_b32_e32 v21, 0
	v_mov_b32_e32 v22, 0
	s_waitcnt vmcnt(0)
	v_and_b32_e32 v19, 1, v19
	v_cmp_eq_u32_e64 s4, 1, v19
	s_xor_b32 s4, s4, -1
	s_and_saveexec_b32 s42, s4
	s_cbranch_execz .LBB694_295
; %bb.294:
	v_add_f64 v[17:18], v[17:18], -v[39:40]
	s_mov_b32 s4, 0x652b82fe
	s_mov_b32 s5, 0x3ff71547
	;; [unrolled: 1-line block ×4, first 2 shown]
	v_mul_f64 v[19:20], v[17:18], s[4:5]
	s_mov_b32 s4, 0xfefa39ef
	s_mov_b32 s5, 0xbfe62e42
	v_rndne_f64_e32 v[19:20], v[19:20]
	v_fma_f64 v[21:22], v[19:20], s[4:5], v[17:18]
	s_mov_b32 s4, 0x3b39803f
	s_mov_b32 s5, 0xbc7abc9e
	v_cvt_i32_f64_e32 v85, v[19:20]
	v_fma_f64 v[21:22], v[19:20], s[4:5], v[21:22]
	s_mov_b32 s4, 0xfca7ab0c
	s_mov_b32 s5, 0x3e928af3
	v_fma_f64 v[83:84], v[21:22], s[44:45], s[4:5]
	s_mov_b32 s4, 0x623fde64
	s_mov_b32 s5, 0x3ec71dee
	;; [unrolled: 3-line block ×9, first 2 shown]
	v_fma_f64 v[83:84], v[21:22], v[83:84], s[4:5]
	v_cmp_nlt_f64_e64 s4, 0x40900000, v[17:18]
	v_cmp_ngt_f64_e64 s5, 0xc090cc00, v[17:18]
	v_fma_f64 v[83:84], v[21:22], v[83:84], 1.0
	v_fma_f64 v[19:20], v[21:22], v[83:84], 1.0
	v_ldexp_f64 v[19:20], v[19:20], v85
	v_cndmask_b32_e64 v20, 0x7ff00000, v20, s4
	s_and_b32 s4, s5, s4
	v_cndmask_b32_e64 v21, 0, v19, s4
	v_cndmask_b32_e64 v22, 0, v20, s5
	v_add_f64 v[37:38], v[37:38], v[21:22]
.LBB694_295:
	s_or_b32 exec_lo, exec_lo, s42
.LBB694_296:
	s_or_b32 exec_lo, exec_lo, s34
	v_mov_b32_e32 v17, 0
	v_mov_b32_e32 v19, 0
	;; [unrolled: 1-line block ×4, first 2 shown]
	s_and_saveexec_b32 s34, s43
	s_cbranch_execz .LBB694_300
; %bb.297:
	global_load_ubyte v19, v[5:6], off offset:1664
	s_waitcnt vmcnt(0)
	v_and_b32_e32 v19, 1, v19
	v_cmp_eq_u32_e64 s4, 1, v19
	v_mov_b32_e32 v19, 0
	v_mov_b32_e32 v20, 0
	s_xor_b32 s4, s4, -1
	s_and_saveexec_b32 s42, s4
	s_cbranch_execz .LBB694_299
; %bb.298:
	v_add_f64 v[15:16], v[15:16], -v[39:40]
	s_mov_b32 s4, 0x652b82fe
	s_mov_b32 s5, 0x3ff71547
	;; [unrolled: 1-line block ×4, first 2 shown]
	v_mul_f64 v[19:20], v[15:16], s[4:5]
	s_mov_b32 s4, 0xfefa39ef
	s_mov_b32 s5, 0xbfe62e42
	v_rndne_f64_e32 v[19:20], v[19:20]
	v_fma_f64 v[83:84], v[19:20], s[4:5], v[15:16]
	s_mov_b32 s4, 0x3b39803f
	s_mov_b32 s5, 0xbc7abc9e
	v_cvt_i32_f64_e32 v87, v[19:20]
	v_fma_f64 v[83:84], v[19:20], s[4:5], v[83:84]
	s_mov_b32 s4, 0xfca7ab0c
	s_mov_b32 s5, 0x3e928af3
	v_fma_f64 v[85:86], v[83:84], s[44:45], s[4:5]
	s_mov_b32 s4, 0x623fde64
	s_mov_b32 s5, 0x3ec71dee
	;; [unrolled: 3-line block ×9, first 2 shown]
	v_fma_f64 v[85:86], v[83:84], v[85:86], s[4:5]
	v_cmp_nlt_f64_e64 s4, 0x40900000, v[15:16]
	v_cmp_ngt_f64_e64 s5, 0xc090cc00, v[15:16]
	v_fma_f64 v[85:86], v[83:84], v[85:86], 1.0
	v_fma_f64 v[19:20], v[83:84], v[85:86], 1.0
	v_ldexp_f64 v[19:20], v[19:20], v87
	v_cndmask_b32_e64 v20, 0x7ff00000, v20, s4
	s_and_b32 s4, s5, s4
	v_cndmask_b32_e64 v19, 0, v19, s4
	v_cndmask_b32_e64 v20, 0, v20, s5
	v_add_f64 v[37:38], v[37:38], v[19:20]
.LBB694_299:
	s_or_b32 exec_lo, exec_lo, s42
.LBB694_300:
	s_or_b32 exec_lo, exec_lo, s34
	s_and_saveexec_b32 s34, s41
	s_cbranch_execz .LBB694_304
; %bb.301:
	global_load_ubyte v15, v[5:6], off offset:1728
	v_mov_b32_e32 v17, 0
	v_mov_b32_e32 v18, 0
	s_waitcnt vmcnt(0)
	v_and_b32_e32 v15, 1, v15
	v_cmp_eq_u32_e64 s4, 1, v15
	s_xor_b32 s4, s4, -1
	s_and_saveexec_b32 s41, s4
	s_cbranch_execz .LBB694_303
; %bb.302:
	v_add_f64 v[13:14], v[13:14], -v[39:40]
	s_mov_b32 s4, 0x652b82fe
	s_mov_b32 s5, 0x3ff71547
	;; [unrolled: 1-line block ×4, first 2 shown]
	v_mul_f64 v[15:16], v[13:14], s[4:5]
	s_mov_b32 s4, 0xfefa39ef
	s_mov_b32 s5, 0xbfe62e42
	v_rndne_f64_e32 v[15:16], v[15:16]
	v_fma_f64 v[17:18], v[15:16], s[4:5], v[13:14]
	s_mov_b32 s4, 0x3b39803f
	s_mov_b32 s5, 0xbc7abc9e
	v_cvt_i32_f64_e32 v85, v[15:16]
	v_fma_f64 v[17:18], v[15:16], s[4:5], v[17:18]
	s_mov_b32 s4, 0xfca7ab0c
	s_mov_b32 s5, 0x3e928af3
	v_fma_f64 v[83:84], v[17:18], s[42:43], s[4:5]
	s_mov_b32 s4, 0x623fde64
	s_mov_b32 s5, 0x3ec71dee
	;; [unrolled: 3-line block ×9, first 2 shown]
	v_fma_f64 v[83:84], v[17:18], v[83:84], s[4:5]
	v_cmp_nlt_f64_e64 s4, 0x40900000, v[13:14]
	v_cmp_ngt_f64_e64 s5, 0xc090cc00, v[13:14]
	v_fma_f64 v[83:84], v[17:18], v[83:84], 1.0
	v_fma_f64 v[15:16], v[17:18], v[83:84], 1.0
	v_ldexp_f64 v[15:16], v[15:16], v85
	v_cndmask_b32_e64 v16, 0x7ff00000, v16, s4
	s_and_b32 s4, s5, s4
	v_cndmask_b32_e64 v17, 0, v15, s4
	v_cndmask_b32_e64 v18, 0, v16, s5
	v_add_f64 v[37:38], v[37:38], v[17:18]
.LBB694_303:
	s_or_b32 exec_lo, exec_lo, s41
.LBB694_304:
	s_or_b32 exec_lo, exec_lo, s34
	v_mov_b32_e32 v13, 0
	v_mov_b32_e32 v15, 0
	;; [unrolled: 1-line block ×4, first 2 shown]
	s_and_saveexec_b32 s34, s40
	s_cbranch_execz .LBB694_308
; %bb.305:
	global_load_ubyte v15, v[5:6], off offset:1792
	s_waitcnt vmcnt(0)
	v_and_b32_e32 v15, 1, v15
	v_cmp_eq_u32_e64 s4, 1, v15
	v_mov_b32_e32 v15, 0
	v_mov_b32_e32 v16, 0
	s_xor_b32 s4, s4, -1
	s_and_saveexec_b32 s40, s4
	s_cbranch_execz .LBB694_307
; %bb.306:
	v_add_f64 v[11:12], v[11:12], -v[39:40]
	s_mov_b32 s4, 0x652b82fe
	s_mov_b32 s5, 0x3ff71547
	;; [unrolled: 1-line block ×4, first 2 shown]
	v_mul_f64 v[15:16], v[11:12], s[4:5]
	s_mov_b32 s4, 0xfefa39ef
	s_mov_b32 s5, 0xbfe62e42
	v_rndne_f64_e32 v[15:16], v[15:16]
	v_fma_f64 v[83:84], v[15:16], s[4:5], v[11:12]
	s_mov_b32 s4, 0x3b39803f
	s_mov_b32 s5, 0xbc7abc9e
	v_cvt_i32_f64_e32 v87, v[15:16]
	v_fma_f64 v[83:84], v[15:16], s[4:5], v[83:84]
	s_mov_b32 s4, 0xfca7ab0c
	s_mov_b32 s5, 0x3e928af3
	v_fma_f64 v[85:86], v[83:84], s[42:43], s[4:5]
	s_mov_b32 s4, 0x623fde64
	s_mov_b32 s5, 0x3ec71dee
	;; [unrolled: 3-line block ×9, first 2 shown]
	v_fma_f64 v[85:86], v[83:84], v[85:86], s[4:5]
	v_cmp_nlt_f64_e64 s4, 0x40900000, v[11:12]
	v_cmp_ngt_f64_e64 s5, 0xc090cc00, v[11:12]
	v_fma_f64 v[85:86], v[83:84], v[85:86], 1.0
	v_fma_f64 v[15:16], v[83:84], v[85:86], 1.0
	v_ldexp_f64 v[15:16], v[15:16], v87
	v_cndmask_b32_e64 v16, 0x7ff00000, v16, s4
	s_and_b32 s4, s5, s4
	v_cndmask_b32_e64 v15, 0, v15, s4
	v_cndmask_b32_e64 v16, 0, v16, s5
	v_add_f64 v[37:38], v[37:38], v[15:16]
.LBB694_307:
	s_or_b32 exec_lo, exec_lo, s40
.LBB694_308:
	s_or_b32 exec_lo, exec_lo, s34
	s_and_saveexec_b32 s34, s39
	s_cbranch_execz .LBB694_312
; %bb.309:
	global_load_ubyte v11, v[5:6], off offset:1856
	v_mov_b32_e32 v13, 0
	v_mov_b32_e32 v14, 0
	s_waitcnt vmcnt(0)
	v_and_b32_e32 v11, 1, v11
	v_cmp_eq_u32_e64 s4, 1, v11
	s_xor_b32 s4, s4, -1
	s_and_saveexec_b32 s39, s4
	s_cbranch_execz .LBB694_311
; %bb.310:
	v_add_f64 v[9:10], v[9:10], -v[39:40]
	s_mov_b32 s4, 0x652b82fe
	s_mov_b32 s5, 0x3ff71547
	;; [unrolled: 1-line block ×4, first 2 shown]
	v_mul_f64 v[11:12], v[9:10], s[4:5]
	s_mov_b32 s4, 0xfefa39ef
	s_mov_b32 s5, 0xbfe62e42
	v_rndne_f64_e32 v[11:12], v[11:12]
	v_fma_f64 v[13:14], v[11:12], s[4:5], v[9:10]
	s_mov_b32 s4, 0x3b39803f
	s_mov_b32 s5, 0xbc7abc9e
	v_cvt_i32_f64_e32 v85, v[11:12]
	v_fma_f64 v[13:14], v[11:12], s[4:5], v[13:14]
	s_mov_b32 s4, 0xfca7ab0c
	s_mov_b32 s5, 0x3e928af3
	v_fma_f64 v[83:84], v[13:14], s[40:41], s[4:5]
	s_mov_b32 s4, 0x623fde64
	s_mov_b32 s5, 0x3ec71dee
	;; [unrolled: 3-line block ×9, first 2 shown]
	v_fma_f64 v[83:84], v[13:14], v[83:84], s[4:5]
	v_cmp_nlt_f64_e64 s4, 0x40900000, v[9:10]
	v_cmp_ngt_f64_e64 s5, 0xc090cc00, v[9:10]
	v_fma_f64 v[83:84], v[13:14], v[83:84], 1.0
	v_fma_f64 v[11:12], v[13:14], v[83:84], 1.0
	v_ldexp_f64 v[11:12], v[11:12], v85
	v_cndmask_b32_e64 v12, 0x7ff00000, v12, s4
	s_and_b32 s4, s5, s4
	v_cndmask_b32_e64 v13, 0, v11, s4
	v_cndmask_b32_e64 v14, 0, v12, s5
	v_add_f64 v[37:38], v[37:38], v[13:14]
.LBB694_311:
	s_or_b32 exec_lo, exec_lo, s39
.LBB694_312:
	s_or_b32 exec_lo, exec_lo, s34
	v_mov_b32_e32 v9, 0
	v_mov_b32_e32 v11, 0
	;; [unrolled: 1-line block ×4, first 2 shown]
	s_and_saveexec_b32 s34, s38
	s_cbranch_execz .LBB694_316
; %bb.313:
	global_load_ubyte v11, v[5:6], off offset:1920
	s_waitcnt vmcnt(0)
	v_and_b32_e32 v11, 1, v11
	v_cmp_eq_u32_e64 s4, 1, v11
	v_mov_b32_e32 v11, 0
	v_mov_b32_e32 v12, 0
	s_xor_b32 s4, s4, -1
	s_and_saveexec_b32 s38, s4
	s_cbranch_execz .LBB694_315
; %bb.314:
	v_add_f64 v[7:8], v[7:8], -v[39:40]
	s_mov_b32 s4, 0x652b82fe
	s_mov_b32 s5, 0x3ff71547
	;; [unrolled: 1-line block ×4, first 2 shown]
	v_mul_f64 v[11:12], v[7:8], s[4:5]
	s_mov_b32 s4, 0xfefa39ef
	s_mov_b32 s5, 0xbfe62e42
	v_rndne_f64_e32 v[11:12], v[11:12]
	v_fma_f64 v[83:84], v[11:12], s[4:5], v[7:8]
	s_mov_b32 s4, 0x3b39803f
	s_mov_b32 s5, 0xbc7abc9e
	v_cvt_i32_f64_e32 v87, v[11:12]
	v_fma_f64 v[83:84], v[11:12], s[4:5], v[83:84]
	s_mov_b32 s4, 0xfca7ab0c
	s_mov_b32 s5, 0x3e928af3
	v_fma_f64 v[85:86], v[83:84], s[40:41], s[4:5]
	s_mov_b32 s4, 0x623fde64
	s_mov_b32 s5, 0x3ec71dee
	;; [unrolled: 3-line block ×9, first 2 shown]
	v_fma_f64 v[85:86], v[83:84], v[85:86], s[4:5]
	v_cmp_nlt_f64_e64 s4, 0x40900000, v[7:8]
	v_cmp_ngt_f64_e64 s5, 0xc090cc00, v[7:8]
	v_fma_f64 v[85:86], v[83:84], v[85:86], 1.0
	v_fma_f64 v[11:12], v[83:84], v[85:86], 1.0
	v_ldexp_f64 v[11:12], v[11:12], v87
	v_cndmask_b32_e64 v12, 0x7ff00000, v12, s4
	s_and_b32 s4, s5, s4
	v_cndmask_b32_e64 v11, 0, v11, s4
	v_cndmask_b32_e64 v12, 0, v12, s5
	v_add_f64 v[37:38], v[37:38], v[11:12]
.LBB694_315:
	s_or_b32 exec_lo, exec_lo, s38
.LBB694_316:
	s_or_b32 exec_lo, exec_lo, s34
	s_and_saveexec_b32 s34, s35
	s_cbranch_execz .LBB694_320
; %bb.317:
	global_load_ubyte v5, v[5:6], off offset:1984
	v_mov_b32_e32 v9, 0
	v_mov_b32_e32 v10, 0
	s_waitcnt vmcnt(0)
	v_and_b32_e32 v5, 1, v5
	v_cmp_eq_u32_e64 s4, 1, v5
	s_xor_b32 s4, s4, -1
	s_and_saveexec_b32 s35, s4
	s_cbranch_execz .LBB694_319
; %bb.318:
	v_add_f64 v[3:4], v[3:4], -v[39:40]
	s_mov_b32 s4, 0x652b82fe
	s_mov_b32 s5, 0x3ff71547
	s_mov_b32 s38, 0x6a5dcb37
	s_mov_b32 s39, 0x3e5ade15
	v_mul_f64 v[5:6], v[3:4], s[4:5]
	s_mov_b32 s4, 0xfefa39ef
	s_mov_b32 s5, 0xbfe62e42
	v_rndne_f64_e32 v[5:6], v[5:6]
	v_fma_f64 v[7:8], v[5:6], s[4:5], v[3:4]
	s_mov_b32 s4, 0x3b39803f
	s_mov_b32 s5, 0xbc7abc9e
	v_cvt_i32_f64_e32 v39, v[5:6]
	v_fma_f64 v[7:8], v[5:6], s[4:5], v[7:8]
	s_mov_b32 s4, 0xfca7ab0c
	s_mov_b32 s5, 0x3e928af3
	v_fma_f64 v[9:10], v[7:8], s[38:39], s[4:5]
	s_mov_b32 s4, 0x623fde64
	s_mov_b32 s5, 0x3ec71dee
	;; [unrolled: 3-line block ×9, first 2 shown]
	v_fma_f64 v[9:10], v[7:8], v[9:10], s[4:5]
	v_cmp_nlt_f64_e64 s4, 0x40900000, v[3:4]
	v_cmp_ngt_f64_e64 s5, 0xc090cc00, v[3:4]
	v_fma_f64 v[9:10], v[7:8], v[9:10], 1.0
	v_fma_f64 v[5:6], v[7:8], v[9:10], 1.0
	v_ldexp_f64 v[5:6], v[5:6], v39
	v_cndmask_b32_e64 v6, 0x7ff00000, v6, s4
	s_and_b32 s4, s5, s4
	v_cndmask_b32_e64 v9, 0, v5, s4
	v_cndmask_b32_e64 v10, 0, v6, s5
	v_add_f64 v[37:38], v[37:38], v[9:10]
.LBB694_319:
	s_or_b32 exec_lo, exec_lo, s35
.LBB694_320:
	s_or_b32 exec_lo, exec_lo, s34
	ds_bpermute_b32 v3, v0, v37
	ds_bpermute_b32 v4, v0, v38
	s_mov_b32 s5, exec_lo
	s_waitcnt lgkmcnt(0)
	v_add_f64 v[3:4], v[37:38], v[3:4]
	ds_bpermute_b32 v5, v78, v3
	ds_bpermute_b32 v6, v78, v4
	s_waitcnt lgkmcnt(0)
	v_add_f64 v[3:4], v[3:4], v[5:6]
	ds_bpermute_b32 v5, v79, v3
	ds_bpermute_b32 v6, v79, v4
	;; [unrolled: 4-line block ×5, first 2 shown]
	v_cmpx_lt_i32_e32 0, v77
	s_cbranch_execz .LBB694_354
; %bb.321:
	s_and_b32 exec_lo, exec_lo, vcc_lo
	s_cbranch_execz .LBB694_354
; %bb.322:
	s_waitcnt lgkmcnt(0)
	v_add_f64 v[3:4], v[3:4], v[5:6]
	v_div_scale_f64 v[5:6], null, v[3:4], v[3:4], v[33:34]
	v_div_scale_f64 v[39:40], vcc_lo, v[33:34], v[3:4], v[33:34]
	v_cmp_eq_f64_e64 s4, 0, v[3:4]
	v_rcp_f64_e32 v[7:8], v[5:6]
	v_fma_f64 v[37:38], -v[5:6], v[7:8], 1.0
	v_fma_f64 v[7:8], v[7:8], v[37:38], v[7:8]
	v_fma_f64 v[37:38], -v[5:6], v[7:8], 1.0
	v_fma_f64 v[7:8], v[7:8], v[37:38], v[7:8]
	v_mul_f64 v[37:38], v[39:40], v[7:8]
	v_fma_f64 v[5:6], -v[5:6], v[37:38], v[39:40]
	v_div_fmas_f64 v[5:6], v[5:6], v[7:8], v[37:38]
	v_add_co_u32 v0, vcc_lo, s36, v1
	v_add_co_ci_u32_e64 v1, null, s37, v2, vcc_lo
	v_div_fixup_f64 v[5:6], v[5:6], v[3:4], v[33:34]
	v_cndmask_b32_e64 v6, v6, 0x7ff80000, s4
	v_cndmask_b32_e64 v5, v5, 0, s4
	global_store_dwordx2 v[0:1], v[5:6], off
	s_and_b32 exec_lo, exec_lo, s33
	s_cbranch_execz .LBB694_354
; %bb.323:
	v_div_scale_f64 v[5:6], null, v[3:4], v[3:4], v[31:32]
	v_div_scale_f64 v[37:38], vcc_lo, v[31:32], v[3:4], v[31:32]
	v_rcp_f64_e32 v[7:8], v[5:6]
	v_fma_f64 v[33:34], -v[5:6], v[7:8], 1.0
	v_fma_f64 v[7:8], v[7:8], v[33:34], v[7:8]
	v_fma_f64 v[33:34], -v[5:6], v[7:8], 1.0
	v_fma_f64 v[7:8], v[7:8], v[33:34], v[7:8]
	v_mul_f64 v[33:34], v[37:38], v[7:8]
	v_fma_f64 v[5:6], -v[5:6], v[33:34], v[37:38]
	v_div_fmas_f64 v[5:6], v[5:6], v[7:8], v[33:34]
	v_div_fixup_f64 v[5:6], v[5:6], v[3:4], v[31:32]
	v_cndmask_b32_e64 v6, v6, 0x7ff80000, s4
	v_cndmask_b32_e64 v5, v5, 0, s4
	global_store_dwordx2 v[0:1], v[5:6], off offset:512
	s_and_b32 exec_lo, exec_lo, s31
	s_cbranch_execz .LBB694_354
; %bb.324:
	v_div_scale_f64 v[5:6], null, v[3:4], v[3:4], v[45:46]
	v_div_scale_f64 v[33:34], vcc_lo, v[45:46], v[3:4], v[45:46]
	v_rcp_f64_e32 v[7:8], v[5:6]
	v_fma_f64 v[31:32], -v[5:6], v[7:8], 1.0
	v_fma_f64 v[7:8], v[7:8], v[31:32], v[7:8]
	v_fma_f64 v[31:32], -v[5:6], v[7:8], 1.0
	v_fma_f64 v[7:8], v[7:8], v[31:32], v[7:8]
	v_mul_f64 v[31:32], v[33:34], v[7:8]
	v_fma_f64 v[5:6], -v[5:6], v[31:32], v[33:34]
	v_div_fmas_f64 v[5:6], v[5:6], v[7:8], v[31:32]
	v_div_fixup_f64 v[5:6], v[5:6], v[3:4], v[45:46]
	v_cndmask_b32_e64 v6, v6, 0x7ff80000, s4
	v_cndmask_b32_e64 v5, v5, 0, s4
	global_store_dwordx2 v[0:1], v[5:6], off offset:1024
	s_and_b32 exec_lo, exec_lo, s30
	s_cbranch_execz .LBB694_354
; %bb.325:
	v_div_scale_f64 v[5:6], null, v[3:4], v[3:4], v[43:44]
	v_div_scale_f64 v[33:34], vcc_lo, v[43:44], v[3:4], v[43:44]
	v_rcp_f64_e32 v[7:8], v[5:6]
	v_fma_f64 v[31:32], -v[5:6], v[7:8], 1.0
	v_fma_f64 v[7:8], v[7:8], v[31:32], v[7:8]
	v_fma_f64 v[31:32], -v[5:6], v[7:8], 1.0
	v_fma_f64 v[7:8], v[7:8], v[31:32], v[7:8]
	v_mul_f64 v[31:32], v[33:34], v[7:8]
	v_fma_f64 v[5:6], -v[5:6], v[31:32], v[33:34]
	v_div_fmas_f64 v[5:6], v[5:6], v[7:8], v[31:32]
	v_div_fixup_f64 v[5:6], v[5:6], v[3:4], v[43:44]
	v_cndmask_b32_e64 v6, v6, 0x7ff80000, s4
	v_cndmask_b32_e64 v5, v5, 0, s4
	global_store_dwordx2 v[0:1], v[5:6], off offset:1536
	s_and_b32 exec_lo, exec_lo, s29
	s_cbranch_execz .LBB694_354
; %bb.326:
	v_div_scale_f64 v[5:6], null, v[3:4], v[3:4], v[53:54]
	v_div_scale_f64 v[33:34], vcc_lo, v[53:54], v[3:4], v[53:54]
	v_rcp_f64_e32 v[7:8], v[5:6]
	v_fma_f64 v[31:32], -v[5:6], v[7:8], 1.0
	v_fma_f64 v[7:8], v[7:8], v[31:32], v[7:8]
	v_fma_f64 v[31:32], -v[5:6], v[7:8], 1.0
	v_fma_f64 v[7:8], v[7:8], v[31:32], v[7:8]
	v_mul_f64 v[31:32], v[33:34], v[7:8]
	v_fma_f64 v[5:6], -v[5:6], v[31:32], v[33:34]
	v_div_fmas_f64 v[5:6], v[5:6], v[7:8], v[31:32]
	v_div_fixup_f64 v[5:6], v[5:6], v[3:4], v[53:54]
	v_cndmask_b32_e64 v7, v5, 0, s4
	v_add_co_u32 v5, vcc_lo, 0x800, v0
	v_cndmask_b32_e64 v8, v6, 0x7ff80000, s4
	v_add_co_ci_u32_e64 v6, null, 0, v1, vcc_lo
	global_store_dwordx2 v[5:6], v[7:8], off
	s_and_b32 exec_lo, exec_lo, s28
	s_cbranch_execz .LBB694_354
; %bb.327:
	v_div_scale_f64 v[7:8], null, v[3:4], v[3:4], v[51:52]
	v_div_scale_f64 v[37:38], vcc_lo, v[51:52], v[3:4], v[51:52]
	v_rcp_f64_e32 v[31:32], v[7:8]
	v_fma_f64 v[33:34], -v[7:8], v[31:32], 1.0
	v_fma_f64 v[31:32], v[31:32], v[33:34], v[31:32]
	v_fma_f64 v[33:34], -v[7:8], v[31:32], 1.0
	v_fma_f64 v[31:32], v[31:32], v[33:34], v[31:32]
	v_mul_f64 v[33:34], v[37:38], v[31:32]
	v_fma_f64 v[7:8], -v[7:8], v[33:34], v[37:38]
	v_div_fmas_f64 v[7:8], v[7:8], v[31:32], v[33:34]
	v_div_fixup_f64 v[7:8], v[7:8], v[3:4], v[51:52]
	v_cndmask_b32_e64 v8, v8, 0x7ff80000, s4
	v_cndmask_b32_e64 v7, v7, 0, s4
	global_store_dwordx2 v[5:6], v[7:8], off offset:512
	s_and_b32 exec_lo, exec_lo, s27
	s_cbranch_execz .LBB694_354
; %bb.328:
	v_div_scale_f64 v[7:8], null, v[3:4], v[3:4], v[61:62]
	v_div_scale_f64 v[37:38], vcc_lo, v[61:62], v[3:4], v[61:62]
	v_rcp_f64_e32 v[31:32], v[7:8]
	v_fma_f64 v[33:34], -v[7:8], v[31:32], 1.0
	v_fma_f64 v[31:32], v[31:32], v[33:34], v[31:32]
	v_fma_f64 v[33:34], -v[7:8], v[31:32], 1.0
	v_fma_f64 v[31:32], v[31:32], v[33:34], v[31:32]
	v_mul_f64 v[33:34], v[37:38], v[31:32]
	v_fma_f64 v[7:8], -v[7:8], v[33:34], v[37:38]
	v_div_fmas_f64 v[7:8], v[7:8], v[31:32], v[33:34]
	v_div_fixup_f64 v[7:8], v[7:8], v[3:4], v[61:62]
	v_cndmask_b32_e64 v8, v8, 0x7ff80000, s4
	v_cndmask_b32_e64 v7, v7, 0, s4
	global_store_dwordx2 v[5:6], v[7:8], off offset:1024
	;; [unrolled: 17-line block ×3, first 2 shown]
	s_and_b32 exec_lo, exec_lo, s25
	s_cbranch_execz .LBB694_354
; %bb.330:
	v_div_scale_f64 v[5:6], null, v[3:4], v[3:4], v[69:70]
	v_div_scale_f64 v[33:34], vcc_lo, v[69:70], v[3:4], v[69:70]
	v_rcp_f64_e32 v[7:8], v[5:6]
	v_fma_f64 v[31:32], -v[5:6], v[7:8], 1.0
	v_fma_f64 v[7:8], v[7:8], v[31:32], v[7:8]
	v_fma_f64 v[31:32], -v[5:6], v[7:8], 1.0
	v_fma_f64 v[7:8], v[7:8], v[31:32], v[7:8]
	v_mul_f64 v[31:32], v[33:34], v[7:8]
	v_fma_f64 v[5:6], -v[5:6], v[31:32], v[33:34]
	v_div_fmas_f64 v[5:6], v[5:6], v[7:8], v[31:32]
	v_div_fixup_f64 v[5:6], v[5:6], v[3:4], v[69:70]
	v_cndmask_b32_e64 v7, v5, 0, s4
	v_add_co_u32 v5, vcc_lo, 0x1000, v0
	v_cndmask_b32_e64 v8, v6, 0x7ff80000, s4
	v_add_co_ci_u32_e64 v6, null, 0, v1, vcc_lo
	global_store_dwordx2 v[5:6], v[7:8], off
	s_and_b32 exec_lo, exec_lo, s24
	s_cbranch_execz .LBB694_354
; %bb.331:
	v_div_scale_f64 v[7:8], null, v[3:4], v[3:4], v[67:68]
	v_div_scale_f64 v[37:38], vcc_lo, v[67:68], v[3:4], v[67:68]
	v_rcp_f64_e32 v[31:32], v[7:8]
	v_fma_f64 v[33:34], -v[7:8], v[31:32], 1.0
	v_fma_f64 v[31:32], v[31:32], v[33:34], v[31:32]
	v_fma_f64 v[33:34], -v[7:8], v[31:32], 1.0
	v_fma_f64 v[31:32], v[31:32], v[33:34], v[31:32]
	v_mul_f64 v[33:34], v[37:38], v[31:32]
	v_fma_f64 v[7:8], -v[7:8], v[33:34], v[37:38]
	v_div_fmas_f64 v[7:8], v[7:8], v[31:32], v[33:34]
	v_div_fixup_f64 v[7:8], v[7:8], v[3:4], v[67:68]
	v_cndmask_b32_e64 v8, v8, 0x7ff80000, s4
	v_cndmask_b32_e64 v7, v7, 0, s4
	global_store_dwordx2 v[5:6], v[7:8], off offset:512
	s_and_b32 exec_lo, exec_lo, s23
	s_cbranch_execz .LBB694_354
; %bb.332:
	v_div_scale_f64 v[7:8], null, v[3:4], v[3:4], v[75:76]
	v_div_scale_f64 v[37:38], vcc_lo, v[75:76], v[3:4], v[75:76]
	v_rcp_f64_e32 v[31:32], v[7:8]
	v_fma_f64 v[33:34], -v[7:8], v[31:32], 1.0
	v_fma_f64 v[31:32], v[31:32], v[33:34], v[31:32]
	v_fma_f64 v[33:34], -v[7:8], v[31:32], 1.0
	v_fma_f64 v[31:32], v[31:32], v[33:34], v[31:32]
	v_mul_f64 v[33:34], v[37:38], v[31:32]
	v_fma_f64 v[7:8], -v[7:8], v[33:34], v[37:38]
	v_div_fmas_f64 v[7:8], v[7:8], v[31:32], v[33:34]
	v_div_fixup_f64 v[7:8], v[7:8], v[3:4], v[75:76]
	v_cndmask_b32_e64 v8, v8, 0x7ff80000, s4
	v_cndmask_b32_e64 v7, v7, 0, s4
	global_store_dwordx2 v[5:6], v[7:8], off offset:1024
	;; [unrolled: 17-line block ×3, first 2 shown]
	s_and_b32 exec_lo, exec_lo, s21
	s_cbranch_execz .LBB694_354
; %bb.334:
	v_div_scale_f64 v[5:6], null, v[3:4], v[3:4], v[71:72]
	v_div_scale_f64 v[33:34], vcc_lo, v[71:72], v[3:4], v[71:72]
	v_rcp_f64_e32 v[7:8], v[5:6]
	v_fma_f64 v[31:32], -v[5:6], v[7:8], 1.0
	v_fma_f64 v[7:8], v[7:8], v[31:32], v[7:8]
	v_fma_f64 v[31:32], -v[5:6], v[7:8], 1.0
	v_fma_f64 v[7:8], v[7:8], v[31:32], v[7:8]
	v_mul_f64 v[31:32], v[33:34], v[7:8]
	v_fma_f64 v[5:6], -v[5:6], v[31:32], v[33:34]
	v_div_fmas_f64 v[5:6], v[5:6], v[7:8], v[31:32]
	v_div_fixup_f64 v[5:6], v[5:6], v[3:4], v[71:72]
	v_cndmask_b32_e64 v7, v5, 0, s4
	v_add_co_u32 v5, vcc_lo, 0x1800, v0
	v_cndmask_b32_e64 v8, v6, 0x7ff80000, s4
	v_add_co_ci_u32_e64 v6, null, 0, v1, vcc_lo
	global_store_dwordx2 v[5:6], v[7:8], off
	s_and_b32 exec_lo, exec_lo, s20
	s_cbranch_execz .LBB694_354
; %bb.335:
	v_div_scale_f64 v[7:8], null, v[3:4], v[3:4], v[65:66]
	v_div_scale_f64 v[37:38], vcc_lo, v[65:66], v[3:4], v[65:66]
	v_rcp_f64_e32 v[31:32], v[7:8]
	v_fma_f64 v[33:34], -v[7:8], v[31:32], 1.0
	v_fma_f64 v[31:32], v[31:32], v[33:34], v[31:32]
	v_fma_f64 v[33:34], -v[7:8], v[31:32], 1.0
	v_fma_f64 v[31:32], v[31:32], v[33:34], v[31:32]
	v_mul_f64 v[33:34], v[37:38], v[31:32]
	v_fma_f64 v[7:8], -v[7:8], v[33:34], v[37:38]
	v_div_fmas_f64 v[7:8], v[7:8], v[31:32], v[33:34]
	v_div_fixup_f64 v[7:8], v[7:8], v[3:4], v[65:66]
	v_cndmask_b32_e64 v8, v8, 0x7ff80000, s4
	v_cndmask_b32_e64 v7, v7, 0, s4
	global_store_dwordx2 v[5:6], v[7:8], off offset:512
	s_and_b32 exec_lo, exec_lo, s19
	s_cbranch_execz .LBB694_354
; %bb.336:
	v_div_scale_f64 v[7:8], null, v[3:4], v[3:4], v[63:64]
	v_div_scale_f64 v[37:38], vcc_lo, v[63:64], v[3:4], v[63:64]
	v_rcp_f64_e32 v[31:32], v[7:8]
	v_fma_f64 v[33:34], -v[7:8], v[31:32], 1.0
	v_fma_f64 v[31:32], v[31:32], v[33:34], v[31:32]
	v_fma_f64 v[33:34], -v[7:8], v[31:32], 1.0
	v_fma_f64 v[31:32], v[31:32], v[33:34], v[31:32]
	v_mul_f64 v[33:34], v[37:38], v[31:32]
	v_fma_f64 v[7:8], -v[7:8], v[33:34], v[37:38]
	v_div_fmas_f64 v[7:8], v[7:8], v[31:32], v[33:34]
	v_div_fixup_f64 v[7:8], v[7:8], v[3:4], v[63:64]
	v_cndmask_b32_e64 v8, v8, 0x7ff80000, s4
	v_cndmask_b32_e64 v7, v7, 0, s4
	global_store_dwordx2 v[5:6], v[7:8], off offset:1024
	s_and_b32 exec_lo, exec_lo, s18
	s_cbranch_execz .LBB694_354
; %bb.337:
	v_div_scale_f64 v[7:8], null, v[3:4], v[3:4], v[57:58]
	v_div_scale_f64 v[37:38], vcc_lo, v[57:58], v[3:4], v[57:58]
	v_rcp_f64_e32 v[31:32], v[7:8]
	v_fma_f64 v[33:34], -v[7:8], v[31:32], 1.0
	v_fma_f64 v[31:32], v[31:32], v[33:34], v[31:32]
	v_fma_f64 v[33:34], -v[7:8], v[31:32], 1.0
	v_fma_f64 v[31:32], v[31:32], v[33:34], v[31:32]
	v_mul_f64 v[33:34], v[37:38], v[31:32]
	v_fma_f64 v[7:8], -v[7:8], v[33:34], v[37:38]
	v_div_fmas_f64 v[7:8], v[7:8], v[31:32], v[33:34]
	v_div_fixup_f64 v[7:8], v[7:8], v[3:4], v[57:58]
	v_cndmask_b32_e64 v8, v8, 0x7ff80000, s4
	v_cndmask_b32_e64 v7, v7, 0, s4
	global_store_dwordx2 v[5:6], v[7:8], off offset:1536
	s_and_b32 exec_lo, exec_lo, s17
	s_cbranch_execz .LBB694_354
; %bb.338:
	v_div_scale_f64 v[5:6], null, v[3:4], v[3:4], v[55:56]
	v_div_scale_f64 v[33:34], vcc_lo, v[55:56], v[3:4], v[55:56]
	v_rcp_f64_e32 v[7:8], v[5:6]
	v_fma_f64 v[31:32], -v[5:6], v[7:8], 1.0
	v_fma_f64 v[7:8], v[7:8], v[31:32], v[7:8]
	v_fma_f64 v[31:32], -v[5:6], v[7:8], 1.0
	v_fma_f64 v[7:8], v[7:8], v[31:32], v[7:8]
	v_mul_f64 v[31:32], v[33:34], v[7:8]
	v_fma_f64 v[5:6], -v[5:6], v[31:32], v[33:34]
	v_div_fmas_f64 v[5:6], v[5:6], v[7:8], v[31:32]
	v_div_fixup_f64 v[5:6], v[5:6], v[3:4], v[55:56]
	v_cndmask_b32_e64 v7, v5, 0, s4
	v_add_co_u32 v5, vcc_lo, 0x2000, v0
	v_cndmask_b32_e64 v8, v6, 0x7ff80000, s4
	v_add_co_ci_u32_e64 v6, null, 0, v1, vcc_lo
	global_store_dwordx2 v[5:6], v[7:8], off
	s_and_b32 exec_lo, exec_lo, s16
	s_cbranch_execz .LBB694_354
; %bb.339:
	v_div_scale_f64 v[7:8], null, v[3:4], v[3:4], v[49:50]
	v_div_scale_f64 v[37:38], vcc_lo, v[49:50], v[3:4], v[49:50]
	v_rcp_f64_e32 v[31:32], v[7:8]
	v_fma_f64 v[33:34], -v[7:8], v[31:32], 1.0
	v_fma_f64 v[31:32], v[31:32], v[33:34], v[31:32]
	v_fma_f64 v[33:34], -v[7:8], v[31:32], 1.0
	v_fma_f64 v[31:32], v[31:32], v[33:34], v[31:32]
	v_mul_f64 v[33:34], v[37:38], v[31:32]
	v_fma_f64 v[7:8], -v[7:8], v[33:34], v[37:38]
	v_div_fmas_f64 v[7:8], v[7:8], v[31:32], v[33:34]
	v_div_fixup_f64 v[7:8], v[7:8], v[3:4], v[49:50]
	v_cndmask_b32_e64 v8, v8, 0x7ff80000, s4
	v_cndmask_b32_e64 v7, v7, 0, s4
	global_store_dwordx2 v[5:6], v[7:8], off offset:512
	s_and_b32 exec_lo, exec_lo, s15
	s_cbranch_execz .LBB694_354
; %bb.340:
	v_div_scale_f64 v[7:8], null, v[3:4], v[3:4], v[47:48]
	v_div_scale_f64 v[37:38], vcc_lo, v[47:48], v[3:4], v[47:48]
	v_rcp_f64_e32 v[31:32], v[7:8]
	v_fma_f64 v[33:34], -v[7:8], v[31:32], 1.0
	v_fma_f64 v[31:32], v[31:32], v[33:34], v[31:32]
	v_fma_f64 v[33:34], -v[7:8], v[31:32], 1.0
	v_fma_f64 v[31:32], v[31:32], v[33:34], v[31:32]
	v_mul_f64 v[33:34], v[37:38], v[31:32]
	v_fma_f64 v[7:8], -v[7:8], v[33:34], v[37:38]
	v_div_fmas_f64 v[7:8], v[7:8], v[31:32], v[33:34]
	v_div_fixup_f64 v[7:8], v[7:8], v[3:4], v[47:48]
	v_cndmask_b32_e64 v8, v8, 0x7ff80000, s4
	v_cndmask_b32_e64 v7, v7, 0, s4
	global_store_dwordx2 v[5:6], v[7:8], off offset:1024
	;; [unrolled: 17-line block ×3, first 2 shown]
	s_and_b32 exec_lo, exec_lo, s13
	s_cbranch_execz .LBB694_354
; %bb.342:
	v_div_scale_f64 v[5:6], null, v[3:4], v[3:4], v[35:36]
	v_div_scale_f64 v[33:34], vcc_lo, v[35:36], v[3:4], v[35:36]
	v_rcp_f64_e32 v[7:8], v[5:6]
	v_fma_f64 v[31:32], -v[5:6], v[7:8], 1.0
	v_fma_f64 v[7:8], v[7:8], v[31:32], v[7:8]
	v_fma_f64 v[31:32], -v[5:6], v[7:8], 1.0
	v_fma_f64 v[7:8], v[7:8], v[31:32], v[7:8]
	v_mul_f64 v[31:32], v[33:34], v[7:8]
	v_fma_f64 v[5:6], -v[5:6], v[31:32], v[33:34]
	v_div_fmas_f64 v[5:6], v[5:6], v[7:8], v[31:32]
	v_div_fixup_f64 v[5:6], v[5:6], v[3:4], v[35:36]
	v_cndmask_b32_e64 v7, v5, 0, s4
	v_add_co_u32 v5, vcc_lo, 0x2800, v0
	v_cndmask_b32_e64 v8, v6, 0x7ff80000, s4
	v_add_co_ci_u32_e64 v6, null, 0, v1, vcc_lo
	global_store_dwordx2 v[5:6], v[7:8], off
	s_and_b32 exec_lo, exec_lo, s12
	s_cbranch_execz .LBB694_354
; %bb.343:
	v_div_scale_f64 v[7:8], null, v[3:4], v[3:4], v[29:30]
	v_div_scale_f64 v[35:36], vcc_lo, v[29:30], v[3:4], v[29:30]
	v_rcp_f64_e32 v[31:32], v[7:8]
	v_fma_f64 v[33:34], -v[7:8], v[31:32], 1.0
	v_fma_f64 v[31:32], v[31:32], v[33:34], v[31:32]
	v_fma_f64 v[33:34], -v[7:8], v[31:32], 1.0
	v_fma_f64 v[31:32], v[31:32], v[33:34], v[31:32]
	v_mul_f64 v[33:34], v[35:36], v[31:32]
	v_fma_f64 v[7:8], -v[7:8], v[33:34], v[35:36]
	v_div_fmas_f64 v[7:8], v[7:8], v[31:32], v[33:34]
	v_div_fixup_f64 v[7:8], v[7:8], v[3:4], v[29:30]
	v_cndmask_b32_e64 v8, v8, 0x7ff80000, s4
	v_cndmask_b32_e64 v7, v7, 0, s4
	global_store_dwordx2 v[5:6], v[7:8], off offset:512
	s_and_b32 exec_lo, exec_lo, s11
	s_cbranch_execz .LBB694_354
; %bb.344:
	v_div_scale_f64 v[7:8], null, v[3:4], v[3:4], v[27:28]
	v_div_scale_f64 v[33:34], vcc_lo, v[27:28], v[3:4], v[27:28]
	v_rcp_f64_e32 v[29:30], v[7:8]
	v_fma_f64 v[31:32], -v[7:8], v[29:30], 1.0
	v_fma_f64 v[29:30], v[29:30], v[31:32], v[29:30]
	v_fma_f64 v[31:32], -v[7:8], v[29:30], 1.0
	v_fma_f64 v[29:30], v[29:30], v[31:32], v[29:30]
	v_mul_f64 v[31:32], v[33:34], v[29:30]
	v_fma_f64 v[7:8], -v[7:8], v[31:32], v[33:34]
	v_div_fmas_f64 v[7:8], v[7:8], v[29:30], v[31:32]
	v_div_fixup_f64 v[7:8], v[7:8], v[3:4], v[27:28]
	v_cndmask_b32_e64 v8, v8, 0x7ff80000, s4
	v_cndmask_b32_e64 v7, v7, 0, s4
	global_store_dwordx2 v[5:6], v[7:8], off offset:1024
	;; [unrolled: 17-line block ×3, first 2 shown]
	s_and_b32 exec_lo, exec_lo, s9
	s_cbranch_execz .LBB694_354
; %bb.346:
	v_div_scale_f64 v[5:6], null, v[3:4], v[3:4], v[23:24]
	v_div_scale_f64 v[27:28], vcc_lo, v[23:24], v[3:4], v[23:24]
	v_rcp_f64_e32 v[7:8], v[5:6]
	v_fma_f64 v[25:26], -v[5:6], v[7:8], 1.0
	v_fma_f64 v[7:8], v[7:8], v[25:26], v[7:8]
	v_fma_f64 v[25:26], -v[5:6], v[7:8], 1.0
	v_fma_f64 v[7:8], v[7:8], v[25:26], v[7:8]
	v_mul_f64 v[25:26], v[27:28], v[7:8]
	v_fma_f64 v[5:6], -v[5:6], v[25:26], v[27:28]
	v_div_fmas_f64 v[5:6], v[5:6], v[7:8], v[25:26]
	v_div_fixup_f64 v[5:6], v[5:6], v[3:4], v[23:24]
	v_cndmask_b32_e64 v7, v5, 0, s4
	v_add_co_u32 v5, vcc_lo, 0x3000, v0
	v_cndmask_b32_e64 v8, v6, 0x7ff80000, s4
	v_add_co_ci_u32_e64 v6, null, 0, v1, vcc_lo
	global_store_dwordx2 v[5:6], v[7:8], off
	s_and_b32 exec_lo, exec_lo, s8
	s_cbranch_execz .LBB694_354
; %bb.347:
	v_div_scale_f64 v[7:8], null, v[3:4], v[3:4], v[21:22]
	v_div_scale_f64 v[27:28], vcc_lo, v[21:22], v[3:4], v[21:22]
	v_rcp_f64_e32 v[23:24], v[7:8]
	v_fma_f64 v[25:26], -v[7:8], v[23:24], 1.0
	v_fma_f64 v[23:24], v[23:24], v[25:26], v[23:24]
	v_fma_f64 v[25:26], -v[7:8], v[23:24], 1.0
	v_fma_f64 v[23:24], v[23:24], v[25:26], v[23:24]
	v_mul_f64 v[25:26], v[27:28], v[23:24]
	v_fma_f64 v[7:8], -v[7:8], v[25:26], v[27:28]
	v_div_fmas_f64 v[7:8], v[7:8], v[23:24], v[25:26]
	v_div_fixup_f64 v[7:8], v[7:8], v[3:4], v[21:22]
	v_cndmask_b32_e64 v8, v8, 0x7ff80000, s4
	v_cndmask_b32_e64 v7, v7, 0, s4
	global_store_dwordx2 v[5:6], v[7:8], off offset:512
	s_and_b32 exec_lo, exec_lo, s7
	s_cbranch_execz .LBB694_354
; %bb.348:
	v_div_scale_f64 v[7:8], null, v[3:4], v[3:4], v[19:20]
	v_div_scale_f64 v[25:26], vcc_lo, v[19:20], v[3:4], v[19:20]
	v_rcp_f64_e32 v[21:22], v[7:8]
	v_fma_f64 v[23:24], -v[7:8], v[21:22], 1.0
	v_fma_f64 v[21:22], v[21:22], v[23:24], v[21:22]
	v_fma_f64 v[23:24], -v[7:8], v[21:22], 1.0
	v_fma_f64 v[21:22], v[21:22], v[23:24], v[21:22]
	v_mul_f64 v[23:24], v[25:26], v[21:22]
	v_fma_f64 v[7:8], -v[7:8], v[23:24], v[25:26]
	v_div_fmas_f64 v[7:8], v[7:8], v[21:22], v[23:24]
	v_div_fixup_f64 v[7:8], v[7:8], v[3:4], v[19:20]
	v_cndmask_b32_e64 v8, v8, 0x7ff80000, s4
	v_cndmask_b32_e64 v7, v7, 0, s4
	global_store_dwordx2 v[5:6], v[7:8], off offset:1024
	;; [unrolled: 17-line block ×3, first 2 shown]
	s_and_b32 exec_lo, exec_lo, s3
	s_cbranch_execz .LBB694_354
; %bb.350:
	v_div_scale_f64 v[5:6], null, v[3:4], v[3:4], v[15:16]
	v_div_scale_f64 v[19:20], vcc_lo, v[15:16], v[3:4], v[15:16]
	v_rcp_f64_e32 v[7:8], v[5:6]
	v_fma_f64 v[17:18], -v[5:6], v[7:8], 1.0
	v_fma_f64 v[7:8], v[7:8], v[17:18], v[7:8]
	v_fma_f64 v[17:18], -v[5:6], v[7:8], 1.0
	v_fma_f64 v[7:8], v[7:8], v[17:18], v[7:8]
	v_mul_f64 v[17:18], v[19:20], v[7:8]
	v_fma_f64 v[5:6], -v[5:6], v[17:18], v[19:20]
	v_div_fmas_f64 v[5:6], v[5:6], v[7:8], v[17:18]
	v_add_co_u32 v0, vcc_lo, 0x3800, v0
	v_add_co_ci_u32_e64 v1, null, 0, v1, vcc_lo
	v_div_fixup_f64 v[5:6], v[5:6], v[3:4], v[15:16]
	v_cndmask_b32_e64 v6, v6, 0x7ff80000, s4
	v_cndmask_b32_e64 v5, v5, 0, s4
	global_store_dwordx2 v[0:1], v[5:6], off
	s_and_b32 exec_lo, exec_lo, s2
	s_cbranch_execz .LBB694_354
; %bb.351:
	v_div_scale_f64 v[5:6], null, v[3:4], v[3:4], v[13:14]
	v_div_scale_f64 v[17:18], vcc_lo, v[13:14], v[3:4], v[13:14]
	v_rcp_f64_e32 v[7:8], v[5:6]
	v_fma_f64 v[15:16], -v[5:6], v[7:8], 1.0
	v_fma_f64 v[7:8], v[7:8], v[15:16], v[7:8]
	v_fma_f64 v[15:16], -v[5:6], v[7:8], 1.0
	v_fma_f64 v[7:8], v[7:8], v[15:16], v[7:8]
	v_mul_f64 v[15:16], v[17:18], v[7:8]
	v_fma_f64 v[5:6], -v[5:6], v[15:16], v[17:18]
	v_div_fmas_f64 v[5:6], v[5:6], v[7:8], v[15:16]
	v_div_fixup_f64 v[5:6], v[5:6], v[3:4], v[13:14]
	v_cndmask_b32_e64 v6, v6, 0x7ff80000, s4
	v_cndmask_b32_e64 v5, v5, 0, s4
	global_store_dwordx2 v[0:1], v[5:6], off offset:512
	s_and_b32 exec_lo, exec_lo, s1
	s_cbranch_execz .LBB694_354
; %bb.352:
	v_div_scale_f64 v[5:6], null, v[3:4], v[3:4], v[11:12]
	v_div_scale_f64 v[15:16], vcc_lo, v[11:12], v[3:4], v[11:12]
	v_rcp_f64_e32 v[7:8], v[5:6]
	v_fma_f64 v[13:14], -v[5:6], v[7:8], 1.0
	v_fma_f64 v[7:8], v[7:8], v[13:14], v[7:8]
	v_fma_f64 v[13:14], -v[5:6], v[7:8], 1.0
	v_fma_f64 v[7:8], v[7:8], v[13:14], v[7:8]
	v_mul_f64 v[13:14], v[15:16], v[7:8]
	v_fma_f64 v[5:6], -v[5:6], v[13:14], v[15:16]
	v_div_fmas_f64 v[5:6], v[5:6], v[7:8], v[13:14]
	v_div_fixup_f64 v[5:6], v[5:6], v[3:4], v[11:12]
	v_cndmask_b32_e64 v6, v6, 0x7ff80000, s4
	v_cndmask_b32_e64 v5, v5, 0, s4
	global_store_dwordx2 v[0:1], v[5:6], off offset:1024
	;; [unrolled: 17-line block ×3, first 2 shown]
.LBB694_354:
	s_endpgm
	.section	.rodata,"a",@progbits
	.p2align	6, 0x0
	.amdhsa_kernel _ZN12_GLOBAL__N_120softmax_warp_forwardIdddLi11ELb0ELb1ELi64EEEvPT0_PKT_iiiPKbib
		.amdhsa_group_segment_fixed_size 0
		.amdhsa_private_segment_fixed_size 0
		.amdhsa_kernarg_size 304
		.amdhsa_user_sgpr_count 6
		.amdhsa_user_sgpr_private_segment_buffer 1
		.amdhsa_user_sgpr_dispatch_ptr 0
		.amdhsa_user_sgpr_queue_ptr 0
		.amdhsa_user_sgpr_kernarg_segment_ptr 1
		.amdhsa_user_sgpr_dispatch_id 0
		.amdhsa_user_sgpr_flat_scratch_init 0
		.amdhsa_user_sgpr_private_segment_size 0
		.amdhsa_wavefront_size32 1
		.amdhsa_uses_dynamic_stack 0
		.amdhsa_system_sgpr_private_segment_wavefront_offset 0
		.amdhsa_system_sgpr_workgroup_id_x 1
		.amdhsa_system_sgpr_workgroup_id_y 0
		.amdhsa_system_sgpr_workgroup_id_z 0
		.amdhsa_system_sgpr_workgroup_info 0
		.amdhsa_system_vgpr_workitem_id 1
		.amdhsa_next_free_vgpr 88
		.amdhsa_next_free_sgpr 72
		.amdhsa_reserve_vcc 1
		.amdhsa_reserve_flat_scratch 0
		.amdhsa_float_round_mode_32 0
		.amdhsa_float_round_mode_16_64 0
		.amdhsa_float_denorm_mode_32 3
		.amdhsa_float_denorm_mode_16_64 3
		.amdhsa_dx10_clamp 1
		.amdhsa_ieee_mode 1
		.amdhsa_fp16_overflow 0
		.amdhsa_workgroup_processor_mode 1
		.amdhsa_memory_ordered 1
		.amdhsa_forward_progress 1
		.amdhsa_shared_vgpr_count 0
		.amdhsa_exception_fp_ieee_invalid_op 0
		.amdhsa_exception_fp_denorm_src 0
		.amdhsa_exception_fp_ieee_div_zero 0
		.amdhsa_exception_fp_ieee_overflow 0
		.amdhsa_exception_fp_ieee_underflow 0
		.amdhsa_exception_fp_ieee_inexact 0
		.amdhsa_exception_int_div_zero 0
	.end_amdhsa_kernel
	.section	.text._ZN12_GLOBAL__N_120softmax_warp_forwardIdddLi11ELb0ELb1ELi64EEEvPT0_PKT_iiiPKbib,"axG",@progbits,_ZN12_GLOBAL__N_120softmax_warp_forwardIdddLi11ELb0ELb1ELi64EEEvPT0_PKT_iiiPKbib,comdat
.Lfunc_end694:
	.size	_ZN12_GLOBAL__N_120softmax_warp_forwardIdddLi11ELb0ELb1ELi64EEEvPT0_PKT_iiiPKbib, .Lfunc_end694-_ZN12_GLOBAL__N_120softmax_warp_forwardIdddLi11ELb0ELb1ELi64EEEvPT0_PKT_iiiPKbib
                                        ; -- End function
	.set _ZN12_GLOBAL__N_120softmax_warp_forwardIdddLi11ELb0ELb1ELi64EEEvPT0_PKT_iiiPKbib.num_vgpr, 88
	.set _ZN12_GLOBAL__N_120softmax_warp_forwardIdddLi11ELb0ELb1ELi64EEEvPT0_PKT_iiiPKbib.num_agpr, 0
	.set _ZN12_GLOBAL__N_120softmax_warp_forwardIdddLi11ELb0ELb1ELi64EEEvPT0_PKT_iiiPKbib.numbered_sgpr, 72
	.set _ZN12_GLOBAL__N_120softmax_warp_forwardIdddLi11ELb0ELb1ELi64EEEvPT0_PKT_iiiPKbib.num_named_barrier, 0
	.set _ZN12_GLOBAL__N_120softmax_warp_forwardIdddLi11ELb0ELb1ELi64EEEvPT0_PKT_iiiPKbib.private_seg_size, 0
	.set _ZN12_GLOBAL__N_120softmax_warp_forwardIdddLi11ELb0ELb1ELi64EEEvPT0_PKT_iiiPKbib.uses_vcc, 1
	.set _ZN12_GLOBAL__N_120softmax_warp_forwardIdddLi11ELb0ELb1ELi64EEEvPT0_PKT_iiiPKbib.uses_flat_scratch, 0
	.set _ZN12_GLOBAL__N_120softmax_warp_forwardIdddLi11ELb0ELb1ELi64EEEvPT0_PKT_iiiPKbib.has_dyn_sized_stack, 0
	.set _ZN12_GLOBAL__N_120softmax_warp_forwardIdddLi11ELb0ELb1ELi64EEEvPT0_PKT_iiiPKbib.has_recursion, 0
	.set _ZN12_GLOBAL__N_120softmax_warp_forwardIdddLi11ELb0ELb1ELi64EEEvPT0_PKT_iiiPKbib.has_indirect_call, 0
	.section	.AMDGPU.csdata,"",@progbits
; Kernel info:
; codeLenInByte = 25776
; TotalNumSgprs: 74
; NumVgprs: 88
; ScratchSize: 0
; MemoryBound: 0
; FloatMode: 240
; IeeeMode: 1
; LDSByteSize: 0 bytes/workgroup (compile time only)
; SGPRBlocks: 0
; VGPRBlocks: 10
; NumSGPRsForWavesPerEU: 74
; NumVGPRsForWavesPerEU: 88
; Occupancy: 10
; WaveLimiterHint : 0
; COMPUTE_PGM_RSRC2:SCRATCH_EN: 0
; COMPUTE_PGM_RSRC2:USER_SGPR: 6
; COMPUTE_PGM_RSRC2:TRAP_HANDLER: 0
; COMPUTE_PGM_RSRC2:TGID_X_EN: 1
; COMPUTE_PGM_RSRC2:TGID_Y_EN: 0
; COMPUTE_PGM_RSRC2:TGID_Z_EN: 0
; COMPUTE_PGM_RSRC2:TIDIG_COMP_CNT: 1
	.section	.text._ZN12_GLOBAL__N_120softmax_warp_forwardIdddLi11ELb0ELb1ELi32EEEvPT0_PKT_iiiPKbib,"axG",@progbits,_ZN12_GLOBAL__N_120softmax_warp_forwardIdddLi11ELb0ELb1ELi32EEEvPT0_PKT_iiiPKbib,comdat
	.globl	_ZN12_GLOBAL__N_120softmax_warp_forwardIdddLi11ELb0ELb1ELi32EEEvPT0_PKT_iiiPKbib ; -- Begin function _ZN12_GLOBAL__N_120softmax_warp_forwardIdddLi11ELb0ELb1ELi32EEEvPT0_PKT_iiiPKbib
	.p2align	8
	.type	_ZN12_GLOBAL__N_120softmax_warp_forwardIdddLi11ELb0ELb1ELi32EEEvPT0_PKT_iiiPKbib,@function
_ZN12_GLOBAL__N_120softmax_warp_forwardIdddLi11ELb0ELb1ELi32EEEvPT0_PKT_iiiPKbib: ; @_ZN12_GLOBAL__N_120softmax_warp_forwardIdddLi11ELb0ELb1ELi32EEEvPT0_PKT_iiiPKbib
; %bb.0:
	s_mov_b64 s[102:103], s[2:3]
	s_mov_b64 s[100:101], s[0:1]
	s_clause 0x1
	s_load_dword s0, s[4:5], 0x3c
	s_load_dwordx4 s[72:75], s[4:5], 0x10
	s_add_u32 s100, s100, s7
	s_addc_u32 s101, s101, 0
	s_waitcnt lgkmcnt(0)
	s_lshr_b32 s0, s0, 16
	v_mad_u64_u32 v[3:4], null, s6, s0, v[1:2]
	s_load_dwordx2 s[0:1], s[4:5], 0x28
	v_mul_lo_u32 v6, v3, s73
	v_add_nc_u32_e32 v4, v6, v0
	v_ashrrev_i32_e32 v5, 31, v4
	v_mov_b32_e32 v1, v4
	s_waitcnt lgkmcnt(0)
	s_bitcmp0_b32 s1, 0
	v_mov_b32_e32 v2, v5
	s_cbranch_scc1 .LBB695_2
; %bb.1:
	s_abs_i32 s1, s0
	v_sub_nc_u32_e32 v7, 0, v6
	v_cvt_f32_u32_e32 v1, s1
	s_sub_i32 s2, 0, s1
	v_max_i32_e32 v7, v6, v7
	v_rcp_iflag_f32_e32 v1, v1
	v_xor_b32_e32 v6, s0, v6
	v_ashrrev_i32_e32 v6, 31, v6
	v_mul_f32_e32 v1, 0x4f7ffffe, v1
	v_cvt_u32_f32_e32 v1, v1
	v_mul_lo_u32 v2, s2, v1
	v_mul_hi_u32 v2, v1, v2
	v_add_nc_u32_e32 v1, v1, v2
	v_mul_hi_u32 v1, v7, v1
	v_mul_lo_u32 v2, v1, s1
	v_sub_nc_u32_e32 v2, v7, v2
	v_add_nc_u32_e32 v7, 1, v1
	v_subrev_nc_u32_e32 v8, s1, v2
	v_cmp_le_u32_e32 vcc_lo, s1, v2
	v_cndmask_b32_e32 v1, v1, v7, vcc_lo
	v_cndmask_b32_e32 v2, v2, v8, vcc_lo
	v_add_nc_u32_e32 v7, 1, v1
	v_cmp_le_u32_e32 vcc_lo, s1, v2
	v_cndmask_b32_e32 v1, v1, v7, vcc_lo
	v_xor_b32_e32 v1, v1, v6
	v_sub_nc_u32_e32 v1, v1, v6
	v_mad_u64_u32 v[1:2], null, v1, s73, v[0:1]
	v_ashrrev_i32_e32 v2, 31, v1
.LBB695_2:
	s_load_dwordx4 s[68:71], s[4:5], 0x0
	v_sub_nc_u32_e32 v6, s72, v3
	v_lshlrev_b64 v[3:4], 3, v[4:5]
	v_cmp_gt_i32_e32 vcc_lo, s74, v0
	v_mov_b32_e32 v67, 0
	v_mov_b32_e32 v69, 0
	buffer_store_dword v6, off, s[100:103], 0 ; 4-byte Folded Spill
	v_cmp_lt_i32_e64 s66, 0, v6
	v_mov_b32_e32 v68, 0xfff00000
	v_mov_b32_e32 v70, 0xfff00000
	s_and_b32 s35, s66, vcc_lo
	s_waitcnt lgkmcnt(0)
	v_add_co_u32 v5, s0, s70, v3
	buffer_store_dword v3, off, s[100:103], 0 offset:156 ; 4-byte Folded Spill
	buffer_store_dword v4, off, s[100:103], 0 offset:160 ; 4-byte Folded Spill
	v_add_co_ci_u32_e64 v6, null, s71, v4, s0
	s_and_saveexec_b32 s0, s35
	s_cbranch_execz .LBB695_4
; %bb.3:
	global_load_dwordx2 v[69:70], v[5:6], off
.LBB695_4:
	s_or_b32 exec_lo, exec_lo, s0
	v_add_nc_u32_e32 v3, 32, v0
	v_cmp_gt_i32_e64 s65, s74, v3
	s_and_b32 s34, s66, s65
	s_and_saveexec_b32 s0, s34
	s_cbranch_execz .LBB695_6
; %bb.5:
	global_load_dwordx2 v[67:68], v[5:6], off offset:256
.LBB695_6:
	s_or_b32 exec_lo, exec_lo, s0
	v_add_nc_u32_e32 v3, 64, v0
	v_mov_b32_e32 v75, 0
	v_mov_b32_e32 v77, 0
	v_mov_b32_e32 v76, 0xfff00000
	v_mov_b32_e32 v78, 0xfff00000
	v_cmp_gt_i32_e64 s64, s74, v3
	s_and_b32 s33, s66, s64
	s_and_saveexec_b32 s0, s33
	s_cbranch_execz .LBB695_8
; %bb.7:
	global_load_dwordx2 v[77:78], v[5:6], off offset:512
.LBB695_8:
	s_or_b32 exec_lo, exec_lo, s0
	v_add_nc_u32_e32 v3, 0x60, v0
	v_cmp_gt_i32_e64 s63, s74, v3
	s_and_b32 s31, s66, s63
	s_and_saveexec_b32 s0, s31
	s_cbranch_execz .LBB695_10
; %bb.9:
	global_load_dwordx2 v[75:76], v[5:6], off offset:768
.LBB695_10:
	s_or_b32 exec_lo, exec_lo, s0
	v_add_nc_u32_e32 v3, 0x80, v0
	v_mov_b32_e32 v83, 0
	v_mov_b32_e32 v85, 0
	v_mov_b32_e32 v84, 0xfff00000
	v_mov_b32_e32 v86, 0xfff00000
	v_cmp_gt_i32_e64 s62, s74, v3
	s_and_b32 s30, s66, s62
	s_and_saveexec_b32 s0, s30
	s_cbranch_execz .LBB695_12
; %bb.11:
	global_load_dwordx2 v[85:86], v[5:6], off offset:1024
.LBB695_12:
	;; [unrolled: 22-line block ×3, first 2 shown]
	s_or_b32 exec_lo, exec_lo, s0
	v_add_nc_u32_e32 v3, 0xe0, v0
	v_cmp_gt_i32_e64 s59, s74, v3
	s_and_b32 s27, s66, s59
	s_and_saveexec_b32 s0, s27
	s_cbranch_execz .LBB695_18
; %bb.17:
	global_load_dwordx2 v[91:92], v[5:6], off offset:1792
.LBB695_18:
	s_or_b32 exec_lo, exec_lo, s0
	v_add_nc_u32_e32 v3, 0x100, v0
	v_mov_b32_e32 v99, 0
	v_mov_b32_e32 v101, 0
	;; [unrolled: 1-line block ×4, first 2 shown]
	v_cmp_gt_i32_e64 s58, s74, v3
	s_and_b32 s26, s66, s58
	s_and_saveexec_b32 s1, s26
	s_cbranch_execz .LBB695_20
; %bb.19:
	v_add_co_u32 v3, s0, 0x800, v5
	v_add_co_ci_u32_e64 v4, null, 0, v6, s0
	global_load_dwordx2 v[101:102], v[3:4], off
.LBB695_20:
	s_or_b32 exec_lo, exec_lo, s1
	v_add_nc_u32_e32 v3, 0x120, v0
	v_cmp_gt_i32_e64 s57, s74, v3
	s_and_b32 s25, s66, s57
	s_and_saveexec_b32 s1, s25
	s_cbranch_execz .LBB695_22
; %bb.21:
	v_add_co_u32 v3, s0, 0x800, v5
	v_add_co_ci_u32_e64 v4, null, 0, v6, s0
	global_load_dwordx2 v[99:100], v[3:4], off offset:256
.LBB695_22:
	s_or_b32 exec_lo, exec_lo, s1
	v_add_nc_u32_e32 v3, 0x140, v0
	v_mov_b32_e32 v105, 0
	v_mov_b32_e32 v109, 0
	;; [unrolled: 1-line block ×4, first 2 shown]
	v_cmp_gt_i32_e64 s56, s74, v3
	s_and_b32 s24, s66, s56
	s_and_saveexec_b32 s1, s24
	s_cbranch_execz .LBB695_24
; %bb.23:
	v_add_co_u32 v3, s0, 0x800, v5
	v_add_co_ci_u32_e64 v4, null, 0, v6, s0
	global_load_dwordx2 v[109:110], v[3:4], off offset:512
.LBB695_24:
	s_or_b32 exec_lo, exec_lo, s1
	v_add_nc_u32_e32 v3, 0x160, v0
	v_cmp_gt_i32_e64 s55, s74, v3
	s_and_b32 s23, s66, s55
	s_and_saveexec_b32 s1, s23
	s_cbranch_execz .LBB695_26
; %bb.25:
	v_add_co_u32 v3, s0, 0x800, v5
	v_add_co_ci_u32_e64 v4, null, 0, v6, s0
	global_load_dwordx2 v[105:106], v[3:4], off offset:768
.LBB695_26:
	s_or_b32 exec_lo, exec_lo, s1
	v_add_nc_u32_e32 v3, 0x180, v0
	v_mov_b32_e32 v113, 0
	v_mov_b32_e32 v117, 0
	;; [unrolled: 1-line block ×4, first 2 shown]
	v_cmp_gt_i32_e64 s54, s74, v3
	s_and_b32 s22, s66, s54
	s_and_saveexec_b32 s1, s22
	s_cbranch_execz .LBB695_28
; %bb.27:
	v_add_co_u32 v3, s0, 0x800, v5
	v_add_co_ci_u32_e64 v4, null, 0, v6, s0
	global_load_dwordx2 v[117:118], v[3:4], off offset:1024
.LBB695_28:
	s_or_b32 exec_lo, exec_lo, s1
	v_add_nc_u32_e32 v3, 0x1a0, v0
	v_cmp_gt_i32_e64 s53, s74, v3
	s_and_b32 s21, s66, s53
	s_and_saveexec_b32 s1, s21
	s_cbranch_execz .LBB695_30
; %bb.29:
	v_add_co_u32 v3, s0, 0x800, v5
	v_add_co_ci_u32_e64 v4, null, 0, v6, s0
	global_load_dwordx2 v[113:114], v[3:4], off offset:1280
.LBB695_30:
	s_or_b32 exec_lo, exec_lo, s1
	v_add_nc_u32_e32 v3, 0x1c0, v0
	v_mov_b32_e32 v121, 0
	v_mov_b32_e32 v122, 0xfff00000
	v_cmp_gt_i32_e64 s52, s74, v3
	v_mov_b32_e32 v3, 0
	v_mov_b32_e32 v4, 0xfff00000
	s_and_b32 s20, s66, s52
	s_and_saveexec_b32 s1, s20
	s_cbranch_execz .LBB695_32
; %bb.31:
	v_add_co_u32 v7, s0, 0x800, v5
	v_add_co_ci_u32_e64 v8, null, 0, v6, s0
	global_load_dwordx2 v[121:122], v[7:8], off offset:1536
.LBB695_32:
	s_or_b32 exec_lo, exec_lo, s1
	v_add_nc_u32_e32 v7, 0x1e0, v0
	v_cmp_gt_i32_e64 s51, s74, v7
	s_and_b32 s19, s66, s51
	s_and_saveexec_b32 s1, s19
	s_cbranch_execz .LBB695_34
; %bb.33:
	v_add_co_u32 v3, s0, 0x800, v5
	v_add_co_ci_u32_e64 v4, null, 0, v6, s0
	global_load_dwordx2 v[3:4], v[3:4], off offset:1792
.LBB695_34:
	s_or_b32 exec_lo, exec_lo, s1
	v_add_nc_u32_e32 v7, 0x200, v0
	v_mov_b32_e32 v9, 0
	v_mov_b32_e32 v11, 0
	;; [unrolled: 1-line block ×4, first 2 shown]
	v_cmp_gt_i32_e64 s50, s74, v7
	s_and_b32 s18, s66, s50
	s_and_saveexec_b32 s1, s18
	s_cbranch_execz .LBB695_36
; %bb.35:
	v_add_co_u32 v7, s0, 0x1000, v5
	v_add_co_ci_u32_e64 v8, null, 0, v6, s0
	global_load_dwordx2 v[11:12], v[7:8], off
.LBB695_36:
	s_or_b32 exec_lo, exec_lo, s1
	v_add_nc_u32_e32 v7, 0x220, v0
	v_cmp_gt_i32_e64 s49, s74, v7
	s_and_b32 s17, s66, s49
	s_and_saveexec_b32 s1, s17
	s_cbranch_execz .LBB695_38
; %bb.37:
	v_add_co_u32 v7, s0, 0x1000, v5
	v_add_co_ci_u32_e64 v8, null, 0, v6, s0
	global_load_dwordx2 v[9:10], v[7:8], off offset:256
.LBB695_38:
	s_or_b32 exec_lo, exec_lo, s1
	v_add_nc_u32_e32 v7, 0x240, v0
	v_mov_b32_e32 v17, 0
	v_mov_b32_e32 v19, 0
	;; [unrolled: 1-line block ×4, first 2 shown]
	v_cmp_gt_i32_e64 s48, s74, v7
	s_and_b32 s16, s66, s48
	s_and_saveexec_b32 s1, s16
	s_cbranch_execz .LBB695_40
; %bb.39:
	v_add_co_u32 v7, s0, 0x1000, v5
	v_add_co_ci_u32_e64 v8, null, 0, v6, s0
	global_load_dwordx2 v[19:20], v[7:8], off offset:512
.LBB695_40:
	s_or_b32 exec_lo, exec_lo, s1
	v_add_nc_u32_e32 v7, 0x260, v0
	v_cmp_gt_i32_e64 s47, s74, v7
	s_and_b32 s15, s66, s47
	s_and_saveexec_b32 s1, s15
	s_cbranch_execz .LBB695_42
; %bb.41:
	v_add_co_u32 v7, s0, 0x1000, v5
	v_add_co_ci_u32_e64 v8, null, 0, v6, s0
	global_load_dwordx2 v[17:18], v[7:8], off offset:768
.LBB695_42:
	s_or_b32 exec_lo, exec_lo, s1
	v_add_nc_u32_e32 v7, 0x280, v0
	v_mov_b32_e32 v13, 0
	v_mov_b32_e32 v15, 0
	;; [unrolled: 1-line block ×4, first 2 shown]
	v_cmp_gt_i32_e64 s46, s74, v7
	s_and_b32 s14, s66, s46
	s_and_saveexec_b32 s1, s14
	s_cbranch_execz .LBB695_44
; %bb.43:
	v_add_co_u32 v7, s0, 0x1000, v5
	v_add_co_ci_u32_e64 v8, null, 0, v6, s0
	global_load_dwordx2 v[15:16], v[7:8], off offset:1024
.LBB695_44:
	s_or_b32 exec_lo, exec_lo, s1
	v_add_nc_u32_e32 v7, 0x2a0, v0
	v_cmp_gt_i32_e64 s45, s74, v7
	s_and_b32 s13, s66, s45
	s_and_saveexec_b32 s1, s13
	s_cbranch_execz .LBB695_46
; %bb.45:
	v_add_co_u32 v7, s0, 0x1000, v5
	v_add_co_ci_u32_e64 v8, null, 0, v6, s0
	global_load_dwordx2 v[13:14], v[7:8], off offset:1280
.LBB695_46:
	s_or_b32 exec_lo, exec_lo, s1
	v_add_nc_u32_e32 v7, 0x2c0, v0
	v_mov_b32_e32 v123, 0
	v_mov_b32_e32 v124, 0xfff00000
	v_cmp_gt_i32_e64 s44, s74, v7
	v_mov_b32_e32 v7, 0
	v_mov_b32_e32 v8, 0xfff00000
	s_and_b32 s12, s66, s44
	s_and_saveexec_b32 s1, s12
	s_cbranch_execz .LBB695_48
; %bb.47:
	v_add_co_u32 v7, s0, 0x1000, v5
	v_add_co_ci_u32_e64 v8, null, 0, v6, s0
	global_load_dwordx2 v[7:8], v[7:8], off offset:1536
.LBB695_48:
	s_or_b32 exec_lo, exec_lo, s1
	v_add_nc_u32_e32 v21, 0x2e0, v0
	v_cmp_gt_i32_e64 s43, s74, v21
	s_and_b32 s11, s66, s43
	s_and_saveexec_b32 s1, s11
	s_cbranch_execz .LBB695_50
; %bb.49:
	v_add_co_u32 v21, s0, 0x1000, v5
	v_add_co_ci_u32_e64 v22, null, 0, v6, s0
	global_load_dwordx2 v[123:124], v[21:22], off offset:1792
.LBB695_50:
	s_or_b32 exec_lo, exec_lo, s1
	v_add_nc_u32_e32 v21, 0x300, v0
	v_mov_b32_e32 v115, 0
	v_mov_b32_e32 v119, 0
	;; [unrolled: 1-line block ×4, first 2 shown]
	v_cmp_gt_i32_e64 s42, s74, v21
	s_and_b32 s10, s66, s42
	s_and_saveexec_b32 s1, s10
	s_cbranch_execz .LBB695_52
; %bb.51:
	v_add_co_u32 v21, s0, 0x1800, v5
	v_add_co_ci_u32_e64 v22, null, 0, v6, s0
	global_load_dwordx2 v[119:120], v[21:22], off
.LBB695_52:
	s_or_b32 exec_lo, exec_lo, s1
	v_add_nc_u32_e32 v21, 0x320, v0
	v_cmp_gt_i32_e64 s41, s74, v21
	s_and_b32 s9, s66, s41
	s_and_saveexec_b32 s1, s9
	s_cbranch_execz .LBB695_54
; %bb.53:
	v_add_co_u32 v21, s0, 0x1800, v5
	v_add_co_ci_u32_e64 v22, null, 0, v6, s0
	global_load_dwordx2 v[115:116], v[21:22], off offset:256
.LBB695_54:
	s_or_b32 exec_lo, exec_lo, s1
	v_add_nc_u32_e32 v21, 0x340, v0
	v_mov_b32_e32 v107, 0
	v_mov_b32_e32 v111, 0
	;; [unrolled: 1-line block ×4, first 2 shown]
	v_cmp_gt_i32_e64 s40, s74, v21
	s_and_b32 s8, s66, s40
	s_and_saveexec_b32 s1, s8
	s_cbranch_execz .LBB695_56
; %bb.55:
	v_add_co_u32 v21, s0, 0x1800, v5
	v_add_co_ci_u32_e64 v22, null, 0, v6, s0
	global_load_dwordx2 v[111:112], v[21:22], off offset:512
.LBB695_56:
	s_or_b32 exec_lo, exec_lo, s1
	v_add_nc_u32_e32 v21, 0x360, v0
	v_cmp_gt_i32_e64 s39, s74, v21
	s_and_b32 s7, s66, s39
	s_and_saveexec_b32 s1, s7
	s_cbranch_execz .LBB695_58
; %bb.57:
	v_add_co_u32 v21, s0, 0x1800, v5
	v_add_co_ci_u32_e64 v22, null, 0, v6, s0
	global_load_dwordx2 v[107:108], v[21:22], off offset:768
.LBB695_58:
	s_or_b32 exec_lo, exec_lo, s1
	v_add_nc_u32_e32 v21, 0x380, v0
	v_mov_b32_e32 v97, 0
	v_mov_b32_e32 v103, 0
	;; [unrolled: 1-line block ×4, first 2 shown]
	v_cmp_gt_i32_e64 s38, s74, v21
	s_and_b32 s6, s66, s38
	s_and_saveexec_b32 s1, s6
	s_cbranch_execz .LBB695_60
; %bb.59:
	v_add_co_u32 v21, s0, 0x1800, v5
	v_add_co_ci_u32_e64 v22, null, 0, v6, s0
	global_load_dwordx2 v[103:104], v[21:22], off offset:1024
.LBB695_60:
	s_or_b32 exec_lo, exec_lo, s1
	v_add_nc_u32_e32 v21, 0x3a0, v0
                                        ; implicit-def: $vgpr126 : SGPR spill to VGPR lane
	v_cmp_gt_i32_e64 s0, s74, v21
	v_writelane_b32 v126, s0, 0
	s_and_b32 s3, s66, s0
	s_and_saveexec_b32 s1, s3
	s_cbranch_execz .LBB695_62
; %bb.61:
	v_add_co_u32 v21, s0, 0x1800, v5
	v_add_co_ci_u32_e64 v22, null, 0, v6, s0
	global_load_dwordx2 v[97:98], v[21:22], off offset:1280
.LBB695_62:
	s_or_b32 exec_lo, exec_lo, s1
	v_add_nc_u32_e32 v21, 0x3c0, v0
	v_mov_b32_e32 v89, 0
	v_mov_b32_e32 v95, 0
	;; [unrolled: 1-line block ×4, first 2 shown]
	v_cmp_gt_i32_e64 s0, s74, v21
	v_writelane_b32 v126, s0, 1
	s_and_b32 s2, s66, s0
	s_and_saveexec_b32 s1, s2
	s_cbranch_execz .LBB695_64
; %bb.63:
	v_add_co_u32 v21, s0, 0x1800, v5
	v_add_co_ci_u32_e64 v22, null, 0, v6, s0
	global_load_dwordx2 v[95:96], v[21:22], off offset:1536
.LBB695_64:
	s_or_b32 exec_lo, exec_lo, s1
	v_add_nc_u32_e32 v21, 0x3e0, v0
	v_cmp_gt_i32_e64 s0, s74, v21
	v_writelane_b32 v126, s0, 2
	s_and_b32 s1, s66, s0
	s_and_saveexec_b32 s67, s1
	s_cbranch_execz .LBB695_66
; %bb.65:
	v_add_co_u32 v21, s0, 0x1800, v5
	v_add_co_ci_u32_e64 v22, null, 0, v6, s0
	global_load_dwordx2 v[89:90], v[21:22], off offset:1792
.LBB695_66:
	s_or_b32 exec_lo, exec_lo, s67
	v_or_b32_e32 v21, 0x400, v0
	v_mov_b32_e32 v81, 0
	v_mov_b32_e32 v87, 0
	;; [unrolled: 1-line block ×4, first 2 shown]
	v_cmp_gt_i32_e64 s0, s74, v21
	v_writelane_b32 v126, s0, 3
	s_and_b32 vcc_hi, s66, s0
	s_and_saveexec_b32 s67, vcc_hi
	s_cbranch_execz .LBB695_68
; %bb.67:
	v_add_co_u32 v21, s0, 0x2000, v5
	v_add_co_ci_u32_e64 v22, null, 0, v6, s0
	global_load_dwordx2 v[87:88], v[21:22], off
.LBB695_68:
	s_or_b32 exec_lo, exec_lo, s67
	v_add_nc_u32_e32 v21, 0x420, v0
	v_cmp_gt_i32_e64 s0, s74, v21
	v_writelane_b32 v126, s0, 4
	s_and_b32 s104, s66, s0
	s_and_saveexec_b32 s67, s104
	s_cbranch_execz .LBB695_70
; %bb.69:
	v_add_co_u32 v21, s0, 0x2000, v5
	v_add_co_ci_u32_e64 v22, null, 0, v6, s0
	global_load_dwordx2 v[81:82], v[21:22], off offset:256
.LBB695_70:
	s_or_b32 exec_lo, exec_lo, s67
	v_add_nc_u32_e32 v21, 0x440, v0
	v_mov_b32_e32 v73, 0
	v_mov_b32_e32 v79, 0
	v_mov_b32_e32 v74, 0xfff00000
	v_mov_b32_e32 v80, 0xfff00000
	v_cmp_gt_i32_e64 s0, s74, v21
	v_writelane_b32 v126, s0, 5
	s_and_b32 s99, s66, s0
	s_and_saveexec_b32 s67, s99
	s_cbranch_execz .LBB695_72
; %bb.71:
	v_add_co_u32 v21, s0, 0x2000, v5
	v_add_co_ci_u32_e64 v22, null, 0, v6, s0
	global_load_dwordx2 v[79:80], v[21:22], off offset:512
.LBB695_72:
	s_or_b32 exec_lo, exec_lo, s67
	v_add_nc_u32_e32 v21, 0x460, v0
	v_cmp_gt_i32_e64 s0, s74, v21
	v_writelane_b32 v126, s0, 6
	s_and_b32 s98, s66, s0
	s_and_saveexec_b32 s67, s98
	s_cbranch_execz .LBB695_74
; %bb.73:
	v_add_co_u32 v21, s0, 0x2000, v5
	v_add_co_ci_u32_e64 v22, null, 0, v6, s0
	global_load_dwordx2 v[73:74], v[21:22], off offset:768
.LBB695_74:
	s_or_b32 exec_lo, exec_lo, s67
	v_add_nc_u32_e32 v21, 0x480, v0
	v_mov_b32_e32 v65, 0
	v_mov_b32_e32 v71, 0
	v_mov_b32_e32 v66, 0xfff00000
	v_mov_b32_e32 v72, 0xfff00000
	v_cmp_gt_i32_e64 s0, s74, v21
	v_writelane_b32 v126, s0, 7
	s_and_b32 s97, s66, s0
	s_and_saveexec_b32 s67, s97
	s_cbranch_execz .LBB695_76
; %bb.75:
	v_add_co_u32 v21, s0, 0x2000, v5
	v_add_co_ci_u32_e64 v22, null, 0, v6, s0
	global_load_dwordx2 v[71:72], v[21:22], off offset:1024
.LBB695_76:
	;; [unrolled: 28-line block ×3, first 2 shown]
	s_or_b32 exec_lo, exec_lo, s67
	v_add_nc_u32_e32 v21, 0x4e0, v0
	v_cmp_gt_i32_e64 s0, s74, v21
	v_writelane_b32 v126, s0, 10
	s_and_b32 s94, s66, s0
	s_and_saveexec_b32 s67, s94
	s_cbranch_execz .LBB695_82
; %bb.81:
	v_add_co_u32 v21, s0, 0x2000, v5
	v_add_co_ci_u32_e64 v22, null, 0, v6, s0
	global_load_dwordx2 v[53:54], v[21:22], off offset:1792
.LBB695_82:
	s_or_b32 exec_lo, exec_lo, s67
	v_add_nc_u32_e32 v21, 0x500, v0
	v_mov_b32_e32 v49, 0
	v_mov_b32_e32 v51, 0
	;; [unrolled: 1-line block ×4, first 2 shown]
	v_cmp_gt_i32_e64 s0, s74, v21
	v_writelane_b32 v126, s0, 11
	s_and_b32 s93, s66, s0
	s_and_saveexec_b32 s67, s93
	s_cbranch_execz .LBB695_84
; %bb.83:
	v_add_co_u32 v21, s0, 0x2800, v5
	v_add_co_ci_u32_e64 v22, null, 0, v6, s0
	global_load_dwordx2 v[51:52], v[21:22], off
.LBB695_84:
	s_or_b32 exec_lo, exec_lo, s67
	v_add_nc_u32_e32 v21, 0x520, v0
	v_cmp_gt_i32_e64 s0, s74, v21
	v_writelane_b32 v126, s0, 12
	s_and_b32 s92, s66, s0
	s_and_saveexec_b32 s67, s92
	s_cbranch_execz .LBB695_86
; %bb.85:
	v_add_co_u32 v21, s0, 0x2800, v5
	v_add_co_ci_u32_e64 v22, null, 0, v6, s0
	global_load_dwordx2 v[49:50], v[21:22], off offset:256
.LBB695_86:
	s_or_b32 exec_lo, exec_lo, s67
	v_add_nc_u32_e32 v21, 0x540, v0
	v_mov_b32_e32 v45, 0
	v_mov_b32_e32 v47, 0
	v_mov_b32_e32 v46, 0xfff00000
	v_mov_b32_e32 v48, 0xfff00000
	v_cmp_gt_i32_e64 s0, s74, v21
	v_writelane_b32 v126, s0, 13
	s_and_b32 s91, s66, s0
	s_and_saveexec_b32 s67, s91
	s_cbranch_execz .LBB695_88
; %bb.87:
	v_add_co_u32 v21, s0, 0x2800, v5
	v_add_co_ci_u32_e64 v22, null, 0, v6, s0
	global_load_dwordx2 v[47:48], v[21:22], off offset:512
.LBB695_88:
	s_or_b32 exec_lo, exec_lo, s67
	v_add_nc_u32_e32 v21, 0x560, v0
	v_cmp_gt_i32_e64 s0, s74, v21
	v_writelane_b32 v126, s0, 14
	s_and_b32 s90, s66, s0
	s_and_saveexec_b32 s67, s90
	s_cbranch_execz .LBB695_90
; %bb.89:
	v_add_co_u32 v21, s0, 0x2800, v5
	v_add_co_ci_u32_e64 v22, null, 0, v6, s0
	global_load_dwordx2 v[45:46], v[21:22], off offset:768
.LBB695_90:
	s_or_b32 exec_lo, exec_lo, s67
	v_add_nc_u32_e32 v21, 0x580, v0
	v_mov_b32_e32 v41, 0
	v_mov_b32_e32 v43, 0
	v_mov_b32_e32 v42, 0xfff00000
	v_mov_b32_e32 v44, 0xfff00000
	v_cmp_gt_i32_e64 s0, s74, v21
	v_writelane_b32 v126, s0, 15
	s_and_b32 s89, s66, s0
	s_and_saveexec_b32 s67, s89
	s_cbranch_execz .LBB695_92
; %bb.91:
	v_add_co_u32 v21, s0, 0x2800, v5
	v_add_co_ci_u32_e64 v22, null, 0, v6, s0
	global_load_dwordx2 v[43:44], v[21:22], off offset:1024
.LBB695_92:
	;; [unrolled: 28-line block ×3, first 2 shown]
	s_or_b32 exec_lo, exec_lo, s67
	v_add_nc_u32_e32 v21, 0x5e0, v0
	v_cmp_gt_i32_e64 s0, s74, v21
	v_writelane_b32 v126, s0, 18
	s_and_b32 s86, s66, s0
	s_and_saveexec_b32 s67, s86
	s_cbranch_execz .LBB695_98
; %bb.97:
	v_add_co_u32 v21, s0, 0x2800, v5
	v_add_co_ci_u32_e64 v22, null, 0, v6, s0
	global_load_dwordx2 v[37:38], v[21:22], off offset:1792
.LBB695_98:
	s_or_b32 exec_lo, exec_lo, s67
	v_add_nc_u32_e32 v21, 0x600, v0
	v_mov_b32_e32 v33, 0
	v_mov_b32_e32 v35, 0
	v_mov_b32_e32 v34, 0xfff00000
	v_mov_b32_e32 v36, 0xfff00000
	v_cmp_gt_i32_e64 s0, s74, v21
	v_writelane_b32 v126, s0, 19
	s_and_b32 s85, s66, s0
	s_and_saveexec_b32 s67, s85
	s_cbranch_execz .LBB695_100
; %bb.99:
	v_add_co_u32 v21, s0, 0x3000, v5
	v_add_co_ci_u32_e64 v22, null, 0, v6, s0
	global_load_dwordx2 v[35:36], v[21:22], off
.LBB695_100:
	s_or_b32 exec_lo, exec_lo, s67
	v_add_nc_u32_e32 v21, 0x620, v0
	v_cmp_gt_i32_e64 s0, s74, v21
	v_writelane_b32 v126, s0, 20
	s_and_b32 s84, s66, s0
	s_and_saveexec_b32 s67, s84
	s_cbranch_execz .LBB695_102
; %bb.101:
	v_add_co_u32 v21, s0, 0x3000, v5
	v_add_co_ci_u32_e64 v22, null, 0, v6, s0
	global_load_dwordx2 v[33:34], v[21:22], off offset:256
.LBB695_102:
	s_or_b32 exec_lo, exec_lo, s67
	v_add_nc_u32_e32 v21, 0x640, v0
	v_mov_b32_e32 v29, 0
	v_mov_b32_e32 v31, 0
	v_mov_b32_e32 v30, 0xfff00000
	v_mov_b32_e32 v32, 0xfff00000
	v_cmp_gt_i32_e64 s0, s74, v21
	v_writelane_b32 v126, s0, 21
	s_and_b32 s83, s66, s0
	s_and_saveexec_b32 s67, s83
	s_cbranch_execz .LBB695_104
; %bb.103:
	v_add_co_u32 v21, s0, 0x3000, v5
	v_add_co_ci_u32_e64 v22, null, 0, v6, s0
	global_load_dwordx2 v[31:32], v[21:22], off offset:512
.LBB695_104:
	s_or_b32 exec_lo, exec_lo, s67
	v_add_nc_u32_e32 v21, 0x660, v0
	v_cmp_gt_i32_e64 s0, s74, v21
	v_writelane_b32 v126, s0, 22
	s_and_b32 s82, s66, s0
	s_and_saveexec_b32 s67, s82
	s_cbranch_execz .LBB695_106
; %bb.105:
	v_add_co_u32 v21, s0, 0x3000, v5
	v_add_co_ci_u32_e64 v22, null, 0, v6, s0
	global_load_dwordx2 v[29:30], v[21:22], off offset:768
.LBB695_106:
	s_or_b32 exec_lo, exec_lo, s67
	v_add_nc_u32_e32 v21, 0x680, v0
	v_mov_b32_e32 v25, 0
	v_mov_b32_e32 v27, 0
	;; [unrolled: 1-line block ×4, first 2 shown]
	v_cmp_gt_i32_e64 s0, s74, v21
	v_writelane_b32 v126, s0, 23
	s_and_b32 s81, s66, s0
	s_and_saveexec_b32 s67, s81
	s_cbranch_execz .LBB695_108
; %bb.107:
	v_add_co_u32 v21, s0, 0x3000, v5
	v_add_co_ci_u32_e64 v22, null, 0, v6, s0
	global_load_dwordx2 v[27:28], v[21:22], off offset:1024
.LBB695_108:
	s_or_b32 exec_lo, exec_lo, s67
	v_add_nc_u32_e32 v21, 0x6a0, v0
	v_cmp_gt_i32_e64 s0, s74, v21
	v_writelane_b32 v126, s0, 24
	s_and_b32 s80, s66, s0
	s_and_saveexec_b32 s67, s80
	s_cbranch_execz .LBB695_110
; %bb.109:
	v_add_co_u32 v21, s0, 0x3000, v5
	v_add_co_ci_u32_e64 v22, null, 0, v6, s0
	global_load_dwordx2 v[25:26], v[21:22], off offset:1280
.LBB695_110:
	s_or_b32 exec_lo, exec_lo, s67
	v_add_nc_u32_e32 v21, 0x6c0, v0
	v_mov_b32_e32 v23, 0
	v_mov_b32_e32 v24, 0xfff00000
	v_cmp_gt_i32_e64 s0, s74, v21
	v_mov_b32_e32 v21, 0
	v_mov_b32_e32 v22, 0xfff00000
	buffer_store_dword v21, off, s[100:103], 0 offset:68 ; 4-byte Folded Spill
	buffer_store_dword v22, off, s[100:103], 0 offset:72 ; 4-byte Folded Spill
	v_writelane_b32 v126, s0, 25
	s_and_b32 s79, s66, s0
	s_and_saveexec_b32 s67, s79
	s_cbranch_execz .LBB695_112
; %bb.111:
	v_add_co_u32 v23, s0, 0x3000, v5
	v_add_co_ci_u32_e64 v24, null, 0, v6, s0
	global_load_dwordx2 v[23:24], v[23:24], off offset:1536
.LBB695_112:
	s_or_b32 exec_lo, exec_lo, s67
	v_add_nc_u32_e32 v21, 0x6e0, v0
	v_cmp_gt_i32_e64 s0, s74, v21
	v_writelane_b32 v126, s0, 26
	s_and_b32 s78, s66, s0
	s_and_saveexec_b32 s67, s78
	s_cbranch_execz .LBB695_114
; %bb.113:
	v_add_co_u32 v21, s0, 0x3000, v5
	v_add_co_ci_u32_e64 v22, null, 0, v6, s0
	global_load_dwordx2 v[21:22], v[21:22], off offset:1792
	s_waitcnt vmcnt(0)
	buffer_store_dword v21, off, s[100:103], 0 offset:68 ; 4-byte Folded Spill
	buffer_store_dword v22, off, s[100:103], 0 offset:72 ; 4-byte Folded Spill
.LBB695_114:
	s_or_b32 exec_lo, exec_lo, s67
	v_add_nc_u32_e32 v21, 0x700, v0
	v_cmp_gt_i32_e64 s0, s74, v21
	v_mov_b32_e32 v21, 0
	v_mov_b32_e32 v22, 0xfff00000
	buffer_store_dword v21, off, s[100:103], 0 offset:52 ; 4-byte Folded Spill
	buffer_store_dword v22, off, s[100:103], 0 offset:56 ; 4-byte Folded Spill
	v_mov_b32_e32 v21, 0
	v_mov_b32_e32 v22, 0xfff00000
	v_writelane_b32 v126, s0, 27
	s_and_b32 s77, s66, s0
	buffer_store_dword v21, off, s[100:103], 0 offset:60 ; 4-byte Folded Spill
	buffer_store_dword v22, off, s[100:103], 0 offset:64 ; 4-byte Folded Spill
	s_and_saveexec_b32 s67, s77
	s_cbranch_execz .LBB695_116
; %bb.115:
	v_add_co_u32 v55, s0, 0x3800, v5
	v_add_co_ci_u32_e64 v56, null, 0, v6, s0
	global_load_dwordx2 v[21:22], v[55:56], off
	s_waitcnt vmcnt(0)
	buffer_store_dword v21, off, s[100:103], 0 offset:60 ; 4-byte Folded Spill
	buffer_store_dword v22, off, s[100:103], 0 offset:64 ; 4-byte Folded Spill
.LBB695_116:
	s_or_b32 exec_lo, exec_lo, s67
	v_add_nc_u32_e32 v21, 0x720, v0
	v_cmp_gt_i32_e64 s0, s74, v21
	v_writelane_b32 v126, s0, 28
	s_and_b32 s76, s66, s0
	s_and_saveexec_b32 s67, s76
	s_cbranch_execz .LBB695_118
; %bb.117:
	v_add_co_u32 v55, s0, 0x3800, v5
	v_add_co_ci_u32_e64 v56, null, 0, v6, s0
	global_load_dwordx2 v[21:22], v[55:56], off offset:256
	s_waitcnt vmcnt(0)
	buffer_store_dword v21, off, s[100:103], 0 offset:52 ; 4-byte Folded Spill
	buffer_store_dword v22, off, s[100:103], 0 offset:56 ; 4-byte Folded Spill
.LBB695_118:
	s_or_b32 exec_lo, exec_lo, s67
	v_add_nc_u32_e32 v21, 0x740, v0
	v_cmp_gt_i32_e64 s0, s74, v21
	v_mov_b32_e32 v21, 0
	v_mov_b32_e32 v22, 0xfff00000
	buffer_store_dword v21, off, s[100:103], 0 offset:36 ; 4-byte Folded Spill
	buffer_store_dword v22, off, s[100:103], 0 offset:40 ; 4-byte Folded Spill
	v_mov_b32_e32 v21, 0
	v_mov_b32_e32 v22, 0xfff00000
	v_writelane_b32 v126, s0, 29
	s_and_b32 s75, s66, s0
	buffer_store_dword v21, off, s[100:103], 0 offset:44 ; 4-byte Folded Spill
	buffer_store_dword v22, off, s[100:103], 0 offset:48 ; 4-byte Folded Spill
	s_and_saveexec_b32 s67, s75
	s_cbranch_execz .LBB695_120
; %bb.119:
	v_add_co_u32 v55, s0, 0x3800, v5
	v_add_co_ci_u32_e64 v56, null, 0, v6, s0
	global_load_dwordx2 v[21:22], v[55:56], off offset:512
	s_waitcnt vmcnt(0)
	buffer_store_dword v21, off, s[100:103], 0 offset:44 ; 4-byte Folded Spill
	buffer_store_dword v22, off, s[100:103], 0 offset:48 ; 4-byte Folded Spill
.LBB695_120:
	s_or_b32 exec_lo, exec_lo, s67
	v_add_nc_u32_e32 v21, 0x760, v0
	v_cmp_gt_i32_e64 s0, s74, v21
	v_writelane_b32 v126, s0, 30
	s_and_b32 s73, s66, s0
	s_and_saveexec_b32 s67, s73
	s_cbranch_execz .LBB695_122
; %bb.121:
	v_add_co_u32 v55, s0, 0x3800, v5
	v_add_co_ci_u32_e64 v56, null, 0, v6, s0
	global_load_dwordx2 v[21:22], v[55:56], off offset:768
	s_waitcnt vmcnt(0)
	buffer_store_dword v21, off, s[100:103], 0 offset:36 ; 4-byte Folded Spill
	buffer_store_dword v22, off, s[100:103], 0 offset:40 ; 4-byte Folded Spill
.LBB695_122:
	s_or_b32 exec_lo, exec_lo, s67
	v_add_nc_u32_e32 v21, 0x780, v0
	v_cmp_gt_i32_e64 s0, s74, v21
	v_mov_b32_e32 v21, 0
	v_mov_b32_e32 v22, 0xfff00000
	buffer_store_dword v21, off, s[100:103], 0 offset:20 ; 4-byte Folded Spill
	buffer_store_dword v22, off, s[100:103], 0 offset:24 ; 4-byte Folded Spill
	v_mov_b32_e32 v21, 0
	v_mov_b32_e32 v22, 0xfff00000
	v_writelane_b32 v126, s0, 31
	s_and_b32 s72, s66, s0
	buffer_store_dword v21, off, s[100:103], 0 offset:28 ; 4-byte Folded Spill
	buffer_store_dword v22, off, s[100:103], 0 offset:32 ; 4-byte Folded Spill
	s_and_saveexec_b32 s67, s72
	s_cbranch_execz .LBB695_124
; %bb.123:
	v_add_co_u32 v55, s0, 0x3800, v5
	v_add_co_ci_u32_e64 v56, null, 0, v6, s0
	global_load_dwordx2 v[21:22], v[55:56], off offset:1024
	s_waitcnt vmcnt(0)
	buffer_store_dword v21, off, s[100:103], 0 offset:28 ; 4-byte Folded Spill
	buffer_store_dword v22, off, s[100:103], 0 offset:32 ; 4-byte Folded Spill
.LBB695_124:
	s_or_b32 exec_lo, exec_lo, s67
	v_add_nc_u32_e32 v21, 0x7a0, v0
                                        ; implicit-def: $vgpr127 : SGPR spill to VGPR lane
	v_cmp_gt_i32_e64 s0, s74, v21
	v_writelane_b32 v127, s0, 0
	s_and_b32 s71, s66, s0
	s_and_saveexec_b32 s67, s71
	s_cbranch_execz .LBB695_126
; %bb.125:
	v_add_co_u32 v55, s0, 0x3800, v5
	v_add_co_ci_u32_e64 v56, null, 0, v6, s0
	global_load_dwordx2 v[21:22], v[55:56], off offset:1280
	s_waitcnt vmcnt(0)
	buffer_store_dword v21, off, s[100:103], 0 offset:20 ; 4-byte Folded Spill
	buffer_store_dword v22, off, s[100:103], 0 offset:24 ; 4-byte Folded Spill
.LBB695_126:
	s_or_b32 exec_lo, exec_lo, s67
	v_add_nc_u32_e32 v21, 0x7c0, v0
	v_cmp_gt_i32_e64 s0, s74, v21
	v_mov_b32_e32 v21, 0
	v_mov_b32_e32 v22, 0xfff00000
	buffer_store_dword v21, off, s[100:103], 0 offset:4 ; 4-byte Folded Spill
	buffer_store_dword v22, off, s[100:103], 0 offset:8 ; 4-byte Folded Spill
	v_mov_b32_e32 v21, 0
	v_mov_b32_e32 v22, 0xfff00000
	v_writelane_b32 v127, s0, 1
	s_and_b32 s70, s66, s0
	buffer_store_dword v21, off, s[100:103], 0 offset:12 ; 4-byte Folded Spill
	buffer_store_dword v22, off, s[100:103], 0 offset:16 ; 4-byte Folded Spill
	s_and_saveexec_b32 s67, s70
	s_cbranch_execz .LBB695_128
; %bb.127:
	v_add_co_u32 v55, s0, 0x3800, v5
	v_add_co_ci_u32_e64 v56, null, 0, v6, s0
	global_load_dwordx2 v[21:22], v[55:56], off offset:1536
	s_waitcnt vmcnt(0)
	buffer_store_dword v21, off, s[100:103], 0 offset:12 ; 4-byte Folded Spill
	buffer_store_dword v22, off, s[100:103], 0 offset:16 ; 4-byte Folded Spill
.LBB695_128:
	s_or_b32 exec_lo, exec_lo, s67
	v_add_nc_u32_e32 v0, 0x7e0, v0
	v_cmp_gt_i32_e64 s0, s74, v0
	s_and_b32 s67, s66, s0
	s_and_saveexec_b32 s74, s67
	s_cbranch_execz .LBB695_130
; %bb.129:
	v_add_co_u32 v5, s66, 0x3800, v5
	v_add_co_ci_u32_e64 v6, null, 0, v6, s66
	global_load_dwordx2 v[5:6], v[5:6], off offset:1792
	s_waitcnt vmcnt(0)
	buffer_store_dword v5, off, s[100:103], 0 offset:4 ; 4-byte Folded Spill
	buffer_store_dword v6, off, s[100:103], 0 offset:8 ; 4-byte Folded Spill
.LBB695_130:
	s_or_b32 exec_lo, exec_lo, s74
	s_load_dwordx2 s[4:5], s[4:5], 0x20
	s_waitcnt lgkmcnt(0)
	v_add_co_u32 v5, s4, s4, v1
	v_add_co_ci_u32_e64 v6, null, s5, v2, s4
	s_mov_b32 s5, 0
	s_and_saveexec_b32 s66, s35
	s_cbranch_execz .LBB695_132
; %bb.131:
	global_load_ubyte v0, v[5:6], off
	s_waitcnt vmcnt(0)
	v_and_b32_e32 v0, 1, v0
	v_cmp_eq_u32_e64 s4, 1, v0
	s_xor_b32 s4, s4, -1
	s_and_b32 s5, s4, exec_lo
.LBB695_132:
	s_or_b32 exec_lo, exec_lo, s66
	s_waitcnt vmcnt(0)
	v_mov_b32_e32 v55, v69
	v_mov_b32_e32 v56, v70
	s_and_saveexec_b32 s66, s34
	s_cbranch_execnz .LBB695_195
; %bb.133:
	s_or_b32 exec_lo, exec_lo, s66
	s_and_saveexec_b32 s66, s33
	s_cbranch_execnz .LBB695_198
.LBB695_134:
	s_or_b32 exec_lo, exec_lo, s66
	s_and_saveexec_b32 s66, s31
	s_cbranch_execnz .LBB695_201
.LBB695_135:
	s_or_b32 exec_lo, exec_lo, s66
	s_and_saveexec_b32 s66, s30
	s_cbranch_execnz .LBB695_204
.LBB695_136:
	s_or_b32 exec_lo, exec_lo, s66
	s_and_saveexec_b32 s66, s29
	s_cbranch_execnz .LBB695_207
.LBB695_137:
	s_or_b32 exec_lo, exec_lo, s66
	s_and_saveexec_b32 s66, s28
	s_cbranch_execnz .LBB695_210
.LBB695_138:
	s_or_b32 exec_lo, exec_lo, s66
	s_and_saveexec_b32 s66, s27
	s_cbranch_execnz .LBB695_213
.LBB695_139:
	s_or_b32 exec_lo, exec_lo, s66
	s_and_saveexec_b32 s66, s26
	s_cbranch_execnz .LBB695_216
.LBB695_140:
	s_or_b32 exec_lo, exec_lo, s66
	s_and_saveexec_b32 s66, s25
	s_cbranch_execnz .LBB695_219
.LBB695_141:
	s_or_b32 exec_lo, exec_lo, s66
	s_and_saveexec_b32 s66, s24
	s_cbranch_execnz .LBB695_222
.LBB695_142:
	s_or_b32 exec_lo, exec_lo, s66
	s_and_saveexec_b32 s66, s23
	s_cbranch_execnz .LBB695_225
.LBB695_143:
	s_or_b32 exec_lo, exec_lo, s66
	s_and_saveexec_b32 s66, s22
	s_cbranch_execnz .LBB695_228
.LBB695_144:
	s_or_b32 exec_lo, exec_lo, s66
	s_and_saveexec_b32 s66, s21
	s_cbranch_execnz .LBB695_231
.LBB695_145:
	s_or_b32 exec_lo, exec_lo, s66
	s_and_saveexec_b32 s66, s20
	s_cbranch_execnz .LBB695_234
.LBB695_146:
	s_or_b32 exec_lo, exec_lo, s66
	s_and_saveexec_b32 s66, s19
	s_cbranch_execnz .LBB695_237
.LBB695_147:
	s_or_b32 exec_lo, exec_lo, s66
	s_and_saveexec_b32 s66, s18
	s_cbranch_execnz .LBB695_240
.LBB695_148:
	s_or_b32 exec_lo, exec_lo, s66
	s_and_saveexec_b32 s66, s17
	s_cbranch_execnz .LBB695_243
.LBB695_149:
	s_or_b32 exec_lo, exec_lo, s66
	s_and_saveexec_b32 s66, s16
	s_cbranch_execnz .LBB695_246
.LBB695_150:
	s_or_b32 exec_lo, exec_lo, s66
	s_and_saveexec_b32 s66, s15
	s_cbranch_execnz .LBB695_249
.LBB695_151:
	s_or_b32 exec_lo, exec_lo, s66
	s_and_saveexec_b32 s66, s14
	s_cbranch_execnz .LBB695_252
.LBB695_152:
	s_or_b32 exec_lo, exec_lo, s66
	s_and_saveexec_b32 s66, s13
	s_cbranch_execnz .LBB695_255
.LBB695_153:
	s_or_b32 exec_lo, exec_lo, s66
	s_and_saveexec_b32 s66, s12
	s_cbranch_execnz .LBB695_258
.LBB695_154:
	s_or_b32 exec_lo, exec_lo, s66
	s_and_saveexec_b32 s66, s11
	s_cbranch_execnz .LBB695_261
.LBB695_155:
	s_or_b32 exec_lo, exec_lo, s66
	s_and_saveexec_b32 s66, s10
	s_cbranch_execnz .LBB695_264
.LBB695_156:
	s_or_b32 exec_lo, exec_lo, s66
	s_and_saveexec_b32 s66, s9
	s_cbranch_execnz .LBB695_267
.LBB695_157:
	s_or_b32 exec_lo, exec_lo, s66
	s_and_saveexec_b32 s66, s8
	s_cbranch_execnz .LBB695_270
.LBB695_158:
	s_or_b32 exec_lo, exec_lo, s66
	s_and_saveexec_b32 s66, s7
	s_cbranch_execnz .LBB695_273
.LBB695_159:
	s_or_b32 exec_lo, exec_lo, s66
	s_and_saveexec_b32 s66, s6
	s_cbranch_execnz .LBB695_276
.LBB695_160:
	s_or_b32 exec_lo, exec_lo, s66
	s_and_saveexec_b32 s66, s3
	s_cbranch_execnz .LBB695_279
.LBB695_161:
	s_or_b32 exec_lo, exec_lo, s66
	s_and_saveexec_b32 s66, s2
	s_cbranch_execnz .LBB695_282
.LBB695_162:
	s_or_b32 exec_lo, exec_lo, s66
	s_and_saveexec_b32 s66, s1
	s_cbranch_execnz .LBB695_285
.LBB695_163:
	s_or_b32 exec_lo, exec_lo, s66
	s_and_saveexec_b32 s66, vcc_hi
	s_cbranch_execnz .LBB695_288
.LBB695_164:
	s_or_b32 exec_lo, exec_lo, s66
	s_and_saveexec_b32 s66, s104
	s_cbranch_execnz .LBB695_291
.LBB695_165:
	s_or_b32 exec_lo, exec_lo, s66
	s_and_saveexec_b32 s66, s99
	s_cbranch_execnz .LBB695_294
.LBB695_166:
	s_or_b32 exec_lo, exec_lo, s66
	s_and_saveexec_b32 s66, s98
	s_cbranch_execnz .LBB695_297
.LBB695_167:
	s_or_b32 exec_lo, exec_lo, s66
	s_and_saveexec_b32 s66, s97
	s_cbranch_execnz .LBB695_300
.LBB695_168:
	s_or_b32 exec_lo, exec_lo, s66
	s_and_saveexec_b32 s66, s96
	s_cbranch_execnz .LBB695_303
.LBB695_169:
	s_or_b32 exec_lo, exec_lo, s66
	s_and_saveexec_b32 s66, s95
	s_cbranch_execnz .LBB695_306
.LBB695_170:
	s_or_b32 exec_lo, exec_lo, s66
	s_and_saveexec_b32 s66, s94
	s_cbranch_execnz .LBB695_309
.LBB695_171:
	s_or_b32 exec_lo, exec_lo, s66
	s_and_saveexec_b32 s66, s93
	s_cbranch_execnz .LBB695_312
.LBB695_172:
	s_or_b32 exec_lo, exec_lo, s66
	s_and_saveexec_b32 s66, s92
	s_cbranch_execnz .LBB695_315
.LBB695_173:
	s_or_b32 exec_lo, exec_lo, s66
	s_and_saveexec_b32 s66, s91
	s_cbranch_execnz .LBB695_318
.LBB695_174:
	s_or_b32 exec_lo, exec_lo, s66
	s_and_saveexec_b32 s66, s90
	s_cbranch_execnz .LBB695_321
.LBB695_175:
	s_or_b32 exec_lo, exec_lo, s66
	s_and_saveexec_b32 s66, s89
	s_cbranch_execnz .LBB695_324
.LBB695_176:
	s_or_b32 exec_lo, exec_lo, s66
	s_and_saveexec_b32 s66, s88
	s_cbranch_execnz .LBB695_327
.LBB695_177:
	s_or_b32 exec_lo, exec_lo, s66
	s_and_saveexec_b32 s66, s87
	s_cbranch_execnz .LBB695_330
.LBB695_178:
	s_or_b32 exec_lo, exec_lo, s66
	s_and_saveexec_b32 s66, s86
	s_cbranch_execnz .LBB695_333
.LBB695_179:
	s_or_b32 exec_lo, exec_lo, s66
	s_and_saveexec_b32 s66, s85
	s_cbranch_execnz .LBB695_336
.LBB695_180:
	s_or_b32 exec_lo, exec_lo, s66
	s_and_saveexec_b32 s66, s84
	s_cbranch_execnz .LBB695_339
.LBB695_181:
	s_or_b32 exec_lo, exec_lo, s66
	s_and_saveexec_b32 s66, s83
	s_cbranch_execnz .LBB695_342
.LBB695_182:
	s_or_b32 exec_lo, exec_lo, s66
	s_and_saveexec_b32 s66, s82
	s_cbranch_execnz .LBB695_345
.LBB695_183:
	s_or_b32 exec_lo, exec_lo, s66
	s_and_saveexec_b32 s66, s81
	s_cbranch_execnz .LBB695_348
.LBB695_184:
	s_or_b32 exec_lo, exec_lo, s66
	s_and_saveexec_b32 s66, s80
	s_cbranch_execnz .LBB695_351
.LBB695_185:
	s_or_b32 exec_lo, exec_lo, s66
	s_and_saveexec_b32 s66, s79
	s_cbranch_execnz .LBB695_354
.LBB695_186:
	s_or_b32 exec_lo, exec_lo, s66
	s_and_saveexec_b32 s66, s78
	s_cbranch_execnz .LBB695_357
.LBB695_187:
	s_or_b32 exec_lo, exec_lo, s66
	s_and_saveexec_b32 s66, s77
	s_cbranch_execnz .LBB695_360
.LBB695_188:
	s_or_b32 exec_lo, exec_lo, s66
	s_and_saveexec_b32 s66, s76
	s_cbranch_execnz .LBB695_363
.LBB695_189:
	s_or_b32 exec_lo, exec_lo, s66
	s_and_saveexec_b32 s66, s75
	s_cbranch_execnz .LBB695_366
.LBB695_190:
	s_or_b32 exec_lo, exec_lo, s66
	s_and_saveexec_b32 s66, s73
	s_cbranch_execnz .LBB695_369
.LBB695_191:
	s_or_b32 exec_lo, exec_lo, s66
	s_and_saveexec_b32 s66, s72
	s_cbranch_execnz .LBB695_372
.LBB695_192:
	s_or_b32 exec_lo, exec_lo, s66
	s_and_saveexec_b32 s66, s71
	s_cbranch_execnz .LBB695_375
.LBB695_193:
	s_or_b32 exec_lo, exec_lo, s66
	s_and_saveexec_b32 s66, s70
	s_cbranch_execnz .LBB695_378
.LBB695_194:
	s_or_b32 exec_lo, exec_lo, s66
	s_and_saveexec_b32 s66, s67
	s_cbranch_execnz .LBB695_381
	s_branch .LBB695_384
.LBB695_195:
	global_load_ubyte v0, v[5:6], off offset:32
	v_mov_b32_e32 v55, v69
	v_mov_b32_e32 v56, v70
	s_waitcnt vmcnt(0)
	v_and_b32_e32 v0, 1, v0
	v_cmp_eq_u32_e64 s4, 1, v0
	s_xor_b32 s36, s4, -1
	s_mov_b32 s4, s5
	s_and_saveexec_b32 s74, s36
	s_cbranch_execz .LBB695_197
; %bb.196:
	v_cmp_gt_f64_e64 s4, v[69:70], v[67:68]
	s_and_b32 s4, s5, s4
	v_cndmask_b32_e64 v56, v68, v70, s4
	v_cndmask_b32_e64 v55, v67, v69, s4
	s_or_b32 s4, s5, exec_lo
.LBB695_197:
	s_or_b32 exec_lo, exec_lo, s74
	s_andn2_b32 s5, s5, exec_lo
	s_and_b32 s4, s4, exec_lo
	s_or_b32 s5, s5, s4
	s_or_b32 exec_lo, exec_lo, s66
	s_and_saveexec_b32 s66, s33
	s_cbranch_execz .LBB695_134
.LBB695_198:
	global_load_ubyte v0, v[5:6], off offset:64
	s_waitcnt vmcnt(0)
	v_and_b32_e32 v0, 1, v0
	v_cmp_eq_u32_e64 s4, 1, v0
	s_xor_b32 s36, s4, -1
	s_mov_b32 s4, s5
	s_and_saveexec_b32 s74, s36
	s_cbranch_execz .LBB695_200
; %bb.199:
	v_cmp_gt_f64_e64 s4, v[55:56], v[77:78]
	s_and_b32 s4, s5, s4
	v_cndmask_b32_e64 v56, v78, v56, s4
	v_cndmask_b32_e64 v55, v77, v55, s4
	s_or_b32 s4, s5, exec_lo
.LBB695_200:
	s_or_b32 exec_lo, exec_lo, s74
	s_andn2_b32 s5, s5, exec_lo
	s_and_b32 s4, s4, exec_lo
	s_or_b32 s5, s5, s4
	s_or_b32 exec_lo, exec_lo, s66
	s_and_saveexec_b32 s66, s31
	s_cbranch_execz .LBB695_135
.LBB695_201:
	global_load_ubyte v0, v[5:6], off offset:96
	s_waitcnt vmcnt(0)
	v_and_b32_e32 v0, 1, v0
	v_cmp_eq_u32_e64 s4, 1, v0
	s_xor_b32 s36, s4, -1
	s_mov_b32 s4, s5
	s_and_saveexec_b32 s74, s36
	s_cbranch_execz .LBB695_203
; %bb.202:
	v_cmp_gt_f64_e64 s4, v[55:56], v[75:76]
	s_and_b32 s4, s5, s4
	v_cndmask_b32_e64 v56, v76, v56, s4
	v_cndmask_b32_e64 v55, v75, v55, s4
	s_or_b32 s4, s5, exec_lo
.LBB695_203:
	s_or_b32 exec_lo, exec_lo, s74
	s_andn2_b32 s5, s5, exec_lo
	s_and_b32 s4, s4, exec_lo
	s_or_b32 s5, s5, s4
	s_or_b32 exec_lo, exec_lo, s66
	s_and_saveexec_b32 s66, s30
	s_cbranch_execz .LBB695_136
.LBB695_204:
	global_load_ubyte v0, v[5:6], off offset:128
	s_waitcnt vmcnt(0)
	v_and_b32_e32 v0, 1, v0
	v_cmp_eq_u32_e64 s4, 1, v0
	s_xor_b32 s36, s4, -1
	s_mov_b32 s4, s5
	s_and_saveexec_b32 s74, s36
	s_cbranch_execz .LBB695_206
; %bb.205:
	v_cmp_gt_f64_e64 s4, v[55:56], v[85:86]
	s_and_b32 s4, s5, s4
	v_cndmask_b32_e64 v56, v86, v56, s4
	v_cndmask_b32_e64 v55, v85, v55, s4
	s_or_b32 s4, s5, exec_lo
.LBB695_206:
	s_or_b32 exec_lo, exec_lo, s74
	s_andn2_b32 s5, s5, exec_lo
	s_and_b32 s4, s4, exec_lo
	s_or_b32 s5, s5, s4
	s_or_b32 exec_lo, exec_lo, s66
	s_and_saveexec_b32 s66, s29
	s_cbranch_execz .LBB695_137
.LBB695_207:
	global_load_ubyte v0, v[5:6], off offset:160
	s_waitcnt vmcnt(0)
	v_and_b32_e32 v0, 1, v0
	v_cmp_eq_u32_e64 s4, 1, v0
	s_xor_b32 s36, s4, -1
	s_mov_b32 s4, s5
	s_and_saveexec_b32 s74, s36
	s_cbranch_execz .LBB695_209
; %bb.208:
	v_cmp_gt_f64_e64 s4, v[55:56], v[83:84]
	s_and_b32 s4, s5, s4
	v_cndmask_b32_e64 v56, v84, v56, s4
	v_cndmask_b32_e64 v55, v83, v55, s4
	s_or_b32 s4, s5, exec_lo
.LBB695_209:
	s_or_b32 exec_lo, exec_lo, s74
	s_andn2_b32 s5, s5, exec_lo
	s_and_b32 s4, s4, exec_lo
	s_or_b32 s5, s5, s4
	s_or_b32 exec_lo, exec_lo, s66
	s_and_saveexec_b32 s66, s28
	s_cbranch_execz .LBB695_138
.LBB695_210:
	global_load_ubyte v0, v[5:6], off offset:192
	s_waitcnt vmcnt(0)
	v_and_b32_e32 v0, 1, v0
	v_cmp_eq_u32_e64 s4, 1, v0
	s_xor_b32 s36, s4, -1
	s_mov_b32 s4, s5
	s_and_saveexec_b32 s74, s36
	s_cbranch_execz .LBB695_212
; %bb.211:
	v_cmp_gt_f64_e64 s4, v[55:56], v[93:94]
	s_and_b32 s4, s5, s4
	v_cndmask_b32_e64 v56, v94, v56, s4
	v_cndmask_b32_e64 v55, v93, v55, s4
	s_or_b32 s4, s5, exec_lo
.LBB695_212:
	s_or_b32 exec_lo, exec_lo, s74
	s_andn2_b32 s5, s5, exec_lo
	s_and_b32 s4, s4, exec_lo
	s_or_b32 s5, s5, s4
	s_or_b32 exec_lo, exec_lo, s66
	s_and_saveexec_b32 s66, s27
	s_cbranch_execz .LBB695_139
.LBB695_213:
	global_load_ubyte v0, v[5:6], off offset:224
	s_waitcnt vmcnt(0)
	v_and_b32_e32 v0, 1, v0
	v_cmp_eq_u32_e64 s4, 1, v0
	s_xor_b32 s36, s4, -1
	s_mov_b32 s4, s5
	s_and_saveexec_b32 s74, s36
	s_cbranch_execz .LBB695_215
; %bb.214:
	v_cmp_gt_f64_e64 s4, v[55:56], v[91:92]
	s_and_b32 s4, s5, s4
	v_cndmask_b32_e64 v56, v92, v56, s4
	v_cndmask_b32_e64 v55, v91, v55, s4
	s_or_b32 s4, s5, exec_lo
.LBB695_215:
	s_or_b32 exec_lo, exec_lo, s74
	s_andn2_b32 s5, s5, exec_lo
	s_and_b32 s4, s4, exec_lo
	s_or_b32 s5, s5, s4
	s_or_b32 exec_lo, exec_lo, s66
	s_and_saveexec_b32 s66, s26
	s_cbranch_execz .LBB695_140
.LBB695_216:
	global_load_ubyte v0, v[5:6], off offset:256
	s_waitcnt vmcnt(0)
	v_and_b32_e32 v0, 1, v0
	v_cmp_eq_u32_e64 s4, 1, v0
	s_xor_b32 s36, s4, -1
	s_mov_b32 s4, s5
	s_and_saveexec_b32 s74, s36
	s_cbranch_execz .LBB695_218
; %bb.217:
	v_cmp_gt_f64_e64 s4, v[55:56], v[101:102]
	s_and_b32 s4, s5, s4
	v_cndmask_b32_e64 v56, v102, v56, s4
	v_cndmask_b32_e64 v55, v101, v55, s4
	s_or_b32 s4, s5, exec_lo
.LBB695_218:
	s_or_b32 exec_lo, exec_lo, s74
	s_andn2_b32 s5, s5, exec_lo
	s_and_b32 s4, s4, exec_lo
	s_or_b32 s5, s5, s4
	s_or_b32 exec_lo, exec_lo, s66
	s_and_saveexec_b32 s66, s25
	s_cbranch_execz .LBB695_141
.LBB695_219:
	global_load_ubyte v0, v[5:6], off offset:288
	s_waitcnt vmcnt(0)
	v_and_b32_e32 v0, 1, v0
	v_cmp_eq_u32_e64 s4, 1, v0
	s_xor_b32 s36, s4, -1
	s_mov_b32 s4, s5
	s_and_saveexec_b32 s74, s36
	s_cbranch_execz .LBB695_221
; %bb.220:
	v_cmp_gt_f64_e64 s4, v[55:56], v[99:100]
	s_and_b32 s4, s5, s4
	v_cndmask_b32_e64 v56, v100, v56, s4
	v_cndmask_b32_e64 v55, v99, v55, s4
	s_or_b32 s4, s5, exec_lo
.LBB695_221:
	s_or_b32 exec_lo, exec_lo, s74
	s_andn2_b32 s5, s5, exec_lo
	s_and_b32 s4, s4, exec_lo
	s_or_b32 s5, s5, s4
	s_or_b32 exec_lo, exec_lo, s66
	s_and_saveexec_b32 s66, s24
	s_cbranch_execz .LBB695_142
.LBB695_222:
	global_load_ubyte v0, v[5:6], off offset:320
	s_waitcnt vmcnt(0)
	v_and_b32_e32 v0, 1, v0
	v_cmp_eq_u32_e64 s4, 1, v0
	s_xor_b32 s36, s4, -1
	s_mov_b32 s4, s5
	s_and_saveexec_b32 s74, s36
	s_cbranch_execz .LBB695_224
; %bb.223:
	v_cmp_gt_f64_e64 s4, v[55:56], v[109:110]
	s_and_b32 s4, s5, s4
	v_cndmask_b32_e64 v56, v110, v56, s4
	v_cndmask_b32_e64 v55, v109, v55, s4
	s_or_b32 s4, s5, exec_lo
.LBB695_224:
	s_or_b32 exec_lo, exec_lo, s74
	s_andn2_b32 s5, s5, exec_lo
	s_and_b32 s4, s4, exec_lo
	s_or_b32 s5, s5, s4
	s_or_b32 exec_lo, exec_lo, s66
	s_and_saveexec_b32 s66, s23
	s_cbranch_execz .LBB695_143
.LBB695_225:
	global_load_ubyte v0, v[5:6], off offset:352
	s_waitcnt vmcnt(0)
	v_and_b32_e32 v0, 1, v0
	v_cmp_eq_u32_e64 s4, 1, v0
	s_xor_b32 s36, s4, -1
	s_mov_b32 s4, s5
	s_and_saveexec_b32 s74, s36
	s_cbranch_execz .LBB695_227
; %bb.226:
	v_cmp_gt_f64_e64 s4, v[55:56], v[105:106]
	s_and_b32 s4, s5, s4
	v_cndmask_b32_e64 v56, v106, v56, s4
	v_cndmask_b32_e64 v55, v105, v55, s4
	s_or_b32 s4, s5, exec_lo
.LBB695_227:
	s_or_b32 exec_lo, exec_lo, s74
	s_andn2_b32 s5, s5, exec_lo
	s_and_b32 s4, s4, exec_lo
	s_or_b32 s5, s5, s4
	s_or_b32 exec_lo, exec_lo, s66
	s_and_saveexec_b32 s66, s22
	s_cbranch_execz .LBB695_144
.LBB695_228:
	global_load_ubyte v0, v[5:6], off offset:384
	s_waitcnt vmcnt(0)
	v_and_b32_e32 v0, 1, v0
	v_cmp_eq_u32_e64 s4, 1, v0
	s_xor_b32 s36, s4, -1
	s_mov_b32 s4, s5
	s_and_saveexec_b32 s74, s36
	s_cbranch_execz .LBB695_230
; %bb.229:
	v_cmp_gt_f64_e64 s4, v[55:56], v[117:118]
	s_and_b32 s4, s5, s4
	v_cndmask_b32_e64 v56, v118, v56, s4
	v_cndmask_b32_e64 v55, v117, v55, s4
	s_or_b32 s4, s5, exec_lo
.LBB695_230:
	s_or_b32 exec_lo, exec_lo, s74
	s_andn2_b32 s5, s5, exec_lo
	s_and_b32 s4, s4, exec_lo
	s_or_b32 s5, s5, s4
	s_or_b32 exec_lo, exec_lo, s66
	s_and_saveexec_b32 s66, s21
	s_cbranch_execz .LBB695_145
.LBB695_231:
	global_load_ubyte v0, v[5:6], off offset:416
	s_waitcnt vmcnt(0)
	v_and_b32_e32 v0, 1, v0
	v_cmp_eq_u32_e64 s4, 1, v0
	s_xor_b32 s36, s4, -1
	s_mov_b32 s4, s5
	s_and_saveexec_b32 s74, s36
	s_cbranch_execz .LBB695_233
; %bb.232:
	v_cmp_gt_f64_e64 s4, v[55:56], v[113:114]
	s_and_b32 s4, s5, s4
	v_cndmask_b32_e64 v56, v114, v56, s4
	v_cndmask_b32_e64 v55, v113, v55, s4
	s_or_b32 s4, s5, exec_lo
.LBB695_233:
	s_or_b32 exec_lo, exec_lo, s74
	s_andn2_b32 s5, s5, exec_lo
	s_and_b32 s4, s4, exec_lo
	s_or_b32 s5, s5, s4
	s_or_b32 exec_lo, exec_lo, s66
	s_and_saveexec_b32 s66, s20
	s_cbranch_execz .LBB695_146
.LBB695_234:
	global_load_ubyte v0, v[5:6], off offset:448
	s_waitcnt vmcnt(0)
	v_and_b32_e32 v0, 1, v0
	v_cmp_eq_u32_e64 s4, 1, v0
	s_xor_b32 s36, s4, -1
	s_mov_b32 s4, s5
	s_and_saveexec_b32 s74, s36
	s_cbranch_execz .LBB695_236
; %bb.235:
	v_cmp_gt_f64_e64 s4, v[55:56], v[121:122]
	s_and_b32 s4, s5, s4
	v_cndmask_b32_e64 v56, v122, v56, s4
	v_cndmask_b32_e64 v55, v121, v55, s4
	s_or_b32 s4, s5, exec_lo
.LBB695_236:
	s_or_b32 exec_lo, exec_lo, s74
	s_andn2_b32 s5, s5, exec_lo
	s_and_b32 s4, s4, exec_lo
	s_or_b32 s5, s5, s4
	s_or_b32 exec_lo, exec_lo, s66
	s_and_saveexec_b32 s66, s19
	s_cbranch_execz .LBB695_147
.LBB695_237:
	global_load_ubyte v0, v[5:6], off offset:480
	s_waitcnt vmcnt(0)
	v_and_b32_e32 v0, 1, v0
	v_cmp_eq_u32_e64 s4, 1, v0
	s_xor_b32 s36, s4, -1
	s_mov_b32 s4, s5
	s_and_saveexec_b32 s74, s36
	s_cbranch_execz .LBB695_239
; %bb.238:
	v_cmp_gt_f64_e64 s4, v[55:56], v[3:4]
	s_and_b32 s4, s5, s4
	v_cndmask_b32_e64 v56, v4, v56, s4
	v_cndmask_b32_e64 v55, v3, v55, s4
	s_or_b32 s4, s5, exec_lo
.LBB695_239:
	s_or_b32 exec_lo, exec_lo, s74
	s_andn2_b32 s5, s5, exec_lo
	s_and_b32 s4, s4, exec_lo
	s_or_b32 s5, s5, s4
	s_or_b32 exec_lo, exec_lo, s66
	s_and_saveexec_b32 s66, s18
	s_cbranch_execz .LBB695_148
.LBB695_240:
	global_load_ubyte v0, v[5:6], off offset:512
	s_waitcnt vmcnt(0)
	v_and_b32_e32 v0, 1, v0
	v_cmp_eq_u32_e64 s4, 1, v0
	s_xor_b32 s36, s4, -1
	s_mov_b32 s4, s5
	s_and_saveexec_b32 s74, s36
	s_cbranch_execz .LBB695_242
; %bb.241:
	v_cmp_gt_f64_e64 s4, v[55:56], v[11:12]
	s_and_b32 s4, s5, s4
	v_cndmask_b32_e64 v56, v12, v56, s4
	v_cndmask_b32_e64 v55, v11, v55, s4
	s_or_b32 s4, s5, exec_lo
.LBB695_242:
	s_or_b32 exec_lo, exec_lo, s74
	s_andn2_b32 s5, s5, exec_lo
	s_and_b32 s4, s4, exec_lo
	s_or_b32 s5, s5, s4
	s_or_b32 exec_lo, exec_lo, s66
	s_and_saveexec_b32 s66, s17
	s_cbranch_execz .LBB695_149
.LBB695_243:
	global_load_ubyte v0, v[5:6], off offset:544
	s_waitcnt vmcnt(0)
	v_and_b32_e32 v0, 1, v0
	v_cmp_eq_u32_e64 s4, 1, v0
	s_xor_b32 s36, s4, -1
	s_mov_b32 s4, s5
	s_and_saveexec_b32 s74, s36
	s_cbranch_execz .LBB695_245
; %bb.244:
	v_cmp_gt_f64_e64 s4, v[55:56], v[9:10]
	s_and_b32 s4, s5, s4
	v_cndmask_b32_e64 v56, v10, v56, s4
	v_cndmask_b32_e64 v55, v9, v55, s4
	s_or_b32 s4, s5, exec_lo
.LBB695_245:
	s_or_b32 exec_lo, exec_lo, s74
	s_andn2_b32 s5, s5, exec_lo
	s_and_b32 s4, s4, exec_lo
	s_or_b32 s5, s5, s4
	s_or_b32 exec_lo, exec_lo, s66
	s_and_saveexec_b32 s66, s16
	s_cbranch_execz .LBB695_150
.LBB695_246:
	global_load_ubyte v0, v[5:6], off offset:576
	s_waitcnt vmcnt(0)
	v_and_b32_e32 v0, 1, v0
	v_cmp_eq_u32_e64 s4, 1, v0
	s_xor_b32 s36, s4, -1
	s_mov_b32 s4, s5
	s_and_saveexec_b32 s74, s36
	s_cbranch_execz .LBB695_248
; %bb.247:
	v_cmp_gt_f64_e64 s4, v[55:56], v[19:20]
	s_and_b32 s4, s5, s4
	v_cndmask_b32_e64 v56, v20, v56, s4
	v_cndmask_b32_e64 v55, v19, v55, s4
	s_or_b32 s4, s5, exec_lo
.LBB695_248:
	s_or_b32 exec_lo, exec_lo, s74
	s_andn2_b32 s5, s5, exec_lo
	s_and_b32 s4, s4, exec_lo
	s_or_b32 s5, s5, s4
	s_or_b32 exec_lo, exec_lo, s66
	s_and_saveexec_b32 s66, s15
	s_cbranch_execz .LBB695_151
.LBB695_249:
	global_load_ubyte v0, v[5:6], off offset:608
	s_waitcnt vmcnt(0)
	v_and_b32_e32 v0, 1, v0
	v_cmp_eq_u32_e64 s4, 1, v0
	s_xor_b32 s36, s4, -1
	s_mov_b32 s4, s5
	s_and_saveexec_b32 s74, s36
	s_cbranch_execz .LBB695_251
; %bb.250:
	v_cmp_gt_f64_e64 s4, v[55:56], v[17:18]
	s_and_b32 s4, s5, s4
	v_cndmask_b32_e64 v56, v18, v56, s4
	v_cndmask_b32_e64 v55, v17, v55, s4
	s_or_b32 s4, s5, exec_lo
.LBB695_251:
	s_or_b32 exec_lo, exec_lo, s74
	s_andn2_b32 s5, s5, exec_lo
	s_and_b32 s4, s4, exec_lo
	s_or_b32 s5, s5, s4
	s_or_b32 exec_lo, exec_lo, s66
	s_and_saveexec_b32 s66, s14
	s_cbranch_execz .LBB695_152
.LBB695_252:
	global_load_ubyte v0, v[5:6], off offset:640
	s_waitcnt vmcnt(0)
	v_and_b32_e32 v0, 1, v0
	v_cmp_eq_u32_e64 s4, 1, v0
	s_xor_b32 s36, s4, -1
	s_mov_b32 s4, s5
	s_and_saveexec_b32 s74, s36
	s_cbranch_execz .LBB695_254
; %bb.253:
	v_cmp_gt_f64_e64 s4, v[55:56], v[15:16]
	s_and_b32 s4, s5, s4
	v_cndmask_b32_e64 v56, v16, v56, s4
	v_cndmask_b32_e64 v55, v15, v55, s4
	s_or_b32 s4, s5, exec_lo
.LBB695_254:
	s_or_b32 exec_lo, exec_lo, s74
	s_andn2_b32 s5, s5, exec_lo
	s_and_b32 s4, s4, exec_lo
	s_or_b32 s5, s5, s4
	s_or_b32 exec_lo, exec_lo, s66
	s_and_saveexec_b32 s66, s13
	s_cbranch_execz .LBB695_153
.LBB695_255:
	global_load_ubyte v0, v[5:6], off offset:672
	s_waitcnt vmcnt(0)
	v_and_b32_e32 v0, 1, v0
	v_cmp_eq_u32_e64 s4, 1, v0
	s_xor_b32 s36, s4, -1
	s_mov_b32 s4, s5
	s_and_saveexec_b32 s74, s36
	s_cbranch_execz .LBB695_257
; %bb.256:
	v_cmp_gt_f64_e64 s4, v[55:56], v[13:14]
	s_and_b32 s4, s5, s4
	v_cndmask_b32_e64 v56, v14, v56, s4
	v_cndmask_b32_e64 v55, v13, v55, s4
	s_or_b32 s4, s5, exec_lo
.LBB695_257:
	s_or_b32 exec_lo, exec_lo, s74
	s_andn2_b32 s5, s5, exec_lo
	s_and_b32 s4, s4, exec_lo
	s_or_b32 s5, s5, s4
	s_or_b32 exec_lo, exec_lo, s66
	s_and_saveexec_b32 s66, s12
	s_cbranch_execz .LBB695_154
.LBB695_258:
	global_load_ubyte v0, v[5:6], off offset:704
	s_waitcnt vmcnt(0)
	v_and_b32_e32 v0, 1, v0
	v_cmp_eq_u32_e64 s4, 1, v0
	s_xor_b32 s36, s4, -1
	s_mov_b32 s4, s5
	s_and_saveexec_b32 s74, s36
	s_cbranch_execz .LBB695_260
; %bb.259:
	v_cmp_gt_f64_e64 s4, v[55:56], v[7:8]
	s_and_b32 s4, s5, s4
	v_cndmask_b32_e64 v56, v8, v56, s4
	v_cndmask_b32_e64 v55, v7, v55, s4
	s_or_b32 s4, s5, exec_lo
.LBB695_260:
	s_or_b32 exec_lo, exec_lo, s74
	s_andn2_b32 s5, s5, exec_lo
	s_and_b32 s4, s4, exec_lo
	s_or_b32 s5, s5, s4
	s_or_b32 exec_lo, exec_lo, s66
	s_and_saveexec_b32 s66, s11
	s_cbranch_execz .LBB695_155
.LBB695_261:
	global_load_ubyte v0, v[5:6], off offset:736
	s_waitcnt vmcnt(0)
	v_and_b32_e32 v0, 1, v0
	v_cmp_eq_u32_e64 s4, 1, v0
	s_xor_b32 s36, s4, -1
	s_mov_b32 s4, s5
	s_and_saveexec_b32 s74, s36
	s_cbranch_execz .LBB695_263
; %bb.262:
	v_cmp_gt_f64_e64 s4, v[55:56], v[123:124]
	s_and_b32 s4, s5, s4
	v_cndmask_b32_e64 v56, v124, v56, s4
	v_cndmask_b32_e64 v55, v123, v55, s4
	s_or_b32 s4, s5, exec_lo
.LBB695_263:
	s_or_b32 exec_lo, exec_lo, s74
	s_andn2_b32 s5, s5, exec_lo
	s_and_b32 s4, s4, exec_lo
	s_or_b32 s5, s5, s4
	s_or_b32 exec_lo, exec_lo, s66
	s_and_saveexec_b32 s66, s10
	s_cbranch_execz .LBB695_156
.LBB695_264:
	global_load_ubyte v0, v[5:6], off offset:768
	s_waitcnt vmcnt(0)
	v_and_b32_e32 v0, 1, v0
	v_cmp_eq_u32_e64 s4, 1, v0
	s_xor_b32 s36, s4, -1
	s_mov_b32 s4, s5
	s_and_saveexec_b32 s74, s36
	s_cbranch_execz .LBB695_266
; %bb.265:
	v_cmp_gt_f64_e64 s4, v[55:56], v[119:120]
	s_and_b32 s4, s5, s4
	v_cndmask_b32_e64 v56, v120, v56, s4
	v_cndmask_b32_e64 v55, v119, v55, s4
	s_or_b32 s4, s5, exec_lo
.LBB695_266:
	s_or_b32 exec_lo, exec_lo, s74
	s_andn2_b32 s5, s5, exec_lo
	s_and_b32 s4, s4, exec_lo
	s_or_b32 s5, s5, s4
	s_or_b32 exec_lo, exec_lo, s66
	s_and_saveexec_b32 s66, s9
	s_cbranch_execz .LBB695_157
.LBB695_267:
	global_load_ubyte v0, v[5:6], off offset:800
	s_waitcnt vmcnt(0)
	v_and_b32_e32 v0, 1, v0
	v_cmp_eq_u32_e64 s4, 1, v0
	s_xor_b32 s36, s4, -1
	s_mov_b32 s4, s5
	s_and_saveexec_b32 s74, s36
	s_cbranch_execz .LBB695_269
; %bb.268:
	v_cmp_gt_f64_e64 s4, v[55:56], v[115:116]
	s_and_b32 s4, s5, s4
	v_cndmask_b32_e64 v56, v116, v56, s4
	v_cndmask_b32_e64 v55, v115, v55, s4
	s_or_b32 s4, s5, exec_lo
.LBB695_269:
	s_or_b32 exec_lo, exec_lo, s74
	s_andn2_b32 s5, s5, exec_lo
	s_and_b32 s4, s4, exec_lo
	s_or_b32 s5, s5, s4
	s_or_b32 exec_lo, exec_lo, s66
	s_and_saveexec_b32 s66, s8
	s_cbranch_execz .LBB695_158
.LBB695_270:
	global_load_ubyte v0, v[5:6], off offset:832
	s_waitcnt vmcnt(0)
	v_and_b32_e32 v0, 1, v0
	v_cmp_eq_u32_e64 s4, 1, v0
	s_xor_b32 s36, s4, -1
	s_mov_b32 s4, s5
	s_and_saveexec_b32 s74, s36
	s_cbranch_execz .LBB695_272
; %bb.271:
	v_cmp_gt_f64_e64 s4, v[55:56], v[111:112]
	s_and_b32 s4, s5, s4
	v_cndmask_b32_e64 v56, v112, v56, s4
	v_cndmask_b32_e64 v55, v111, v55, s4
	s_or_b32 s4, s5, exec_lo
.LBB695_272:
	s_or_b32 exec_lo, exec_lo, s74
	s_andn2_b32 s5, s5, exec_lo
	s_and_b32 s4, s4, exec_lo
	s_or_b32 s5, s5, s4
	s_or_b32 exec_lo, exec_lo, s66
	s_and_saveexec_b32 s66, s7
	s_cbranch_execz .LBB695_159
.LBB695_273:
	global_load_ubyte v0, v[5:6], off offset:864
	s_waitcnt vmcnt(0)
	v_and_b32_e32 v0, 1, v0
	v_cmp_eq_u32_e64 s4, 1, v0
	s_xor_b32 s36, s4, -1
	s_mov_b32 s4, s5
	s_and_saveexec_b32 s74, s36
	s_cbranch_execz .LBB695_275
; %bb.274:
	v_cmp_gt_f64_e64 s4, v[55:56], v[107:108]
	s_and_b32 s4, s5, s4
	v_cndmask_b32_e64 v56, v108, v56, s4
	v_cndmask_b32_e64 v55, v107, v55, s4
	s_or_b32 s4, s5, exec_lo
.LBB695_275:
	s_or_b32 exec_lo, exec_lo, s74
	s_andn2_b32 s5, s5, exec_lo
	s_and_b32 s4, s4, exec_lo
	s_or_b32 s5, s5, s4
	s_or_b32 exec_lo, exec_lo, s66
	s_and_saveexec_b32 s66, s6
	s_cbranch_execz .LBB695_160
.LBB695_276:
	global_load_ubyte v0, v[5:6], off offset:896
	s_waitcnt vmcnt(0)
	v_and_b32_e32 v0, 1, v0
	v_cmp_eq_u32_e64 s4, 1, v0
	s_xor_b32 s36, s4, -1
	s_mov_b32 s4, s5
	s_and_saveexec_b32 s74, s36
	s_cbranch_execz .LBB695_278
; %bb.277:
	v_cmp_gt_f64_e64 s4, v[55:56], v[103:104]
	s_and_b32 s4, s5, s4
	v_cndmask_b32_e64 v56, v104, v56, s4
	v_cndmask_b32_e64 v55, v103, v55, s4
	s_or_b32 s4, s5, exec_lo
.LBB695_278:
	s_or_b32 exec_lo, exec_lo, s74
	s_andn2_b32 s5, s5, exec_lo
	s_and_b32 s4, s4, exec_lo
	s_or_b32 s5, s5, s4
	s_or_b32 exec_lo, exec_lo, s66
	s_and_saveexec_b32 s66, s3
	s_cbranch_execz .LBB695_161
.LBB695_279:
	global_load_ubyte v0, v[5:6], off offset:928
	s_waitcnt vmcnt(0)
	v_and_b32_e32 v0, 1, v0
	v_cmp_eq_u32_e64 s4, 1, v0
	s_xor_b32 s36, s4, -1
	s_mov_b32 s4, s5
	s_and_saveexec_b32 s74, s36
	s_cbranch_execz .LBB695_281
; %bb.280:
	v_cmp_gt_f64_e64 s4, v[55:56], v[97:98]
	s_and_b32 s4, s5, s4
	v_cndmask_b32_e64 v56, v98, v56, s4
	v_cndmask_b32_e64 v55, v97, v55, s4
	s_or_b32 s4, s5, exec_lo
.LBB695_281:
	s_or_b32 exec_lo, exec_lo, s74
	s_andn2_b32 s5, s5, exec_lo
	s_and_b32 s4, s4, exec_lo
	s_or_b32 s5, s5, s4
	s_or_b32 exec_lo, exec_lo, s66
	s_and_saveexec_b32 s66, s2
	s_cbranch_execz .LBB695_162
.LBB695_282:
	global_load_ubyte v0, v[5:6], off offset:960
	s_waitcnt vmcnt(0)
	v_and_b32_e32 v0, 1, v0
	v_cmp_eq_u32_e64 s4, 1, v0
	s_xor_b32 s36, s4, -1
	s_mov_b32 s4, s5
	s_and_saveexec_b32 s74, s36
	s_cbranch_execz .LBB695_284
; %bb.283:
	v_cmp_gt_f64_e64 s4, v[55:56], v[95:96]
	s_and_b32 s4, s5, s4
	v_cndmask_b32_e64 v56, v96, v56, s4
	v_cndmask_b32_e64 v55, v95, v55, s4
	s_or_b32 s4, s5, exec_lo
.LBB695_284:
	s_or_b32 exec_lo, exec_lo, s74
	s_andn2_b32 s5, s5, exec_lo
	s_and_b32 s4, s4, exec_lo
	s_or_b32 s5, s5, s4
	s_or_b32 exec_lo, exec_lo, s66
	s_and_saveexec_b32 s66, s1
	s_cbranch_execz .LBB695_163
.LBB695_285:
	global_load_ubyte v0, v[5:6], off offset:992
	s_waitcnt vmcnt(0)
	v_and_b32_e32 v0, 1, v0
	v_cmp_eq_u32_e64 s4, 1, v0
	s_xor_b32 s36, s4, -1
	s_mov_b32 s4, s5
	s_and_saveexec_b32 s74, s36
	s_cbranch_execz .LBB695_287
; %bb.286:
	v_cmp_gt_f64_e64 s4, v[55:56], v[89:90]
	s_and_b32 s4, s5, s4
	v_cndmask_b32_e64 v56, v90, v56, s4
	v_cndmask_b32_e64 v55, v89, v55, s4
	s_or_b32 s4, s5, exec_lo
.LBB695_287:
	s_or_b32 exec_lo, exec_lo, s74
	s_andn2_b32 s5, s5, exec_lo
	s_and_b32 s4, s4, exec_lo
	s_or_b32 s5, s5, s4
	s_or_b32 exec_lo, exec_lo, s66
	s_and_saveexec_b32 s66, vcc_hi
	s_cbranch_execz .LBB695_164
.LBB695_288:
	global_load_ubyte v0, v[5:6], off offset:1024
	s_waitcnt vmcnt(0)
	v_and_b32_e32 v0, 1, v0
	v_cmp_eq_u32_e64 s4, 1, v0
	s_xor_b32 s36, s4, -1
	s_mov_b32 s4, s5
	s_and_saveexec_b32 s74, s36
	s_cbranch_execz .LBB695_290
; %bb.289:
	v_cmp_gt_f64_e64 s4, v[55:56], v[87:88]
	s_and_b32 s4, s5, s4
	v_cndmask_b32_e64 v56, v88, v56, s4
	v_cndmask_b32_e64 v55, v87, v55, s4
	s_or_b32 s4, s5, exec_lo
.LBB695_290:
	s_or_b32 exec_lo, exec_lo, s74
	s_andn2_b32 s5, s5, exec_lo
	s_and_b32 s4, s4, exec_lo
	s_or_b32 s5, s5, s4
	s_or_b32 exec_lo, exec_lo, s66
	s_and_saveexec_b32 s66, s104
	s_cbranch_execz .LBB695_165
.LBB695_291:
	global_load_ubyte v0, v[5:6], off offset:1056
	s_waitcnt vmcnt(0)
	v_and_b32_e32 v0, 1, v0
	v_cmp_eq_u32_e64 s4, 1, v0
	s_xor_b32 s36, s4, -1
	s_mov_b32 s4, s5
	s_and_saveexec_b32 s74, s36
	s_cbranch_execz .LBB695_293
; %bb.292:
	v_cmp_gt_f64_e64 s4, v[55:56], v[81:82]
	s_and_b32 s4, s5, s4
	v_cndmask_b32_e64 v56, v82, v56, s4
	v_cndmask_b32_e64 v55, v81, v55, s4
	s_or_b32 s4, s5, exec_lo
.LBB695_293:
	s_or_b32 exec_lo, exec_lo, s74
	s_andn2_b32 s5, s5, exec_lo
	s_and_b32 s4, s4, exec_lo
	s_or_b32 s5, s5, s4
	s_or_b32 exec_lo, exec_lo, s66
	s_and_saveexec_b32 s66, s99
	s_cbranch_execz .LBB695_166
.LBB695_294:
	global_load_ubyte v0, v[5:6], off offset:1088
	s_waitcnt vmcnt(0)
	v_and_b32_e32 v0, 1, v0
	v_cmp_eq_u32_e64 s4, 1, v0
	s_xor_b32 s36, s4, -1
	s_mov_b32 s4, s5
	s_and_saveexec_b32 s74, s36
	s_cbranch_execz .LBB695_296
; %bb.295:
	v_cmp_gt_f64_e64 s4, v[55:56], v[79:80]
	s_and_b32 s4, s5, s4
	v_cndmask_b32_e64 v56, v80, v56, s4
	v_cndmask_b32_e64 v55, v79, v55, s4
	s_or_b32 s4, s5, exec_lo
.LBB695_296:
	s_or_b32 exec_lo, exec_lo, s74
	s_andn2_b32 s5, s5, exec_lo
	s_and_b32 s4, s4, exec_lo
	s_or_b32 s5, s5, s4
	s_or_b32 exec_lo, exec_lo, s66
	s_and_saveexec_b32 s66, s98
	s_cbranch_execz .LBB695_167
.LBB695_297:
	global_load_ubyte v0, v[5:6], off offset:1120
	s_waitcnt vmcnt(0)
	v_and_b32_e32 v0, 1, v0
	v_cmp_eq_u32_e64 s4, 1, v0
	s_xor_b32 s36, s4, -1
	s_mov_b32 s4, s5
	s_and_saveexec_b32 s74, s36
	s_cbranch_execz .LBB695_299
; %bb.298:
	v_cmp_gt_f64_e64 s4, v[55:56], v[73:74]
	s_and_b32 s4, s5, s4
	v_cndmask_b32_e64 v56, v74, v56, s4
	v_cndmask_b32_e64 v55, v73, v55, s4
	s_or_b32 s4, s5, exec_lo
.LBB695_299:
	s_or_b32 exec_lo, exec_lo, s74
	s_andn2_b32 s5, s5, exec_lo
	s_and_b32 s4, s4, exec_lo
	s_or_b32 s5, s5, s4
	s_or_b32 exec_lo, exec_lo, s66
	s_and_saveexec_b32 s66, s97
	s_cbranch_execz .LBB695_168
.LBB695_300:
	global_load_ubyte v0, v[5:6], off offset:1152
	s_waitcnt vmcnt(0)
	v_and_b32_e32 v0, 1, v0
	v_cmp_eq_u32_e64 s4, 1, v0
	s_xor_b32 s36, s4, -1
	s_mov_b32 s4, s5
	s_and_saveexec_b32 s74, s36
	s_cbranch_execz .LBB695_302
; %bb.301:
	v_cmp_gt_f64_e64 s4, v[55:56], v[71:72]
	s_and_b32 s4, s5, s4
	v_cndmask_b32_e64 v56, v72, v56, s4
	v_cndmask_b32_e64 v55, v71, v55, s4
	s_or_b32 s4, s5, exec_lo
.LBB695_302:
	s_or_b32 exec_lo, exec_lo, s74
	s_andn2_b32 s5, s5, exec_lo
	s_and_b32 s4, s4, exec_lo
	s_or_b32 s5, s5, s4
	s_or_b32 exec_lo, exec_lo, s66
	s_and_saveexec_b32 s66, s96
	s_cbranch_execz .LBB695_169
.LBB695_303:
	global_load_ubyte v0, v[5:6], off offset:1184
	s_waitcnt vmcnt(0)
	v_and_b32_e32 v0, 1, v0
	v_cmp_eq_u32_e64 s4, 1, v0
	s_xor_b32 s36, s4, -1
	s_mov_b32 s4, s5
	s_and_saveexec_b32 s74, s36
	s_cbranch_execz .LBB695_305
; %bb.304:
	v_cmp_gt_f64_e64 s4, v[55:56], v[65:66]
	s_and_b32 s4, s5, s4
	v_cndmask_b32_e64 v56, v66, v56, s4
	v_cndmask_b32_e64 v55, v65, v55, s4
	s_or_b32 s4, s5, exec_lo
.LBB695_305:
	s_or_b32 exec_lo, exec_lo, s74
	s_andn2_b32 s5, s5, exec_lo
	s_and_b32 s4, s4, exec_lo
	s_or_b32 s5, s5, s4
	s_or_b32 exec_lo, exec_lo, s66
	s_and_saveexec_b32 s66, s95
	s_cbranch_execz .LBB695_170
.LBB695_306:
	global_load_ubyte v0, v[5:6], off offset:1216
	s_waitcnt vmcnt(0)
	v_and_b32_e32 v0, 1, v0
	v_cmp_eq_u32_e64 s4, 1, v0
	s_xor_b32 s36, s4, -1
	s_mov_b32 s4, s5
	s_and_saveexec_b32 s74, s36
	s_cbranch_execz .LBB695_308
; %bb.307:
	v_cmp_gt_f64_e64 s4, v[55:56], v[63:64]
	s_and_b32 s4, s5, s4
	v_cndmask_b32_e64 v56, v64, v56, s4
	v_cndmask_b32_e64 v55, v63, v55, s4
	s_or_b32 s4, s5, exec_lo
.LBB695_308:
	s_or_b32 exec_lo, exec_lo, s74
	s_andn2_b32 s5, s5, exec_lo
	s_and_b32 s4, s4, exec_lo
	s_or_b32 s5, s5, s4
	s_or_b32 exec_lo, exec_lo, s66
	s_and_saveexec_b32 s66, s94
	s_cbranch_execz .LBB695_171
.LBB695_309:
	global_load_ubyte v0, v[5:6], off offset:1248
	s_waitcnt vmcnt(0)
	v_and_b32_e32 v0, 1, v0
	v_cmp_eq_u32_e64 s4, 1, v0
	s_xor_b32 s36, s4, -1
	s_mov_b32 s4, s5
	s_and_saveexec_b32 s74, s36
	s_cbranch_execz .LBB695_311
; %bb.310:
	v_cmp_gt_f64_e64 s4, v[55:56], v[53:54]
	s_and_b32 s4, s5, s4
	v_cndmask_b32_e64 v56, v54, v56, s4
	v_cndmask_b32_e64 v55, v53, v55, s4
	s_or_b32 s4, s5, exec_lo
.LBB695_311:
	s_or_b32 exec_lo, exec_lo, s74
	s_andn2_b32 s5, s5, exec_lo
	s_and_b32 s4, s4, exec_lo
	s_or_b32 s5, s5, s4
	s_or_b32 exec_lo, exec_lo, s66
	s_and_saveexec_b32 s66, s93
	s_cbranch_execz .LBB695_172
.LBB695_312:
	global_load_ubyte v0, v[5:6], off offset:1280
	s_waitcnt vmcnt(0)
	v_and_b32_e32 v0, 1, v0
	v_cmp_eq_u32_e64 s4, 1, v0
	s_xor_b32 s36, s4, -1
	s_mov_b32 s4, s5
	s_and_saveexec_b32 s74, s36
	s_cbranch_execz .LBB695_314
; %bb.313:
	v_cmp_gt_f64_e64 s4, v[55:56], v[51:52]
	s_and_b32 s4, s5, s4
	v_cndmask_b32_e64 v56, v52, v56, s4
	v_cndmask_b32_e64 v55, v51, v55, s4
	s_or_b32 s4, s5, exec_lo
.LBB695_314:
	s_or_b32 exec_lo, exec_lo, s74
	s_andn2_b32 s5, s5, exec_lo
	s_and_b32 s4, s4, exec_lo
	s_or_b32 s5, s5, s4
	s_or_b32 exec_lo, exec_lo, s66
	s_and_saveexec_b32 s66, s92
	s_cbranch_execz .LBB695_173
.LBB695_315:
	global_load_ubyte v0, v[5:6], off offset:1312
	s_waitcnt vmcnt(0)
	v_and_b32_e32 v0, 1, v0
	v_cmp_eq_u32_e64 s4, 1, v0
	s_xor_b32 s36, s4, -1
	s_mov_b32 s4, s5
	s_and_saveexec_b32 s74, s36
	s_cbranch_execz .LBB695_317
; %bb.316:
	v_cmp_gt_f64_e64 s4, v[55:56], v[49:50]
	s_and_b32 s4, s5, s4
	v_cndmask_b32_e64 v56, v50, v56, s4
	v_cndmask_b32_e64 v55, v49, v55, s4
	s_or_b32 s4, s5, exec_lo
.LBB695_317:
	s_or_b32 exec_lo, exec_lo, s74
	s_andn2_b32 s5, s5, exec_lo
	s_and_b32 s4, s4, exec_lo
	s_or_b32 s5, s5, s4
	s_or_b32 exec_lo, exec_lo, s66
	s_and_saveexec_b32 s66, s91
	s_cbranch_execz .LBB695_174
.LBB695_318:
	global_load_ubyte v0, v[5:6], off offset:1344
	s_waitcnt vmcnt(0)
	v_and_b32_e32 v0, 1, v0
	v_cmp_eq_u32_e64 s4, 1, v0
	s_xor_b32 s36, s4, -1
	s_mov_b32 s4, s5
	s_and_saveexec_b32 s74, s36
	s_cbranch_execz .LBB695_320
; %bb.319:
	v_cmp_gt_f64_e64 s4, v[55:56], v[47:48]
	s_and_b32 s4, s5, s4
	v_cndmask_b32_e64 v56, v48, v56, s4
	v_cndmask_b32_e64 v55, v47, v55, s4
	s_or_b32 s4, s5, exec_lo
.LBB695_320:
	s_or_b32 exec_lo, exec_lo, s74
	s_andn2_b32 s5, s5, exec_lo
	s_and_b32 s4, s4, exec_lo
	s_or_b32 s5, s5, s4
	s_or_b32 exec_lo, exec_lo, s66
	s_and_saveexec_b32 s66, s90
	s_cbranch_execz .LBB695_175
.LBB695_321:
	global_load_ubyte v0, v[5:6], off offset:1376
	s_waitcnt vmcnt(0)
	v_and_b32_e32 v0, 1, v0
	v_cmp_eq_u32_e64 s4, 1, v0
	s_xor_b32 s36, s4, -1
	s_mov_b32 s4, s5
	s_and_saveexec_b32 s74, s36
	s_cbranch_execz .LBB695_323
; %bb.322:
	v_cmp_gt_f64_e64 s4, v[55:56], v[45:46]
	s_and_b32 s4, s5, s4
	v_cndmask_b32_e64 v56, v46, v56, s4
	v_cndmask_b32_e64 v55, v45, v55, s4
	s_or_b32 s4, s5, exec_lo
.LBB695_323:
	s_or_b32 exec_lo, exec_lo, s74
	s_andn2_b32 s5, s5, exec_lo
	s_and_b32 s4, s4, exec_lo
	s_or_b32 s5, s5, s4
	s_or_b32 exec_lo, exec_lo, s66
	s_and_saveexec_b32 s66, s89
	s_cbranch_execz .LBB695_176
.LBB695_324:
	global_load_ubyte v0, v[5:6], off offset:1408
	s_waitcnt vmcnt(0)
	v_and_b32_e32 v0, 1, v0
	v_cmp_eq_u32_e64 s4, 1, v0
	s_xor_b32 s36, s4, -1
	s_mov_b32 s4, s5
	s_and_saveexec_b32 s74, s36
	s_cbranch_execz .LBB695_326
; %bb.325:
	v_cmp_gt_f64_e64 s4, v[55:56], v[43:44]
	s_and_b32 s4, s5, s4
	v_cndmask_b32_e64 v56, v44, v56, s4
	v_cndmask_b32_e64 v55, v43, v55, s4
	s_or_b32 s4, s5, exec_lo
.LBB695_326:
	s_or_b32 exec_lo, exec_lo, s74
	s_andn2_b32 s5, s5, exec_lo
	s_and_b32 s4, s4, exec_lo
	s_or_b32 s5, s5, s4
	s_or_b32 exec_lo, exec_lo, s66
	s_and_saveexec_b32 s66, s88
	s_cbranch_execz .LBB695_177
.LBB695_327:
	global_load_ubyte v0, v[5:6], off offset:1440
	s_waitcnt vmcnt(0)
	v_and_b32_e32 v0, 1, v0
	v_cmp_eq_u32_e64 s4, 1, v0
	s_xor_b32 s36, s4, -1
	s_mov_b32 s4, s5
	s_and_saveexec_b32 s74, s36
	s_cbranch_execz .LBB695_329
; %bb.328:
	v_cmp_gt_f64_e64 s4, v[55:56], v[41:42]
	s_and_b32 s4, s5, s4
	v_cndmask_b32_e64 v56, v42, v56, s4
	v_cndmask_b32_e64 v55, v41, v55, s4
	s_or_b32 s4, s5, exec_lo
.LBB695_329:
	s_or_b32 exec_lo, exec_lo, s74
	s_andn2_b32 s5, s5, exec_lo
	s_and_b32 s4, s4, exec_lo
	s_or_b32 s5, s5, s4
	s_or_b32 exec_lo, exec_lo, s66
	s_and_saveexec_b32 s66, s87
	s_cbranch_execz .LBB695_178
.LBB695_330:
	global_load_ubyte v0, v[5:6], off offset:1472
	s_waitcnt vmcnt(0)
	v_and_b32_e32 v0, 1, v0
	v_cmp_eq_u32_e64 s4, 1, v0
	s_xor_b32 s36, s4, -1
	s_mov_b32 s4, s5
	s_and_saveexec_b32 s74, s36
	s_cbranch_execz .LBB695_332
; %bb.331:
	v_cmp_gt_f64_e64 s4, v[55:56], v[39:40]
	s_and_b32 s4, s5, s4
	v_cndmask_b32_e64 v56, v40, v56, s4
	v_cndmask_b32_e64 v55, v39, v55, s4
	s_or_b32 s4, s5, exec_lo
.LBB695_332:
	s_or_b32 exec_lo, exec_lo, s74
	s_andn2_b32 s5, s5, exec_lo
	s_and_b32 s4, s4, exec_lo
	s_or_b32 s5, s5, s4
	s_or_b32 exec_lo, exec_lo, s66
	s_and_saveexec_b32 s66, s86
	s_cbranch_execz .LBB695_179
.LBB695_333:
	global_load_ubyte v0, v[5:6], off offset:1504
	s_waitcnt vmcnt(0)
	v_and_b32_e32 v0, 1, v0
	v_cmp_eq_u32_e64 s4, 1, v0
	s_xor_b32 s36, s4, -1
	s_mov_b32 s4, s5
	s_and_saveexec_b32 s74, s36
	s_cbranch_execz .LBB695_335
; %bb.334:
	v_cmp_gt_f64_e64 s4, v[55:56], v[37:38]
	s_and_b32 s4, s5, s4
	v_cndmask_b32_e64 v56, v38, v56, s4
	v_cndmask_b32_e64 v55, v37, v55, s4
	s_or_b32 s4, s5, exec_lo
.LBB695_335:
	s_or_b32 exec_lo, exec_lo, s74
	s_andn2_b32 s5, s5, exec_lo
	s_and_b32 s4, s4, exec_lo
	s_or_b32 s5, s5, s4
	s_or_b32 exec_lo, exec_lo, s66
	s_and_saveexec_b32 s66, s85
	s_cbranch_execz .LBB695_180
.LBB695_336:
	global_load_ubyte v0, v[5:6], off offset:1536
	s_waitcnt vmcnt(0)
	v_and_b32_e32 v0, 1, v0
	v_cmp_eq_u32_e64 s4, 1, v0
	s_xor_b32 s36, s4, -1
	s_mov_b32 s4, s5
	s_and_saveexec_b32 s74, s36
	s_cbranch_execz .LBB695_338
; %bb.337:
	v_cmp_gt_f64_e64 s4, v[55:56], v[35:36]
	s_and_b32 s4, s5, s4
	v_cndmask_b32_e64 v56, v36, v56, s4
	v_cndmask_b32_e64 v55, v35, v55, s4
	s_or_b32 s4, s5, exec_lo
.LBB695_338:
	s_or_b32 exec_lo, exec_lo, s74
	s_andn2_b32 s5, s5, exec_lo
	s_and_b32 s4, s4, exec_lo
	s_or_b32 s5, s5, s4
	s_or_b32 exec_lo, exec_lo, s66
	s_and_saveexec_b32 s66, s84
	s_cbranch_execz .LBB695_181
.LBB695_339:
	global_load_ubyte v0, v[5:6], off offset:1568
	s_waitcnt vmcnt(0)
	v_and_b32_e32 v0, 1, v0
	v_cmp_eq_u32_e64 s4, 1, v0
	s_xor_b32 s36, s4, -1
	s_mov_b32 s4, s5
	s_and_saveexec_b32 s74, s36
	s_cbranch_execz .LBB695_341
; %bb.340:
	v_cmp_gt_f64_e64 s4, v[55:56], v[33:34]
	s_and_b32 s4, s5, s4
	v_cndmask_b32_e64 v56, v34, v56, s4
	v_cndmask_b32_e64 v55, v33, v55, s4
	s_or_b32 s4, s5, exec_lo
.LBB695_341:
	s_or_b32 exec_lo, exec_lo, s74
	s_andn2_b32 s5, s5, exec_lo
	s_and_b32 s4, s4, exec_lo
	s_or_b32 s5, s5, s4
	s_or_b32 exec_lo, exec_lo, s66
	s_and_saveexec_b32 s66, s83
	s_cbranch_execz .LBB695_182
.LBB695_342:
	global_load_ubyte v0, v[5:6], off offset:1600
	s_waitcnt vmcnt(0)
	v_and_b32_e32 v0, 1, v0
	v_cmp_eq_u32_e64 s4, 1, v0
	s_xor_b32 s36, s4, -1
	s_mov_b32 s4, s5
	s_and_saveexec_b32 s74, s36
	s_cbranch_execz .LBB695_344
; %bb.343:
	v_cmp_gt_f64_e64 s4, v[55:56], v[31:32]
	s_and_b32 s4, s5, s4
	v_cndmask_b32_e64 v56, v32, v56, s4
	v_cndmask_b32_e64 v55, v31, v55, s4
	s_or_b32 s4, s5, exec_lo
.LBB695_344:
	s_or_b32 exec_lo, exec_lo, s74
	s_andn2_b32 s5, s5, exec_lo
	s_and_b32 s4, s4, exec_lo
	s_or_b32 s5, s5, s4
	s_or_b32 exec_lo, exec_lo, s66
	s_and_saveexec_b32 s66, s82
	s_cbranch_execz .LBB695_183
.LBB695_345:
	global_load_ubyte v0, v[5:6], off offset:1632
	s_waitcnt vmcnt(0)
	v_and_b32_e32 v0, 1, v0
	v_cmp_eq_u32_e64 s4, 1, v0
	s_xor_b32 s36, s4, -1
	s_mov_b32 s4, s5
	s_and_saveexec_b32 s74, s36
	s_cbranch_execz .LBB695_347
; %bb.346:
	v_cmp_gt_f64_e64 s4, v[55:56], v[29:30]
	s_and_b32 s4, s5, s4
	v_cndmask_b32_e64 v56, v30, v56, s4
	v_cndmask_b32_e64 v55, v29, v55, s4
	s_or_b32 s4, s5, exec_lo
.LBB695_347:
	s_or_b32 exec_lo, exec_lo, s74
	s_andn2_b32 s5, s5, exec_lo
	s_and_b32 s4, s4, exec_lo
	s_or_b32 s5, s5, s4
	s_or_b32 exec_lo, exec_lo, s66
	s_and_saveexec_b32 s66, s81
	s_cbranch_execz .LBB695_184
.LBB695_348:
	global_load_ubyte v0, v[5:6], off offset:1664
	s_waitcnt vmcnt(0)
	v_and_b32_e32 v0, 1, v0
	v_cmp_eq_u32_e64 s4, 1, v0
	s_xor_b32 s36, s4, -1
	s_mov_b32 s4, s5
	s_and_saveexec_b32 s74, s36
	s_cbranch_execz .LBB695_350
; %bb.349:
	v_cmp_gt_f64_e64 s4, v[55:56], v[27:28]
	s_and_b32 s4, s5, s4
	v_cndmask_b32_e64 v56, v28, v56, s4
	v_cndmask_b32_e64 v55, v27, v55, s4
	s_or_b32 s4, s5, exec_lo
.LBB695_350:
	s_or_b32 exec_lo, exec_lo, s74
	s_andn2_b32 s5, s5, exec_lo
	s_and_b32 s4, s4, exec_lo
	s_or_b32 s5, s5, s4
	s_or_b32 exec_lo, exec_lo, s66
	s_and_saveexec_b32 s66, s80
	s_cbranch_execz .LBB695_185
.LBB695_351:
	global_load_ubyte v0, v[5:6], off offset:1696
	s_waitcnt vmcnt(0)
	v_and_b32_e32 v0, 1, v0
	v_cmp_eq_u32_e64 s4, 1, v0
	s_xor_b32 s36, s4, -1
	s_mov_b32 s4, s5
	s_and_saveexec_b32 s74, s36
	s_cbranch_execz .LBB695_353
; %bb.352:
	v_cmp_gt_f64_e64 s4, v[55:56], v[25:26]
	s_and_b32 s4, s5, s4
	v_cndmask_b32_e64 v56, v26, v56, s4
	v_cndmask_b32_e64 v55, v25, v55, s4
	s_or_b32 s4, s5, exec_lo
.LBB695_353:
	s_or_b32 exec_lo, exec_lo, s74
	s_andn2_b32 s5, s5, exec_lo
	s_and_b32 s4, s4, exec_lo
	s_or_b32 s5, s5, s4
	s_or_b32 exec_lo, exec_lo, s66
	s_and_saveexec_b32 s66, s79
	s_cbranch_execz .LBB695_186
.LBB695_354:
	global_load_ubyte v0, v[5:6], off offset:1728
	s_waitcnt vmcnt(0)
	v_and_b32_e32 v0, 1, v0
	v_cmp_eq_u32_e64 s4, 1, v0
	s_xor_b32 s36, s4, -1
	s_mov_b32 s4, s5
	s_and_saveexec_b32 s74, s36
	s_cbranch_execz .LBB695_356
; %bb.355:
	v_cmp_gt_f64_e64 s4, v[55:56], v[23:24]
	s_and_b32 s4, s5, s4
	v_cndmask_b32_e64 v56, v24, v56, s4
	v_cndmask_b32_e64 v55, v23, v55, s4
	s_or_b32 s4, s5, exec_lo
.LBB695_356:
	s_or_b32 exec_lo, exec_lo, s74
	s_andn2_b32 s5, s5, exec_lo
	s_and_b32 s4, s4, exec_lo
	s_or_b32 s5, s5, s4
	s_or_b32 exec_lo, exec_lo, s66
	s_and_saveexec_b32 s66, s78
	s_cbranch_execz .LBB695_187
.LBB695_357:
	global_load_ubyte v0, v[5:6], off offset:1760
	s_waitcnt vmcnt(0)
	v_and_b32_e32 v0, 1, v0
	v_cmp_eq_u32_e64 s4, 1, v0
	s_xor_b32 s36, s4, -1
	s_mov_b32 s4, s5
	s_and_saveexec_b32 s74, s36
	s_cbranch_execz .LBB695_359
; %bb.358:
	s_clause 0x1
	buffer_load_dword v0, off, s[100:103], 0 offset:68
	buffer_load_dword v1, off, s[100:103], 0 offset:72
	s_waitcnt vmcnt(0)
	v_cmp_gt_f64_e64 s4, v[55:56], v[0:1]
	s_and_b32 s4, s5, s4
	v_cndmask_b32_e64 v56, v1, v56, s4
	v_cndmask_b32_e64 v55, v0, v55, s4
	s_or_b32 s4, s5, exec_lo
.LBB695_359:
	s_or_b32 exec_lo, exec_lo, s74
	s_andn2_b32 s5, s5, exec_lo
	s_and_b32 s4, s4, exec_lo
	s_or_b32 s5, s5, s4
	s_or_b32 exec_lo, exec_lo, s66
	s_and_saveexec_b32 s66, s77
	s_cbranch_execz .LBB695_188
.LBB695_360:
	global_load_ubyte v0, v[5:6], off offset:1792
	s_waitcnt vmcnt(0)
	v_and_b32_e32 v0, 1, v0
	v_cmp_eq_u32_e64 s4, 1, v0
	s_xor_b32 s36, s4, -1
	s_mov_b32 s4, s5
	s_and_saveexec_b32 s74, s36
	s_cbranch_execz .LBB695_362
; %bb.361:
	s_clause 0x1
	buffer_load_dword v0, off, s[100:103], 0 offset:60
	buffer_load_dword v1, off, s[100:103], 0 offset:64
	s_waitcnt vmcnt(0)
	v_cmp_gt_f64_e64 s4, v[55:56], v[0:1]
	s_and_b32 s4, s5, s4
	v_cndmask_b32_e64 v56, v1, v56, s4
	v_cndmask_b32_e64 v55, v0, v55, s4
	s_or_b32 s4, s5, exec_lo
.LBB695_362:
	s_or_b32 exec_lo, exec_lo, s74
	s_andn2_b32 s5, s5, exec_lo
	s_and_b32 s4, s4, exec_lo
	s_or_b32 s5, s5, s4
	s_or_b32 exec_lo, exec_lo, s66
	s_and_saveexec_b32 s66, s76
	s_cbranch_execz .LBB695_189
.LBB695_363:
	global_load_ubyte v0, v[5:6], off offset:1824
	s_waitcnt vmcnt(0)
	v_and_b32_e32 v0, 1, v0
	v_cmp_eq_u32_e64 s4, 1, v0
	s_xor_b32 s36, s4, -1
	s_mov_b32 s4, s5
	s_and_saveexec_b32 s74, s36
	s_cbranch_execz .LBB695_365
; %bb.364:
	s_clause 0x1
	buffer_load_dword v0, off, s[100:103], 0 offset:52
	buffer_load_dword v1, off, s[100:103], 0 offset:56
	s_waitcnt vmcnt(0)
	v_cmp_gt_f64_e64 s4, v[55:56], v[0:1]
	s_and_b32 s4, s5, s4
	v_cndmask_b32_e64 v56, v1, v56, s4
	v_cndmask_b32_e64 v55, v0, v55, s4
	s_or_b32 s4, s5, exec_lo
.LBB695_365:
	s_or_b32 exec_lo, exec_lo, s74
	s_andn2_b32 s5, s5, exec_lo
	s_and_b32 s4, s4, exec_lo
	s_or_b32 s5, s5, s4
	s_or_b32 exec_lo, exec_lo, s66
	s_and_saveexec_b32 s66, s75
	s_cbranch_execz .LBB695_190
.LBB695_366:
	global_load_ubyte v0, v[5:6], off offset:1856
	s_waitcnt vmcnt(0)
	v_and_b32_e32 v0, 1, v0
	v_cmp_eq_u32_e64 s4, 1, v0
	s_xor_b32 s36, s4, -1
	s_mov_b32 s4, s5
	s_and_saveexec_b32 s74, s36
	s_cbranch_execz .LBB695_368
; %bb.367:
	s_clause 0x1
	buffer_load_dword v0, off, s[100:103], 0 offset:44
	buffer_load_dword v1, off, s[100:103], 0 offset:48
	s_waitcnt vmcnt(0)
	v_cmp_gt_f64_e64 s4, v[55:56], v[0:1]
	s_and_b32 s4, s5, s4
	v_cndmask_b32_e64 v56, v1, v56, s4
	v_cndmask_b32_e64 v55, v0, v55, s4
	s_or_b32 s4, s5, exec_lo
.LBB695_368:
	s_or_b32 exec_lo, exec_lo, s74
	s_andn2_b32 s5, s5, exec_lo
	s_and_b32 s4, s4, exec_lo
	s_or_b32 s5, s5, s4
	s_or_b32 exec_lo, exec_lo, s66
	s_and_saveexec_b32 s66, s73
	s_cbranch_execz .LBB695_191
.LBB695_369:
	global_load_ubyte v0, v[5:6], off offset:1888
	s_waitcnt vmcnt(0)
	v_and_b32_e32 v0, 1, v0
	v_cmp_eq_u32_e64 s4, 1, v0
	s_xor_b32 s36, s4, -1
	s_mov_b32 s4, s5
	s_and_saveexec_b32 s74, s36
	s_cbranch_execz .LBB695_371
; %bb.370:
	s_clause 0x1
	buffer_load_dword v0, off, s[100:103], 0 offset:36
	buffer_load_dword v1, off, s[100:103], 0 offset:40
	s_waitcnt vmcnt(0)
	v_cmp_gt_f64_e64 s4, v[55:56], v[0:1]
	s_and_b32 s4, s5, s4
	v_cndmask_b32_e64 v56, v1, v56, s4
	v_cndmask_b32_e64 v55, v0, v55, s4
	s_or_b32 s4, s5, exec_lo
.LBB695_371:
	s_or_b32 exec_lo, exec_lo, s74
	s_andn2_b32 s5, s5, exec_lo
	s_and_b32 s4, s4, exec_lo
	s_or_b32 s5, s5, s4
	s_or_b32 exec_lo, exec_lo, s66
	s_and_saveexec_b32 s66, s72
	s_cbranch_execz .LBB695_192
.LBB695_372:
	global_load_ubyte v0, v[5:6], off offset:1920
	s_waitcnt vmcnt(0)
	v_and_b32_e32 v0, 1, v0
	v_cmp_eq_u32_e64 s4, 1, v0
	s_xor_b32 s36, s4, -1
	s_mov_b32 s4, s5
	s_and_saveexec_b32 s74, s36
	s_cbranch_execz .LBB695_374
; %bb.373:
	s_clause 0x1
	buffer_load_dword v0, off, s[100:103], 0 offset:28
	buffer_load_dword v1, off, s[100:103], 0 offset:32
	s_waitcnt vmcnt(0)
	v_cmp_gt_f64_e64 s4, v[55:56], v[0:1]
	s_and_b32 s4, s5, s4
	v_cndmask_b32_e64 v56, v1, v56, s4
	v_cndmask_b32_e64 v55, v0, v55, s4
	s_or_b32 s4, s5, exec_lo
.LBB695_374:
	s_or_b32 exec_lo, exec_lo, s74
	s_andn2_b32 s5, s5, exec_lo
	s_and_b32 s4, s4, exec_lo
	s_or_b32 s5, s5, s4
	s_or_b32 exec_lo, exec_lo, s66
	s_and_saveexec_b32 s66, s71
	s_cbranch_execz .LBB695_193
.LBB695_375:
	global_load_ubyte v0, v[5:6], off offset:1952
	s_waitcnt vmcnt(0)
	v_and_b32_e32 v0, 1, v0
	v_cmp_eq_u32_e64 s4, 1, v0
	s_xor_b32 s36, s4, -1
	s_mov_b32 s4, s5
	s_and_saveexec_b32 s74, s36
	s_cbranch_execz .LBB695_377
; %bb.376:
	s_clause 0x1
	buffer_load_dword v0, off, s[100:103], 0 offset:20
	buffer_load_dword v1, off, s[100:103], 0 offset:24
	s_waitcnt vmcnt(0)
	v_cmp_gt_f64_e64 s4, v[55:56], v[0:1]
	s_and_b32 s4, s5, s4
	v_cndmask_b32_e64 v56, v1, v56, s4
	v_cndmask_b32_e64 v55, v0, v55, s4
	s_or_b32 s4, s5, exec_lo
.LBB695_377:
	s_or_b32 exec_lo, exec_lo, s74
	s_andn2_b32 s5, s5, exec_lo
	s_and_b32 s4, s4, exec_lo
	s_or_b32 s5, s5, s4
	s_or_b32 exec_lo, exec_lo, s66
	s_and_saveexec_b32 s66, s70
	s_cbranch_execz .LBB695_194
.LBB695_378:
	global_load_ubyte v0, v[5:6], off offset:1984
	s_waitcnt vmcnt(0)
	v_and_b32_e32 v0, 1, v0
	v_cmp_eq_u32_e64 s4, 1, v0
	s_xor_b32 s36, s4, -1
	s_mov_b32 s4, s5
	s_and_saveexec_b32 s74, s36
	s_cbranch_execz .LBB695_380
; %bb.379:
	s_clause 0x1
	buffer_load_dword v0, off, s[100:103], 0 offset:12
	buffer_load_dword v1, off, s[100:103], 0 offset:16
	s_waitcnt vmcnt(0)
	v_cmp_gt_f64_e64 s4, v[55:56], v[0:1]
	s_and_b32 s4, s5, s4
	v_cndmask_b32_e64 v56, v1, v56, s4
	v_cndmask_b32_e64 v55, v0, v55, s4
	s_or_b32 s4, s5, exec_lo
.LBB695_380:
	s_or_b32 exec_lo, exec_lo, s74
	s_andn2_b32 s5, s5, exec_lo
	s_and_b32 s4, s4, exec_lo
	s_or_b32 s5, s5, s4
	s_or_b32 exec_lo, exec_lo, s66
	s_and_saveexec_b32 s66, s67
	s_cbranch_execz .LBB695_384
.LBB695_381:
	global_load_ubyte v0, v[5:6], off offset:2016
	s_waitcnt vmcnt(0)
	v_and_b32_e32 v0, 1, v0
	v_cmp_eq_u32_e64 s4, 1, v0
	s_xor_b32 s36, s4, -1
	s_mov_b32 s4, s5
	s_and_saveexec_b32 s74, s36
	s_cbranch_execz .LBB695_383
; %bb.382:
	s_clause 0x1
	buffer_load_dword v0, off, s[100:103], 0 offset:4
	buffer_load_dword v1, off, s[100:103], 0 offset:8
	s_waitcnt vmcnt(0)
	v_cmp_gt_f64_e64 s4, v[55:56], v[0:1]
	s_and_b32 s4, s5, s4
	v_cndmask_b32_e64 v56, v1, v56, s4
	v_cndmask_b32_e64 v55, v0, v55, s4
	s_or_b32 s4, s5, exec_lo
.LBB695_383:
	s_or_b32 exec_lo, exec_lo, s74
	s_andn2_b32 s5, s5, exec_lo
	s_and_b32 s4, s4, exec_lo
	s_or_b32 s5, s5, s4
.LBB695_384:
	s_or_b32 exec_lo, exec_lo, s66
	v_mbcnt_lo_u32_b32 v21, -1, 0
	v_cndmask_b32_e64 v1, 0xfff00000, v56, s5
	v_cndmask_b32_e64 v0, 0, v55, s5
	v_xor_b32_e32 v2, 16, v21
	v_xor_b32_e32 v22, 8, v21
	v_cmp_gt_i32_e64 s4, 32, v2
	v_cndmask_b32_e64 v2, v21, v2, s4
	v_lshlrev_b32_e32 v2, 2, v2
	ds_bpermute_b32 v55, v2, v0
	ds_bpermute_b32 v56, v2, v1
	buffer_store_dword v2, off, s[100:103], 0 offset:84 ; 4-byte Folded Spill
	s_waitcnt lgkmcnt(0)
	v_cmp_lt_f64_e64 s4, v[0:1], v[55:56]
	v_cndmask_b32_e64 v1, v1, v56, s4
	v_cndmask_b32_e64 v0, v0, v55, s4
	v_cmp_gt_i32_e64 s4, 32, v22
	v_cndmask_b32_e64 v22, v21, v22, s4
	v_lshlrev_b32_e32 v2, 2, v22
	v_xor_b32_e32 v22, 4, v21
	ds_bpermute_b32 v55, v2, v0
	ds_bpermute_b32 v56, v2, v1
	buffer_store_dword v2, off, s[100:103], 0 offset:88 ; 4-byte Folded Spill
	s_waitcnt lgkmcnt(0)
	v_cmp_lt_f64_e64 s4, v[0:1], v[55:56]
	v_cndmask_b32_e64 v1, v1, v56, s4
	v_cndmask_b32_e64 v0, v0, v55, s4
	v_cmp_gt_i32_e64 s4, 32, v22
	v_cndmask_b32_e64 v22, v21, v22, s4
	v_lshlrev_b32_e32 v2, 2, v22
	v_xor_b32_e32 v22, 2, v21
	ds_bpermute_b32 v56, v2, v0
	ds_bpermute_b32 v57, v2, v1
	s_waitcnt lgkmcnt(0)
	v_cmp_lt_f64_e64 s4, v[0:1], v[56:57]
	v_cndmask_b32_e64 v1, v1, v57, s4
	v_cndmask_b32_e64 v0, v0, v56, s4
	v_cmp_gt_i32_e64 s4, 32, v22
	v_cndmask_b32_e64 v22, v21, v22, s4
	v_lshlrev_b32_e32 v125, 2, v22
	v_xor_b32_e32 v22, 1, v21
	ds_bpermute_b32 v57, v125, v0
	ds_bpermute_b32 v58, v125, v1
	s_waitcnt lgkmcnt(0)
	v_cmp_lt_f64_e64 s4, v[0:1], v[57:58]
	v_cndmask_b32_e64 v1, v1, v58, s4
	v_cndmask_b32_e64 v0, v0, v57, s4
	v_cmp_gt_i32_e64 s4, 32, v22
	v_cndmask_b32_e64 v21, v21, v22, s4
	v_lshlrev_b32_e32 v57, 2, v21
	ds_bpermute_b32 v58, v57, v0
	ds_bpermute_b32 v59, v57, v1
	s_waitcnt lgkmcnt(0)
	v_cmp_lt_f64_e64 s4, v[0:1], v[58:59]
	v_cndmask_b32_e64 v62, v1, v59, s4
	v_cndmask_b32_e64 v61, v0, v58, s4
	v_mov_b32_e32 v0, 0
	v_mov_b32_e32 v1, 0
	buffer_store_dword v0, off, s[100:103], 0 offset:92 ; 4-byte Folded Spill
	buffer_store_dword v1, off, s[100:103], 0 offset:96 ; 4-byte Folded Spill
	v_mov_b32_e32 v0, 0
	v_mov_b32_e32 v59, 0
	;; [unrolled: 1-line block ×4, first 2 shown]
	buffer_store_dword v0, off, s[100:103], 0 offset:76 ; 4-byte Folded Spill
	buffer_store_dword v1, off, s[100:103], 0 offset:80 ; 4-byte Folded Spill
	s_and_saveexec_b32 s66, s35
	s_cbranch_execz .LBB695_388
; %bb.385:
	global_load_ubyte v0, v[5:6], off
	v_mov_b32_e32 v59, 0
	v_mov_b32_e32 v60, 0
	s_waitcnt vmcnt(0)
	v_and_b32_e32 v0, 1, v0
	v_cmp_eq_u32_e64 s4, 1, v0
	v_mov_b32_e32 v0, 0
	v_mov_b32_e32 v1, 0
	buffer_store_dword v0, off, s[100:103], 0 offset:76 ; 4-byte Folded Spill
	buffer_store_dword v1, off, s[100:103], 0 offset:80 ; 4-byte Folded Spill
	s_xor_b32 s4, s4, -1
	s_and_saveexec_b32 s35, s4
	s_cbranch_execz .LBB695_387
; %bb.386:
	v_add_f64 v[0:1], v[69:70], -v[61:62]
	s_mov_b32 s4, 0x652b82fe
	s_mov_b32 s5, 0x3ff71547
	;; [unrolled: 1-line block ×4, first 2 shown]
	v_mul_f64 v[58:59], v[0:1], s[4:5]
	s_mov_b32 s4, 0xfefa39ef
	s_mov_b32 s5, 0xbfe62e42
	v_rndne_f64_e32 v[58:59], v[58:59]
	v_fma_f64 v[69:70], v[58:59], s[4:5], v[0:1]
	s_mov_b32 s4, 0x3b39803f
	s_mov_b32 s5, 0xbc7abc9e
	v_fma_f64 v[69:70], v[58:59], s[4:5], v[69:70]
	s_mov_b32 s4, 0xfca7ab0c
	s_mov_b32 s5, 0x3e928af3
	v_cvt_i32_f64_e32 v58, v[58:59]
	v_fma_f64 v[21:22], v[69:70], s[36:37], s[4:5]
	s_mov_b32 s4, 0x623fde64
	s_mov_b32 s5, 0x3ec71dee
	v_fma_f64 v[21:22], v[69:70], v[21:22], s[4:5]
	s_mov_b32 s4, 0x7c89e6b0
	s_mov_b32 s5, 0x3efa0199
	;; [unrolled: 3-line block ×8, first 2 shown]
	v_fma_f64 v[21:22], v[69:70], v[21:22], s[4:5]
	v_cmp_nlt_f64_e64 s4, 0x40900000, v[0:1]
	v_cmp_ngt_f64_e64 s5, 0xc090cc00, v[0:1]
	v_fma_f64 v[21:22], v[69:70], v[21:22], 1.0
	v_fma_f64 v[21:22], v[69:70], v[21:22], 1.0
	v_ldexp_f64 v[21:22], v[21:22], v58
	v_cndmask_b32_e64 v22, 0x7ff00000, v22, s4
	s_and_b32 s4, s5, s4
	v_cndmask_b32_e64 v0, 0, v21, s4
	v_cndmask_b32_e64 v1, 0, v22, s5
	buffer_store_dword v0, off, s[100:103], 0 offset:76 ; 4-byte Folded Spill
	buffer_store_dword v1, off, s[100:103], 0 offset:80 ; 4-byte Folded Spill
	v_add_f64 v[59:60], v[0:1], 0
.LBB695_387:
	s_or_b32 exec_lo, exec_lo, s35
.LBB695_388:
	s_or_b32 exec_lo, exec_lo, s66
	s_and_saveexec_b32 s35, s34
	s_cbranch_execz .LBB695_392
; %bb.389:
	global_load_ubyte v0, v[5:6], off offset:32
	s_waitcnt vmcnt(0)
	v_and_b32_e32 v0, 1, v0
	v_cmp_eq_u32_e64 s4, 1, v0
	v_mov_b32_e32 v0, 0
	v_mov_b32_e32 v1, 0
	buffer_store_dword v0, off, s[100:103], 0 offset:92 ; 4-byte Folded Spill
	buffer_store_dword v1, off, s[100:103], 0 offset:96 ; 4-byte Folded Spill
	s_xor_b32 s4, s4, -1
	s_and_saveexec_b32 s34, s4
	s_cbranch_execz .LBB695_391
; %bb.390:
	v_add_f64 v[0:1], v[67:68], -v[61:62]
	s_mov_b32 s4, 0x652b82fe
	s_mov_b32 s5, 0x3ff71547
	;; [unrolled: 1-line block ×4, first 2 shown]
	v_mul_f64 v[21:22], v[0:1], s[4:5]
	s_mov_b32 s4, 0xfefa39ef
	s_mov_b32 s5, 0xbfe62e42
	v_rndne_f64_e32 v[21:22], v[21:22]
	v_fma_f64 v[67:68], v[21:22], s[4:5], v[0:1]
	s_mov_b32 s4, 0x3b39803f
	s_mov_b32 s5, 0xbc7abc9e
	v_cvt_i32_f64_e32 v58, v[21:22]
	v_fma_f64 v[67:68], v[21:22], s[4:5], v[67:68]
	s_mov_b32 s4, 0xfca7ab0c
	s_mov_b32 s5, 0x3e928af3
	v_fma_f64 v[69:70], v[67:68], s[36:37], s[4:5]
	s_mov_b32 s4, 0x623fde64
	s_mov_b32 s5, 0x3ec71dee
	;; [unrolled: 3-line block ×9, first 2 shown]
	v_fma_f64 v[69:70], v[67:68], v[69:70], s[4:5]
	v_cmp_nlt_f64_e64 s4, 0x40900000, v[0:1]
	v_cmp_ngt_f64_e64 s5, 0xc090cc00, v[0:1]
	v_fma_f64 v[69:70], v[67:68], v[69:70], 1.0
	v_fma_f64 v[21:22], v[67:68], v[69:70], 1.0
	v_ldexp_f64 v[21:22], v[21:22], v58
	v_cndmask_b32_e64 v22, 0x7ff00000, v22, s4
	s_and_b32 s4, s5, s4
	v_cndmask_b32_e64 v0, 0, v21, s4
	v_cndmask_b32_e64 v1, 0, v22, s5
	buffer_store_dword v0, off, s[100:103], 0 offset:92 ; 4-byte Folded Spill
	buffer_store_dword v1, off, s[100:103], 0 offset:96 ; 4-byte Folded Spill
	v_add_f64 v[59:60], v[59:60], v[0:1]
.LBB695_391:
	s_or_b32 exec_lo, exec_lo, s34
.LBB695_392:
	s_or_b32 exec_lo, exec_lo, s35
	v_mov_b32_e32 v0, 0
	v_mov_b32_e32 v1, 0
	buffer_store_dword v0, off, s[100:103], 0 offset:108 ; 4-byte Folded Spill
	buffer_store_dword v1, off, s[100:103], 0 offset:112 ; 4-byte Folded Spill
	v_mov_b32_e32 v0, 0
	v_mov_b32_e32 v1, 0
	buffer_store_dword v0, off, s[100:103], 0 offset:100 ; 4-byte Folded Spill
	buffer_store_dword v1, off, s[100:103], 0 offset:104 ; 4-byte Folded Spill
	s_and_saveexec_b32 s34, s33
	s_cbranch_execz .LBB695_396
; %bb.393:
	global_load_ubyte v0, v[5:6], off offset:64
	s_waitcnt vmcnt(0)
	v_and_b32_e32 v0, 1, v0
	v_cmp_eq_u32_e64 s4, 1, v0
	v_mov_b32_e32 v0, 0
	v_mov_b32_e32 v1, 0
	buffer_store_dword v0, off, s[100:103], 0 offset:100 ; 4-byte Folded Spill
	buffer_store_dword v1, off, s[100:103], 0 offset:104 ; 4-byte Folded Spill
	s_xor_b32 s4, s4, -1
	s_and_saveexec_b32 s33, s4
	s_cbranch_execz .LBB695_395
; %bb.394:
	v_add_f64 v[0:1], v[77:78], -v[61:62]
	s_mov_b32 s4, 0x652b82fe
	s_mov_b32 s5, 0x3ff71547
	s_mov_b32 s36, 0x6a5dcb37
	s_mov_b32 s37, 0x3e5ade15
	v_mul_f64 v[21:22], v[0:1], s[4:5]
	s_mov_b32 s4, 0xfefa39ef
	s_mov_b32 s5, 0xbfe62e42
	v_rndne_f64_e32 v[21:22], v[21:22]
	v_fma_f64 v[67:68], v[21:22], s[4:5], v[0:1]
	s_mov_b32 s4, 0x3b39803f
	s_mov_b32 s5, 0xbc7abc9e
	v_cvt_i32_f64_e32 v58, v[21:22]
	v_fma_f64 v[67:68], v[21:22], s[4:5], v[67:68]
	s_mov_b32 s4, 0xfca7ab0c
	s_mov_b32 s5, 0x3e928af3
	v_fma_f64 v[69:70], v[67:68], s[36:37], s[4:5]
	s_mov_b32 s4, 0x623fde64
	s_mov_b32 s5, 0x3ec71dee
	;; [unrolled: 3-line block ×9, first 2 shown]
	v_fma_f64 v[69:70], v[67:68], v[69:70], s[4:5]
	v_cmp_nlt_f64_e64 s4, 0x40900000, v[0:1]
	v_cmp_ngt_f64_e64 s5, 0xc090cc00, v[0:1]
	v_fma_f64 v[69:70], v[67:68], v[69:70], 1.0
	v_fma_f64 v[21:22], v[67:68], v[69:70], 1.0
	v_ldexp_f64 v[21:22], v[21:22], v58
	v_cndmask_b32_e64 v22, 0x7ff00000, v22, s4
	s_and_b32 s4, s5, s4
	v_cndmask_b32_e64 v0, 0, v21, s4
	v_cndmask_b32_e64 v1, 0, v22, s5
	buffer_store_dword v0, off, s[100:103], 0 offset:100 ; 4-byte Folded Spill
	buffer_store_dword v1, off, s[100:103], 0 offset:104 ; 4-byte Folded Spill
	v_add_f64 v[59:60], v[59:60], v[0:1]
.LBB695_395:
	s_or_b32 exec_lo, exec_lo, s33
.LBB695_396:
	s_or_b32 exec_lo, exec_lo, s34
	s_and_saveexec_b32 s33, s31
	s_cbranch_execz .LBB695_400
; %bb.397:
	global_load_ubyte v0, v[5:6], off offset:96
	s_waitcnt vmcnt(0)
	v_and_b32_e32 v0, 1, v0
	v_cmp_eq_u32_e64 s4, 1, v0
	v_mov_b32_e32 v0, 0
	v_mov_b32_e32 v1, 0
	buffer_store_dword v0, off, s[100:103], 0 offset:108 ; 4-byte Folded Spill
	buffer_store_dword v1, off, s[100:103], 0 offset:112 ; 4-byte Folded Spill
	s_xor_b32 s4, s4, -1
	s_and_saveexec_b32 s31, s4
	s_cbranch_execz .LBB695_399
; %bb.398:
	v_add_f64 v[0:1], v[75:76], -v[61:62]
	s_mov_b32 s4, 0x652b82fe
	s_mov_b32 s5, 0x3ff71547
	;; [unrolled: 1-line block ×4, first 2 shown]
	v_mul_f64 v[21:22], v[0:1], s[4:5]
	s_mov_b32 s4, 0xfefa39ef
	s_mov_b32 s5, 0xbfe62e42
	v_rndne_f64_e32 v[21:22], v[21:22]
	v_fma_f64 v[67:68], v[21:22], s[4:5], v[0:1]
	s_mov_b32 s4, 0x3b39803f
	s_mov_b32 s5, 0xbc7abc9e
	v_cvt_i32_f64_e32 v58, v[21:22]
	v_fma_f64 v[67:68], v[21:22], s[4:5], v[67:68]
	s_mov_b32 s4, 0xfca7ab0c
	s_mov_b32 s5, 0x3e928af3
	v_fma_f64 v[75:76], v[67:68], s[34:35], s[4:5]
	s_mov_b32 s4, 0x623fde64
	s_mov_b32 s5, 0x3ec71dee
	;; [unrolled: 3-line block ×9, first 2 shown]
	v_fma_f64 v[75:76], v[67:68], v[75:76], s[4:5]
	v_cmp_nlt_f64_e64 s4, 0x40900000, v[0:1]
	v_cmp_ngt_f64_e64 s5, 0xc090cc00, v[0:1]
	v_fma_f64 v[75:76], v[67:68], v[75:76], 1.0
	v_fma_f64 v[21:22], v[67:68], v[75:76], 1.0
	v_ldexp_f64 v[21:22], v[21:22], v58
	v_cndmask_b32_e64 v22, 0x7ff00000, v22, s4
	s_and_b32 s4, s5, s4
	v_cndmask_b32_e64 v0, 0, v21, s4
	v_cndmask_b32_e64 v1, 0, v22, s5
	buffer_store_dword v0, off, s[100:103], 0 offset:108 ; 4-byte Folded Spill
	buffer_store_dword v1, off, s[100:103], 0 offset:112 ; 4-byte Folded Spill
	v_add_f64 v[59:60], v[59:60], v[0:1]
.LBB695_399:
	s_or_b32 exec_lo, exec_lo, s31
.LBB695_400:
	s_or_b32 exec_lo, exec_lo, s33
	v_mov_b32_e32 v0, 0
	v_mov_b32_e32 v1, 0
	buffer_store_dword v0, off, s[100:103], 0 offset:124 ; 4-byte Folded Spill
	buffer_store_dword v1, off, s[100:103], 0 offset:128 ; 4-byte Folded Spill
	v_mov_b32_e32 v0, 0
	v_mov_b32_e32 v1, 0
	buffer_store_dword v0, off, s[100:103], 0 offset:116 ; 4-byte Folded Spill
	buffer_store_dword v1, off, s[100:103], 0 offset:120 ; 4-byte Folded Spill
	s_and_saveexec_b32 s31, s30
	s_cbranch_execz .LBB695_404
; %bb.401:
	global_load_ubyte v0, v[5:6], off offset:128
	s_waitcnt vmcnt(0)
	v_and_b32_e32 v0, 1, v0
	v_cmp_eq_u32_e64 s4, 1, v0
	v_mov_b32_e32 v0, 0
	v_mov_b32_e32 v1, 0
	buffer_store_dword v0, off, s[100:103], 0 offset:116 ; 4-byte Folded Spill
	buffer_store_dword v1, off, s[100:103], 0 offset:120 ; 4-byte Folded Spill
	s_xor_b32 s4, s4, -1
	s_and_saveexec_b32 s30, s4
	s_cbranch_execz .LBB695_403
; %bb.402:
	v_add_f64 v[0:1], v[85:86], -v[61:62]
	s_mov_b32 s4, 0x652b82fe
	s_mov_b32 s5, 0x3ff71547
	;; [unrolled: 1-line block ×4, first 2 shown]
	v_mul_f64 v[21:22], v[0:1], s[4:5]
	s_mov_b32 s4, 0xfefa39ef
	s_mov_b32 s5, 0xbfe62e42
	v_rndne_f64_e32 v[21:22], v[21:22]
	v_fma_f64 v[67:68], v[21:22], s[4:5], v[0:1]
	s_mov_b32 s4, 0x3b39803f
	s_mov_b32 s5, 0xbc7abc9e
	v_cvt_i32_f64_e32 v58, v[21:22]
	v_fma_f64 v[67:68], v[21:22], s[4:5], v[67:68]
	s_mov_b32 s4, 0xfca7ab0c
	s_mov_b32 s5, 0x3e928af3
	v_fma_f64 v[75:76], v[67:68], s[34:35], s[4:5]
	s_mov_b32 s4, 0x623fde64
	s_mov_b32 s5, 0x3ec71dee
	;; [unrolled: 3-line block ×9, first 2 shown]
	v_fma_f64 v[75:76], v[67:68], v[75:76], s[4:5]
	v_cmp_nlt_f64_e64 s4, 0x40900000, v[0:1]
	v_cmp_ngt_f64_e64 s5, 0xc090cc00, v[0:1]
	v_fma_f64 v[75:76], v[67:68], v[75:76], 1.0
	v_fma_f64 v[21:22], v[67:68], v[75:76], 1.0
	v_ldexp_f64 v[21:22], v[21:22], v58
	v_cndmask_b32_e64 v22, 0x7ff00000, v22, s4
	s_and_b32 s4, s5, s4
	v_cndmask_b32_e64 v0, 0, v21, s4
	v_cndmask_b32_e64 v1, 0, v22, s5
	buffer_store_dword v0, off, s[100:103], 0 offset:116 ; 4-byte Folded Spill
	buffer_store_dword v1, off, s[100:103], 0 offset:120 ; 4-byte Folded Spill
	v_add_f64 v[59:60], v[59:60], v[0:1]
.LBB695_403:
	s_or_b32 exec_lo, exec_lo, s30
.LBB695_404:
	s_or_b32 exec_lo, exec_lo, s31
	s_and_saveexec_b32 s30, s29
	s_cbranch_execz .LBB695_408
; %bb.405:
	global_load_ubyte v0, v[5:6], off offset:160
	s_waitcnt vmcnt(0)
	v_and_b32_e32 v0, 1, v0
	v_cmp_eq_u32_e64 s4, 1, v0
	v_mov_b32_e32 v0, 0
	v_mov_b32_e32 v1, 0
	buffer_store_dword v0, off, s[100:103], 0 offset:124 ; 4-byte Folded Spill
	buffer_store_dword v1, off, s[100:103], 0 offset:128 ; 4-byte Folded Spill
	s_xor_b32 s4, s4, -1
	s_and_saveexec_b32 s29, s4
	s_cbranch_execz .LBB695_407
; %bb.406:
	v_add_f64 v[0:1], v[83:84], -v[61:62]
	s_mov_b32 s4, 0x652b82fe
	s_mov_b32 s5, 0x3ff71547
	;; [unrolled: 1-line block ×4, first 2 shown]
	v_mul_f64 v[21:22], v[0:1], s[4:5]
	s_mov_b32 s4, 0xfefa39ef
	s_mov_b32 s5, 0xbfe62e42
	v_rndne_f64_e32 v[21:22], v[21:22]
	v_fma_f64 v[67:68], v[21:22], s[4:5], v[0:1]
	s_mov_b32 s4, 0x3b39803f
	s_mov_b32 s5, 0xbc7abc9e
	v_cvt_i32_f64_e32 v58, v[21:22]
	v_fma_f64 v[67:68], v[21:22], s[4:5], v[67:68]
	s_mov_b32 s4, 0xfca7ab0c
	s_mov_b32 s5, 0x3e928af3
	v_fma_f64 v[75:76], v[67:68], s[34:35], s[4:5]
	s_mov_b32 s4, 0x623fde64
	s_mov_b32 s5, 0x3ec71dee
	v_fma_f64 v[75:76], v[67:68], v[75:76], s[4:5]
	s_mov_b32 s4, 0x7c89e6b0
	s_mov_b32 s5, 0x3efa0199
	v_fma_f64 v[75:76], v[67:68], v[75:76], s[4:5]
	s_mov_b32 s4, 0x14761f6e
	s_mov_b32 s5, 0x3f2a01a0
	v_fma_f64 v[75:76], v[67:68], v[75:76], s[4:5]
	s_mov_b32 s4, 0x1852b7b0
	s_mov_b32 s5, 0x3f56c16c
	v_fma_f64 v[75:76], v[67:68], v[75:76], s[4:5]
	s_mov_b32 s4, 0x11122322
	s_mov_b32 s5, 0x3f811111
	v_fma_f64 v[75:76], v[67:68], v[75:76], s[4:5]
	s_mov_b32 s4, 0x555502a1
	s_mov_b32 s5, 0x3fa55555
	v_fma_f64 v[75:76], v[67:68], v[75:76], s[4:5]
	s_mov_b32 s4, 0x55555511
	s_mov_b32 s5, 0x3fc55555
	v_fma_f64 v[75:76], v[67:68], v[75:76], s[4:5]
	s_mov_b32 s4, 11
	s_mov_b32 s5, 0x3fe00000
	v_fma_f64 v[75:76], v[67:68], v[75:76], s[4:5]
	v_cmp_nlt_f64_e64 s4, 0x40900000, v[0:1]
	v_cmp_ngt_f64_e64 s5, 0xc090cc00, v[0:1]
	v_fma_f64 v[75:76], v[67:68], v[75:76], 1.0
	v_fma_f64 v[21:22], v[67:68], v[75:76], 1.0
	v_ldexp_f64 v[21:22], v[21:22], v58
	v_cndmask_b32_e64 v22, 0x7ff00000, v22, s4
	s_and_b32 s4, s5, s4
	v_cndmask_b32_e64 v0, 0, v21, s4
	v_cndmask_b32_e64 v1, 0, v22, s5
	buffer_store_dword v0, off, s[100:103], 0 offset:124 ; 4-byte Folded Spill
	buffer_store_dword v1, off, s[100:103], 0 offset:128 ; 4-byte Folded Spill
	v_add_f64 v[59:60], v[59:60], v[0:1]
.LBB695_407:
	s_or_b32 exec_lo, exec_lo, s29
.LBB695_408:
	s_or_b32 exec_lo, exec_lo, s30
	v_mov_b32_e32 v0, 0
	v_mov_b32_e32 v1, 0
	buffer_store_dword v0, off, s[100:103], 0 offset:140 ; 4-byte Folded Spill
	buffer_store_dword v1, off, s[100:103], 0 offset:144 ; 4-byte Folded Spill
	v_mov_b32_e32 v0, 0
	v_mov_b32_e32 v1, 0
	buffer_store_dword v0, off, s[100:103], 0 offset:132 ; 4-byte Folded Spill
	buffer_store_dword v1, off, s[100:103], 0 offset:136 ; 4-byte Folded Spill
	s_and_saveexec_b32 s29, s28
	s_cbranch_execz .LBB695_412
; %bb.409:
	global_load_ubyte v0, v[5:6], off offset:192
	s_waitcnt vmcnt(0)
	v_and_b32_e32 v0, 1, v0
	v_cmp_eq_u32_e64 s4, 1, v0
	v_mov_b32_e32 v0, 0
	v_mov_b32_e32 v1, 0
	buffer_store_dword v0, off, s[100:103], 0 offset:132 ; 4-byte Folded Spill
	buffer_store_dword v1, off, s[100:103], 0 offset:136 ; 4-byte Folded Spill
	s_xor_b32 s4, s4, -1
	s_and_saveexec_b32 s28, s4
	s_cbranch_execz .LBB695_411
; %bb.410:
	v_add_f64 v[0:1], v[93:94], -v[61:62]
	s_mov_b32 s4, 0x652b82fe
	s_mov_b32 s5, 0x3ff71547
	;; [unrolled: 1-line block ×4, first 2 shown]
	v_mul_f64 v[21:22], v[0:1], s[4:5]
	s_mov_b32 s4, 0xfefa39ef
	s_mov_b32 s5, 0xbfe62e42
	v_rndne_f64_e32 v[21:22], v[21:22]
	v_fma_f64 v[67:68], v[21:22], s[4:5], v[0:1]
	s_mov_b32 s4, 0x3b39803f
	s_mov_b32 s5, 0xbc7abc9e
	v_cvt_i32_f64_e32 v58, v[21:22]
	v_fma_f64 v[67:68], v[21:22], s[4:5], v[67:68]
	s_mov_b32 s4, 0xfca7ab0c
	s_mov_b32 s5, 0x3e928af3
	v_fma_f64 v[75:76], v[67:68], s[30:31], s[4:5]
	s_mov_b32 s4, 0x623fde64
	s_mov_b32 s5, 0x3ec71dee
	;; [unrolled: 3-line block ×9, first 2 shown]
	v_fma_f64 v[75:76], v[67:68], v[75:76], s[4:5]
	v_cmp_nlt_f64_e64 s4, 0x40900000, v[0:1]
	v_cmp_ngt_f64_e64 s5, 0xc090cc00, v[0:1]
	v_fma_f64 v[75:76], v[67:68], v[75:76], 1.0
	v_fma_f64 v[21:22], v[67:68], v[75:76], 1.0
	v_ldexp_f64 v[21:22], v[21:22], v58
	v_cndmask_b32_e64 v22, 0x7ff00000, v22, s4
	s_and_b32 s4, s5, s4
	v_cndmask_b32_e64 v0, 0, v21, s4
	v_cndmask_b32_e64 v1, 0, v22, s5
	buffer_store_dword v0, off, s[100:103], 0 offset:132 ; 4-byte Folded Spill
	buffer_store_dword v1, off, s[100:103], 0 offset:136 ; 4-byte Folded Spill
	v_add_f64 v[59:60], v[59:60], v[0:1]
.LBB695_411:
	s_or_b32 exec_lo, exec_lo, s28
.LBB695_412:
	s_or_b32 exec_lo, exec_lo, s29
	s_and_saveexec_b32 s28, s27
	s_cbranch_execz .LBB695_416
; %bb.413:
	global_load_ubyte v0, v[5:6], off offset:224
	s_waitcnt vmcnt(0)
	v_and_b32_e32 v0, 1, v0
	v_cmp_eq_u32_e64 s4, 1, v0
	v_mov_b32_e32 v0, 0
	v_mov_b32_e32 v1, 0
	buffer_store_dword v0, off, s[100:103], 0 offset:140 ; 4-byte Folded Spill
	buffer_store_dword v1, off, s[100:103], 0 offset:144 ; 4-byte Folded Spill
	s_xor_b32 s4, s4, -1
	s_and_saveexec_b32 s27, s4
	s_cbranch_execz .LBB695_415
; %bb.414:
	v_add_f64 v[0:1], v[91:92], -v[61:62]
	s_mov_b32 s4, 0x652b82fe
	s_mov_b32 s5, 0x3ff71547
	;; [unrolled: 1-line block ×4, first 2 shown]
	v_mul_f64 v[21:22], v[0:1], s[4:5]
	s_mov_b32 s4, 0xfefa39ef
	s_mov_b32 s5, 0xbfe62e42
	v_rndne_f64_e32 v[21:22], v[21:22]
	v_fma_f64 v[67:68], v[21:22], s[4:5], v[0:1]
	s_mov_b32 s4, 0x3b39803f
	s_mov_b32 s5, 0xbc7abc9e
	v_cvt_i32_f64_e32 v58, v[21:22]
	v_fma_f64 v[67:68], v[21:22], s[4:5], v[67:68]
	s_mov_b32 s4, 0xfca7ab0c
	s_mov_b32 s5, 0x3e928af3
	v_fma_f64 v[75:76], v[67:68], s[30:31], s[4:5]
	s_mov_b32 s4, 0x623fde64
	s_mov_b32 s5, 0x3ec71dee
	;; [unrolled: 3-line block ×9, first 2 shown]
	v_fma_f64 v[75:76], v[67:68], v[75:76], s[4:5]
	v_cmp_nlt_f64_e64 s4, 0x40900000, v[0:1]
	v_cmp_ngt_f64_e64 s5, 0xc090cc00, v[0:1]
	v_fma_f64 v[75:76], v[67:68], v[75:76], 1.0
	v_fma_f64 v[21:22], v[67:68], v[75:76], 1.0
	v_ldexp_f64 v[21:22], v[21:22], v58
	v_cndmask_b32_e64 v22, 0x7ff00000, v22, s4
	s_and_b32 s4, s5, s4
	v_cndmask_b32_e64 v0, 0, v21, s4
	v_cndmask_b32_e64 v1, 0, v22, s5
	buffer_store_dword v0, off, s[100:103], 0 offset:140 ; 4-byte Folded Spill
	buffer_store_dword v1, off, s[100:103], 0 offset:144 ; 4-byte Folded Spill
	v_add_f64 v[59:60], v[59:60], v[0:1]
.LBB695_415:
	s_or_b32 exec_lo, exec_lo, s27
.LBB695_416:
	s_or_b32 exec_lo, exec_lo, s28
	v_mov_b32_e32 v93, 0
	v_mov_b32_e32 v91, 0
	;; [unrolled: 1-line block ×4, first 2 shown]
	s_and_saveexec_b32 s27, s26
	s_cbranch_execz .LBB695_420
; %bb.417:
	global_load_ubyte v0, v[5:6], off offset:256
	v_mov_b32_e32 v91, 0
	v_mov_b32_e32 v92, 0
	s_waitcnt vmcnt(0)
	v_and_b32_e32 v0, 1, v0
	v_cmp_eq_u32_e64 s4, 1, v0
	s_xor_b32 s4, s4, -1
	s_and_saveexec_b32 s26, s4
	s_cbranch_execz .LBB695_419
; %bb.418:
	v_add_f64 v[0:1], v[101:102], -v[61:62]
	s_mov_b32 s4, 0x652b82fe
	s_mov_b32 s5, 0x3ff71547
	;; [unrolled: 1-line block ×4, first 2 shown]
	v_mul_f64 v[21:22], v[0:1], s[4:5]
	s_mov_b32 s4, 0xfefa39ef
	s_mov_b32 s5, 0xbfe62e42
	v_rndne_f64_e32 v[21:22], v[21:22]
	v_fma_f64 v[67:68], v[21:22], s[4:5], v[0:1]
	s_mov_b32 s4, 0x3b39803f
	s_mov_b32 s5, 0xbc7abc9e
	v_cvt_i32_f64_e32 v58, v[21:22]
	v_fma_f64 v[67:68], v[21:22], s[4:5], v[67:68]
	s_mov_b32 s4, 0xfca7ab0c
	s_mov_b32 s5, 0x3e928af3
	v_fma_f64 v[75:76], v[67:68], s[28:29], s[4:5]
	s_mov_b32 s4, 0x623fde64
	s_mov_b32 s5, 0x3ec71dee
	;; [unrolled: 3-line block ×9, first 2 shown]
	v_fma_f64 v[75:76], v[67:68], v[75:76], s[4:5]
	v_cmp_nlt_f64_e64 s4, 0x40900000, v[0:1]
	v_cmp_ngt_f64_e64 s5, 0xc090cc00, v[0:1]
	v_fma_f64 v[75:76], v[67:68], v[75:76], 1.0
	v_fma_f64 v[21:22], v[67:68], v[75:76], 1.0
	v_ldexp_f64 v[21:22], v[21:22], v58
	v_cndmask_b32_e64 v22, 0x7ff00000, v22, s4
	s_and_b32 s4, s5, s4
	v_cndmask_b32_e64 v91, 0, v21, s4
	v_cndmask_b32_e64 v92, 0, v22, s5
	v_add_f64 v[59:60], v[59:60], v[91:92]
.LBB695_419:
	s_or_b32 exec_lo, exec_lo, s26
.LBB695_420:
	s_or_b32 exec_lo, exec_lo, s27
	s_and_saveexec_b32 s26, s25
	s_cbranch_execz .LBB695_424
; %bb.421:
	global_load_ubyte v0, v[5:6], off offset:288
	v_mov_b32_e32 v93, 0
	v_mov_b32_e32 v94, 0
	s_waitcnt vmcnt(0)
	v_and_b32_e32 v0, 1, v0
	v_cmp_eq_u32_e64 s4, 1, v0
	s_xor_b32 s4, s4, -1
	s_and_saveexec_b32 s25, s4
	s_cbranch_execz .LBB695_423
; %bb.422:
	v_add_f64 v[0:1], v[99:100], -v[61:62]
	s_mov_b32 s4, 0x652b82fe
	s_mov_b32 s5, 0x3ff71547
	;; [unrolled: 1-line block ×4, first 2 shown]
	v_mul_f64 v[21:22], v[0:1], s[4:5]
	s_mov_b32 s4, 0xfefa39ef
	s_mov_b32 s5, 0xbfe62e42
	v_rndne_f64_e32 v[21:22], v[21:22]
	v_fma_f64 v[67:68], v[21:22], s[4:5], v[0:1]
	s_mov_b32 s4, 0x3b39803f
	s_mov_b32 s5, 0xbc7abc9e
	v_cvt_i32_f64_e32 v58, v[21:22]
	v_fma_f64 v[67:68], v[21:22], s[4:5], v[67:68]
	s_mov_b32 s4, 0xfca7ab0c
	s_mov_b32 s5, 0x3e928af3
	v_fma_f64 v[75:76], v[67:68], s[28:29], s[4:5]
	s_mov_b32 s4, 0x623fde64
	s_mov_b32 s5, 0x3ec71dee
	;; [unrolled: 3-line block ×9, first 2 shown]
	v_fma_f64 v[75:76], v[67:68], v[75:76], s[4:5]
	v_cmp_nlt_f64_e64 s4, 0x40900000, v[0:1]
	v_cmp_ngt_f64_e64 s5, 0xc090cc00, v[0:1]
	v_fma_f64 v[75:76], v[67:68], v[75:76], 1.0
	v_fma_f64 v[21:22], v[67:68], v[75:76], 1.0
	v_ldexp_f64 v[21:22], v[21:22], v58
	v_cndmask_b32_e64 v22, 0x7ff00000, v22, s4
	s_and_b32 s4, s5, s4
	v_cndmask_b32_e64 v93, 0, v21, s4
	v_cndmask_b32_e64 v94, 0, v22, s5
	v_add_f64 v[59:60], v[59:60], v[93:94]
.LBB695_423:
	s_or_b32 exec_lo, exec_lo, s25
.LBB695_424:
	s_or_b32 exec_lo, exec_lo, s26
	v_mov_b32_e32 v101, 0
	v_mov_b32_e32 v99, 0
	;; [unrolled: 1-line block ×4, first 2 shown]
	s_and_saveexec_b32 s25, s24
	s_cbranch_execz .LBB695_428
; %bb.425:
	global_load_ubyte v0, v[5:6], off offset:320
	v_mov_b32_e32 v99, 0
	v_mov_b32_e32 v100, 0
	s_waitcnt vmcnt(0)
	v_and_b32_e32 v0, 1, v0
	v_cmp_eq_u32_e64 s4, 1, v0
	s_xor_b32 s4, s4, -1
	s_and_saveexec_b32 s24, s4
	s_cbranch_execz .LBB695_427
; %bb.426:
	v_add_f64 v[0:1], v[109:110], -v[61:62]
	s_mov_b32 s4, 0x652b82fe
	s_mov_b32 s5, 0x3ff71547
	;; [unrolled: 1-line block ×4, first 2 shown]
	v_mul_f64 v[21:22], v[0:1], s[4:5]
	s_mov_b32 s4, 0xfefa39ef
	s_mov_b32 s5, 0xbfe62e42
	v_rndne_f64_e32 v[21:22], v[21:22]
	v_fma_f64 v[67:68], v[21:22], s[4:5], v[0:1]
	s_mov_b32 s4, 0x3b39803f
	s_mov_b32 s5, 0xbc7abc9e
	v_cvt_i32_f64_e32 v58, v[21:22]
	v_fma_f64 v[67:68], v[21:22], s[4:5], v[67:68]
	s_mov_b32 s4, 0xfca7ab0c
	s_mov_b32 s5, 0x3e928af3
	v_fma_f64 v[75:76], v[67:68], s[26:27], s[4:5]
	s_mov_b32 s4, 0x623fde64
	s_mov_b32 s5, 0x3ec71dee
	;; [unrolled: 3-line block ×9, first 2 shown]
	v_fma_f64 v[75:76], v[67:68], v[75:76], s[4:5]
	v_cmp_nlt_f64_e64 s4, 0x40900000, v[0:1]
	v_cmp_ngt_f64_e64 s5, 0xc090cc00, v[0:1]
	v_fma_f64 v[75:76], v[67:68], v[75:76], 1.0
	v_fma_f64 v[21:22], v[67:68], v[75:76], 1.0
	v_ldexp_f64 v[21:22], v[21:22], v58
	v_cndmask_b32_e64 v22, 0x7ff00000, v22, s4
	s_and_b32 s4, s5, s4
	v_cndmask_b32_e64 v99, 0, v21, s4
	v_cndmask_b32_e64 v100, 0, v22, s5
	v_add_f64 v[59:60], v[59:60], v[99:100]
.LBB695_427:
	s_or_b32 exec_lo, exec_lo, s24
.LBB695_428:
	s_or_b32 exec_lo, exec_lo, s25
	s_and_saveexec_b32 s24, s23
	s_cbranch_execz .LBB695_432
; %bb.429:
	global_load_ubyte v0, v[5:6], off offset:352
	v_mov_b32_e32 v101, 0
	v_mov_b32_e32 v102, 0
	s_waitcnt vmcnt(0)
	v_and_b32_e32 v0, 1, v0
	v_cmp_eq_u32_e64 s4, 1, v0
	s_xor_b32 s4, s4, -1
	s_and_saveexec_b32 s23, s4
	s_cbranch_execz .LBB695_431
; %bb.430:
	v_add_f64 v[0:1], v[105:106], -v[61:62]
	s_mov_b32 s4, 0x652b82fe
	s_mov_b32 s5, 0x3ff71547
	;; [unrolled: 1-line block ×4, first 2 shown]
	v_mul_f64 v[21:22], v[0:1], s[4:5]
	s_mov_b32 s4, 0xfefa39ef
	s_mov_b32 s5, 0xbfe62e42
	v_rndne_f64_e32 v[21:22], v[21:22]
	v_fma_f64 v[67:68], v[21:22], s[4:5], v[0:1]
	s_mov_b32 s4, 0x3b39803f
	s_mov_b32 s5, 0xbc7abc9e
	v_cvt_i32_f64_e32 v58, v[21:22]
	v_fma_f64 v[67:68], v[21:22], s[4:5], v[67:68]
	s_mov_b32 s4, 0xfca7ab0c
	s_mov_b32 s5, 0x3e928af3
	v_fma_f64 v[75:76], v[67:68], s[26:27], s[4:5]
	s_mov_b32 s4, 0x623fde64
	s_mov_b32 s5, 0x3ec71dee
	;; [unrolled: 3-line block ×9, first 2 shown]
	v_fma_f64 v[75:76], v[67:68], v[75:76], s[4:5]
	v_cmp_nlt_f64_e64 s4, 0x40900000, v[0:1]
	v_cmp_ngt_f64_e64 s5, 0xc090cc00, v[0:1]
	v_fma_f64 v[75:76], v[67:68], v[75:76], 1.0
	v_fma_f64 v[21:22], v[67:68], v[75:76], 1.0
	v_ldexp_f64 v[21:22], v[21:22], v58
	v_cndmask_b32_e64 v22, 0x7ff00000, v22, s4
	s_and_b32 s4, s5, s4
	v_cndmask_b32_e64 v101, 0, v21, s4
	v_cndmask_b32_e64 v102, 0, v22, s5
	v_add_f64 v[59:60], v[59:60], v[101:102]
.LBB695_431:
	s_or_b32 exec_lo, exec_lo, s23
.LBB695_432:
	s_or_b32 exec_lo, exec_lo, s24
	v_mov_b32_e32 v105, 0
	v_mov_b32_e32 v0, 0
	;; [unrolled: 1-line block ×4, first 2 shown]
	buffer_store_dword v0, off, s[100:103], 0 offset:148 ; 4-byte Folded Spill
	buffer_store_dword v1, off, s[100:103], 0 offset:152 ; 4-byte Folded Spill
	s_and_saveexec_b32 s23, s22
	s_cbranch_execz .LBB695_436
; %bb.433:
	global_load_ubyte v0, v[5:6], off offset:384
	s_waitcnt vmcnt(0)
	v_and_b32_e32 v0, 1, v0
	v_cmp_eq_u32_e64 s4, 1, v0
	v_mov_b32_e32 v0, 0
	v_mov_b32_e32 v1, 0
	buffer_store_dword v0, off, s[100:103], 0 offset:148 ; 4-byte Folded Spill
	buffer_store_dword v1, off, s[100:103], 0 offset:152 ; 4-byte Folded Spill
	s_xor_b32 s4, s4, -1
	s_and_saveexec_b32 s22, s4
	s_cbranch_execz .LBB695_435
; %bb.434:
	v_add_f64 v[0:1], v[117:118], -v[61:62]
	s_mov_b32 s4, 0x652b82fe
	s_mov_b32 s5, 0x3ff71547
	;; [unrolled: 1-line block ×4, first 2 shown]
	v_mul_f64 v[21:22], v[0:1], s[4:5]
	s_mov_b32 s4, 0xfefa39ef
	s_mov_b32 s5, 0xbfe62e42
	v_rndne_f64_e32 v[21:22], v[21:22]
	v_fma_f64 v[67:68], v[21:22], s[4:5], v[0:1]
	s_mov_b32 s4, 0x3b39803f
	s_mov_b32 s5, 0xbc7abc9e
	v_cvt_i32_f64_e32 v58, v[21:22]
	v_fma_f64 v[67:68], v[21:22], s[4:5], v[67:68]
	s_mov_b32 s4, 0xfca7ab0c
	s_mov_b32 s5, 0x3e928af3
	v_fma_f64 v[75:76], v[67:68], s[24:25], s[4:5]
	s_mov_b32 s4, 0x623fde64
	s_mov_b32 s5, 0x3ec71dee
	;; [unrolled: 3-line block ×9, first 2 shown]
	v_fma_f64 v[75:76], v[67:68], v[75:76], s[4:5]
	v_cmp_nlt_f64_e64 s4, 0x40900000, v[0:1]
	v_cmp_ngt_f64_e64 s5, 0xc090cc00, v[0:1]
	v_fma_f64 v[75:76], v[67:68], v[75:76], 1.0
	v_fma_f64 v[21:22], v[67:68], v[75:76], 1.0
	v_ldexp_f64 v[21:22], v[21:22], v58
	v_cndmask_b32_e64 v22, 0x7ff00000, v22, s4
	s_and_b32 s4, s5, s4
	v_cndmask_b32_e64 v0, 0, v21, s4
	v_cndmask_b32_e64 v1, 0, v22, s5
	buffer_store_dword v0, off, s[100:103], 0 offset:148 ; 4-byte Folded Spill
	buffer_store_dword v1, off, s[100:103], 0 offset:152 ; 4-byte Folded Spill
	v_add_f64 v[59:60], v[59:60], v[0:1]
.LBB695_435:
	s_or_b32 exec_lo, exec_lo, s22
.LBB695_436:
	s_or_b32 exec_lo, exec_lo, s23
	s_and_saveexec_b32 s22, s21
	s_cbranch_execz .LBB695_440
; %bb.437:
	global_load_ubyte v0, v[5:6], off offset:416
	v_mov_b32_e32 v105, 0
	v_mov_b32_e32 v106, 0
	s_waitcnt vmcnt(0)
	v_and_b32_e32 v0, 1, v0
	v_cmp_eq_u32_e64 s4, 1, v0
	s_xor_b32 s4, s4, -1
	s_and_saveexec_b32 s21, s4
	s_cbranch_execz .LBB695_439
; %bb.438:
	v_add_f64 v[0:1], v[113:114], -v[61:62]
	s_mov_b32 s4, 0x652b82fe
	s_mov_b32 s5, 0x3ff71547
	;; [unrolled: 1-line block ×4, first 2 shown]
	v_mul_f64 v[21:22], v[0:1], s[4:5]
	s_mov_b32 s4, 0xfefa39ef
	s_mov_b32 s5, 0xbfe62e42
	v_rndne_f64_e32 v[21:22], v[21:22]
	v_fma_f64 v[67:68], v[21:22], s[4:5], v[0:1]
	s_mov_b32 s4, 0x3b39803f
	s_mov_b32 s5, 0xbc7abc9e
	v_cvt_i32_f64_e32 v58, v[21:22]
	v_fma_f64 v[67:68], v[21:22], s[4:5], v[67:68]
	s_mov_b32 s4, 0xfca7ab0c
	s_mov_b32 s5, 0x3e928af3
	v_fma_f64 v[75:76], v[67:68], s[24:25], s[4:5]
	s_mov_b32 s4, 0x623fde64
	s_mov_b32 s5, 0x3ec71dee
	;; [unrolled: 3-line block ×9, first 2 shown]
	v_fma_f64 v[75:76], v[67:68], v[75:76], s[4:5]
	v_cmp_nlt_f64_e64 s4, 0x40900000, v[0:1]
	v_cmp_ngt_f64_e64 s5, 0xc090cc00, v[0:1]
	v_fma_f64 v[75:76], v[67:68], v[75:76], 1.0
	v_fma_f64 v[21:22], v[67:68], v[75:76], 1.0
	v_ldexp_f64 v[21:22], v[21:22], v58
	v_cndmask_b32_e64 v22, 0x7ff00000, v22, s4
	s_and_b32 s4, s5, s4
	v_cndmask_b32_e64 v105, 0, v21, s4
	v_cndmask_b32_e64 v106, 0, v22, s5
	v_add_f64 v[59:60], v[59:60], v[105:106]
.LBB695_439:
	s_or_b32 exec_lo, exec_lo, s21
.LBB695_440:
	s_or_b32 exec_lo, exec_lo, s22
	v_mov_b32_e32 v113, 0
	v_mov_b32_e32 v117, 0
	v_mov_b32_e32 v114, 0
	v_mov_b32_e32 v118, 0
	s_and_saveexec_b32 s21, s20
	s_cbranch_execz .LBB695_444
; %bb.441:
	global_load_ubyte v0, v[5:6], off offset:448
	v_mov_b32_e32 v117, 0
	v_mov_b32_e32 v118, 0
	s_waitcnt vmcnt(0)
	v_and_b32_e32 v0, 1, v0
	v_cmp_eq_u32_e64 s4, 1, v0
	s_xor_b32 s4, s4, -1
	s_and_saveexec_b32 s20, s4
	s_cbranch_execz .LBB695_443
; %bb.442:
	v_add_f64 v[0:1], v[121:122], -v[61:62]
	s_mov_b32 s4, 0x652b82fe
	s_mov_b32 s5, 0x3ff71547
	;; [unrolled: 1-line block ×4, first 2 shown]
	v_mul_f64 v[21:22], v[0:1], s[4:5]
	s_mov_b32 s4, 0xfefa39ef
	s_mov_b32 s5, 0xbfe62e42
	v_rndne_f64_e32 v[21:22], v[21:22]
	v_fma_f64 v[67:68], v[21:22], s[4:5], v[0:1]
	s_mov_b32 s4, 0x3b39803f
	s_mov_b32 s5, 0xbc7abc9e
	v_cvt_i32_f64_e32 v58, v[21:22]
	v_fma_f64 v[67:68], v[21:22], s[4:5], v[67:68]
	s_mov_b32 s4, 0xfca7ab0c
	s_mov_b32 s5, 0x3e928af3
	v_fma_f64 v[75:76], v[67:68], s[22:23], s[4:5]
	s_mov_b32 s4, 0x623fde64
	s_mov_b32 s5, 0x3ec71dee
	;; [unrolled: 3-line block ×9, first 2 shown]
	v_fma_f64 v[75:76], v[67:68], v[75:76], s[4:5]
	v_cmp_nlt_f64_e64 s4, 0x40900000, v[0:1]
	v_cmp_ngt_f64_e64 s5, 0xc090cc00, v[0:1]
	v_fma_f64 v[75:76], v[67:68], v[75:76], 1.0
	v_fma_f64 v[21:22], v[67:68], v[75:76], 1.0
	v_ldexp_f64 v[21:22], v[21:22], v58
	v_cndmask_b32_e64 v22, 0x7ff00000, v22, s4
	s_and_b32 s4, s5, s4
	v_cndmask_b32_e64 v117, 0, v21, s4
	v_cndmask_b32_e64 v118, 0, v22, s5
	v_add_f64 v[59:60], v[59:60], v[117:118]
.LBB695_443:
	s_or_b32 exec_lo, exec_lo, s20
.LBB695_444:
	s_or_b32 exec_lo, exec_lo, s21
	s_and_saveexec_b32 s20, s19
	s_cbranch_execz .LBB695_448
; %bb.445:
	global_load_ubyte v0, v[5:6], off offset:480
	v_mov_b32_e32 v113, 0
	v_mov_b32_e32 v114, 0
	s_waitcnt vmcnt(0)
	v_and_b32_e32 v0, 1, v0
	v_cmp_eq_u32_e64 s4, 1, v0
	s_xor_b32 s4, s4, -1
	s_and_saveexec_b32 s19, s4
	s_cbranch_execz .LBB695_447
; %bb.446:
	v_add_f64 v[0:1], v[3:4], -v[61:62]
	s_mov_b32 s4, 0x652b82fe
	s_mov_b32 s5, 0x3ff71547
	;; [unrolled: 1-line block ×4, first 2 shown]
	v_mul_f64 v[3:4], v[0:1], s[4:5]
	s_mov_b32 s4, 0xfefa39ef
	s_mov_b32 s5, 0xbfe62e42
	v_rndne_f64_e32 v[3:4], v[3:4]
	v_fma_f64 v[21:22], v[3:4], s[4:5], v[0:1]
	s_mov_b32 s4, 0x3b39803f
	s_mov_b32 s5, 0xbc7abc9e
	v_cvt_i32_f64_e32 v58, v[3:4]
	v_fma_f64 v[21:22], v[3:4], s[4:5], v[21:22]
	s_mov_b32 s4, 0xfca7ab0c
	s_mov_b32 s5, 0x3e928af3
	v_fma_f64 v[67:68], v[21:22], s[22:23], s[4:5]
	s_mov_b32 s4, 0x623fde64
	s_mov_b32 s5, 0x3ec71dee
	;; [unrolled: 3-line block ×9, first 2 shown]
	v_fma_f64 v[67:68], v[21:22], v[67:68], s[4:5]
	v_cmp_nlt_f64_e64 s4, 0x40900000, v[0:1]
	v_cmp_ngt_f64_e64 s5, 0xc090cc00, v[0:1]
	v_fma_f64 v[67:68], v[21:22], v[67:68], 1.0
	v_fma_f64 v[3:4], v[21:22], v[67:68], 1.0
	v_ldexp_f64 v[3:4], v[3:4], v58
	v_cndmask_b32_e64 v4, 0x7ff00000, v4, s4
	s_and_b32 s4, s5, s4
	v_cndmask_b32_e64 v113, 0, v3, s4
	v_cndmask_b32_e64 v114, 0, v4, s5
	v_add_f64 v[59:60], v[59:60], v[113:114]
.LBB695_447:
	s_or_b32 exec_lo, exec_lo, s19
.LBB695_448:
	s_or_b32 exec_lo, exec_lo, s20
	v_mov_b32_e32 v121, 0
	v_mov_b32_e32 v3, 0
	;; [unrolled: 1-line block ×4, first 2 shown]
	s_and_saveexec_b32 s19, s18
	s_cbranch_execz .LBB695_452
; %bb.449:
	global_load_ubyte v0, v[5:6], off offset:512
	v_mov_b32_e32 v3, 0
	v_mov_b32_e32 v4, 0
	s_waitcnt vmcnt(0)
	v_and_b32_e32 v0, 1, v0
	v_cmp_eq_u32_e64 s4, 1, v0
	s_xor_b32 s4, s4, -1
	s_and_saveexec_b32 s18, s4
	s_cbranch_execz .LBB695_451
; %bb.450:
	v_add_f64 v[0:1], v[11:12], -v[61:62]
	s_mov_b32 s4, 0x652b82fe
	s_mov_b32 s5, 0x3ff71547
	;; [unrolled: 1-line block ×4, first 2 shown]
	v_mul_f64 v[3:4], v[0:1], s[4:5]
	s_mov_b32 s4, 0xfefa39ef
	s_mov_b32 s5, 0xbfe62e42
	v_rndne_f64_e32 v[3:4], v[3:4]
	v_fma_f64 v[11:12], v[3:4], s[4:5], v[0:1]
	s_mov_b32 s4, 0x3b39803f
	s_mov_b32 s5, 0xbc7abc9e
	v_cvt_i32_f64_e32 v58, v[3:4]
	v_fma_f64 v[11:12], v[3:4], s[4:5], v[11:12]
	s_mov_b32 s4, 0xfca7ab0c
	s_mov_b32 s5, 0x3e928af3
	v_fma_f64 v[21:22], v[11:12], s[20:21], s[4:5]
	s_mov_b32 s4, 0x623fde64
	s_mov_b32 s5, 0x3ec71dee
	;; [unrolled: 3-line block ×9, first 2 shown]
	v_fma_f64 v[21:22], v[11:12], v[21:22], s[4:5]
	v_cmp_nlt_f64_e64 s4, 0x40900000, v[0:1]
	v_cmp_ngt_f64_e64 s5, 0xc090cc00, v[0:1]
	v_fma_f64 v[21:22], v[11:12], v[21:22], 1.0
	v_fma_f64 v[3:4], v[11:12], v[21:22], 1.0
	v_ldexp_f64 v[3:4], v[3:4], v58
	v_cndmask_b32_e64 v4, 0x7ff00000, v4, s4
	s_and_b32 s4, s5, s4
	v_cndmask_b32_e64 v3, 0, v3, s4
	v_cndmask_b32_e64 v4, 0, v4, s5
	v_add_f64 v[59:60], v[59:60], v[3:4]
.LBB695_451:
	s_or_b32 exec_lo, exec_lo, s18
.LBB695_452:
	s_or_b32 exec_lo, exec_lo, s19
	s_and_saveexec_b32 s18, s17
	s_cbranch_execz .LBB695_456
; %bb.453:
	global_load_ubyte v0, v[5:6], off offset:544
	v_mov_b32_e32 v121, 0
	v_mov_b32_e32 v122, 0
	s_waitcnt vmcnt(0)
	v_and_b32_e32 v0, 1, v0
	v_cmp_eq_u32_e64 s4, 1, v0
	s_xor_b32 s4, s4, -1
	s_and_saveexec_b32 s17, s4
	s_cbranch_execz .LBB695_455
; %bb.454:
	v_add_f64 v[0:1], v[9:10], -v[61:62]
	s_mov_b32 s4, 0x652b82fe
	s_mov_b32 s5, 0x3ff71547
	;; [unrolled: 1-line block ×4, first 2 shown]
	v_mul_f64 v[9:10], v[0:1], s[4:5]
	s_mov_b32 s4, 0xfefa39ef
	s_mov_b32 s5, 0xbfe62e42
	v_rndne_f64_e32 v[9:10], v[9:10]
	v_fma_f64 v[11:12], v[9:10], s[4:5], v[0:1]
	s_mov_b32 s4, 0x3b39803f
	s_mov_b32 s5, 0xbc7abc9e
	v_cvt_i32_f64_e32 v58, v[9:10]
	v_fma_f64 v[11:12], v[9:10], s[4:5], v[11:12]
	s_mov_b32 s4, 0xfca7ab0c
	s_mov_b32 s5, 0x3e928af3
	v_fma_f64 v[21:22], v[11:12], s[20:21], s[4:5]
	s_mov_b32 s4, 0x623fde64
	s_mov_b32 s5, 0x3ec71dee
	;; [unrolled: 3-line block ×9, first 2 shown]
	v_fma_f64 v[21:22], v[11:12], v[21:22], s[4:5]
	v_cmp_nlt_f64_e64 s4, 0x40900000, v[0:1]
	v_cmp_ngt_f64_e64 s5, 0xc090cc00, v[0:1]
	v_fma_f64 v[21:22], v[11:12], v[21:22], 1.0
	v_fma_f64 v[9:10], v[11:12], v[21:22], 1.0
	v_ldexp_f64 v[9:10], v[9:10], v58
	v_cndmask_b32_e64 v10, 0x7ff00000, v10, s4
	s_and_b32 s4, s5, s4
	v_cndmask_b32_e64 v121, 0, v9, s4
	v_cndmask_b32_e64 v122, 0, v10, s5
	v_add_f64 v[59:60], v[59:60], v[121:122]
.LBB695_455:
	s_or_b32 exec_lo, exec_lo, s17
.LBB695_456:
	s_or_b32 exec_lo, exec_lo, s18
	v_mov_b32_e32 v9, 0
	v_mov_b32_e32 v11, 0
	;; [unrolled: 1-line block ×4, first 2 shown]
	s_and_saveexec_b32 s17, s16
	s_cbranch_execz .LBB695_460
; %bb.457:
	global_load_ubyte v0, v[5:6], off offset:576
	v_mov_b32_e32 v11, 0
	v_mov_b32_e32 v12, 0
	s_waitcnt vmcnt(0)
	v_and_b32_e32 v0, 1, v0
	v_cmp_eq_u32_e64 s4, 1, v0
	s_xor_b32 s4, s4, -1
	s_and_saveexec_b32 s16, s4
	s_cbranch_execz .LBB695_459
; %bb.458:
	v_add_f64 v[0:1], v[19:20], -v[61:62]
	s_mov_b32 s4, 0x652b82fe
	s_mov_b32 s5, 0x3ff71547
	;; [unrolled: 1-line block ×4, first 2 shown]
	v_mul_f64 v[11:12], v[0:1], s[4:5]
	s_mov_b32 s4, 0xfefa39ef
	s_mov_b32 s5, 0xbfe62e42
	v_rndne_f64_e32 v[11:12], v[11:12]
	v_fma_f64 v[19:20], v[11:12], s[4:5], v[0:1]
	s_mov_b32 s4, 0x3b39803f
	s_mov_b32 s5, 0xbc7abc9e
	v_cvt_i32_f64_e32 v58, v[11:12]
	v_fma_f64 v[19:20], v[11:12], s[4:5], v[19:20]
	s_mov_b32 s4, 0xfca7ab0c
	s_mov_b32 s5, 0x3e928af3
	v_fma_f64 v[21:22], v[19:20], s[18:19], s[4:5]
	s_mov_b32 s4, 0x623fde64
	s_mov_b32 s5, 0x3ec71dee
	;; [unrolled: 3-line block ×9, first 2 shown]
	v_fma_f64 v[21:22], v[19:20], v[21:22], s[4:5]
	v_cmp_nlt_f64_e64 s4, 0x40900000, v[0:1]
	v_cmp_ngt_f64_e64 s5, 0xc090cc00, v[0:1]
	v_fma_f64 v[21:22], v[19:20], v[21:22], 1.0
	v_fma_f64 v[11:12], v[19:20], v[21:22], 1.0
	v_ldexp_f64 v[11:12], v[11:12], v58
	v_cndmask_b32_e64 v12, 0x7ff00000, v12, s4
	s_and_b32 s4, s5, s4
	v_cndmask_b32_e64 v11, 0, v11, s4
	v_cndmask_b32_e64 v12, 0, v12, s5
	v_add_f64 v[59:60], v[59:60], v[11:12]
.LBB695_459:
	s_or_b32 exec_lo, exec_lo, s16
.LBB695_460:
	s_or_b32 exec_lo, exec_lo, s17
	s_and_saveexec_b32 s16, s15
	s_cbranch_execz .LBB695_464
; %bb.461:
	global_load_ubyte v0, v[5:6], off offset:608
	v_mov_b32_e32 v9, 0
	v_mov_b32_e32 v10, 0
	s_waitcnt vmcnt(0)
	v_and_b32_e32 v0, 1, v0
	v_cmp_eq_u32_e64 s4, 1, v0
	s_xor_b32 s4, s4, -1
	s_and_saveexec_b32 s15, s4
	s_cbranch_execz .LBB695_463
; %bb.462:
	v_add_f64 v[0:1], v[17:18], -v[61:62]
	s_mov_b32 s4, 0x652b82fe
	s_mov_b32 s5, 0x3ff71547
	s_mov_b32 s18, 0x6a5dcb37
	s_mov_b32 s19, 0x3e5ade15
	v_mul_f64 v[9:10], v[0:1], s[4:5]
	s_mov_b32 s4, 0xfefa39ef
	s_mov_b32 s5, 0xbfe62e42
	v_rndne_f64_e32 v[9:10], v[9:10]
	v_fma_f64 v[17:18], v[9:10], s[4:5], v[0:1]
	s_mov_b32 s4, 0x3b39803f
	s_mov_b32 s5, 0xbc7abc9e
	v_cvt_i32_f64_e32 v21, v[9:10]
	v_fma_f64 v[17:18], v[9:10], s[4:5], v[17:18]
	s_mov_b32 s4, 0xfca7ab0c
	s_mov_b32 s5, 0x3e928af3
	v_fma_f64 v[19:20], v[17:18], s[18:19], s[4:5]
	s_mov_b32 s4, 0x623fde64
	s_mov_b32 s5, 0x3ec71dee
	;; [unrolled: 3-line block ×9, first 2 shown]
	v_fma_f64 v[19:20], v[17:18], v[19:20], s[4:5]
	v_cmp_nlt_f64_e64 s4, 0x40900000, v[0:1]
	v_cmp_ngt_f64_e64 s5, 0xc090cc00, v[0:1]
	v_fma_f64 v[19:20], v[17:18], v[19:20], 1.0
	v_fma_f64 v[9:10], v[17:18], v[19:20], 1.0
	v_ldexp_f64 v[9:10], v[9:10], v21
	v_cndmask_b32_e64 v10, 0x7ff00000, v10, s4
	s_and_b32 s4, s5, s4
	v_cndmask_b32_e64 v9, 0, v9, s4
	v_cndmask_b32_e64 v10, 0, v10, s5
	v_add_f64 v[59:60], v[59:60], v[9:10]
.LBB695_463:
	s_or_b32 exec_lo, exec_lo, s15
.LBB695_464:
	s_or_b32 exec_lo, exec_lo, s16
	v_mov_b32_e32 v17, 0
	v_mov_b32_e32 v19, 0
	;; [unrolled: 1-line block ×4, first 2 shown]
	s_and_saveexec_b32 s15, s14
	s_cbranch_execz .LBB695_468
; %bb.465:
	global_load_ubyte v0, v[5:6], off offset:640
	v_mov_b32_e32 v19, 0
	v_mov_b32_e32 v20, 0
	s_waitcnt vmcnt(0)
	v_and_b32_e32 v0, 1, v0
	v_cmp_eq_u32_e64 s4, 1, v0
	s_xor_b32 s4, s4, -1
	s_and_saveexec_b32 s14, s4
	s_cbranch_execz .LBB695_467
; %bb.466:
	v_add_f64 v[0:1], v[15:16], -v[61:62]
	s_mov_b32 s4, 0x652b82fe
	s_mov_b32 s5, 0x3ff71547
	;; [unrolled: 1-line block ×4, first 2 shown]
	v_mul_f64 v[15:16], v[0:1], s[4:5]
	s_mov_b32 s4, 0xfefa39ef
	s_mov_b32 s5, 0xbfe62e42
	v_rndne_f64_e32 v[15:16], v[15:16]
	v_fma_f64 v[19:20], v[15:16], s[4:5], v[0:1]
	s_mov_b32 s4, 0x3b39803f
	s_mov_b32 s5, 0xbc7abc9e
	v_cvt_i32_f64_e32 v58, v[15:16]
	v_fma_f64 v[19:20], v[15:16], s[4:5], v[19:20]
	s_mov_b32 s4, 0xfca7ab0c
	s_mov_b32 s5, 0x3e928af3
	v_fma_f64 v[21:22], v[19:20], s[16:17], s[4:5]
	s_mov_b32 s4, 0x623fde64
	s_mov_b32 s5, 0x3ec71dee
	;; [unrolled: 3-line block ×9, first 2 shown]
	v_fma_f64 v[21:22], v[19:20], v[21:22], s[4:5]
	v_cmp_nlt_f64_e64 s4, 0x40900000, v[0:1]
	v_cmp_ngt_f64_e64 s5, 0xc090cc00, v[0:1]
	v_fma_f64 v[21:22], v[19:20], v[21:22], 1.0
	v_fma_f64 v[15:16], v[19:20], v[21:22], 1.0
	v_ldexp_f64 v[15:16], v[15:16], v58
	v_cndmask_b32_e64 v16, 0x7ff00000, v16, s4
	s_and_b32 s4, s5, s4
	v_cndmask_b32_e64 v19, 0, v15, s4
	v_cndmask_b32_e64 v20, 0, v16, s5
	v_add_f64 v[59:60], v[59:60], v[19:20]
.LBB695_467:
	s_or_b32 exec_lo, exec_lo, s14
.LBB695_468:
	s_or_b32 exec_lo, exec_lo, s15
	s_and_saveexec_b32 s14, s13
	s_cbranch_execz .LBB695_472
; %bb.469:
	global_load_ubyte v0, v[5:6], off offset:672
	v_mov_b32_e32 v17, 0
	v_mov_b32_e32 v18, 0
	s_waitcnt vmcnt(0)
	v_and_b32_e32 v0, 1, v0
	v_cmp_eq_u32_e64 s4, 1, v0
	s_xor_b32 s4, s4, -1
	s_and_saveexec_b32 s13, s4
	s_cbranch_execz .LBB695_471
; %bb.470:
	v_add_f64 v[0:1], v[13:14], -v[61:62]
	s_mov_b32 s4, 0x652b82fe
	s_mov_b32 s5, 0x3ff71547
	;; [unrolled: 1-line block ×4, first 2 shown]
	v_mul_f64 v[13:14], v[0:1], s[4:5]
	s_mov_b32 s4, 0xfefa39ef
	s_mov_b32 s5, 0xbfe62e42
	v_rndne_f64_e32 v[13:14], v[13:14]
	v_fma_f64 v[15:16], v[13:14], s[4:5], v[0:1]
	s_mov_b32 s4, 0x3b39803f
	s_mov_b32 s5, 0xbc7abc9e
	v_cvt_i32_f64_e32 v21, v[13:14]
	v_fma_f64 v[15:16], v[13:14], s[4:5], v[15:16]
	s_mov_b32 s4, 0xfca7ab0c
	s_mov_b32 s5, 0x3e928af3
	v_fma_f64 v[17:18], v[15:16], s[16:17], s[4:5]
	s_mov_b32 s4, 0x623fde64
	s_mov_b32 s5, 0x3ec71dee
	v_fma_f64 v[17:18], v[15:16], v[17:18], s[4:5]
	s_mov_b32 s4, 0x7c89e6b0
	s_mov_b32 s5, 0x3efa0199
	v_fma_f64 v[17:18], v[15:16], v[17:18], s[4:5]
	s_mov_b32 s4, 0x14761f6e
	s_mov_b32 s5, 0x3f2a01a0
	v_fma_f64 v[17:18], v[15:16], v[17:18], s[4:5]
	s_mov_b32 s4, 0x1852b7b0
	s_mov_b32 s5, 0x3f56c16c
	v_fma_f64 v[17:18], v[15:16], v[17:18], s[4:5]
	s_mov_b32 s4, 0x11122322
	s_mov_b32 s5, 0x3f811111
	v_fma_f64 v[17:18], v[15:16], v[17:18], s[4:5]
	s_mov_b32 s4, 0x555502a1
	s_mov_b32 s5, 0x3fa55555
	v_fma_f64 v[17:18], v[15:16], v[17:18], s[4:5]
	s_mov_b32 s4, 0x55555511
	s_mov_b32 s5, 0x3fc55555
	v_fma_f64 v[17:18], v[15:16], v[17:18], s[4:5]
	s_mov_b32 s4, 11
	s_mov_b32 s5, 0x3fe00000
	v_fma_f64 v[17:18], v[15:16], v[17:18], s[4:5]
	v_cmp_nlt_f64_e64 s4, 0x40900000, v[0:1]
	v_cmp_ngt_f64_e64 s5, 0xc090cc00, v[0:1]
	v_fma_f64 v[17:18], v[15:16], v[17:18], 1.0
	v_fma_f64 v[13:14], v[15:16], v[17:18], 1.0
	v_ldexp_f64 v[13:14], v[13:14], v21
	v_cndmask_b32_e64 v14, 0x7ff00000, v14, s4
	s_and_b32 s4, s5, s4
	v_cndmask_b32_e64 v17, 0, v13, s4
	v_cndmask_b32_e64 v18, 0, v14, s5
	v_add_f64 v[59:60], v[59:60], v[17:18]
.LBB695_471:
	s_or_b32 exec_lo, exec_lo, s13
.LBB695_472:
	s_or_b32 exec_lo, exec_lo, s14
	v_mov_b32_e32 v13, 0
	v_mov_b32_e32 v15, 0
	;; [unrolled: 1-line block ×4, first 2 shown]
	s_and_saveexec_b32 s13, s12
	s_cbranch_execz .LBB695_476
; %bb.473:
	global_load_ubyte v0, v[5:6], off offset:704
	v_mov_b32_e32 v15, 0
	v_mov_b32_e32 v16, 0
	s_waitcnt vmcnt(0)
	v_and_b32_e32 v0, 1, v0
	v_cmp_eq_u32_e64 s4, 1, v0
	s_xor_b32 s4, s4, -1
	s_and_saveexec_b32 s12, s4
	s_cbranch_execz .LBB695_475
; %bb.474:
	v_add_f64 v[0:1], v[7:8], -v[61:62]
	s_mov_b32 s4, 0x652b82fe
	s_mov_b32 s5, 0x3ff71547
	s_mov_b32 s14, 0x6a5dcb37
	s_mov_b32 s15, 0x3e5ade15
	v_mul_f64 v[7:8], v[0:1], s[4:5]
	s_mov_b32 s4, 0xfefa39ef
	s_mov_b32 s5, 0xbfe62e42
	v_rndne_f64_e32 v[7:8], v[7:8]
	v_fma_f64 v[15:16], v[7:8], s[4:5], v[0:1]
	s_mov_b32 s4, 0x3b39803f
	s_mov_b32 s5, 0xbc7abc9e
	v_cvt_i32_f64_e32 v58, v[7:8]
	v_fma_f64 v[15:16], v[7:8], s[4:5], v[15:16]
	s_mov_b32 s4, 0xfca7ab0c
	s_mov_b32 s5, 0x3e928af3
	v_fma_f64 v[21:22], v[15:16], s[14:15], s[4:5]
	s_mov_b32 s4, 0x623fde64
	s_mov_b32 s5, 0x3ec71dee
	;; [unrolled: 3-line block ×9, first 2 shown]
	v_fma_f64 v[21:22], v[15:16], v[21:22], s[4:5]
	v_cmp_nlt_f64_e64 s4, 0x40900000, v[0:1]
	v_cmp_ngt_f64_e64 s5, 0xc090cc00, v[0:1]
	v_fma_f64 v[21:22], v[15:16], v[21:22], 1.0
	v_fma_f64 v[7:8], v[15:16], v[21:22], 1.0
	v_ldexp_f64 v[7:8], v[7:8], v58
	v_cndmask_b32_e64 v8, 0x7ff00000, v8, s4
	s_and_b32 s4, s5, s4
	v_cndmask_b32_e64 v15, 0, v7, s4
	v_cndmask_b32_e64 v16, 0, v8, s5
	v_add_f64 v[59:60], v[59:60], v[15:16]
.LBB695_475:
	s_or_b32 exec_lo, exec_lo, s12
.LBB695_476:
	s_or_b32 exec_lo, exec_lo, s13
	s_and_saveexec_b32 s12, s11
	s_cbranch_execz .LBB695_480
; %bb.477:
	global_load_ubyte v0, v[5:6], off offset:736
	v_mov_b32_e32 v13, 0
	v_mov_b32_e32 v14, 0
	s_waitcnt vmcnt(0)
	v_and_b32_e32 v0, 1, v0
	v_cmp_eq_u32_e64 s4, 1, v0
	s_xor_b32 s4, s4, -1
	s_and_saveexec_b32 s11, s4
	s_cbranch_execz .LBB695_479
; %bb.478:
	v_add_f64 v[0:1], v[123:124], -v[61:62]
	s_mov_b32 s4, 0x652b82fe
	s_mov_b32 s5, 0x3ff71547
	;; [unrolled: 1-line block ×4, first 2 shown]
	v_mul_f64 v[7:8], v[0:1], s[4:5]
	s_mov_b32 s4, 0xfefa39ef
	s_mov_b32 s5, 0xbfe62e42
	v_rndne_f64_e32 v[7:8], v[7:8]
	v_fma_f64 v[13:14], v[7:8], s[4:5], v[0:1]
	s_mov_b32 s4, 0x3b39803f
	s_mov_b32 s5, 0xbc7abc9e
	v_cvt_i32_f64_e32 v58, v[7:8]
	v_fma_f64 v[13:14], v[7:8], s[4:5], v[13:14]
	s_mov_b32 s4, 0xfca7ab0c
	s_mov_b32 s5, 0x3e928af3
	v_fma_f64 v[21:22], v[13:14], s[14:15], s[4:5]
	s_mov_b32 s4, 0x623fde64
	s_mov_b32 s5, 0x3ec71dee
	;; [unrolled: 3-line block ×9, first 2 shown]
	v_fma_f64 v[21:22], v[13:14], v[21:22], s[4:5]
	v_cmp_nlt_f64_e64 s4, 0x40900000, v[0:1]
	v_cmp_ngt_f64_e64 s5, 0xc090cc00, v[0:1]
	v_fma_f64 v[21:22], v[13:14], v[21:22], 1.0
	v_fma_f64 v[7:8], v[13:14], v[21:22], 1.0
	v_ldexp_f64 v[7:8], v[7:8], v58
	v_cndmask_b32_e64 v8, 0x7ff00000, v8, s4
	s_and_b32 s4, s5, s4
	v_cndmask_b32_e64 v13, 0, v7, s4
	v_cndmask_b32_e64 v14, 0, v8, s5
	v_add_f64 v[59:60], v[59:60], v[13:14]
.LBB695_479:
	s_or_b32 exec_lo, exec_lo, s11
.LBB695_480:
	s_or_b32 exec_lo, exec_lo, s12
	v_mov_b32_e32 v7, 0
	v_mov_b32_e32 v123, 0
	;; [unrolled: 1-line block ×4, first 2 shown]
	s_and_saveexec_b32 s11, s10
	s_cbranch_execz .LBB695_484
; %bb.481:
	global_load_ubyte v0, v[5:6], off offset:768
	v_mov_b32_e32 v123, 0
	v_mov_b32_e32 v124, 0
	s_waitcnt vmcnt(0)
	v_and_b32_e32 v0, 1, v0
	v_cmp_eq_u32_e64 s4, 1, v0
	s_xor_b32 s4, s4, -1
	s_and_saveexec_b32 s10, s4
	s_cbranch_execz .LBB695_483
; %bb.482:
	v_add_f64 v[0:1], v[119:120], -v[61:62]
	s_mov_b32 s4, 0x652b82fe
	s_mov_b32 s5, 0x3ff71547
	;; [unrolled: 1-line block ×4, first 2 shown]
	v_mul_f64 v[21:22], v[0:1], s[4:5]
	s_mov_b32 s4, 0xfefa39ef
	s_mov_b32 s5, 0xbfe62e42
	v_rndne_f64_e32 v[21:22], v[21:22]
	v_fma_f64 v[67:68], v[21:22], s[4:5], v[0:1]
	s_mov_b32 s4, 0x3b39803f
	s_mov_b32 s5, 0xbc7abc9e
	v_cvt_i32_f64_e32 v58, v[21:22]
	v_fma_f64 v[67:68], v[21:22], s[4:5], v[67:68]
	s_mov_b32 s4, 0xfca7ab0c
	s_mov_b32 s5, 0x3e928af3
	v_fma_f64 v[75:76], v[67:68], s[12:13], s[4:5]
	s_mov_b32 s4, 0x623fde64
	s_mov_b32 s5, 0x3ec71dee
	;; [unrolled: 3-line block ×9, first 2 shown]
	v_fma_f64 v[75:76], v[67:68], v[75:76], s[4:5]
	v_cmp_nlt_f64_e64 s4, 0x40900000, v[0:1]
	v_cmp_ngt_f64_e64 s5, 0xc090cc00, v[0:1]
	v_fma_f64 v[75:76], v[67:68], v[75:76], 1.0
	v_fma_f64 v[21:22], v[67:68], v[75:76], 1.0
	v_ldexp_f64 v[21:22], v[21:22], v58
	v_cndmask_b32_e64 v22, 0x7ff00000, v22, s4
	s_and_b32 s4, s5, s4
	v_cndmask_b32_e64 v123, 0, v21, s4
	v_cndmask_b32_e64 v124, 0, v22, s5
	v_add_f64 v[59:60], v[59:60], v[123:124]
.LBB695_483:
	s_or_b32 exec_lo, exec_lo, s10
.LBB695_484:
	s_or_b32 exec_lo, exec_lo, s11
	s_and_saveexec_b32 s10, s9
	s_cbranch_execz .LBB695_488
; %bb.485:
	global_load_ubyte v0, v[5:6], off offset:800
	v_mov_b32_e32 v7, 0
	v_mov_b32_e32 v8, 0
	s_waitcnt vmcnt(0)
	v_and_b32_e32 v0, 1, v0
	v_cmp_eq_u32_e64 s4, 1, v0
	s_xor_b32 s4, s4, -1
	s_and_saveexec_b32 s9, s4
	s_cbranch_execz .LBB695_487
; %bb.486:
	v_add_f64 v[0:1], v[115:116], -v[61:62]
	s_mov_b32 s4, 0x652b82fe
	s_mov_b32 s5, 0x3ff71547
	s_mov_b32 s12, 0x6a5dcb37
	s_mov_b32 s13, 0x3e5ade15
	v_mul_f64 v[7:8], v[0:1], s[4:5]
	s_mov_b32 s4, 0xfefa39ef
	s_mov_b32 s5, 0xbfe62e42
	v_rndne_f64_e32 v[7:8], v[7:8]
	v_fma_f64 v[21:22], v[7:8], s[4:5], v[0:1]
	s_mov_b32 s4, 0x3b39803f
	s_mov_b32 s5, 0xbc7abc9e
	v_cvt_i32_f64_e32 v58, v[7:8]
	v_fma_f64 v[21:22], v[7:8], s[4:5], v[21:22]
	s_mov_b32 s4, 0xfca7ab0c
	s_mov_b32 s5, 0x3e928af3
	v_fma_f64 v[67:68], v[21:22], s[12:13], s[4:5]
	s_mov_b32 s4, 0x623fde64
	s_mov_b32 s5, 0x3ec71dee
	v_fma_f64 v[67:68], v[21:22], v[67:68], s[4:5]
	s_mov_b32 s4, 0x7c89e6b0
	s_mov_b32 s5, 0x3efa0199
	v_fma_f64 v[67:68], v[21:22], v[67:68], s[4:5]
	s_mov_b32 s4, 0x14761f6e
	s_mov_b32 s5, 0x3f2a01a0
	v_fma_f64 v[67:68], v[21:22], v[67:68], s[4:5]
	s_mov_b32 s4, 0x1852b7b0
	s_mov_b32 s5, 0x3f56c16c
	v_fma_f64 v[67:68], v[21:22], v[67:68], s[4:5]
	s_mov_b32 s4, 0x11122322
	s_mov_b32 s5, 0x3f811111
	v_fma_f64 v[67:68], v[21:22], v[67:68], s[4:5]
	s_mov_b32 s4, 0x555502a1
	s_mov_b32 s5, 0x3fa55555
	v_fma_f64 v[67:68], v[21:22], v[67:68], s[4:5]
	s_mov_b32 s4, 0x55555511
	s_mov_b32 s5, 0x3fc55555
	v_fma_f64 v[67:68], v[21:22], v[67:68], s[4:5]
	s_mov_b32 s4, 11
	s_mov_b32 s5, 0x3fe00000
	v_fma_f64 v[67:68], v[21:22], v[67:68], s[4:5]
	v_cmp_nlt_f64_e64 s4, 0x40900000, v[0:1]
	v_cmp_ngt_f64_e64 s5, 0xc090cc00, v[0:1]
	v_fma_f64 v[67:68], v[21:22], v[67:68], 1.0
	v_fma_f64 v[7:8], v[21:22], v[67:68], 1.0
	v_ldexp_f64 v[7:8], v[7:8], v58
	v_cndmask_b32_e64 v8, 0x7ff00000, v8, s4
	s_and_b32 s4, s5, s4
	v_cndmask_b32_e64 v7, 0, v7, s4
	v_cndmask_b32_e64 v8, 0, v8, s5
	v_add_f64 v[59:60], v[59:60], v[7:8]
.LBB695_487:
	s_or_b32 exec_lo, exec_lo, s9
.LBB695_488:
	s_or_b32 exec_lo, exec_lo, s10
	v_mov_b32_e32 v115, 0
	v_mov_b32_e32 v119, 0
	;; [unrolled: 1-line block ×4, first 2 shown]
	s_and_saveexec_b32 s9, s8
	s_cbranch_execz .LBB695_492
; %bb.489:
	global_load_ubyte v0, v[5:6], off offset:832
	v_mov_b32_e32 v119, 0
	v_mov_b32_e32 v120, 0
	s_waitcnt vmcnt(0)
	v_and_b32_e32 v0, 1, v0
	v_cmp_eq_u32_e64 s4, 1, v0
	s_xor_b32 s4, s4, -1
	s_and_saveexec_b32 s8, s4
	s_cbranch_execz .LBB695_491
; %bb.490:
	v_add_f64 v[0:1], v[111:112], -v[61:62]
	s_mov_b32 s4, 0x652b82fe
	s_mov_b32 s5, 0x3ff71547
	;; [unrolled: 1-line block ×4, first 2 shown]
	v_mul_f64 v[21:22], v[0:1], s[4:5]
	s_mov_b32 s4, 0xfefa39ef
	s_mov_b32 s5, 0xbfe62e42
	v_rndne_f64_e32 v[21:22], v[21:22]
	v_fma_f64 v[67:68], v[21:22], s[4:5], v[0:1]
	s_mov_b32 s4, 0x3b39803f
	s_mov_b32 s5, 0xbc7abc9e
	v_cvt_i32_f64_e32 v58, v[21:22]
	v_fma_f64 v[67:68], v[21:22], s[4:5], v[67:68]
	s_mov_b32 s4, 0xfca7ab0c
	s_mov_b32 s5, 0x3e928af3
	v_fma_f64 v[75:76], v[67:68], s[10:11], s[4:5]
	s_mov_b32 s4, 0x623fde64
	s_mov_b32 s5, 0x3ec71dee
	;; [unrolled: 3-line block ×9, first 2 shown]
	v_fma_f64 v[75:76], v[67:68], v[75:76], s[4:5]
	v_cmp_nlt_f64_e64 s4, 0x40900000, v[0:1]
	v_cmp_ngt_f64_e64 s5, 0xc090cc00, v[0:1]
	v_fma_f64 v[75:76], v[67:68], v[75:76], 1.0
	v_fma_f64 v[21:22], v[67:68], v[75:76], 1.0
	v_ldexp_f64 v[21:22], v[21:22], v58
	v_cndmask_b32_e64 v22, 0x7ff00000, v22, s4
	s_and_b32 s4, s5, s4
	v_cndmask_b32_e64 v119, 0, v21, s4
	v_cndmask_b32_e64 v120, 0, v22, s5
	v_add_f64 v[59:60], v[59:60], v[119:120]
.LBB695_491:
	s_or_b32 exec_lo, exec_lo, s8
.LBB695_492:
	s_or_b32 exec_lo, exec_lo, s9
	s_and_saveexec_b32 s8, s7
	s_cbranch_execz .LBB695_496
; %bb.493:
	global_load_ubyte v0, v[5:6], off offset:864
	v_mov_b32_e32 v115, 0
	v_mov_b32_e32 v116, 0
	s_waitcnt vmcnt(0)
	v_and_b32_e32 v0, 1, v0
	v_cmp_eq_u32_e64 s4, 1, v0
	s_xor_b32 s4, s4, -1
	s_and_saveexec_b32 s7, s4
	s_cbranch_execz .LBB695_495
; %bb.494:
	v_add_f64 v[0:1], v[107:108], -v[61:62]
	s_mov_b32 s4, 0x652b82fe
	s_mov_b32 s5, 0x3ff71547
	;; [unrolled: 1-line block ×4, first 2 shown]
	v_mul_f64 v[21:22], v[0:1], s[4:5]
	s_mov_b32 s4, 0xfefa39ef
	s_mov_b32 s5, 0xbfe62e42
	v_rndne_f64_e32 v[21:22], v[21:22]
	v_fma_f64 v[67:68], v[21:22], s[4:5], v[0:1]
	s_mov_b32 s4, 0x3b39803f
	s_mov_b32 s5, 0xbc7abc9e
	v_cvt_i32_f64_e32 v58, v[21:22]
	v_fma_f64 v[67:68], v[21:22], s[4:5], v[67:68]
	s_mov_b32 s4, 0xfca7ab0c
	s_mov_b32 s5, 0x3e928af3
	v_fma_f64 v[75:76], v[67:68], s[10:11], s[4:5]
	s_mov_b32 s4, 0x623fde64
	s_mov_b32 s5, 0x3ec71dee
	;; [unrolled: 3-line block ×9, first 2 shown]
	v_fma_f64 v[75:76], v[67:68], v[75:76], s[4:5]
	v_cmp_nlt_f64_e64 s4, 0x40900000, v[0:1]
	v_cmp_ngt_f64_e64 s5, 0xc090cc00, v[0:1]
	v_fma_f64 v[75:76], v[67:68], v[75:76], 1.0
	v_fma_f64 v[21:22], v[67:68], v[75:76], 1.0
	v_ldexp_f64 v[21:22], v[21:22], v58
	v_cndmask_b32_e64 v22, 0x7ff00000, v22, s4
	s_and_b32 s4, s5, s4
	v_cndmask_b32_e64 v115, 0, v21, s4
	v_cndmask_b32_e64 v116, 0, v22, s5
	v_add_f64 v[59:60], v[59:60], v[115:116]
.LBB695_495:
	s_or_b32 exec_lo, exec_lo, s7
.LBB695_496:
	s_or_b32 exec_lo, exec_lo, s8
	v_mov_b32_e32 v107, 0
	v_mov_b32_e32 v111, 0
	;; [unrolled: 1-line block ×4, first 2 shown]
	s_and_saveexec_b32 s7, s6
	s_cbranch_execz .LBB695_500
; %bb.497:
	global_load_ubyte v0, v[5:6], off offset:896
	v_mov_b32_e32 v111, 0
	v_mov_b32_e32 v112, 0
	s_waitcnt vmcnt(0)
	v_and_b32_e32 v0, 1, v0
	v_cmp_eq_u32_e64 s4, 1, v0
	s_xor_b32 s4, s4, -1
	s_and_saveexec_b32 s6, s4
	s_cbranch_execz .LBB695_499
; %bb.498:
	v_add_f64 v[0:1], v[103:104], -v[61:62]
	s_mov_b32 s4, 0x652b82fe
	s_mov_b32 s5, 0x3ff71547
	;; [unrolled: 1-line block ×4, first 2 shown]
	v_mul_f64 v[21:22], v[0:1], s[4:5]
	s_mov_b32 s4, 0xfefa39ef
	s_mov_b32 s5, 0xbfe62e42
	v_rndne_f64_e32 v[21:22], v[21:22]
	v_fma_f64 v[67:68], v[21:22], s[4:5], v[0:1]
	s_mov_b32 s4, 0x3b39803f
	s_mov_b32 s5, 0xbc7abc9e
	v_cvt_i32_f64_e32 v58, v[21:22]
	v_fma_f64 v[67:68], v[21:22], s[4:5], v[67:68]
	s_mov_b32 s4, 0xfca7ab0c
	s_mov_b32 s5, 0x3e928af3
	v_fma_f64 v[75:76], v[67:68], s[8:9], s[4:5]
	s_mov_b32 s4, 0x623fde64
	s_mov_b32 s5, 0x3ec71dee
	;; [unrolled: 3-line block ×9, first 2 shown]
	v_fma_f64 v[75:76], v[67:68], v[75:76], s[4:5]
	v_cmp_nlt_f64_e64 s4, 0x40900000, v[0:1]
	v_cmp_ngt_f64_e64 s5, 0xc090cc00, v[0:1]
	v_fma_f64 v[75:76], v[67:68], v[75:76], 1.0
	v_fma_f64 v[21:22], v[67:68], v[75:76], 1.0
	v_ldexp_f64 v[21:22], v[21:22], v58
	v_cndmask_b32_e64 v22, 0x7ff00000, v22, s4
	s_and_b32 s4, s5, s4
	v_cndmask_b32_e64 v111, 0, v21, s4
	v_cndmask_b32_e64 v112, 0, v22, s5
	v_add_f64 v[59:60], v[59:60], v[111:112]
.LBB695_499:
	s_or_b32 exec_lo, exec_lo, s6
.LBB695_500:
	s_or_b32 exec_lo, exec_lo, s7
	s_and_saveexec_b32 s6, s3
	s_cbranch_execz .LBB695_504
; %bb.501:
	global_load_ubyte v0, v[5:6], off offset:928
	v_mov_b32_e32 v107, 0
	v_mov_b32_e32 v108, 0
	s_waitcnt vmcnt(0)
	v_and_b32_e32 v0, 1, v0
	v_cmp_eq_u32_e64 s4, 1, v0
	s_xor_b32 s4, s4, -1
	s_and_saveexec_b32 s3, s4
	s_cbranch_execz .LBB695_503
; %bb.502:
	v_add_f64 v[0:1], v[97:98], -v[61:62]
	s_mov_b32 s4, 0x652b82fe
	s_mov_b32 s5, 0x3ff71547
	;; [unrolled: 1-line block ×4, first 2 shown]
	v_mul_f64 v[21:22], v[0:1], s[4:5]
	s_mov_b32 s4, 0xfefa39ef
	s_mov_b32 s5, 0xbfe62e42
	v_rndne_f64_e32 v[21:22], v[21:22]
	v_fma_f64 v[67:68], v[21:22], s[4:5], v[0:1]
	s_mov_b32 s4, 0x3b39803f
	s_mov_b32 s5, 0xbc7abc9e
	v_cvt_i32_f64_e32 v58, v[21:22]
	v_fma_f64 v[67:68], v[21:22], s[4:5], v[67:68]
	s_mov_b32 s4, 0xfca7ab0c
	s_mov_b32 s5, 0x3e928af3
	v_fma_f64 v[75:76], v[67:68], s[8:9], s[4:5]
	s_mov_b32 s4, 0x623fde64
	s_mov_b32 s5, 0x3ec71dee
	;; [unrolled: 3-line block ×9, first 2 shown]
	v_fma_f64 v[75:76], v[67:68], v[75:76], s[4:5]
	v_cmp_nlt_f64_e64 s4, 0x40900000, v[0:1]
	v_cmp_ngt_f64_e64 s5, 0xc090cc00, v[0:1]
	v_fma_f64 v[75:76], v[67:68], v[75:76], 1.0
	v_fma_f64 v[21:22], v[67:68], v[75:76], 1.0
	v_ldexp_f64 v[21:22], v[21:22], v58
	v_cndmask_b32_e64 v22, 0x7ff00000, v22, s4
	s_and_b32 s4, s5, s4
	v_cndmask_b32_e64 v107, 0, v21, s4
	v_cndmask_b32_e64 v108, 0, v22, s5
	v_add_f64 v[59:60], v[59:60], v[107:108]
.LBB695_503:
	s_or_b32 exec_lo, exec_lo, s3
.LBB695_504:
	s_or_b32 exec_lo, exec_lo, s6
	v_mov_b32_e32 v97, 0
	v_mov_b32_e32 v103, 0
	;; [unrolled: 1-line block ×4, first 2 shown]
	s_and_saveexec_b32 s3, s2
	s_cbranch_execz .LBB695_508
; %bb.505:
	global_load_ubyte v0, v[5:6], off offset:960
	v_mov_b32_e32 v103, 0
	v_mov_b32_e32 v104, 0
	s_waitcnt vmcnt(0)
	v_and_b32_e32 v0, 1, v0
	v_cmp_eq_u32_e64 s4, 1, v0
	s_xor_b32 s4, s4, -1
	s_and_saveexec_b32 s2, s4
	s_cbranch_execz .LBB695_507
; %bb.506:
	v_add_f64 v[0:1], v[95:96], -v[61:62]
	s_mov_b32 s4, 0x652b82fe
	s_mov_b32 s5, 0x3ff71547
	;; [unrolled: 1-line block ×4, first 2 shown]
	v_mul_f64 v[21:22], v[0:1], s[4:5]
	s_mov_b32 s4, 0xfefa39ef
	s_mov_b32 s5, 0xbfe62e42
	v_rndne_f64_e32 v[21:22], v[21:22]
	v_fma_f64 v[67:68], v[21:22], s[4:5], v[0:1]
	s_mov_b32 s4, 0x3b39803f
	s_mov_b32 s5, 0xbc7abc9e
	v_cvt_i32_f64_e32 v58, v[21:22]
	v_fma_f64 v[67:68], v[21:22], s[4:5], v[67:68]
	s_mov_b32 s4, 0xfca7ab0c
	s_mov_b32 s5, 0x3e928af3
	v_fma_f64 v[75:76], v[67:68], s[6:7], s[4:5]
	s_mov_b32 s4, 0x623fde64
	s_mov_b32 s5, 0x3ec71dee
	;; [unrolled: 3-line block ×9, first 2 shown]
	v_fma_f64 v[75:76], v[67:68], v[75:76], s[4:5]
	v_cmp_nlt_f64_e64 s4, 0x40900000, v[0:1]
	v_cmp_ngt_f64_e64 s5, 0xc090cc00, v[0:1]
	v_fma_f64 v[75:76], v[67:68], v[75:76], 1.0
	v_fma_f64 v[21:22], v[67:68], v[75:76], 1.0
	v_ldexp_f64 v[21:22], v[21:22], v58
	v_cndmask_b32_e64 v22, 0x7ff00000, v22, s4
	s_and_b32 s4, s5, s4
	v_cndmask_b32_e64 v103, 0, v21, s4
	v_cndmask_b32_e64 v104, 0, v22, s5
	v_add_f64 v[59:60], v[59:60], v[103:104]
.LBB695_507:
	s_or_b32 exec_lo, exec_lo, s2
.LBB695_508:
	s_or_b32 exec_lo, exec_lo, s3
	s_and_saveexec_b32 s2, s1
	s_cbranch_execz .LBB695_512
; %bb.509:
	global_load_ubyte v0, v[5:6], off offset:992
	v_mov_b32_e32 v97, 0
	v_mov_b32_e32 v98, 0
	s_waitcnt vmcnt(0)
	v_and_b32_e32 v0, 1, v0
	v_cmp_eq_u32_e64 s4, 1, v0
	s_xor_b32 s3, s4, -1
	s_and_saveexec_b32 s1, s3
	s_cbranch_execz .LBB695_511
; %bb.510:
	v_add_f64 v[0:1], v[89:90], -v[61:62]
	s_mov_b32 s4, 0x652b82fe
	s_mov_b32 s5, 0x3ff71547
	;; [unrolled: 1-line block ×4, first 2 shown]
	v_mul_f64 v[21:22], v[0:1], s[4:5]
	s_mov_b32 s4, 0xfefa39ef
	s_mov_b32 s5, 0xbfe62e42
	v_rndne_f64_e32 v[21:22], v[21:22]
	v_fma_f64 v[67:68], v[21:22], s[4:5], v[0:1]
	s_mov_b32 s4, 0x3b39803f
	s_mov_b32 s5, 0xbc7abc9e
	v_cvt_i32_f64_e32 v58, v[21:22]
	v_fma_f64 v[67:68], v[21:22], s[4:5], v[67:68]
	s_mov_b32 s4, 0xfca7ab0c
	s_mov_b32 s5, 0x3e928af3
	v_fma_f64 v[75:76], v[67:68], s[6:7], s[4:5]
	s_mov_b32 s4, 0x623fde64
	s_mov_b32 s5, 0x3ec71dee
	;; [unrolled: 3-line block ×9, first 2 shown]
	v_fma_f64 v[75:76], v[67:68], v[75:76], s[4:5]
	v_cmp_nlt_f64_e64 s4, 0x40900000, v[0:1]
	v_cmp_ngt_f64_e64 s5, 0xc090cc00, v[0:1]
	v_fma_f64 v[75:76], v[67:68], v[75:76], 1.0
	v_fma_f64 v[21:22], v[67:68], v[75:76], 1.0
	v_ldexp_f64 v[21:22], v[21:22], v58
	v_cndmask_b32_e64 v22, 0x7ff00000, v22, s4
	s_and_b32 s4, s5, s4
	v_cndmask_b32_e64 v97, 0, v21, s4
	v_cndmask_b32_e64 v98, 0, v22, s5
	v_add_f64 v[59:60], v[59:60], v[97:98]
.LBB695_511:
	s_or_b32 exec_lo, exec_lo, s1
.LBB695_512:
	s_or_b32 exec_lo, exec_lo, s2
	v_mov_b32_e32 v89, 0
	v_mov_b32_e32 v95, 0
	;; [unrolled: 1-line block ×4, first 2 shown]
	s_and_saveexec_b32 s1, vcc_hi
	s_cbranch_execz .LBB695_516
; %bb.513:
	global_load_ubyte v0, v[5:6], off offset:1024
	v_mov_b32_e32 v95, 0
	v_mov_b32_e32 v96, 0
	s_waitcnt vmcnt(0)
	v_and_b32_e32 v0, 1, v0
	v_cmp_eq_u32_e64 s4, 1, v0
	s_xor_b32 s3, s4, -1
	s_and_saveexec_b32 s2, s3
	s_cbranch_execz .LBB695_515
; %bb.514:
	v_add_f64 v[0:1], v[87:88], -v[61:62]
	s_mov_b32 s4, 0x652b82fe
	s_mov_b32 s5, 0x3ff71547
	;; [unrolled: 1-line block ×4, first 2 shown]
	v_mul_f64 v[21:22], v[0:1], s[4:5]
	s_mov_b32 s4, 0xfefa39ef
	s_mov_b32 s5, 0xbfe62e42
	v_rndne_f64_e32 v[21:22], v[21:22]
	v_fma_f64 v[67:68], v[21:22], s[4:5], v[0:1]
	s_mov_b32 s4, 0x3b39803f
	s_mov_b32 s5, 0xbc7abc9e
	v_cvt_i32_f64_e32 v58, v[21:22]
	v_fma_f64 v[67:68], v[21:22], s[4:5], v[67:68]
	s_mov_b32 s4, 0xfca7ab0c
	s_mov_b32 s5, 0x3e928af3
	v_fma_f64 v[75:76], v[67:68], s[6:7], s[4:5]
	s_mov_b32 s4, 0x623fde64
	s_mov_b32 s5, 0x3ec71dee
	v_fma_f64 v[75:76], v[67:68], v[75:76], s[4:5]
	s_mov_b32 s4, 0x7c89e6b0
	s_mov_b32 s5, 0x3efa0199
	v_fma_f64 v[75:76], v[67:68], v[75:76], s[4:5]
	s_mov_b32 s4, 0x14761f6e
	s_mov_b32 s5, 0x3f2a01a0
	v_fma_f64 v[75:76], v[67:68], v[75:76], s[4:5]
	s_mov_b32 s4, 0x1852b7b0
	s_mov_b32 s5, 0x3f56c16c
	v_fma_f64 v[75:76], v[67:68], v[75:76], s[4:5]
	s_mov_b32 s4, 0x11122322
	s_mov_b32 s5, 0x3f811111
	v_fma_f64 v[75:76], v[67:68], v[75:76], s[4:5]
	s_mov_b32 s4, 0x555502a1
	s_mov_b32 s5, 0x3fa55555
	v_fma_f64 v[75:76], v[67:68], v[75:76], s[4:5]
	s_mov_b32 s4, 0x55555511
	s_mov_b32 s5, 0x3fc55555
	v_fma_f64 v[75:76], v[67:68], v[75:76], s[4:5]
	s_mov_b32 s4, 11
	s_mov_b32 s5, 0x3fe00000
	v_fma_f64 v[75:76], v[67:68], v[75:76], s[4:5]
	v_cmp_nlt_f64_e64 s4, 0x40900000, v[0:1]
	v_cmp_ngt_f64_e64 s5, 0xc090cc00, v[0:1]
	v_fma_f64 v[75:76], v[67:68], v[75:76], 1.0
	v_fma_f64 v[21:22], v[67:68], v[75:76], 1.0
	v_ldexp_f64 v[21:22], v[21:22], v58
	v_cndmask_b32_e64 v22, 0x7ff00000, v22, s4
	s_and_b32 s4, s5, s4
	v_cndmask_b32_e64 v95, 0, v21, s4
	v_cndmask_b32_e64 v96, 0, v22, s5
	v_add_f64 v[59:60], v[59:60], v[95:96]
.LBB695_515:
	s_or_b32 exec_lo, exec_lo, s2
.LBB695_516:
	s_or_b32 exec_lo, exec_lo, s1
	s_and_saveexec_b32 s1, s104
	s_cbranch_execz .LBB695_520
; %bb.517:
	global_load_ubyte v0, v[5:6], off offset:1056
	v_mov_b32_e32 v89, 0
	v_mov_b32_e32 v90, 0
	s_waitcnt vmcnt(0)
	v_and_b32_e32 v0, 1, v0
	v_cmp_eq_u32_e64 s4, 1, v0
	s_xor_b32 s3, s4, -1
	s_and_saveexec_b32 s2, s3
	s_cbranch_execz .LBB695_519
; %bb.518:
	v_add_f64 v[0:1], v[81:82], -v[61:62]
	s_mov_b32 s4, 0x652b82fe
	s_mov_b32 s5, 0x3ff71547
	;; [unrolled: 1-line block ×4, first 2 shown]
	v_mul_f64 v[21:22], v[0:1], s[4:5]
	s_mov_b32 s4, 0xfefa39ef
	s_mov_b32 s5, 0xbfe62e42
	v_rndne_f64_e32 v[21:22], v[21:22]
	v_fma_f64 v[67:68], v[21:22], s[4:5], v[0:1]
	s_mov_b32 s4, 0x3b39803f
	s_mov_b32 s5, 0xbc7abc9e
	v_cvt_i32_f64_e32 v58, v[21:22]
	v_fma_f64 v[67:68], v[21:22], s[4:5], v[67:68]
	s_mov_b32 s4, 0xfca7ab0c
	s_mov_b32 s5, 0x3e928af3
	v_fma_f64 v[75:76], v[67:68], s[6:7], s[4:5]
	s_mov_b32 s4, 0x623fde64
	s_mov_b32 s5, 0x3ec71dee
	;; [unrolled: 3-line block ×9, first 2 shown]
	v_fma_f64 v[75:76], v[67:68], v[75:76], s[4:5]
	v_cmp_nlt_f64_e64 s4, 0x40900000, v[0:1]
	v_cmp_ngt_f64_e64 s5, 0xc090cc00, v[0:1]
	v_fma_f64 v[75:76], v[67:68], v[75:76], 1.0
	v_fma_f64 v[21:22], v[67:68], v[75:76], 1.0
	v_ldexp_f64 v[21:22], v[21:22], v58
	v_cndmask_b32_e64 v22, 0x7ff00000, v22, s4
	s_and_b32 s4, s5, s4
	v_cndmask_b32_e64 v89, 0, v21, s4
	v_cndmask_b32_e64 v90, 0, v22, s5
	v_add_f64 v[59:60], v[59:60], v[89:90]
.LBB695_519:
	s_or_b32 exec_lo, exec_lo, s2
.LBB695_520:
	s_or_b32 exec_lo, exec_lo, s1
	v_mov_b32_e32 v81, 0
	v_mov_b32_e32 v87, 0
	;; [unrolled: 1-line block ×4, first 2 shown]
	s_and_saveexec_b32 s1, s99
	s_cbranch_execz .LBB695_524
; %bb.521:
	global_load_ubyte v0, v[5:6], off offset:1088
	v_mov_b32_e32 v87, 0
	v_mov_b32_e32 v88, 0
	s_waitcnt vmcnt(0)
	v_and_b32_e32 v0, 1, v0
	v_cmp_eq_u32_e64 s4, 1, v0
	s_xor_b32 s3, s4, -1
	s_and_saveexec_b32 s2, s3
	s_cbranch_execz .LBB695_523
; %bb.522:
	v_add_f64 v[0:1], v[79:80], -v[61:62]
	s_mov_b32 s4, 0x652b82fe
	s_mov_b32 s5, 0x3ff71547
	;; [unrolled: 1-line block ×4, first 2 shown]
	v_mul_f64 v[21:22], v[0:1], s[4:5]
	s_mov_b32 s4, 0xfefa39ef
	s_mov_b32 s5, 0xbfe62e42
	v_rndne_f64_e32 v[21:22], v[21:22]
	v_fma_f64 v[67:68], v[21:22], s[4:5], v[0:1]
	s_mov_b32 s4, 0x3b39803f
	s_mov_b32 s5, 0xbc7abc9e
	v_cvt_i32_f64_e32 v58, v[21:22]
	v_fma_f64 v[67:68], v[21:22], s[4:5], v[67:68]
	s_mov_b32 s4, 0xfca7ab0c
	s_mov_b32 s5, 0x3e928af3
	v_fma_f64 v[75:76], v[67:68], s[6:7], s[4:5]
	s_mov_b32 s4, 0x623fde64
	s_mov_b32 s5, 0x3ec71dee
	;; [unrolled: 3-line block ×9, first 2 shown]
	v_fma_f64 v[75:76], v[67:68], v[75:76], s[4:5]
	v_cmp_nlt_f64_e64 s4, 0x40900000, v[0:1]
	v_cmp_ngt_f64_e64 s5, 0xc090cc00, v[0:1]
	v_fma_f64 v[75:76], v[67:68], v[75:76], 1.0
	v_fma_f64 v[21:22], v[67:68], v[75:76], 1.0
	v_ldexp_f64 v[21:22], v[21:22], v58
	v_cndmask_b32_e64 v22, 0x7ff00000, v22, s4
	s_and_b32 s4, s5, s4
	v_cndmask_b32_e64 v87, 0, v21, s4
	v_cndmask_b32_e64 v88, 0, v22, s5
	v_add_f64 v[59:60], v[59:60], v[87:88]
.LBB695_523:
	s_or_b32 exec_lo, exec_lo, s2
.LBB695_524:
	s_or_b32 exec_lo, exec_lo, s1
	s_and_saveexec_b32 s1, s98
	s_cbranch_execz .LBB695_528
; %bb.525:
	global_load_ubyte v0, v[5:6], off offset:1120
	v_mov_b32_e32 v81, 0
	v_mov_b32_e32 v82, 0
	s_waitcnt vmcnt(0)
	v_and_b32_e32 v0, 1, v0
	v_cmp_eq_u32_e64 s4, 1, v0
	s_xor_b32 s3, s4, -1
	s_and_saveexec_b32 s2, s3
	s_cbranch_execz .LBB695_527
; %bb.526:
	v_add_f64 v[0:1], v[73:74], -v[61:62]
	s_mov_b32 s4, 0x652b82fe
	s_mov_b32 s5, 0x3ff71547
	;; [unrolled: 1-line block ×4, first 2 shown]
	v_mul_f64 v[21:22], v[0:1], s[4:5]
	s_mov_b32 s4, 0xfefa39ef
	s_mov_b32 s5, 0xbfe62e42
	v_rndne_f64_e32 v[21:22], v[21:22]
	v_fma_f64 v[67:68], v[21:22], s[4:5], v[0:1]
	s_mov_b32 s4, 0x3b39803f
	s_mov_b32 s5, 0xbc7abc9e
	v_cvt_i32_f64_e32 v58, v[21:22]
	v_fma_f64 v[67:68], v[21:22], s[4:5], v[67:68]
	s_mov_b32 s4, 0xfca7ab0c
	s_mov_b32 s5, 0x3e928af3
	v_fma_f64 v[73:74], v[67:68], s[6:7], s[4:5]
	s_mov_b32 s4, 0x623fde64
	s_mov_b32 s5, 0x3ec71dee
	;; [unrolled: 3-line block ×9, first 2 shown]
	v_fma_f64 v[73:74], v[67:68], v[73:74], s[4:5]
	v_cmp_nlt_f64_e64 s4, 0x40900000, v[0:1]
	v_cmp_ngt_f64_e64 s5, 0xc090cc00, v[0:1]
	v_fma_f64 v[73:74], v[67:68], v[73:74], 1.0
	v_fma_f64 v[21:22], v[67:68], v[73:74], 1.0
	v_ldexp_f64 v[21:22], v[21:22], v58
	v_cndmask_b32_e64 v22, 0x7ff00000, v22, s4
	s_and_b32 s4, s5, s4
	v_cndmask_b32_e64 v81, 0, v21, s4
	v_cndmask_b32_e64 v82, 0, v22, s5
	v_add_f64 v[59:60], v[59:60], v[81:82]
.LBB695_527:
	s_or_b32 exec_lo, exec_lo, s2
.LBB695_528:
	s_or_b32 exec_lo, exec_lo, s1
	v_mov_b32_e32 v73, 0
	v_mov_b32_e32 v79, 0
	;; [unrolled: 1-line block ×4, first 2 shown]
	s_and_saveexec_b32 s1, s97
	s_cbranch_execz .LBB695_532
; %bb.529:
	global_load_ubyte v0, v[5:6], off offset:1152
	v_mov_b32_e32 v79, 0
	v_mov_b32_e32 v80, 0
	s_waitcnt vmcnt(0)
	v_and_b32_e32 v0, 1, v0
	v_cmp_eq_u32_e64 s4, 1, v0
	s_xor_b32 s3, s4, -1
	s_and_saveexec_b32 s2, s3
	s_cbranch_execz .LBB695_531
; %bb.530:
	v_add_f64 v[0:1], v[71:72], -v[61:62]
	s_mov_b32 s4, 0x652b82fe
	s_mov_b32 s5, 0x3ff71547
	;; [unrolled: 1-line block ×4, first 2 shown]
	v_mul_f64 v[21:22], v[0:1], s[4:5]
	s_mov_b32 s4, 0xfefa39ef
	s_mov_b32 s5, 0xbfe62e42
	v_rndne_f64_e32 v[21:22], v[21:22]
	v_fma_f64 v[67:68], v[21:22], s[4:5], v[0:1]
	s_mov_b32 s4, 0x3b39803f
	s_mov_b32 s5, 0xbc7abc9e
	v_cvt_i32_f64_e32 v58, v[21:22]
	v_fma_f64 v[67:68], v[21:22], s[4:5], v[67:68]
	s_mov_b32 s4, 0xfca7ab0c
	s_mov_b32 s5, 0x3e928af3
	v_fma_f64 v[71:72], v[67:68], s[6:7], s[4:5]
	s_mov_b32 s4, 0x623fde64
	s_mov_b32 s5, 0x3ec71dee
	;; [unrolled: 3-line block ×9, first 2 shown]
	v_fma_f64 v[71:72], v[67:68], v[71:72], s[4:5]
	v_cmp_nlt_f64_e64 s4, 0x40900000, v[0:1]
	v_cmp_ngt_f64_e64 s5, 0xc090cc00, v[0:1]
	v_fma_f64 v[71:72], v[67:68], v[71:72], 1.0
	v_fma_f64 v[21:22], v[67:68], v[71:72], 1.0
	v_ldexp_f64 v[21:22], v[21:22], v58
	v_cndmask_b32_e64 v22, 0x7ff00000, v22, s4
	s_and_b32 s4, s5, s4
	v_cndmask_b32_e64 v79, 0, v21, s4
	v_cndmask_b32_e64 v80, 0, v22, s5
	v_add_f64 v[59:60], v[59:60], v[79:80]
.LBB695_531:
	s_or_b32 exec_lo, exec_lo, s2
.LBB695_532:
	s_or_b32 exec_lo, exec_lo, s1
	s_and_saveexec_b32 s1, s96
	s_cbranch_execz .LBB695_536
; %bb.533:
	global_load_ubyte v0, v[5:6], off offset:1184
	v_mov_b32_e32 v73, 0
	v_mov_b32_e32 v74, 0
	s_waitcnt vmcnt(0)
	v_and_b32_e32 v0, 1, v0
	v_cmp_eq_u32_e64 s4, 1, v0
	s_xor_b32 s3, s4, -1
	s_and_saveexec_b32 s2, s3
	s_cbranch_execz .LBB695_535
; %bb.534:
	v_add_f64 v[0:1], v[65:66], -v[61:62]
	s_mov_b32 s4, 0x652b82fe
	s_mov_b32 s5, 0x3ff71547
	;; [unrolled: 1-line block ×4, first 2 shown]
	v_mul_f64 v[21:22], v[0:1], s[4:5]
	s_mov_b32 s4, 0xfefa39ef
	s_mov_b32 s5, 0xbfe62e42
	v_rndne_f64_e32 v[21:22], v[21:22]
	v_fma_f64 v[65:66], v[21:22], s[4:5], v[0:1]
	s_mov_b32 s4, 0x3b39803f
	s_mov_b32 s5, 0xbc7abc9e
	v_cvt_i32_f64_e32 v58, v[21:22]
	v_fma_f64 v[65:66], v[21:22], s[4:5], v[65:66]
	s_mov_b32 s4, 0xfca7ab0c
	s_mov_b32 s5, 0x3e928af3
	v_fma_f64 v[67:68], v[65:66], s[6:7], s[4:5]
	s_mov_b32 s4, 0x623fde64
	s_mov_b32 s5, 0x3ec71dee
	;; [unrolled: 3-line block ×9, first 2 shown]
	v_fma_f64 v[67:68], v[65:66], v[67:68], s[4:5]
	v_cmp_nlt_f64_e64 s4, 0x40900000, v[0:1]
	v_cmp_ngt_f64_e64 s5, 0xc090cc00, v[0:1]
	v_fma_f64 v[67:68], v[65:66], v[67:68], 1.0
	v_fma_f64 v[21:22], v[65:66], v[67:68], 1.0
	v_ldexp_f64 v[21:22], v[21:22], v58
	v_cndmask_b32_e64 v22, 0x7ff00000, v22, s4
	s_and_b32 s4, s5, s4
	v_cndmask_b32_e64 v73, 0, v21, s4
	v_cndmask_b32_e64 v74, 0, v22, s5
	v_add_f64 v[59:60], v[59:60], v[73:74]
.LBB695_535:
	s_or_b32 exec_lo, exec_lo, s2
.LBB695_536:
	s_or_b32 exec_lo, exec_lo, s1
	v_mov_b32_e32 v65, 0
	v_mov_b32_e32 v71, 0
	;; [unrolled: 1-line block ×4, first 2 shown]
	s_and_saveexec_b32 s1, s95
	s_cbranch_execz .LBB695_540
; %bb.537:
	global_load_ubyte v0, v[5:6], off offset:1216
	v_mov_b32_e32 v71, 0
	v_mov_b32_e32 v72, 0
	s_waitcnt vmcnt(0)
	v_and_b32_e32 v0, 1, v0
	v_cmp_eq_u32_e64 s4, 1, v0
	s_xor_b32 s3, s4, -1
	s_and_saveexec_b32 s2, s3
	s_cbranch_execz .LBB695_539
; %bb.538:
	v_add_f64 v[0:1], v[63:64], -v[61:62]
	s_mov_b32 s4, 0x652b82fe
	s_mov_b32 s5, 0x3ff71547
	;; [unrolled: 1-line block ×4, first 2 shown]
	v_mul_f64 v[21:22], v[0:1], s[4:5]
	s_mov_b32 s4, 0xfefa39ef
	s_mov_b32 s5, 0xbfe62e42
	v_rndne_f64_e32 v[21:22], v[21:22]
	v_fma_f64 v[63:64], v[21:22], s[4:5], v[0:1]
	s_mov_b32 s4, 0x3b39803f
	s_mov_b32 s5, 0xbc7abc9e
	v_cvt_i32_f64_e32 v58, v[21:22]
	v_fma_f64 v[63:64], v[21:22], s[4:5], v[63:64]
	s_mov_b32 s4, 0xfca7ab0c
	s_mov_b32 s5, 0x3e928af3
	v_fma_f64 v[67:68], v[63:64], s[6:7], s[4:5]
	s_mov_b32 s4, 0x623fde64
	s_mov_b32 s5, 0x3ec71dee
	;; [unrolled: 3-line block ×9, first 2 shown]
	v_fma_f64 v[67:68], v[63:64], v[67:68], s[4:5]
	v_cmp_nlt_f64_e64 s4, 0x40900000, v[0:1]
	v_cmp_ngt_f64_e64 s5, 0xc090cc00, v[0:1]
	v_fma_f64 v[67:68], v[63:64], v[67:68], 1.0
	v_fma_f64 v[21:22], v[63:64], v[67:68], 1.0
	v_ldexp_f64 v[21:22], v[21:22], v58
	v_cndmask_b32_e64 v22, 0x7ff00000, v22, s4
	s_and_b32 s4, s5, s4
	v_cndmask_b32_e64 v71, 0, v21, s4
	v_cndmask_b32_e64 v72, 0, v22, s5
	v_add_f64 v[59:60], v[59:60], v[71:72]
.LBB695_539:
	s_or_b32 exec_lo, exec_lo, s2
.LBB695_540:
	s_or_b32 exec_lo, exec_lo, s1
	s_and_saveexec_b32 s1, s94
	s_cbranch_execz .LBB695_544
; %bb.541:
	global_load_ubyte v0, v[5:6], off offset:1248
	v_mov_b32_e32 v65, 0
	v_mov_b32_e32 v66, 0
	s_waitcnt vmcnt(0)
	v_and_b32_e32 v0, 1, v0
	v_cmp_eq_u32_e64 s4, 1, v0
	s_xor_b32 s3, s4, -1
	s_and_saveexec_b32 s2, s3
	s_cbranch_execz .LBB695_543
; %bb.542:
	v_add_f64 v[0:1], v[53:54], -v[61:62]
	s_mov_b32 s4, 0x652b82fe
	s_mov_b32 s5, 0x3ff71547
	;; [unrolled: 1-line block ×4, first 2 shown]
	v_mul_f64 v[21:22], v[0:1], s[4:5]
	s_mov_b32 s4, 0xfefa39ef
	s_mov_b32 s5, 0xbfe62e42
	v_rndne_f64_e32 v[21:22], v[21:22]
	v_fma_f64 v[53:54], v[21:22], s[4:5], v[0:1]
	s_mov_b32 s4, 0x3b39803f
	s_mov_b32 s5, 0xbc7abc9e
	v_cvt_i32_f64_e32 v58, v[21:22]
	v_fma_f64 v[53:54], v[21:22], s[4:5], v[53:54]
	s_mov_b32 s4, 0xfca7ab0c
	s_mov_b32 s5, 0x3e928af3
	v_fma_f64 v[63:64], v[53:54], s[6:7], s[4:5]
	s_mov_b32 s4, 0x623fde64
	s_mov_b32 s5, 0x3ec71dee
	;; [unrolled: 3-line block ×9, first 2 shown]
	v_fma_f64 v[63:64], v[53:54], v[63:64], s[4:5]
	v_cmp_nlt_f64_e64 s4, 0x40900000, v[0:1]
	v_cmp_ngt_f64_e64 s5, 0xc090cc00, v[0:1]
	v_fma_f64 v[63:64], v[53:54], v[63:64], 1.0
	v_fma_f64 v[21:22], v[53:54], v[63:64], 1.0
	v_ldexp_f64 v[21:22], v[21:22], v58
	v_cndmask_b32_e64 v22, 0x7ff00000, v22, s4
	s_and_b32 s4, s5, s4
	v_cndmask_b32_e64 v65, 0, v21, s4
	v_cndmask_b32_e64 v66, 0, v22, s5
	v_add_f64 v[59:60], v[59:60], v[65:66]
.LBB695_543:
	s_or_b32 exec_lo, exec_lo, s2
.LBB695_544:
	s_or_b32 exec_lo, exec_lo, s1
	v_mov_b32_e32 v53, 0
	v_mov_b32_e32 v63, 0
	;; [unrolled: 1-line block ×4, first 2 shown]
	s_and_saveexec_b32 s1, s93
	s_cbranch_execz .LBB695_548
; %bb.545:
	global_load_ubyte v0, v[5:6], off offset:1280
	v_mov_b32_e32 v63, 0
	v_mov_b32_e32 v64, 0
	s_waitcnt vmcnt(0)
	v_and_b32_e32 v0, 1, v0
	v_cmp_eq_u32_e64 s4, 1, v0
	s_xor_b32 s3, s4, -1
	s_and_saveexec_b32 s2, s3
	s_cbranch_execz .LBB695_547
; %bb.546:
	v_add_f64 v[0:1], v[51:52], -v[61:62]
	s_mov_b32 s4, 0x652b82fe
	s_mov_b32 s5, 0x3ff71547
	;; [unrolled: 1-line block ×4, first 2 shown]
	v_mul_f64 v[21:22], v[0:1], s[4:5]
	s_mov_b32 s4, 0xfefa39ef
	s_mov_b32 s5, 0xbfe62e42
	v_rndne_f64_e32 v[21:22], v[21:22]
	v_fma_f64 v[51:52], v[21:22], s[4:5], v[0:1]
	s_mov_b32 s4, 0x3b39803f
	s_mov_b32 s5, 0xbc7abc9e
	v_cvt_i32_f64_e32 v58, v[21:22]
	v_fma_f64 v[51:52], v[21:22], s[4:5], v[51:52]
	s_mov_b32 s4, 0xfca7ab0c
	s_mov_b32 s5, 0x3e928af3
	v_fma_f64 v[63:64], v[51:52], s[6:7], s[4:5]
	s_mov_b32 s4, 0x623fde64
	s_mov_b32 s5, 0x3ec71dee
	v_fma_f64 v[63:64], v[51:52], v[63:64], s[4:5]
	s_mov_b32 s4, 0x7c89e6b0
	s_mov_b32 s5, 0x3efa0199
	v_fma_f64 v[63:64], v[51:52], v[63:64], s[4:5]
	s_mov_b32 s4, 0x14761f6e
	s_mov_b32 s5, 0x3f2a01a0
	v_fma_f64 v[63:64], v[51:52], v[63:64], s[4:5]
	s_mov_b32 s4, 0x1852b7b0
	s_mov_b32 s5, 0x3f56c16c
	v_fma_f64 v[63:64], v[51:52], v[63:64], s[4:5]
	s_mov_b32 s4, 0x11122322
	s_mov_b32 s5, 0x3f811111
	v_fma_f64 v[63:64], v[51:52], v[63:64], s[4:5]
	s_mov_b32 s4, 0x555502a1
	s_mov_b32 s5, 0x3fa55555
	v_fma_f64 v[63:64], v[51:52], v[63:64], s[4:5]
	s_mov_b32 s4, 0x55555511
	s_mov_b32 s5, 0x3fc55555
	v_fma_f64 v[63:64], v[51:52], v[63:64], s[4:5]
	s_mov_b32 s4, 11
	s_mov_b32 s5, 0x3fe00000
	v_fma_f64 v[63:64], v[51:52], v[63:64], s[4:5]
	v_cmp_nlt_f64_e64 s4, 0x40900000, v[0:1]
	v_cmp_ngt_f64_e64 s5, 0xc090cc00, v[0:1]
	v_fma_f64 v[63:64], v[51:52], v[63:64], 1.0
	v_fma_f64 v[21:22], v[51:52], v[63:64], 1.0
	v_ldexp_f64 v[21:22], v[21:22], v58
	v_cndmask_b32_e64 v22, 0x7ff00000, v22, s4
	s_and_b32 s4, s5, s4
	v_cndmask_b32_e64 v63, 0, v21, s4
	v_cndmask_b32_e64 v64, 0, v22, s5
	v_add_f64 v[59:60], v[59:60], v[63:64]
.LBB695_547:
	s_or_b32 exec_lo, exec_lo, s2
.LBB695_548:
	s_or_b32 exec_lo, exec_lo, s1
	s_and_saveexec_b32 s1, s92
	s_cbranch_execz .LBB695_552
; %bb.549:
	global_load_ubyte v0, v[5:6], off offset:1312
	v_mov_b32_e32 v53, 0
	v_mov_b32_e32 v54, 0
	s_waitcnt vmcnt(0)
	v_and_b32_e32 v0, 1, v0
	v_cmp_eq_u32_e64 s4, 1, v0
	s_xor_b32 s3, s4, -1
	s_and_saveexec_b32 s2, s3
	s_cbranch_execz .LBB695_551
; %bb.550:
	v_add_f64 v[0:1], v[49:50], -v[61:62]
	s_mov_b32 s4, 0x652b82fe
	s_mov_b32 s5, 0x3ff71547
	s_mov_b32 s6, 0x6a5dcb37
	s_mov_b32 s7, 0x3e5ade15
	v_mul_f64 v[21:22], v[0:1], s[4:5]
	s_mov_b32 s4, 0xfefa39ef
	s_mov_b32 s5, 0xbfe62e42
	v_rndne_f64_e32 v[21:22], v[21:22]
	v_fma_f64 v[49:50], v[21:22], s[4:5], v[0:1]
	s_mov_b32 s4, 0x3b39803f
	s_mov_b32 s5, 0xbc7abc9e
	v_cvt_i32_f64_e32 v53, v[21:22]
	v_fma_f64 v[49:50], v[21:22], s[4:5], v[49:50]
	s_mov_b32 s4, 0xfca7ab0c
	s_mov_b32 s5, 0x3e928af3
	v_fma_f64 v[51:52], v[49:50], s[6:7], s[4:5]
	s_mov_b32 s4, 0x623fde64
	s_mov_b32 s5, 0x3ec71dee
	;; [unrolled: 3-line block ×9, first 2 shown]
	v_fma_f64 v[51:52], v[49:50], v[51:52], s[4:5]
	v_cmp_nlt_f64_e64 s4, 0x40900000, v[0:1]
	v_cmp_ngt_f64_e64 s5, 0xc090cc00, v[0:1]
	v_fma_f64 v[51:52], v[49:50], v[51:52], 1.0
	v_fma_f64 v[21:22], v[49:50], v[51:52], 1.0
	v_ldexp_f64 v[21:22], v[21:22], v53
	v_cndmask_b32_e64 v22, 0x7ff00000, v22, s4
	s_and_b32 s4, s5, s4
	v_cndmask_b32_e64 v53, 0, v21, s4
	v_cndmask_b32_e64 v54, 0, v22, s5
	v_add_f64 v[59:60], v[59:60], v[53:54]
.LBB695_551:
	s_or_b32 exec_lo, exec_lo, s2
.LBB695_552:
	s_or_b32 exec_lo, exec_lo, s1
	v_mov_b32_e32 v49, 0
	v_mov_b32_e32 v51, 0
	;; [unrolled: 1-line block ×4, first 2 shown]
	s_and_saveexec_b32 s1, s91
	s_cbranch_execz .LBB695_556
; %bb.553:
	global_load_ubyte v0, v[5:6], off offset:1344
	v_mov_b32_e32 v51, 0
	v_mov_b32_e32 v52, 0
	s_waitcnt vmcnt(0)
	v_and_b32_e32 v0, 1, v0
	v_cmp_eq_u32_e64 s4, 1, v0
	s_xor_b32 s3, s4, -1
	s_and_saveexec_b32 s2, s3
	s_cbranch_execz .LBB695_555
; %bb.554:
	v_add_f64 v[0:1], v[47:48], -v[61:62]
	s_mov_b32 s4, 0x652b82fe
	s_mov_b32 s5, 0x3ff71547
	;; [unrolled: 1-line block ×4, first 2 shown]
	v_mul_f64 v[21:22], v[0:1], s[4:5]
	s_mov_b32 s4, 0xfefa39ef
	s_mov_b32 s5, 0xbfe62e42
	v_rndne_f64_e32 v[21:22], v[21:22]
	v_fma_f64 v[47:48], v[21:22], s[4:5], v[0:1]
	s_mov_b32 s4, 0x3b39803f
	s_mov_b32 s5, 0xbc7abc9e
	v_cvt_i32_f64_e32 v58, v[21:22]
	v_fma_f64 v[47:48], v[21:22], s[4:5], v[47:48]
	s_mov_b32 s4, 0xfca7ab0c
	s_mov_b32 s5, 0x3e928af3
	v_fma_f64 v[51:52], v[47:48], s[6:7], s[4:5]
	s_mov_b32 s4, 0x623fde64
	s_mov_b32 s5, 0x3ec71dee
	;; [unrolled: 3-line block ×9, first 2 shown]
	v_fma_f64 v[51:52], v[47:48], v[51:52], s[4:5]
	v_cmp_nlt_f64_e64 s4, 0x40900000, v[0:1]
	v_cmp_ngt_f64_e64 s5, 0xc090cc00, v[0:1]
	v_fma_f64 v[51:52], v[47:48], v[51:52], 1.0
	v_fma_f64 v[21:22], v[47:48], v[51:52], 1.0
	v_ldexp_f64 v[21:22], v[21:22], v58
	v_cndmask_b32_e64 v22, 0x7ff00000, v22, s4
	s_and_b32 s4, s5, s4
	v_cndmask_b32_e64 v51, 0, v21, s4
	v_cndmask_b32_e64 v52, 0, v22, s5
	v_add_f64 v[59:60], v[59:60], v[51:52]
.LBB695_555:
	s_or_b32 exec_lo, exec_lo, s2
.LBB695_556:
	s_or_b32 exec_lo, exec_lo, s1
	s_and_saveexec_b32 s1, s90
	s_cbranch_execz .LBB695_560
; %bb.557:
	global_load_ubyte v0, v[5:6], off offset:1376
	v_mov_b32_e32 v49, 0
	v_mov_b32_e32 v50, 0
	s_waitcnt vmcnt(0)
	v_and_b32_e32 v0, 1, v0
	v_cmp_eq_u32_e64 s4, 1, v0
	s_xor_b32 s3, s4, -1
	s_and_saveexec_b32 s2, s3
	s_cbranch_execz .LBB695_559
; %bb.558:
	v_add_f64 v[0:1], v[45:46], -v[61:62]
	s_mov_b32 s4, 0x652b82fe
	s_mov_b32 s5, 0x3ff71547
	;; [unrolled: 1-line block ×4, first 2 shown]
	v_mul_f64 v[21:22], v[0:1], s[4:5]
	s_mov_b32 s4, 0xfefa39ef
	s_mov_b32 s5, 0xbfe62e42
	v_rndne_f64_e32 v[21:22], v[21:22]
	v_fma_f64 v[45:46], v[21:22], s[4:5], v[0:1]
	s_mov_b32 s4, 0x3b39803f
	s_mov_b32 s5, 0xbc7abc9e
	v_cvt_i32_f64_e32 v49, v[21:22]
	v_fma_f64 v[45:46], v[21:22], s[4:5], v[45:46]
	s_mov_b32 s4, 0xfca7ab0c
	s_mov_b32 s5, 0x3e928af3
	v_fma_f64 v[47:48], v[45:46], s[6:7], s[4:5]
	s_mov_b32 s4, 0x623fde64
	s_mov_b32 s5, 0x3ec71dee
	;; [unrolled: 3-line block ×9, first 2 shown]
	v_fma_f64 v[47:48], v[45:46], v[47:48], s[4:5]
	v_cmp_nlt_f64_e64 s4, 0x40900000, v[0:1]
	v_cmp_ngt_f64_e64 s5, 0xc090cc00, v[0:1]
	v_fma_f64 v[47:48], v[45:46], v[47:48], 1.0
	v_fma_f64 v[21:22], v[45:46], v[47:48], 1.0
	v_ldexp_f64 v[21:22], v[21:22], v49
	v_cndmask_b32_e64 v22, 0x7ff00000, v22, s4
	s_and_b32 s4, s5, s4
	v_cndmask_b32_e64 v49, 0, v21, s4
	v_cndmask_b32_e64 v50, 0, v22, s5
	v_add_f64 v[59:60], v[59:60], v[49:50]
.LBB695_559:
	s_or_b32 exec_lo, exec_lo, s2
.LBB695_560:
	s_or_b32 exec_lo, exec_lo, s1
	v_mov_b32_e32 v45, 0
	v_mov_b32_e32 v47, 0
	v_mov_b32_e32 v46, 0
	v_mov_b32_e32 v48, 0
	s_and_saveexec_b32 s1, s89
	s_cbranch_execz .LBB695_564
; %bb.561:
	global_load_ubyte v0, v[5:6], off offset:1408
	v_mov_b32_e32 v47, 0
	v_mov_b32_e32 v48, 0
	s_waitcnt vmcnt(0)
	v_and_b32_e32 v0, 1, v0
	v_cmp_eq_u32_e64 s4, 1, v0
	s_xor_b32 s3, s4, -1
	s_and_saveexec_b32 s2, s3
	s_cbranch_execz .LBB695_563
; %bb.562:
	v_add_f64 v[0:1], v[43:44], -v[61:62]
	s_mov_b32 s4, 0x652b82fe
	s_mov_b32 s5, 0x3ff71547
	;; [unrolled: 1-line block ×4, first 2 shown]
	v_mul_f64 v[21:22], v[0:1], s[4:5]
	s_mov_b32 s4, 0xfefa39ef
	s_mov_b32 s5, 0xbfe62e42
	v_rndne_f64_e32 v[21:22], v[21:22]
	v_fma_f64 v[43:44], v[21:22], s[4:5], v[0:1]
	s_mov_b32 s4, 0x3b39803f
	s_mov_b32 s5, 0xbc7abc9e
	v_cvt_i32_f64_e32 v58, v[21:22]
	v_fma_f64 v[43:44], v[21:22], s[4:5], v[43:44]
	s_mov_b32 s4, 0xfca7ab0c
	s_mov_b32 s5, 0x3e928af3
	v_fma_f64 v[47:48], v[43:44], s[6:7], s[4:5]
	s_mov_b32 s4, 0x623fde64
	s_mov_b32 s5, 0x3ec71dee
	;; [unrolled: 3-line block ×9, first 2 shown]
	v_fma_f64 v[47:48], v[43:44], v[47:48], s[4:5]
	v_cmp_nlt_f64_e64 s4, 0x40900000, v[0:1]
	v_cmp_ngt_f64_e64 s5, 0xc090cc00, v[0:1]
	v_fma_f64 v[47:48], v[43:44], v[47:48], 1.0
	v_fma_f64 v[21:22], v[43:44], v[47:48], 1.0
	v_ldexp_f64 v[21:22], v[21:22], v58
	v_cndmask_b32_e64 v22, 0x7ff00000, v22, s4
	s_and_b32 s4, s5, s4
	v_cndmask_b32_e64 v47, 0, v21, s4
	v_cndmask_b32_e64 v48, 0, v22, s5
	v_add_f64 v[59:60], v[59:60], v[47:48]
.LBB695_563:
	s_or_b32 exec_lo, exec_lo, s2
.LBB695_564:
	s_or_b32 exec_lo, exec_lo, s1
	s_and_saveexec_b32 s1, s88
	s_cbranch_execz .LBB695_568
; %bb.565:
	global_load_ubyte v0, v[5:6], off offset:1440
	v_mov_b32_e32 v45, 0
	v_mov_b32_e32 v46, 0
	s_waitcnt vmcnt(0)
	v_and_b32_e32 v0, 1, v0
	v_cmp_eq_u32_e64 s4, 1, v0
	s_xor_b32 s3, s4, -1
	s_and_saveexec_b32 s2, s3
	s_cbranch_execz .LBB695_567
; %bb.566:
	v_add_f64 v[0:1], v[41:42], -v[61:62]
	s_mov_b32 s4, 0x652b82fe
	s_mov_b32 s5, 0x3ff71547
	;; [unrolled: 1-line block ×4, first 2 shown]
	v_mul_f64 v[21:22], v[0:1], s[4:5]
	s_mov_b32 s4, 0xfefa39ef
	s_mov_b32 s5, 0xbfe62e42
	v_rndne_f64_e32 v[21:22], v[21:22]
	v_fma_f64 v[41:42], v[21:22], s[4:5], v[0:1]
	s_mov_b32 s4, 0x3b39803f
	s_mov_b32 s5, 0xbc7abc9e
	v_cvt_i32_f64_e32 v45, v[21:22]
	v_fma_f64 v[41:42], v[21:22], s[4:5], v[41:42]
	s_mov_b32 s4, 0xfca7ab0c
	s_mov_b32 s5, 0x3e928af3
	v_fma_f64 v[43:44], v[41:42], s[6:7], s[4:5]
	s_mov_b32 s4, 0x623fde64
	s_mov_b32 s5, 0x3ec71dee
	;; [unrolled: 3-line block ×9, first 2 shown]
	v_fma_f64 v[43:44], v[41:42], v[43:44], s[4:5]
	v_cmp_nlt_f64_e64 s4, 0x40900000, v[0:1]
	v_cmp_ngt_f64_e64 s5, 0xc090cc00, v[0:1]
	v_fma_f64 v[43:44], v[41:42], v[43:44], 1.0
	v_fma_f64 v[21:22], v[41:42], v[43:44], 1.0
	v_ldexp_f64 v[21:22], v[21:22], v45
	v_cndmask_b32_e64 v22, 0x7ff00000, v22, s4
	s_and_b32 s4, s5, s4
	v_cndmask_b32_e64 v45, 0, v21, s4
	v_cndmask_b32_e64 v46, 0, v22, s5
	v_add_f64 v[59:60], v[59:60], v[45:46]
.LBB695_567:
	s_or_b32 exec_lo, exec_lo, s2
.LBB695_568:
	s_or_b32 exec_lo, exec_lo, s1
	v_mov_b32_e32 v41, 0
	v_mov_b32_e32 v43, 0
	;; [unrolled: 1-line block ×4, first 2 shown]
	s_and_saveexec_b32 s1, s87
	s_cbranch_execz .LBB695_572
; %bb.569:
	global_load_ubyte v0, v[5:6], off offset:1472
	v_mov_b32_e32 v43, 0
	v_mov_b32_e32 v44, 0
	s_waitcnt vmcnt(0)
	v_and_b32_e32 v0, 1, v0
	v_cmp_eq_u32_e64 s4, 1, v0
	s_xor_b32 s3, s4, -1
	s_and_saveexec_b32 s2, s3
	s_cbranch_execz .LBB695_571
; %bb.570:
	v_add_f64 v[0:1], v[39:40], -v[61:62]
	s_mov_b32 s4, 0x652b82fe
	s_mov_b32 s5, 0x3ff71547
	;; [unrolled: 1-line block ×4, first 2 shown]
	v_mul_f64 v[21:22], v[0:1], s[4:5]
	s_mov_b32 s4, 0xfefa39ef
	s_mov_b32 s5, 0xbfe62e42
	v_rndne_f64_e32 v[21:22], v[21:22]
	v_fma_f64 v[39:40], v[21:22], s[4:5], v[0:1]
	s_mov_b32 s4, 0x3b39803f
	s_mov_b32 s5, 0xbc7abc9e
	v_cvt_i32_f64_e32 v58, v[21:22]
	v_fma_f64 v[39:40], v[21:22], s[4:5], v[39:40]
	s_mov_b32 s4, 0xfca7ab0c
	s_mov_b32 s5, 0x3e928af3
	v_fma_f64 v[43:44], v[39:40], s[6:7], s[4:5]
	s_mov_b32 s4, 0x623fde64
	s_mov_b32 s5, 0x3ec71dee
	;; [unrolled: 3-line block ×9, first 2 shown]
	v_fma_f64 v[43:44], v[39:40], v[43:44], s[4:5]
	v_cmp_nlt_f64_e64 s4, 0x40900000, v[0:1]
	v_cmp_ngt_f64_e64 s5, 0xc090cc00, v[0:1]
	v_fma_f64 v[43:44], v[39:40], v[43:44], 1.0
	v_fma_f64 v[21:22], v[39:40], v[43:44], 1.0
	v_ldexp_f64 v[21:22], v[21:22], v58
	v_cndmask_b32_e64 v22, 0x7ff00000, v22, s4
	s_and_b32 s4, s5, s4
	v_cndmask_b32_e64 v43, 0, v21, s4
	v_cndmask_b32_e64 v44, 0, v22, s5
	v_add_f64 v[59:60], v[59:60], v[43:44]
.LBB695_571:
	s_or_b32 exec_lo, exec_lo, s2
.LBB695_572:
	s_or_b32 exec_lo, exec_lo, s1
	s_and_saveexec_b32 s1, s86
	s_cbranch_execz .LBB695_576
; %bb.573:
	global_load_ubyte v0, v[5:6], off offset:1504
	v_mov_b32_e32 v41, 0
	v_mov_b32_e32 v42, 0
	s_waitcnt vmcnt(0)
	v_and_b32_e32 v0, 1, v0
	v_cmp_eq_u32_e64 s4, 1, v0
	s_xor_b32 s3, s4, -1
	s_and_saveexec_b32 s2, s3
	s_cbranch_execz .LBB695_575
; %bb.574:
	v_add_f64 v[0:1], v[37:38], -v[61:62]
	s_mov_b32 s4, 0x652b82fe
	s_mov_b32 s5, 0x3ff71547
	;; [unrolled: 1-line block ×4, first 2 shown]
	v_mul_f64 v[21:22], v[0:1], s[4:5]
	s_mov_b32 s4, 0xfefa39ef
	s_mov_b32 s5, 0xbfe62e42
	v_rndne_f64_e32 v[21:22], v[21:22]
	v_fma_f64 v[37:38], v[21:22], s[4:5], v[0:1]
	s_mov_b32 s4, 0x3b39803f
	s_mov_b32 s5, 0xbc7abc9e
	v_cvt_i32_f64_e32 v41, v[21:22]
	v_fma_f64 v[37:38], v[21:22], s[4:5], v[37:38]
	s_mov_b32 s4, 0xfca7ab0c
	s_mov_b32 s5, 0x3e928af3
	v_fma_f64 v[39:40], v[37:38], s[6:7], s[4:5]
	s_mov_b32 s4, 0x623fde64
	s_mov_b32 s5, 0x3ec71dee
	;; [unrolled: 3-line block ×9, first 2 shown]
	v_fma_f64 v[39:40], v[37:38], v[39:40], s[4:5]
	v_cmp_nlt_f64_e64 s4, 0x40900000, v[0:1]
	v_cmp_ngt_f64_e64 s5, 0xc090cc00, v[0:1]
	v_fma_f64 v[39:40], v[37:38], v[39:40], 1.0
	v_fma_f64 v[21:22], v[37:38], v[39:40], 1.0
	v_ldexp_f64 v[21:22], v[21:22], v41
	v_cndmask_b32_e64 v22, 0x7ff00000, v22, s4
	s_and_b32 s4, s5, s4
	v_cndmask_b32_e64 v41, 0, v21, s4
	v_cndmask_b32_e64 v42, 0, v22, s5
	v_add_f64 v[59:60], v[59:60], v[41:42]
.LBB695_575:
	s_or_b32 exec_lo, exec_lo, s2
.LBB695_576:
	s_or_b32 exec_lo, exec_lo, s1
	v_mov_b32_e32 v37, 0
	v_mov_b32_e32 v39, 0
	;; [unrolled: 1-line block ×4, first 2 shown]
	s_and_saveexec_b32 s1, s85
	s_cbranch_execz .LBB695_580
; %bb.577:
	global_load_ubyte v0, v[5:6], off offset:1536
	v_mov_b32_e32 v39, 0
	v_mov_b32_e32 v40, 0
	s_waitcnt vmcnt(0)
	v_and_b32_e32 v0, 1, v0
	v_cmp_eq_u32_e64 s4, 1, v0
	s_xor_b32 s3, s4, -1
	s_and_saveexec_b32 s2, s3
	s_cbranch_execz .LBB695_579
; %bb.578:
	v_add_f64 v[0:1], v[35:36], -v[61:62]
	s_mov_b32 s4, 0x652b82fe
	s_mov_b32 s5, 0x3ff71547
	;; [unrolled: 1-line block ×4, first 2 shown]
	v_mul_f64 v[21:22], v[0:1], s[4:5]
	s_mov_b32 s4, 0xfefa39ef
	s_mov_b32 s5, 0xbfe62e42
	v_rndne_f64_e32 v[21:22], v[21:22]
	v_fma_f64 v[35:36], v[21:22], s[4:5], v[0:1]
	s_mov_b32 s4, 0x3b39803f
	s_mov_b32 s5, 0xbc7abc9e
	v_cvt_i32_f64_e32 v58, v[21:22]
	v_fma_f64 v[35:36], v[21:22], s[4:5], v[35:36]
	s_mov_b32 s4, 0xfca7ab0c
	s_mov_b32 s5, 0x3e928af3
	v_fma_f64 v[39:40], v[35:36], s[6:7], s[4:5]
	s_mov_b32 s4, 0x623fde64
	s_mov_b32 s5, 0x3ec71dee
	;; [unrolled: 3-line block ×9, first 2 shown]
	v_fma_f64 v[39:40], v[35:36], v[39:40], s[4:5]
	v_cmp_nlt_f64_e64 s4, 0x40900000, v[0:1]
	v_cmp_ngt_f64_e64 s5, 0xc090cc00, v[0:1]
	v_fma_f64 v[39:40], v[35:36], v[39:40], 1.0
	v_fma_f64 v[21:22], v[35:36], v[39:40], 1.0
	v_ldexp_f64 v[21:22], v[21:22], v58
	v_cndmask_b32_e64 v22, 0x7ff00000, v22, s4
	s_and_b32 s4, s5, s4
	v_cndmask_b32_e64 v39, 0, v21, s4
	v_cndmask_b32_e64 v40, 0, v22, s5
	v_add_f64 v[59:60], v[59:60], v[39:40]
.LBB695_579:
	s_or_b32 exec_lo, exec_lo, s2
.LBB695_580:
	s_or_b32 exec_lo, exec_lo, s1
	s_and_saveexec_b32 s1, s84
	s_cbranch_execz .LBB695_584
; %bb.581:
	global_load_ubyte v0, v[5:6], off offset:1568
	v_mov_b32_e32 v37, 0
	v_mov_b32_e32 v38, 0
	s_waitcnt vmcnt(0)
	v_and_b32_e32 v0, 1, v0
	v_cmp_eq_u32_e64 s4, 1, v0
	s_xor_b32 s3, s4, -1
	s_and_saveexec_b32 s2, s3
	s_cbranch_execz .LBB695_583
; %bb.582:
	v_add_f64 v[0:1], v[33:34], -v[61:62]
	s_mov_b32 s4, 0x652b82fe
	s_mov_b32 s5, 0x3ff71547
	;; [unrolled: 1-line block ×4, first 2 shown]
	v_mul_f64 v[21:22], v[0:1], s[4:5]
	s_mov_b32 s4, 0xfefa39ef
	s_mov_b32 s5, 0xbfe62e42
	v_rndne_f64_e32 v[21:22], v[21:22]
	v_fma_f64 v[33:34], v[21:22], s[4:5], v[0:1]
	s_mov_b32 s4, 0x3b39803f
	s_mov_b32 s5, 0xbc7abc9e
	v_cvt_i32_f64_e32 v37, v[21:22]
	v_fma_f64 v[33:34], v[21:22], s[4:5], v[33:34]
	s_mov_b32 s4, 0xfca7ab0c
	s_mov_b32 s5, 0x3e928af3
	v_fma_f64 v[35:36], v[33:34], s[6:7], s[4:5]
	s_mov_b32 s4, 0x623fde64
	s_mov_b32 s5, 0x3ec71dee
	;; [unrolled: 3-line block ×9, first 2 shown]
	v_fma_f64 v[35:36], v[33:34], v[35:36], s[4:5]
	v_cmp_nlt_f64_e64 s4, 0x40900000, v[0:1]
	v_cmp_ngt_f64_e64 s5, 0xc090cc00, v[0:1]
	v_fma_f64 v[35:36], v[33:34], v[35:36], 1.0
	v_fma_f64 v[21:22], v[33:34], v[35:36], 1.0
	v_ldexp_f64 v[21:22], v[21:22], v37
	v_cndmask_b32_e64 v22, 0x7ff00000, v22, s4
	s_and_b32 s4, s5, s4
	v_cndmask_b32_e64 v37, 0, v21, s4
	v_cndmask_b32_e64 v38, 0, v22, s5
	v_add_f64 v[59:60], v[59:60], v[37:38]
.LBB695_583:
	s_or_b32 exec_lo, exec_lo, s2
.LBB695_584:
	s_or_b32 exec_lo, exec_lo, s1
	v_mov_b32_e32 v33, 0
	v_mov_b32_e32 v35, 0
	;; [unrolled: 1-line block ×4, first 2 shown]
	s_and_saveexec_b32 s1, s83
	s_cbranch_execz .LBB695_588
; %bb.585:
	global_load_ubyte v0, v[5:6], off offset:1600
	v_mov_b32_e32 v35, 0
	v_mov_b32_e32 v36, 0
	s_waitcnt vmcnt(0)
	v_and_b32_e32 v0, 1, v0
	v_cmp_eq_u32_e64 s4, 1, v0
	s_xor_b32 s3, s4, -1
	s_and_saveexec_b32 s2, s3
	s_cbranch_execz .LBB695_587
; %bb.586:
	v_add_f64 v[0:1], v[31:32], -v[61:62]
	s_mov_b32 s4, 0x652b82fe
	s_mov_b32 s5, 0x3ff71547
	;; [unrolled: 1-line block ×4, first 2 shown]
	v_mul_f64 v[21:22], v[0:1], s[4:5]
	s_mov_b32 s4, 0xfefa39ef
	s_mov_b32 s5, 0xbfe62e42
	v_rndne_f64_e32 v[21:22], v[21:22]
	v_fma_f64 v[31:32], v[21:22], s[4:5], v[0:1]
	s_mov_b32 s4, 0x3b39803f
	s_mov_b32 s5, 0xbc7abc9e
	v_cvt_i32_f64_e32 v58, v[21:22]
	v_fma_f64 v[31:32], v[21:22], s[4:5], v[31:32]
	s_mov_b32 s4, 0xfca7ab0c
	s_mov_b32 s5, 0x3e928af3
	v_fma_f64 v[35:36], v[31:32], s[6:7], s[4:5]
	s_mov_b32 s4, 0x623fde64
	s_mov_b32 s5, 0x3ec71dee
	;; [unrolled: 3-line block ×9, first 2 shown]
	v_fma_f64 v[35:36], v[31:32], v[35:36], s[4:5]
	v_cmp_nlt_f64_e64 s4, 0x40900000, v[0:1]
	v_cmp_ngt_f64_e64 s5, 0xc090cc00, v[0:1]
	v_fma_f64 v[35:36], v[31:32], v[35:36], 1.0
	v_fma_f64 v[21:22], v[31:32], v[35:36], 1.0
	v_ldexp_f64 v[21:22], v[21:22], v58
	v_cndmask_b32_e64 v22, 0x7ff00000, v22, s4
	s_and_b32 s4, s5, s4
	v_cndmask_b32_e64 v35, 0, v21, s4
	v_cndmask_b32_e64 v36, 0, v22, s5
	v_add_f64 v[59:60], v[59:60], v[35:36]
.LBB695_587:
	s_or_b32 exec_lo, exec_lo, s2
.LBB695_588:
	s_or_b32 exec_lo, exec_lo, s1
	s_and_saveexec_b32 s1, s82
	s_cbranch_execz .LBB695_592
; %bb.589:
	global_load_ubyte v0, v[5:6], off offset:1632
	v_mov_b32_e32 v33, 0
	v_mov_b32_e32 v34, 0
	s_waitcnt vmcnt(0)
	v_and_b32_e32 v0, 1, v0
	v_cmp_eq_u32_e64 s4, 1, v0
	s_xor_b32 s3, s4, -1
	s_and_saveexec_b32 s2, s3
	s_cbranch_execz .LBB695_591
; %bb.590:
	v_add_f64 v[0:1], v[29:30], -v[61:62]
	s_mov_b32 s4, 0x652b82fe
	s_mov_b32 s5, 0x3ff71547
	;; [unrolled: 1-line block ×4, first 2 shown]
	v_mul_f64 v[21:22], v[0:1], s[4:5]
	s_mov_b32 s4, 0xfefa39ef
	s_mov_b32 s5, 0xbfe62e42
	v_rndne_f64_e32 v[21:22], v[21:22]
	v_fma_f64 v[29:30], v[21:22], s[4:5], v[0:1]
	s_mov_b32 s4, 0x3b39803f
	s_mov_b32 s5, 0xbc7abc9e
	v_cvt_i32_f64_e32 v33, v[21:22]
	v_fma_f64 v[29:30], v[21:22], s[4:5], v[29:30]
	s_mov_b32 s4, 0xfca7ab0c
	s_mov_b32 s5, 0x3e928af3
	v_fma_f64 v[31:32], v[29:30], s[6:7], s[4:5]
	s_mov_b32 s4, 0x623fde64
	s_mov_b32 s5, 0x3ec71dee
	v_fma_f64 v[31:32], v[29:30], v[31:32], s[4:5]
	s_mov_b32 s4, 0x7c89e6b0
	s_mov_b32 s5, 0x3efa0199
	v_fma_f64 v[31:32], v[29:30], v[31:32], s[4:5]
	s_mov_b32 s4, 0x14761f6e
	s_mov_b32 s5, 0x3f2a01a0
	v_fma_f64 v[31:32], v[29:30], v[31:32], s[4:5]
	s_mov_b32 s4, 0x1852b7b0
	s_mov_b32 s5, 0x3f56c16c
	v_fma_f64 v[31:32], v[29:30], v[31:32], s[4:5]
	s_mov_b32 s4, 0x11122322
	s_mov_b32 s5, 0x3f811111
	v_fma_f64 v[31:32], v[29:30], v[31:32], s[4:5]
	s_mov_b32 s4, 0x555502a1
	s_mov_b32 s5, 0x3fa55555
	v_fma_f64 v[31:32], v[29:30], v[31:32], s[4:5]
	s_mov_b32 s4, 0x55555511
	s_mov_b32 s5, 0x3fc55555
	v_fma_f64 v[31:32], v[29:30], v[31:32], s[4:5]
	s_mov_b32 s4, 11
	s_mov_b32 s5, 0x3fe00000
	v_fma_f64 v[31:32], v[29:30], v[31:32], s[4:5]
	v_cmp_nlt_f64_e64 s4, 0x40900000, v[0:1]
	v_cmp_ngt_f64_e64 s5, 0xc090cc00, v[0:1]
	v_fma_f64 v[31:32], v[29:30], v[31:32], 1.0
	v_fma_f64 v[21:22], v[29:30], v[31:32], 1.0
	v_ldexp_f64 v[21:22], v[21:22], v33
	v_cndmask_b32_e64 v22, 0x7ff00000, v22, s4
	s_and_b32 s4, s5, s4
	v_cndmask_b32_e64 v33, 0, v21, s4
	v_cndmask_b32_e64 v34, 0, v22, s5
	v_add_f64 v[59:60], v[59:60], v[33:34]
.LBB695_591:
	s_or_b32 exec_lo, exec_lo, s2
.LBB695_592:
	s_or_b32 exec_lo, exec_lo, s1
	v_mov_b32_e32 v29, 0
	v_mov_b32_e32 v31, 0
	;; [unrolled: 1-line block ×4, first 2 shown]
	s_and_saveexec_b32 s1, s81
	s_cbranch_execz .LBB695_596
; %bb.593:
	global_load_ubyte v0, v[5:6], off offset:1664
	v_mov_b32_e32 v31, 0
	v_mov_b32_e32 v32, 0
	s_waitcnt vmcnt(0)
	v_and_b32_e32 v0, 1, v0
	v_cmp_eq_u32_e64 s4, 1, v0
	s_xor_b32 s3, s4, -1
	s_and_saveexec_b32 s2, s3
	s_cbranch_execz .LBB695_595
; %bb.594:
	v_add_f64 v[0:1], v[27:28], -v[61:62]
	s_mov_b32 s4, 0x652b82fe
	s_mov_b32 s5, 0x3ff71547
	;; [unrolled: 1-line block ×4, first 2 shown]
	v_mul_f64 v[21:22], v[0:1], s[4:5]
	s_mov_b32 s4, 0xfefa39ef
	s_mov_b32 s5, 0xbfe62e42
	v_rndne_f64_e32 v[21:22], v[21:22]
	v_fma_f64 v[27:28], v[21:22], s[4:5], v[0:1]
	s_mov_b32 s4, 0x3b39803f
	s_mov_b32 s5, 0xbc7abc9e
	v_cvt_i32_f64_e32 v58, v[21:22]
	v_fma_f64 v[27:28], v[21:22], s[4:5], v[27:28]
	s_mov_b32 s4, 0xfca7ab0c
	s_mov_b32 s5, 0x3e928af3
	v_fma_f64 v[31:32], v[27:28], s[6:7], s[4:5]
	s_mov_b32 s4, 0x623fde64
	s_mov_b32 s5, 0x3ec71dee
	;; [unrolled: 3-line block ×9, first 2 shown]
	v_fma_f64 v[31:32], v[27:28], v[31:32], s[4:5]
	v_cmp_nlt_f64_e64 s4, 0x40900000, v[0:1]
	v_cmp_ngt_f64_e64 s5, 0xc090cc00, v[0:1]
	v_fma_f64 v[31:32], v[27:28], v[31:32], 1.0
	v_fma_f64 v[21:22], v[27:28], v[31:32], 1.0
	v_ldexp_f64 v[21:22], v[21:22], v58
	v_cndmask_b32_e64 v22, 0x7ff00000, v22, s4
	s_and_b32 s4, s5, s4
	v_cndmask_b32_e64 v31, 0, v21, s4
	v_cndmask_b32_e64 v32, 0, v22, s5
	v_add_f64 v[59:60], v[59:60], v[31:32]
.LBB695_595:
	s_or_b32 exec_lo, exec_lo, s2
.LBB695_596:
	s_or_b32 exec_lo, exec_lo, s1
	s_and_saveexec_b32 s1, s80
	s_cbranch_execz .LBB695_600
; %bb.597:
	global_load_ubyte v0, v[5:6], off offset:1696
	v_mov_b32_e32 v29, 0
	v_mov_b32_e32 v30, 0
	s_waitcnt vmcnt(0)
	v_and_b32_e32 v0, 1, v0
	v_cmp_eq_u32_e64 s4, 1, v0
	s_xor_b32 s3, s4, -1
	s_and_saveexec_b32 s2, s3
	s_cbranch_execz .LBB695_599
; %bb.598:
	v_add_f64 v[0:1], v[25:26], -v[61:62]
	s_mov_b32 s4, 0x652b82fe
	s_mov_b32 s5, 0x3ff71547
	;; [unrolled: 1-line block ×4, first 2 shown]
	v_mul_f64 v[21:22], v[0:1], s[4:5]
	s_mov_b32 s4, 0xfefa39ef
	s_mov_b32 s5, 0xbfe62e42
	v_rndne_f64_e32 v[21:22], v[21:22]
	v_fma_f64 v[25:26], v[21:22], s[4:5], v[0:1]
	s_mov_b32 s4, 0x3b39803f
	s_mov_b32 s5, 0xbc7abc9e
	v_cvt_i32_f64_e32 v29, v[21:22]
	v_fma_f64 v[25:26], v[21:22], s[4:5], v[25:26]
	s_mov_b32 s4, 0xfca7ab0c
	s_mov_b32 s5, 0x3e928af3
	v_fma_f64 v[27:28], v[25:26], s[6:7], s[4:5]
	s_mov_b32 s4, 0x623fde64
	s_mov_b32 s5, 0x3ec71dee
	;; [unrolled: 3-line block ×9, first 2 shown]
	v_fma_f64 v[27:28], v[25:26], v[27:28], s[4:5]
	v_cmp_nlt_f64_e64 s4, 0x40900000, v[0:1]
	v_cmp_ngt_f64_e64 s5, 0xc090cc00, v[0:1]
	v_fma_f64 v[27:28], v[25:26], v[27:28], 1.0
	v_fma_f64 v[21:22], v[25:26], v[27:28], 1.0
	v_ldexp_f64 v[21:22], v[21:22], v29
	v_cndmask_b32_e64 v22, 0x7ff00000, v22, s4
	s_and_b32 s4, s5, s4
	v_cndmask_b32_e64 v29, 0, v21, s4
	v_cndmask_b32_e64 v30, 0, v22, s5
	v_add_f64 v[59:60], v[59:60], v[29:30]
.LBB695_599:
	s_or_b32 exec_lo, exec_lo, s2
.LBB695_600:
	s_or_b32 exec_lo, exec_lo, s1
	v_mov_b32_e32 v25, 0
	v_mov_b32_e32 v27, 0
	;; [unrolled: 1-line block ×4, first 2 shown]
	s_and_saveexec_b32 s1, s79
	s_cbranch_execz .LBB695_604
; %bb.601:
	global_load_ubyte v0, v[5:6], off offset:1728
	v_mov_b32_e32 v27, 0
	v_mov_b32_e32 v28, 0
	s_waitcnt vmcnt(0)
	v_and_b32_e32 v0, 1, v0
	v_cmp_eq_u32_e64 s4, 1, v0
	s_xor_b32 s3, s4, -1
	s_and_saveexec_b32 s2, s3
	s_cbranch_execz .LBB695_603
; %bb.602:
	v_add_f64 v[0:1], v[23:24], -v[61:62]
	s_mov_b32 s4, 0x652b82fe
	s_mov_b32 s5, 0x3ff71547
	;; [unrolled: 1-line block ×4, first 2 shown]
	v_mul_f64 v[21:22], v[0:1], s[4:5]
	s_mov_b32 s4, 0xfefa39ef
	s_mov_b32 s5, 0xbfe62e42
	v_rndne_f64_e32 v[21:22], v[21:22]
	v_fma_f64 v[23:24], v[21:22], s[4:5], v[0:1]
	s_mov_b32 s4, 0x3b39803f
	s_mov_b32 s5, 0xbc7abc9e
	v_cvt_i32_f64_e32 v58, v[21:22]
	v_fma_f64 v[23:24], v[21:22], s[4:5], v[23:24]
	s_mov_b32 s4, 0xfca7ab0c
	s_mov_b32 s5, 0x3e928af3
	v_fma_f64 v[27:28], v[23:24], s[6:7], s[4:5]
	s_mov_b32 s4, 0x623fde64
	s_mov_b32 s5, 0x3ec71dee
	;; [unrolled: 3-line block ×9, first 2 shown]
	v_fma_f64 v[27:28], v[23:24], v[27:28], s[4:5]
	v_cmp_nlt_f64_e64 s4, 0x40900000, v[0:1]
	v_cmp_ngt_f64_e64 s5, 0xc090cc00, v[0:1]
	v_fma_f64 v[27:28], v[23:24], v[27:28], 1.0
	v_fma_f64 v[21:22], v[23:24], v[27:28], 1.0
	v_ldexp_f64 v[21:22], v[21:22], v58
	v_cndmask_b32_e64 v22, 0x7ff00000, v22, s4
	s_and_b32 s4, s5, s4
	v_cndmask_b32_e64 v27, 0, v21, s4
	v_cndmask_b32_e64 v28, 0, v22, s5
	v_add_f64 v[59:60], v[59:60], v[27:28]
.LBB695_603:
	s_or_b32 exec_lo, exec_lo, s2
.LBB695_604:
	s_or_b32 exec_lo, exec_lo, s1
	s_and_saveexec_b32 s1, s78
	s_cbranch_execz .LBB695_608
; %bb.605:
	global_load_ubyte v0, v[5:6], off offset:1760
	v_mov_b32_e32 v25, 0
	v_mov_b32_e32 v26, 0
	s_waitcnt vmcnt(0)
	v_and_b32_e32 v0, 1, v0
	v_cmp_eq_u32_e64 s4, 1, v0
	s_xor_b32 s3, s4, -1
	s_and_saveexec_b32 s2, s3
	s_cbranch_execz .LBB695_607
; %bb.606:
	s_clause 0x1
	buffer_load_dword v0, off, s[100:103], 0 offset:68
	buffer_load_dword v1, off, s[100:103], 0 offset:72
	s_mov_b32 s4, 0x652b82fe
	s_mov_b32 s5, 0x3ff71547
	;; [unrolled: 1-line block ×4, first 2 shown]
	s_waitcnt vmcnt(0)
	v_add_f64 v[0:1], v[0:1], -v[61:62]
	v_mul_f64 v[21:22], v[0:1], s[4:5]
	s_mov_b32 s4, 0xfefa39ef
	s_mov_b32 s5, 0xbfe62e42
	v_rndne_f64_e32 v[21:22], v[21:22]
	v_fma_f64 v[23:24], v[21:22], s[4:5], v[0:1]
	s_mov_b32 s4, 0x3b39803f
	s_mov_b32 s5, 0xbc7abc9e
	v_cvt_i32_f64_e32 v58, v[21:22]
	v_fma_f64 v[23:24], v[21:22], s[4:5], v[23:24]
	s_mov_b32 s4, 0xfca7ab0c
	s_mov_b32 s5, 0x3e928af3
	v_fma_f64 v[25:26], v[23:24], s[6:7], s[4:5]
	s_mov_b32 s4, 0x623fde64
	s_mov_b32 s5, 0x3ec71dee
	;; [unrolled: 3-line block ×9, first 2 shown]
	v_fma_f64 v[25:26], v[23:24], v[25:26], s[4:5]
	v_cmp_nlt_f64_e64 s4, 0x40900000, v[0:1]
	v_cmp_ngt_f64_e64 s5, 0xc090cc00, v[0:1]
	v_fma_f64 v[25:26], v[23:24], v[25:26], 1.0
	v_fma_f64 v[21:22], v[23:24], v[25:26], 1.0
	v_ldexp_f64 v[21:22], v[21:22], v58
	v_cndmask_b32_e64 v22, 0x7ff00000, v22, s4
	s_and_b32 s4, s5, s4
	v_cndmask_b32_e64 v25, 0, v21, s4
	v_cndmask_b32_e64 v26, 0, v22, s5
	v_add_f64 v[59:60], v[59:60], v[25:26]
.LBB695_607:
	s_or_b32 exec_lo, exec_lo, s2
.LBB695_608:
	s_or_b32 exec_lo, exec_lo, s1
	v_mov_b32_e32 v21, 0
	v_mov_b32_e32 v23, 0
	;; [unrolled: 1-line block ×4, first 2 shown]
	s_and_saveexec_b32 s1, s77
	s_cbranch_execz .LBB695_612
; %bb.609:
	global_load_ubyte v0, v[5:6], off offset:1792
	v_mov_b32_e32 v23, 0
	v_mov_b32_e32 v24, 0
	s_waitcnt vmcnt(0)
	v_and_b32_e32 v0, 1, v0
	v_cmp_eq_u32_e64 s4, 1, v0
	s_xor_b32 s3, s4, -1
	s_and_saveexec_b32 s2, s3
	s_cbranch_execz .LBB695_611
; %bb.610:
	s_clause 0x1
	buffer_load_dword v0, off, s[100:103], 0 offset:60
	buffer_load_dword v1, off, s[100:103], 0 offset:64
	s_mov_b32 s4, 0x652b82fe
	s_mov_b32 s5, 0x3ff71547
	;; [unrolled: 1-line block ×4, first 2 shown]
	s_waitcnt vmcnt(0)
	v_add_f64 v[0:1], v[0:1], -v[61:62]
	v_mul_f64 v[23:24], v[0:1], s[4:5]
	s_mov_b32 s4, 0xfefa39ef
	s_mov_b32 s5, 0xbfe62e42
	v_rndne_f64_e32 v[23:24], v[23:24]
	v_fma_f64 v[67:68], v[23:24], s[4:5], v[0:1]
	s_mov_b32 s4, 0x3b39803f
	s_mov_b32 s5, 0xbc7abc9e
	v_cvt_i32_f64_e32 v58, v[23:24]
	v_fma_f64 v[67:68], v[23:24], s[4:5], v[67:68]
	s_mov_b32 s4, 0xfca7ab0c
	s_mov_b32 s5, 0x3e928af3
	v_fma_f64 v[75:76], v[67:68], s[6:7], s[4:5]
	s_mov_b32 s4, 0x623fde64
	s_mov_b32 s5, 0x3ec71dee
	;; [unrolled: 3-line block ×9, first 2 shown]
	v_fma_f64 v[75:76], v[67:68], v[75:76], s[4:5]
	v_cmp_nlt_f64_e64 s4, 0x40900000, v[0:1]
	v_cmp_ngt_f64_e64 s5, 0xc090cc00, v[0:1]
	v_fma_f64 v[75:76], v[67:68], v[75:76], 1.0
	v_fma_f64 v[23:24], v[67:68], v[75:76], 1.0
	v_ldexp_f64 v[23:24], v[23:24], v58
	v_cndmask_b32_e64 v24, 0x7ff00000, v24, s4
	s_and_b32 s4, s5, s4
	v_cndmask_b32_e64 v23, 0, v23, s4
	v_cndmask_b32_e64 v24, 0, v24, s5
	v_add_f64 v[59:60], v[59:60], v[23:24]
.LBB695_611:
	s_or_b32 exec_lo, exec_lo, s2
.LBB695_612:
	s_or_b32 exec_lo, exec_lo, s1
	s_and_saveexec_b32 s1, s76
	s_cbranch_execz .LBB695_616
; %bb.613:
	global_load_ubyte v0, v[5:6], off offset:1824
	v_mov_b32_e32 v21, 0
	v_mov_b32_e32 v22, 0
	s_waitcnt vmcnt(0)
	v_and_b32_e32 v0, 1, v0
	v_cmp_eq_u32_e64 s4, 1, v0
	s_xor_b32 s3, s4, -1
	s_and_saveexec_b32 s2, s3
	s_cbranch_execz .LBB695_615
; %bb.614:
	s_clause 0x1
	buffer_load_dword v0, off, s[100:103], 0 offset:52
	buffer_load_dword v1, off, s[100:103], 0 offset:56
	s_mov_b32 s4, 0x652b82fe
	s_mov_b32 s5, 0x3ff71547
	;; [unrolled: 1-line block ×4, first 2 shown]
	s_waitcnt vmcnt(0)
	v_add_f64 v[0:1], v[0:1], -v[61:62]
	v_mul_f64 v[21:22], v[0:1], s[4:5]
	s_mov_b32 s4, 0xfefa39ef
	s_mov_b32 s5, 0xbfe62e42
	v_rndne_f64_e32 v[21:22], v[21:22]
	v_fma_f64 v[67:68], v[21:22], s[4:5], v[0:1]
	s_mov_b32 s4, 0x3b39803f
	s_mov_b32 s5, 0xbc7abc9e
	v_cvt_i32_f64_e32 v58, v[21:22]
	v_fma_f64 v[67:68], v[21:22], s[4:5], v[67:68]
	s_mov_b32 s4, 0xfca7ab0c
	s_mov_b32 s5, 0x3e928af3
	v_fma_f64 v[75:76], v[67:68], s[6:7], s[4:5]
	s_mov_b32 s4, 0x623fde64
	s_mov_b32 s5, 0x3ec71dee
	;; [unrolled: 3-line block ×9, first 2 shown]
	v_fma_f64 v[75:76], v[67:68], v[75:76], s[4:5]
	v_cmp_nlt_f64_e64 s4, 0x40900000, v[0:1]
	v_cmp_ngt_f64_e64 s5, 0xc090cc00, v[0:1]
	v_fma_f64 v[75:76], v[67:68], v[75:76], 1.0
	v_fma_f64 v[21:22], v[67:68], v[75:76], 1.0
	v_ldexp_f64 v[21:22], v[21:22], v58
	v_cndmask_b32_e64 v22, 0x7ff00000, v22, s4
	s_and_b32 s4, s5, s4
	v_cndmask_b32_e64 v21, 0, v21, s4
	v_cndmask_b32_e64 v22, 0, v22, s5
	v_add_f64 v[59:60], v[59:60], v[21:22]
.LBB695_615:
	s_or_b32 exec_lo, exec_lo, s2
.LBB695_616:
	s_or_b32 exec_lo, exec_lo, s1
	v_mov_b32_e32 v0, 0
	v_mov_b32_e32 v75, 0
	;; [unrolled: 1-line block ×4, first 2 shown]
	s_and_saveexec_b32 s1, s75
	s_cbranch_execz .LBB695_620
; %bb.617:
	global_load_ubyte v58, v[5:6], off offset:1856
	v_mov_b32_e32 v75, 0
	v_mov_b32_e32 v76, 0
	s_waitcnt vmcnt(0)
	v_and_b32_e32 v58, 1, v58
	v_cmp_eq_u32_e64 s4, 1, v58
	s_xor_b32 s3, s4, -1
	s_and_saveexec_b32 s2, s3
	s_cbranch_execz .LBB695_619
; %bb.618:
	s_clause 0x1
	buffer_load_dword v67, off, s[100:103], 0 offset:44
	buffer_load_dword v68, off, s[100:103], 0 offset:48
	s_mov_b32 s4, 0x652b82fe
	s_mov_b32 s5, 0x3ff71547
	;; [unrolled: 1-line block ×4, first 2 shown]
	s_waitcnt vmcnt(0)
	v_add_f64 v[67:68], v[67:68], -v[61:62]
	v_mul_f64 v[75:76], v[67:68], s[4:5]
	s_mov_b32 s4, 0xfefa39ef
	s_mov_b32 s5, 0xbfe62e42
	v_rndne_f64_e32 v[75:76], v[75:76]
	v_fma_f64 v[77:78], v[75:76], s[4:5], v[67:68]
	s_mov_b32 s4, 0x3b39803f
	s_mov_b32 s5, 0xbc7abc9e
	v_cvt_i32_f64_e32 v58, v[75:76]
	v_fma_f64 v[77:78], v[75:76], s[4:5], v[77:78]
	s_mov_b32 s4, 0xfca7ab0c
	s_mov_b32 s5, 0x3e928af3
	v_fma_f64 v[83:84], v[77:78], s[6:7], s[4:5]
	s_mov_b32 s4, 0x623fde64
	s_mov_b32 s5, 0x3ec71dee
	;; [unrolled: 3-line block ×9, first 2 shown]
	v_fma_f64 v[83:84], v[77:78], v[83:84], s[4:5]
	v_cmp_nlt_f64_e64 s4, 0x40900000, v[67:68]
	v_cmp_ngt_f64_e64 s5, 0xc090cc00, v[67:68]
	v_fma_f64 v[83:84], v[77:78], v[83:84], 1.0
	v_fma_f64 v[75:76], v[77:78], v[83:84], 1.0
	v_ldexp_f64 v[75:76], v[75:76], v58
	v_cndmask_b32_e64 v58, 0x7ff00000, v76, s4
	s_and_b32 s4, s5, s4
	v_cndmask_b32_e64 v75, 0, v75, s4
	v_cndmask_b32_e64 v76, 0, v58, s5
	v_add_f64 v[59:60], v[59:60], v[75:76]
.LBB695_619:
	s_or_b32 exec_lo, exec_lo, s2
.LBB695_620:
	s_or_b32 exec_lo, exec_lo, s1
	s_and_saveexec_b32 s1, s73
	s_cbranch_execz .LBB695_624
; %bb.621:
	global_load_ubyte v0, v[5:6], off offset:1888
	s_waitcnt vmcnt(0)
	v_and_b32_e32 v0, 1, v0
	v_cmp_eq_u32_e64 s4, 1, v0
	v_mov_b32_e32 v0, 0
	v_mov_b32_e32 v1, 0
	s_xor_b32 s3, s4, -1
	s_and_saveexec_b32 s2, s3
	s_cbranch_execz .LBB695_623
; %bb.622:
	s_clause 0x1
	buffer_load_dword v0, off, s[100:103], 0 offset:36
	buffer_load_dword v1, off, s[100:103], 0 offset:40
	s_mov_b32 s4, 0x652b82fe
	s_mov_b32 s5, 0x3ff71547
	;; [unrolled: 1-line block ×4, first 2 shown]
	s_waitcnt vmcnt(0)
	v_add_f64 v[0:1], v[0:1], -v[61:62]
	v_mul_f64 v[67:68], v[0:1], s[4:5]
	s_mov_b32 s4, 0xfefa39ef
	s_mov_b32 s5, 0xbfe62e42
	v_rndne_f64_e32 v[67:68], v[67:68]
	v_fma_f64 v[77:78], v[67:68], s[4:5], v[0:1]
	s_mov_b32 s4, 0x3b39803f
	s_mov_b32 s5, 0xbc7abc9e
	v_cvt_i32_f64_e32 v58, v[67:68]
	v_fma_f64 v[77:78], v[67:68], s[4:5], v[77:78]
	s_mov_b32 s4, 0xfca7ab0c
	s_mov_b32 s5, 0x3e928af3
	v_fma_f64 v[83:84], v[77:78], s[6:7], s[4:5]
	s_mov_b32 s4, 0x623fde64
	s_mov_b32 s5, 0x3ec71dee
	;; [unrolled: 3-line block ×9, first 2 shown]
	v_fma_f64 v[83:84], v[77:78], v[83:84], s[4:5]
	v_cmp_nlt_f64_e64 s4, 0x40900000, v[0:1]
	v_cmp_ngt_f64_e64 s5, 0xc090cc00, v[0:1]
	v_fma_f64 v[83:84], v[77:78], v[83:84], 1.0
	v_fma_f64 v[67:68], v[77:78], v[83:84], 1.0
	v_ldexp_f64 v[67:68], v[67:68], v58
	v_cndmask_b32_e64 v58, 0x7ff00000, v68, s4
	s_and_b32 s4, s5, s4
	v_cndmask_b32_e64 v0, 0, v67, s4
	v_cndmask_b32_e64 v1, 0, v58, s5
	v_add_f64 v[59:60], v[59:60], v[0:1]
.LBB695_623:
	s_or_b32 exec_lo, exec_lo, s2
.LBB695_624:
	s_or_b32 exec_lo, exec_lo, s1
	v_mov_b32_e32 v67, 0
	v_mov_b32_e32 v77, 0
	;; [unrolled: 1-line block ×4, first 2 shown]
	s_and_saveexec_b32 s1, s72
	s_cbranch_execz .LBB695_628
; %bb.625:
	global_load_ubyte v58, v[5:6], off offset:1920
	v_mov_b32_e32 v77, 0
	v_mov_b32_e32 v78, 0
	s_waitcnt vmcnt(0)
	v_and_b32_e32 v58, 1, v58
	v_cmp_eq_u32_e64 s4, 1, v58
	s_xor_b32 s3, s4, -1
	s_and_saveexec_b32 s2, s3
	s_cbranch_execz .LBB695_627
; %bb.626:
	s_clause 0x1
	buffer_load_dword v69, off, s[100:103], 0 offset:28
	buffer_load_dword v70, off, s[100:103], 0 offset:32
	s_mov_b32 s4, 0x652b82fe
	s_mov_b32 s5, 0x3ff71547
	;; [unrolled: 1-line block ×4, first 2 shown]
	s_waitcnt vmcnt(0)
	v_add_f64 v[77:78], v[69:70], -v[61:62]
	v_mul_f64 v[83:84], v[77:78], s[4:5]
	s_mov_b32 s4, 0xfefa39ef
	s_mov_b32 s5, 0xbfe62e42
	v_rndne_f64_e32 v[83:84], v[83:84]
	v_fma_f64 v[85:86], v[83:84], s[4:5], v[77:78]
	s_mov_b32 s4, 0x3b39803f
	s_mov_b32 s5, 0xbc7abc9e
	v_cvt_i32_f64_e32 v58, v[83:84]
	v_fma_f64 v[85:86], v[83:84], s[4:5], v[85:86]
	s_mov_b32 s4, 0xfca7ab0c
	s_mov_b32 s5, 0x3e928af3
	v_fma_f64 v[69:70], v[85:86], s[6:7], s[4:5]
	s_mov_b32 s4, 0x623fde64
	s_mov_b32 s5, 0x3ec71dee
	;; [unrolled: 3-line block ×9, first 2 shown]
	v_fma_f64 v[69:70], v[85:86], v[69:70], s[4:5]
	v_cmp_nlt_f64_e64 s4, 0x40900000, v[77:78]
	v_cmp_ngt_f64_e64 s5, 0xc090cc00, v[77:78]
	v_fma_f64 v[69:70], v[85:86], v[69:70], 1.0
	v_fma_f64 v[69:70], v[85:86], v[69:70], 1.0
	v_ldexp_f64 v[69:70], v[69:70], v58
	v_cndmask_b32_e64 v58, 0x7ff00000, v70, s4
	s_and_b32 s4, s5, s4
	v_cndmask_b32_e64 v77, 0, v69, s4
	v_cndmask_b32_e64 v78, 0, v58, s5
	v_add_f64 v[59:60], v[59:60], v[77:78]
.LBB695_627:
	s_or_b32 exec_lo, exec_lo, s2
.LBB695_628:
	s_or_b32 exec_lo, exec_lo, s1
	s_and_saveexec_b32 s1, s71
	s_cbranch_execz .LBB695_632
; %bb.629:
	global_load_ubyte v58, v[5:6], off offset:1952
	v_mov_b32_e32 v67, 0
	v_mov_b32_e32 v68, 0
	s_waitcnt vmcnt(0)
	v_and_b32_e32 v58, 1, v58
	v_cmp_eq_u32_e64 s4, 1, v58
	s_xor_b32 s3, s4, -1
	s_and_saveexec_b32 s2, s3
	s_cbranch_execz .LBB695_631
; %bb.630:
	s_clause 0x1
	buffer_load_dword v67, off, s[100:103], 0 offset:20
	buffer_load_dword v68, off, s[100:103], 0 offset:24
	s_mov_b32 s4, 0x652b82fe
	s_mov_b32 s5, 0x3ff71547
	;; [unrolled: 1-line block ×4, first 2 shown]
	s_waitcnt vmcnt(0)
	v_add_f64 v[67:68], v[67:68], -v[61:62]
	v_mul_f64 v[69:70], v[67:68], s[4:5]
	s_mov_b32 s4, 0xfefa39ef
	s_mov_b32 s5, 0xbfe62e42
	v_rndne_f64_e32 v[69:70], v[69:70]
	v_fma_f64 v[83:84], v[69:70], s[4:5], v[67:68]
	s_mov_b32 s4, 0x3b39803f
	s_mov_b32 s5, 0xbc7abc9e
	v_cvt_i32_f64_e32 v58, v[69:70]
	v_fma_f64 v[83:84], v[69:70], s[4:5], v[83:84]
	s_mov_b32 s4, 0xfca7ab0c
	s_mov_b32 s5, 0x3e928af3
	v_fma_f64 v[85:86], v[83:84], s[6:7], s[4:5]
	s_mov_b32 s4, 0x623fde64
	s_mov_b32 s5, 0x3ec71dee
	;; [unrolled: 3-line block ×9, first 2 shown]
	v_fma_f64 v[85:86], v[83:84], v[85:86], s[4:5]
	v_cmp_nlt_f64_e64 s4, 0x40900000, v[67:68]
	v_cmp_ngt_f64_e64 s5, 0xc090cc00, v[67:68]
	v_fma_f64 v[85:86], v[83:84], v[85:86], 1.0
	v_fma_f64 v[69:70], v[83:84], v[85:86], 1.0
	v_ldexp_f64 v[69:70], v[69:70], v58
	v_cndmask_b32_e64 v58, 0x7ff00000, v70, s4
	s_and_b32 s4, s5, s4
	v_cndmask_b32_e64 v67, 0, v69, s4
	v_cndmask_b32_e64 v68, 0, v58, s5
	v_add_f64 v[59:60], v[59:60], v[67:68]
.LBB695_631:
	s_or_b32 exec_lo, exec_lo, s2
.LBB695_632:
	s_or_b32 exec_lo, exec_lo, s1
	v_mov_b32_e32 v110, v100
	v_mov_b32_e32 v83, 0
	;; [unrolled: 1-line block ×6, first 2 shown]
	s_and_saveexec_b32 s1, s70
	s_cbranch_execz .LBB695_636
; %bb.633:
	global_load_ubyte v58, v[5:6], off offset:1984
	v_mov_b32_e32 v85, 0
	v_mov_b32_e32 v86, 0
	s_waitcnt vmcnt(0)
	v_and_b32_e32 v58, 1, v58
	v_cmp_eq_u32_e64 s4, 1, v58
	s_xor_b32 s3, s4, -1
	s_and_saveexec_b32 s2, s3
	s_cbranch_execz .LBB695_635
; %bb.634:
	s_clause 0x1
	buffer_load_dword v69, off, s[100:103], 0 offset:12
	buffer_load_dword v70, off, s[100:103], 0 offset:16
	s_mov_b32 s4, 0x652b82fe
	s_mov_b32 s5, 0x3ff71547
	v_mov_b32_e32 v55, v71
	v_mov_b32_e32 v56, v72
	;; [unrolled: 1-line block ×58, first 2 shown]
	s_mov_b32 s6, 0x6a5dcb37
	s_mov_b32 s7, 0x3e5ade15
	v_mov_b32_e32 v100, v94
	v_mov_b32_e32 v99, v93
	s_waitcnt vmcnt(0)
	v_add_f64 v[69:70], v[69:70], -v[61:62]
	v_mul_f64 v[85:86], v[69:70], s[4:5]
	s_mov_b32 s4, 0xfefa39ef
	s_mov_b32 s5, 0xbfe62e42
	v_rndne_f64_e32 v[85:86], v[85:86]
	v_fma_f64 v[91:92], v[85:86], s[4:5], v[69:70]
	s_mov_b32 s4, 0x3b39803f
	s_mov_b32 s5, 0xbc7abc9e
	v_cvt_i32_f64_e32 v58, v[85:86]
	v_fma_f64 v[91:92], v[85:86], s[4:5], v[91:92]
	s_mov_b32 s4, 0xfca7ab0c
	s_mov_b32 s5, 0x3e928af3
	v_fma_f64 v[93:94], v[91:92], s[6:7], s[4:5]
	s_mov_b32 s4, 0x623fde64
	s_mov_b32 s5, 0x3ec71dee
	;; [unrolled: 3-line block ×9, first 2 shown]
	v_fma_f64 v[93:94], v[91:92], v[93:94], s[4:5]
	v_cmp_nlt_f64_e64 s4, 0x40900000, v[69:70]
	v_cmp_ngt_f64_e64 s5, 0xc090cc00, v[69:70]
	v_fma_f64 v[93:94], v[91:92], v[93:94], 1.0
	v_fma_f64 v[85:86], v[91:92], v[93:94], 1.0
	v_mov_b32_e32 v91, v101
	v_mov_b32_e32 v92, v102
	;; [unrolled: 1-line block ×21, first 2 shown]
	v_ldexp_f64 v[85:86], v[85:86], v58
	v_mov_b32_e32 v19, v13
	v_mov_b32_e32 v13, v15
	;; [unrolled: 1-line block ×21, first 2 shown]
	v_cndmask_b32_e64 v58, 0x7ff00000, v86, s4
	s_and_b32 s4, s5, s4
	v_mov_b32_e32 v89, v95
	v_cndmask_b32_e64 v85, 0, v85, s4
	v_mov_b32_e32 v90, v96
	v_cndmask_b32_e64 v86, 0, v58, s5
	v_mov_b32_e32 v96, v82
	v_mov_b32_e32 v95, v81
	;; [unrolled: 1-line block ×4, first 2 shown]
	v_add_f64 v[59:60], v[59:60], v[85:86]
	v_mov_b32_e32 v88, v74
	v_mov_b32_e32 v87, v73
	;; [unrolled: 1-line block ×12, first 2 shown]
.LBB695_635:
	s_or_b32 exec_lo, exec_lo, s2
.LBB695_636:
	s_or_b32 exec_lo, exec_lo, s1
	s_and_saveexec_b32 s1, s67
	s_cbranch_execz .LBB695_640
; %bb.637:
	global_load_ubyte v5, v[5:6], off offset:2016
	v_mov_b32_e32 v83, 0
	v_mov_b32_e32 v84, 0
	s_waitcnt vmcnt(0)
	v_and_b32_e32 v5, 1, v5
	v_cmp_eq_u32_e64 s4, 1, v5
	s_xor_b32 s3, s4, -1
	s_and_saveexec_b32 s2, s3
	s_cbranch_execz .LBB695_639
; %bb.638:
	s_clause 0x1
	buffer_load_dword v5, off, s[100:103], 0 offset:4
	buffer_load_dword v6, off, s[100:103], 0 offset:8
	s_mov_b32 s4, 0x652b82fe
	s_mov_b32 s5, 0x3ff71547
	;; [unrolled: 1-line block ×4, first 2 shown]
	s_waitcnt vmcnt(0)
	v_add_f64 v[5:6], v[5:6], -v[61:62]
	v_mul_f64 v[61:62], v[5:6], s[4:5]
	s_mov_b32 s4, 0xfefa39ef
	s_mov_b32 s5, 0xbfe62e42
	v_rndne_f64_e32 v[61:62], v[61:62]
	v_fma_f64 v[69:70], v[61:62], s[4:5], v[5:6]
	s_mov_b32 s4, 0x3b39803f
	s_mov_b32 s5, 0xbc7abc9e
	v_cvt_i32_f64_e32 v58, v[61:62]
	v_fma_f64 v[69:70], v[61:62], s[4:5], v[69:70]
	s_mov_b32 s4, 0xfca7ab0c
	s_mov_b32 s5, 0x3e928af3
	v_fma_f64 v[83:84], v[69:70], s[6:7], s[4:5]
	s_mov_b32 s4, 0x623fde64
	s_mov_b32 s5, 0x3ec71dee
	;; [unrolled: 3-line block ×9, first 2 shown]
	v_fma_f64 v[83:84], v[69:70], v[83:84], s[4:5]
	v_cmp_nlt_f64_e64 s4, 0x40900000, v[5:6]
	v_cmp_ngt_f64_e64 s5, 0xc090cc00, v[5:6]
	v_fma_f64 v[83:84], v[69:70], v[83:84], 1.0
	v_fma_f64 v[61:62], v[69:70], v[83:84], 1.0
	v_ldexp_f64 v[61:62], v[61:62], v58
	v_cndmask_b32_e64 v58, 0x7ff00000, v62, s4
	s_and_b32 s4, s5, s4
	v_cndmask_b32_e64 v83, 0, v61, s4
	v_cndmask_b32_e64 v84, 0, v58, s5
	v_add_f64 v[59:60], v[59:60], v[83:84]
.LBB695_639:
	s_or_b32 exec_lo, exec_lo, s2
.LBB695_640:
	s_or_b32 exec_lo, exec_lo, s1
	s_clause 0x1
	buffer_load_dword v6, off, s[100:103], 0 offset:84
	buffer_load_dword v55, off, s[100:103], 0 offset:88
	s_mov_b32 s1, exec_lo
	s_waitcnt vmcnt(1)
	ds_bpermute_b32 v5, v6, v59
	ds_bpermute_b32 v6, v6, v60
	s_waitcnt lgkmcnt(0)
	v_add_f64 v[5:6], v[59:60], v[5:6]
	s_waitcnt vmcnt(0)
	ds_bpermute_b32 v58, v55, v5
	ds_bpermute_b32 v59, v55, v6
	s_waitcnt lgkmcnt(0)
	v_add_f64 v[5:6], v[5:6], v[58:59]
	ds_bpermute_b32 v58, v2, v5
	ds_bpermute_b32 v59, v2, v6
	buffer_load_dword v2, off, s[100:103], 0 ; 4-byte Folded Reload
	s_waitcnt lgkmcnt(0)
	v_add_f64 v[5:6], v[5:6], v[58:59]
	ds_bpermute_b32 v55, v125, v5
	ds_bpermute_b32 v56, v125, v6
	s_waitcnt lgkmcnt(0)
	v_add_f64 v[5:6], v[5:6], v[55:56]
	ds_bpermute_b32 v59, v57, v5
	ds_bpermute_b32 v60, v57, v6
	s_waitcnt vmcnt(0)
	v_cmpx_lt_i32_e32 0, v2
	s_cbranch_execz .LBB695_706
; %bb.641:
	s_and_b32 exec_lo, exec_lo, vcc_lo
	s_cbranch_execz .LBB695_706
; %bb.642:
	s_clause 0x1
	buffer_load_dword v69, off, s[100:103], 0 offset:76
	buffer_load_dword v70, off, s[100:103], 0 offset:80
	s_waitcnt lgkmcnt(0)
	v_add_f64 v[5:6], v[5:6], v[59:60]
	v_cmp_eq_f64_e64 s4, 0, v[5:6]
	s_waitcnt vmcnt(0)
	v_div_scale_f64 v[55:56], null, v[5:6], v[5:6], v[69:70]
	v_div_scale_f64 v[61:62], vcc_lo, v[69:70], v[5:6], v[69:70]
	v_rcp_f64_e32 v[57:58], v[55:56]
	v_fma_f64 v[59:60], -v[55:56], v[57:58], 1.0
	v_fma_f64 v[57:58], v[57:58], v[59:60], v[57:58]
	v_fma_f64 v[59:60], -v[55:56], v[57:58], 1.0
	v_fma_f64 v[57:58], v[57:58], v[59:60], v[57:58]
	v_mul_f64 v[59:60], v[61:62], v[57:58]
	v_fma_f64 v[55:56], -v[55:56], v[59:60], v[61:62]
	v_div_fmas_f64 v[55:56], v[55:56], v[57:58], v[59:60]
	s_clause 0x1
	buffer_load_dword v57, off, s[100:103], 0 offset:156
	buffer_load_dword v58, off, s[100:103], 0 offset:160
	v_div_fixup_f64 v[55:56], v[55:56], v[5:6], v[69:70]
	v_cndmask_b32_e64 v56, v56, 0x7ff80000, s4
	v_cndmask_b32_e64 v55, v55, 0, s4
	s_waitcnt vmcnt(1)
	v_add_co_u32 v57, vcc_lo, s68, v57
	s_waitcnt vmcnt(0)
	v_add_co_ci_u32_e64 v58, null, s69, v58, vcc_lo
	global_store_dwordx2 v[57:58], v[55:56], off
	s_and_b32 exec_lo, exec_lo, s65
	s_cbranch_execz .LBB695_706
; %bb.643:
	v_mov_b32_e32 v100, v92
	v_mov_b32_e32 v99, v91
	s_clause 0x1
	buffer_load_dword v91, off, s[100:103], 0 offset:92
	buffer_load_dword v92, off, s[100:103], 0 offset:96
	s_waitcnt vmcnt(0)
	v_div_scale_f64 v[55:56], null, v[5:6], v[5:6], v[91:92]
	v_div_scale_f64 v[69:70], vcc_lo, v[91:92], v[5:6], v[91:92]
	v_rcp_f64_e32 v[59:60], v[55:56]
	v_fma_f64 v[61:62], -v[55:56], v[59:60], 1.0
	v_fma_f64 v[59:60], v[59:60], v[61:62], v[59:60]
	v_fma_f64 v[61:62], -v[55:56], v[59:60], 1.0
	v_fma_f64 v[59:60], v[59:60], v[61:62], v[59:60]
	v_mul_f64 v[61:62], v[69:70], v[59:60]
	v_fma_f64 v[55:56], -v[55:56], v[61:62], v[69:70]
	v_div_fmas_f64 v[55:56], v[55:56], v[59:60], v[61:62]
	v_div_fixup_f64 v[55:56], v[55:56], v[5:6], v[91:92]
	v_cndmask_b32_e64 v56, v56, 0x7ff80000, s4
	v_cndmask_b32_e64 v55, v55, 0, s4
	global_store_dwordx2 v[57:58], v[55:56], off offset:256
	s_and_b32 exec_lo, exec_lo, s64
	s_cbranch_execz .LBB695_706
; %bb.644:
	s_clause 0x1
	buffer_load_dword v91, off, s[100:103], 0 offset:100
	buffer_load_dword v92, off, s[100:103], 0 offset:104
	s_waitcnt vmcnt(0)
	v_div_scale_f64 v[55:56], null, v[5:6], v[5:6], v[91:92]
	v_div_scale_f64 v[69:70], vcc_lo, v[91:92], v[5:6], v[91:92]
	v_rcp_f64_e32 v[59:60], v[55:56]
	v_fma_f64 v[61:62], -v[55:56], v[59:60], 1.0
	v_fma_f64 v[59:60], v[59:60], v[61:62], v[59:60]
	v_fma_f64 v[61:62], -v[55:56], v[59:60], 1.0
	v_fma_f64 v[59:60], v[59:60], v[61:62], v[59:60]
	v_mul_f64 v[61:62], v[69:70], v[59:60]
	v_fma_f64 v[55:56], -v[55:56], v[61:62], v[69:70]
	v_div_fmas_f64 v[55:56], v[55:56], v[59:60], v[61:62]
	v_div_fixup_f64 v[55:56], v[55:56], v[5:6], v[91:92]
	v_cndmask_b32_e64 v56, v56, 0x7ff80000, s4
	v_cndmask_b32_e64 v55, v55, 0, s4
	global_store_dwordx2 v[57:58], v[55:56], off offset:512
	s_and_b32 exec_lo, exec_lo, s63
	s_cbranch_execz .LBB695_706
; %bb.645:
	;; [unrolled: 21-line block ×7, first 2 shown]
	v_div_scale_f64 v[55:56], null, v[5:6], v[5:6], v[99:100]
	v_div_scale_f64 v[69:70], vcc_lo, v[99:100], v[5:6], v[99:100]
	v_rcp_f64_e32 v[59:60], v[55:56]
	v_fma_f64 v[61:62], -v[55:56], v[59:60], 1.0
	v_fma_f64 v[59:60], v[59:60], v[61:62], v[59:60]
	v_fma_f64 v[61:62], -v[55:56], v[59:60], 1.0
	v_fma_f64 v[59:60], v[59:60], v[61:62], v[59:60]
	v_mul_f64 v[61:62], v[69:70], v[59:60]
	v_fma_f64 v[55:56], -v[55:56], v[61:62], v[69:70]
	v_div_fmas_f64 v[55:56], v[55:56], v[59:60], v[61:62]
	v_div_fixup_f64 v[55:56], v[55:56], v[5:6], v[99:100]
	v_cndmask_b32_e64 v59, v55, 0, s4
	v_add_co_u32 v55, vcc_lo, 0x800, v57
	v_cndmask_b32_e64 v60, v56, 0x7ff80000, s4
	v_add_co_ci_u32_e64 v56, null, 0, v58, vcc_lo
	global_store_dwordx2 v[55:56], v[59:60], off
	s_and_b32 exec_lo, exec_lo, s57
	s_cbranch_execz .LBB695_706
; %bb.651:
	v_div_scale_f64 v[59:60], null, v[5:6], v[5:6], v[93:94]
	v_div_scale_f64 v[91:92], vcc_lo, v[93:94], v[5:6], v[93:94]
	v_rcp_f64_e32 v[61:62], v[59:60]
	v_fma_f64 v[69:70], -v[59:60], v[61:62], 1.0
	v_fma_f64 v[61:62], v[61:62], v[69:70], v[61:62]
	v_fma_f64 v[69:70], -v[59:60], v[61:62], 1.0
	v_fma_f64 v[61:62], v[61:62], v[69:70], v[61:62]
	v_mul_f64 v[69:70], v[91:92], v[61:62]
	v_fma_f64 v[59:60], -v[59:60], v[69:70], v[91:92]
	v_div_fmas_f64 v[59:60], v[59:60], v[61:62], v[69:70]
	v_div_fixup_f64 v[59:60], v[59:60], v[5:6], v[93:94]
	v_cndmask_b32_e64 v60, v60, 0x7ff80000, s4
	v_cndmask_b32_e64 v59, v59, 0, s4
	global_store_dwordx2 v[55:56], v[59:60], off offset:256
	s_and_b32 exec_lo, exec_lo, s56
	s_cbranch_execz .LBB695_706
; %bb.652:
	v_div_scale_f64 v[59:60], null, v[5:6], v[5:6], v[109:110]
	v_div_scale_f64 v[91:92], vcc_lo, v[109:110], v[5:6], v[109:110]
	v_rcp_f64_e32 v[61:62], v[59:60]
	v_fma_f64 v[69:70], -v[59:60], v[61:62], 1.0
	v_fma_f64 v[61:62], v[61:62], v[69:70], v[61:62]
	v_fma_f64 v[69:70], -v[59:60], v[61:62], 1.0
	v_fma_f64 v[61:62], v[61:62], v[69:70], v[61:62]
	v_mul_f64 v[69:70], v[91:92], v[61:62]
	v_fma_f64 v[59:60], -v[59:60], v[69:70], v[91:92]
	v_div_fmas_f64 v[59:60], v[59:60], v[61:62], v[69:70]
	v_div_fixup_f64 v[59:60], v[59:60], v[5:6], v[109:110]
	v_cndmask_b32_e64 v60, v60, 0x7ff80000, s4
	v_cndmask_b32_e64 v59, v59, 0, s4
	global_store_dwordx2 v[55:56], v[59:60], off offset:512
	;; [unrolled: 17-line block ×3, first 2 shown]
	s_and_b32 exec_lo, exec_lo, s54
	s_cbranch_execz .LBB695_706
; %bb.654:
	s_clause 0x1
	buffer_load_dword v93, off, s[100:103], 0 offset:148
	buffer_load_dword v94, off, s[100:103], 0 offset:152
	s_waitcnt vmcnt(0)
	v_div_scale_f64 v[59:60], null, v[5:6], v[5:6], v[93:94]
	v_div_scale_f64 v[91:92], vcc_lo, v[93:94], v[5:6], v[93:94]
	v_rcp_f64_e32 v[61:62], v[59:60]
	v_fma_f64 v[69:70], -v[59:60], v[61:62], 1.0
	v_fma_f64 v[61:62], v[61:62], v[69:70], v[61:62]
	v_fma_f64 v[69:70], -v[59:60], v[61:62], 1.0
	v_fma_f64 v[61:62], v[61:62], v[69:70], v[61:62]
	v_mul_f64 v[69:70], v[91:92], v[61:62]
	v_fma_f64 v[59:60], -v[59:60], v[69:70], v[91:92]
	v_div_fmas_f64 v[59:60], v[59:60], v[61:62], v[69:70]
	v_div_fixup_f64 v[59:60], v[59:60], v[5:6], v[93:94]
	v_cndmask_b32_e64 v60, v60, 0x7ff80000, s4
	v_cndmask_b32_e64 v59, v59, 0, s4
	global_store_dwordx2 v[55:56], v[59:60], off offset:1024
	s_and_b32 exec_lo, exec_lo, s53
	s_cbranch_execz .LBB695_706
; %bb.655:
	v_div_scale_f64 v[59:60], null, v[5:6], v[5:6], v[105:106]
	v_div_scale_f64 v[91:92], vcc_lo, v[105:106], v[5:6], v[105:106]
	v_rcp_f64_e32 v[61:62], v[59:60]
	v_fma_f64 v[69:70], -v[59:60], v[61:62], 1.0
	v_fma_f64 v[61:62], v[61:62], v[69:70], v[61:62]
	v_fma_f64 v[69:70], -v[59:60], v[61:62], 1.0
	v_fma_f64 v[61:62], v[61:62], v[69:70], v[61:62]
	v_mul_f64 v[69:70], v[91:92], v[61:62]
	v_fma_f64 v[59:60], -v[59:60], v[69:70], v[91:92]
	v_div_fmas_f64 v[59:60], v[59:60], v[61:62], v[69:70]
	v_div_fixup_f64 v[59:60], v[59:60], v[5:6], v[105:106]
	v_cndmask_b32_e64 v60, v60, 0x7ff80000, s4
	v_cndmask_b32_e64 v59, v59, 0, s4
	global_store_dwordx2 v[55:56], v[59:60], off offset:1280
	s_and_b32 exec_lo, exec_lo, s52
	s_cbranch_execz .LBB695_706
; %bb.656:
	;; [unrolled: 17-line block ×4, first 2 shown]
	v_div_scale_f64 v[55:56], null, v[5:6], v[5:6], v[3:4]
	v_div_scale_f64 v[69:70], vcc_lo, v[3:4], v[5:6], v[3:4]
	v_rcp_f64_e32 v[59:60], v[55:56]
	v_fma_f64 v[61:62], -v[55:56], v[59:60], 1.0
	v_fma_f64 v[59:60], v[59:60], v[61:62], v[59:60]
	v_fma_f64 v[61:62], -v[55:56], v[59:60], 1.0
	v_fma_f64 v[59:60], v[59:60], v[61:62], v[59:60]
	v_mul_f64 v[61:62], v[69:70], v[59:60]
	v_fma_f64 v[55:56], -v[55:56], v[61:62], v[69:70]
	v_div_fmas_f64 v[55:56], v[55:56], v[59:60], v[61:62]
	v_div_fixup_f64 v[2:3], v[55:56], v[5:6], v[3:4]
	v_cndmask_b32_e64 v55, v2, 0, s4
	v_add_co_u32 v2, vcc_lo, 0x1000, v57
	v_cndmask_b32_e64 v56, v3, 0x7ff80000, s4
	v_add_co_ci_u32_e64 v3, null, 0, v58, vcc_lo
	global_store_dwordx2 v[2:3], v[55:56], off
	s_and_b32 exec_lo, exec_lo, s49
	s_cbranch_execz .LBB695_706
; %bb.659:
	v_div_scale_f64 v[55:56], null, v[5:6], v[5:6], v[121:122]
	v_div_scale_f64 v[69:70], vcc_lo, v[121:122], v[5:6], v[121:122]
	v_rcp_f64_e32 v[59:60], v[55:56]
	v_fma_f64 v[61:62], -v[55:56], v[59:60], 1.0
	v_fma_f64 v[59:60], v[59:60], v[61:62], v[59:60]
	v_fma_f64 v[61:62], -v[55:56], v[59:60], 1.0
	v_fma_f64 v[59:60], v[59:60], v[61:62], v[59:60]
	v_mul_f64 v[61:62], v[69:70], v[59:60]
	v_fma_f64 v[55:56], -v[55:56], v[61:62], v[69:70]
	v_div_fmas_f64 v[55:56], v[55:56], v[59:60], v[61:62]
	v_div_fixup_f64 v[55:56], v[55:56], v[5:6], v[121:122]
	v_cndmask_b32_e64 v56, v56, 0x7ff80000, s4
	v_cndmask_b32_e64 v55, v55, 0, s4
	global_store_dwordx2 v[2:3], v[55:56], off offset:256
	s_and_b32 exec_lo, exec_lo, s48
	s_cbranch_execz .LBB695_706
; %bb.660:
	v_div_scale_f64 v[55:56], null, v[5:6], v[5:6], v[11:12]
	v_div_scale_f64 v[69:70], vcc_lo, v[11:12], v[5:6], v[11:12]
	v_rcp_f64_e32 v[59:60], v[55:56]
	v_fma_f64 v[61:62], -v[55:56], v[59:60], 1.0
	v_fma_f64 v[59:60], v[59:60], v[61:62], v[59:60]
	v_fma_f64 v[61:62], -v[55:56], v[59:60], 1.0
	v_fma_f64 v[59:60], v[59:60], v[61:62], v[59:60]
	v_mul_f64 v[61:62], v[69:70], v[59:60]
	v_fma_f64 v[55:56], -v[55:56], v[61:62], v[69:70]
	v_div_fmas_f64 v[55:56], v[55:56], v[59:60], v[61:62]
	v_div_fixup_f64 v[11:12], v[55:56], v[5:6], v[11:12]
	v_cndmask_b32_e64 v12, v12, 0x7ff80000, s4
	v_cndmask_b32_e64 v11, v11, 0, s4
	global_store_dwordx2 v[2:3], v[11:12], off offset:512
	;; [unrolled: 17-line block ×7, first 2 shown]
	s_and_b32 exec_lo, exec_lo, s42
	s_cbranch_execz .LBB695_706
; %bb.666:
	v_div_scale_f64 v[2:3], null, v[5:6], v[5:6], v[123:124]
	v_div_scale_f64 v[13:14], vcc_lo, v[123:124], v[5:6], v[123:124]
	v_rcp_f64_e32 v[9:10], v[2:3]
	v_fma_f64 v[11:12], -v[2:3], v[9:10], 1.0
	v_fma_f64 v[9:10], v[9:10], v[11:12], v[9:10]
	v_fma_f64 v[11:12], -v[2:3], v[9:10], 1.0
	v_fma_f64 v[9:10], v[9:10], v[11:12], v[9:10]
	v_mul_f64 v[11:12], v[13:14], v[9:10]
	v_fma_f64 v[2:3], -v[2:3], v[11:12], v[13:14]
	v_div_fmas_f64 v[2:3], v[2:3], v[9:10], v[11:12]
	v_div_fixup_f64 v[2:3], v[2:3], v[5:6], v[123:124]
	v_cndmask_b32_e64 v9, v2, 0, s4
	v_add_co_u32 v2, vcc_lo, 0x1800, v57
	v_cndmask_b32_e64 v10, v3, 0x7ff80000, s4
	v_add_co_ci_u32_e64 v3, null, 0, v58, vcc_lo
	global_store_dwordx2 v[2:3], v[9:10], off
	s_and_b32 exec_lo, exec_lo, s41
	s_cbranch_execz .LBB695_706
; %bb.667:
	v_div_scale_f64 v[9:10], null, v[5:6], v[5:6], v[7:8]
	v_div_scale_f64 v[15:16], vcc_lo, v[7:8], v[5:6], v[7:8]
	v_rcp_f64_e32 v[11:12], v[9:10]
	v_fma_f64 v[13:14], -v[9:10], v[11:12], 1.0
	v_fma_f64 v[11:12], v[11:12], v[13:14], v[11:12]
	v_fma_f64 v[13:14], -v[9:10], v[11:12], 1.0
	v_fma_f64 v[11:12], v[11:12], v[13:14], v[11:12]
	v_mul_f64 v[13:14], v[15:16], v[11:12]
	v_fma_f64 v[9:10], -v[9:10], v[13:14], v[15:16]
	v_div_fmas_f64 v[9:10], v[9:10], v[11:12], v[13:14]
	v_div_fixup_f64 v[7:8], v[9:10], v[5:6], v[7:8]
	v_cndmask_b32_e64 v8, v8, 0x7ff80000, s4
	v_cndmask_b32_e64 v7, v7, 0, s4
	global_store_dwordx2 v[2:3], v[7:8], off offset:256
	s_and_b32 exec_lo, exec_lo, s40
	s_cbranch_execz .LBB695_706
; %bb.668:
	v_div_scale_f64 v[7:8], null, v[5:6], v[5:6], v[119:120]
	v_div_scale_f64 v[13:14], vcc_lo, v[119:120], v[5:6], v[119:120]
	v_rcp_f64_e32 v[9:10], v[7:8]
	v_fma_f64 v[11:12], -v[7:8], v[9:10], 1.0
	v_fma_f64 v[9:10], v[9:10], v[11:12], v[9:10]
	v_fma_f64 v[11:12], -v[7:8], v[9:10], 1.0
	v_fma_f64 v[9:10], v[9:10], v[11:12], v[9:10]
	v_mul_f64 v[11:12], v[13:14], v[9:10]
	v_fma_f64 v[7:8], -v[7:8], v[11:12], v[13:14]
	v_div_fmas_f64 v[7:8], v[7:8], v[9:10], v[11:12]
	v_div_fixup_f64 v[7:8], v[7:8], v[5:6], v[119:120]
	v_cndmask_b32_e64 v8, v8, 0x7ff80000, s4
	v_cndmask_b32_e64 v7, v7, 0, s4
	global_store_dwordx2 v[2:3], v[7:8], off offset:512
	;; [unrolled: 17-line block ×3, first 2 shown]
	s_and_b32 exec_lo, exec_lo, s38
	s_cbranch_execz .LBB695_706
; %bb.670:
	v_div_scale_f64 v[7:8], null, v[5:6], v[5:6], v[111:112]
	v_div_scale_f64 v[13:14], vcc_lo, v[111:112], v[5:6], v[111:112]
	v_readlane_b32 s1, v126, 0
	v_rcp_f64_e32 v[9:10], v[7:8]
	v_fma_f64 v[11:12], -v[7:8], v[9:10], 1.0
	v_fma_f64 v[9:10], v[9:10], v[11:12], v[9:10]
	v_fma_f64 v[11:12], -v[7:8], v[9:10], 1.0
	v_fma_f64 v[9:10], v[9:10], v[11:12], v[9:10]
	v_mul_f64 v[11:12], v[13:14], v[9:10]
	v_fma_f64 v[7:8], -v[7:8], v[11:12], v[13:14]
	v_div_fmas_f64 v[7:8], v[7:8], v[9:10], v[11:12]
	v_div_fixup_f64 v[7:8], v[7:8], v[5:6], v[111:112]
	v_cndmask_b32_e64 v8, v8, 0x7ff80000, s4
	v_cndmask_b32_e64 v7, v7, 0, s4
	global_store_dwordx2 v[2:3], v[7:8], off offset:1024
	s_and_b32 exec_lo, exec_lo, s1
	s_cbranch_execz .LBB695_706
; %bb.671:
	v_div_scale_f64 v[7:8], null, v[5:6], v[5:6], v[107:108]
	v_div_scale_f64 v[13:14], vcc_lo, v[107:108], v[5:6], v[107:108]
	v_readlane_b32 s1, v126, 1
	v_rcp_f64_e32 v[9:10], v[7:8]
	v_fma_f64 v[11:12], -v[7:8], v[9:10], 1.0
	v_fma_f64 v[9:10], v[9:10], v[11:12], v[9:10]
	v_fma_f64 v[11:12], -v[7:8], v[9:10], 1.0
	v_fma_f64 v[9:10], v[9:10], v[11:12], v[9:10]
	v_mul_f64 v[11:12], v[13:14], v[9:10]
	v_fma_f64 v[7:8], -v[7:8], v[11:12], v[13:14]
	v_div_fmas_f64 v[7:8], v[7:8], v[9:10], v[11:12]
	v_div_fixup_f64 v[7:8], v[7:8], v[5:6], v[107:108]
	v_cndmask_b32_e64 v8, v8, 0x7ff80000, s4
	v_cndmask_b32_e64 v7, v7, 0, s4
	global_store_dwordx2 v[2:3], v[7:8], off offset:1280
	;; [unrolled: 18-line block ×4, first 2 shown]
	s_and_b32 exec_lo, exec_lo, s1
	s_cbranch_execz .LBB695_706
; %bb.674:
	v_div_scale_f64 v[2:3], null, v[5:6], v[5:6], v[95:96]
	v_div_scale_f64 v[11:12], vcc_lo, v[95:96], v[5:6], v[95:96]
	v_readlane_b32 s1, v126, 4
	v_rcp_f64_e32 v[7:8], v[2:3]
	v_fma_f64 v[9:10], -v[2:3], v[7:8], 1.0
	v_fma_f64 v[7:8], v[7:8], v[9:10], v[7:8]
	v_fma_f64 v[9:10], -v[2:3], v[7:8], 1.0
	v_fma_f64 v[7:8], v[7:8], v[9:10], v[7:8]
	v_mul_f64 v[9:10], v[11:12], v[7:8]
	v_fma_f64 v[2:3], -v[2:3], v[9:10], v[11:12]
	v_div_fmas_f64 v[2:3], v[2:3], v[7:8], v[9:10]
	v_div_fixup_f64 v[2:3], v[2:3], v[5:6], v[95:96]
	v_cndmask_b32_e64 v7, v2, 0, s4
	v_add_co_u32 v2, vcc_lo, 0x2000, v57
	v_cndmask_b32_e64 v8, v3, 0x7ff80000, s4
	v_add_co_ci_u32_e64 v3, null, 0, v58, vcc_lo
	global_store_dwordx2 v[2:3], v[7:8], off
	s_and_b32 exec_lo, exec_lo, s1
	s_cbranch_execz .LBB695_706
; %bb.675:
	v_div_scale_f64 v[7:8], null, v[5:6], v[5:6], v[89:90]
	v_div_scale_f64 v[13:14], vcc_lo, v[89:90], v[5:6], v[89:90]
	v_readlane_b32 s1, v126, 5
	v_rcp_f64_e32 v[9:10], v[7:8]
	v_fma_f64 v[11:12], -v[7:8], v[9:10], 1.0
	v_fma_f64 v[9:10], v[9:10], v[11:12], v[9:10]
	v_fma_f64 v[11:12], -v[7:8], v[9:10], 1.0
	v_fma_f64 v[9:10], v[9:10], v[11:12], v[9:10]
	v_mul_f64 v[11:12], v[13:14], v[9:10]
	v_fma_f64 v[7:8], -v[7:8], v[11:12], v[13:14]
	v_div_fmas_f64 v[7:8], v[7:8], v[9:10], v[11:12]
	v_div_fixup_f64 v[7:8], v[7:8], v[5:6], v[89:90]
	v_cndmask_b32_e64 v8, v8, 0x7ff80000, s4
	v_cndmask_b32_e64 v7, v7, 0, s4
	global_store_dwordx2 v[2:3], v[7:8], off offset:256
	s_and_b32 exec_lo, exec_lo, s1
	s_cbranch_execz .LBB695_706
; %bb.676:
	v_div_scale_f64 v[7:8], null, v[5:6], v[5:6], v[87:88]
	v_div_scale_f64 v[13:14], vcc_lo, v[87:88], v[5:6], v[87:88]
	v_readlane_b32 s1, v126, 6
	v_rcp_f64_e32 v[9:10], v[7:8]
	v_fma_f64 v[11:12], -v[7:8], v[9:10], 1.0
	v_fma_f64 v[9:10], v[9:10], v[11:12], v[9:10]
	v_fma_f64 v[11:12], -v[7:8], v[9:10], 1.0
	v_fma_f64 v[9:10], v[9:10], v[11:12], v[9:10]
	v_mul_f64 v[11:12], v[13:14], v[9:10]
	v_fma_f64 v[7:8], -v[7:8], v[11:12], v[13:14]
	v_div_fmas_f64 v[7:8], v[7:8], v[9:10], v[11:12]
	v_div_fixup_f64 v[7:8], v[7:8], v[5:6], v[87:88]
	v_cndmask_b32_e64 v8, v8, 0x7ff80000, s4
	v_cndmask_b32_e64 v7, v7, 0, s4
	global_store_dwordx2 v[2:3], v[7:8], off offset:512
	;; [unrolled: 18-line block ×7, first 2 shown]
	s_and_b32 exec_lo, exec_lo, s1
	s_cbranch_execz .LBB695_706
; %bb.682:
	v_div_scale_f64 v[2:3], null, v[5:6], v[5:6], v[63:64]
	v_div_scale_f64 v[11:12], vcc_lo, v[63:64], v[5:6], v[63:64]
	v_readlane_b32 s1, v126, 12
	v_rcp_f64_e32 v[7:8], v[2:3]
	v_fma_f64 v[9:10], -v[2:3], v[7:8], 1.0
	v_fma_f64 v[7:8], v[7:8], v[9:10], v[7:8]
	v_fma_f64 v[9:10], -v[2:3], v[7:8], 1.0
	v_fma_f64 v[7:8], v[7:8], v[9:10], v[7:8]
	v_mul_f64 v[9:10], v[11:12], v[7:8]
	v_fma_f64 v[2:3], -v[2:3], v[9:10], v[11:12]
	v_div_fmas_f64 v[2:3], v[2:3], v[7:8], v[9:10]
	v_div_fixup_f64 v[2:3], v[2:3], v[5:6], v[63:64]
	v_cndmask_b32_e64 v7, v2, 0, s4
	v_add_co_u32 v2, vcc_lo, 0x2800, v57
	v_cndmask_b32_e64 v8, v3, 0x7ff80000, s4
	v_add_co_ci_u32_e64 v3, null, 0, v58, vcc_lo
	global_store_dwordx2 v[2:3], v[7:8], off
	s_and_b32 exec_lo, exec_lo, s1
	s_cbranch_execz .LBB695_706
; %bb.683:
	v_div_scale_f64 v[7:8], null, v[5:6], v[5:6], v[53:54]
	v_div_scale_f64 v[13:14], vcc_lo, v[53:54], v[5:6], v[53:54]
	v_readlane_b32 s1, v126, 13
	v_rcp_f64_e32 v[9:10], v[7:8]
	v_fma_f64 v[11:12], -v[7:8], v[9:10], 1.0
	v_fma_f64 v[9:10], v[9:10], v[11:12], v[9:10]
	v_fma_f64 v[11:12], -v[7:8], v[9:10], 1.0
	v_fma_f64 v[9:10], v[9:10], v[11:12], v[9:10]
	v_mul_f64 v[11:12], v[13:14], v[9:10]
	v_fma_f64 v[7:8], -v[7:8], v[11:12], v[13:14]
	v_div_fmas_f64 v[7:8], v[7:8], v[9:10], v[11:12]
	v_div_fixup_f64 v[7:8], v[7:8], v[5:6], v[53:54]
	v_cndmask_b32_e64 v8, v8, 0x7ff80000, s4
	v_cndmask_b32_e64 v7, v7, 0, s4
	global_store_dwordx2 v[2:3], v[7:8], off offset:256
	s_and_b32 exec_lo, exec_lo, s1
	s_cbranch_execz .LBB695_706
; %bb.684:
	v_div_scale_f64 v[7:8], null, v[5:6], v[5:6], v[51:52]
	v_div_scale_f64 v[13:14], vcc_lo, v[51:52], v[5:6], v[51:52]
	v_readlane_b32 s1, v126, 14
	v_rcp_f64_e32 v[9:10], v[7:8]
	v_fma_f64 v[11:12], -v[7:8], v[9:10], 1.0
	v_fma_f64 v[9:10], v[9:10], v[11:12], v[9:10]
	v_fma_f64 v[11:12], -v[7:8], v[9:10], 1.0
	v_fma_f64 v[9:10], v[9:10], v[11:12], v[9:10]
	v_mul_f64 v[11:12], v[13:14], v[9:10]
	v_fma_f64 v[7:8], -v[7:8], v[11:12], v[13:14]
	v_div_fmas_f64 v[7:8], v[7:8], v[9:10], v[11:12]
	v_div_fixup_f64 v[7:8], v[7:8], v[5:6], v[51:52]
	v_cndmask_b32_e64 v8, v8, 0x7ff80000, s4
	v_cndmask_b32_e64 v7, v7, 0, s4
	global_store_dwordx2 v[2:3], v[7:8], off offset:512
	;; [unrolled: 18-line block ×7, first 2 shown]
	s_and_b32 exec_lo, exec_lo, s1
	s_cbranch_execz .LBB695_706
; %bb.690:
	v_div_scale_f64 v[2:3], null, v[5:6], v[5:6], v[39:40]
	v_div_scale_f64 v[11:12], vcc_lo, v[39:40], v[5:6], v[39:40]
	v_readlane_b32 s1, v126, 20
	v_rcp_f64_e32 v[7:8], v[2:3]
	v_fma_f64 v[9:10], -v[2:3], v[7:8], 1.0
	v_fma_f64 v[7:8], v[7:8], v[9:10], v[7:8]
	v_fma_f64 v[9:10], -v[2:3], v[7:8], 1.0
	v_fma_f64 v[7:8], v[7:8], v[9:10], v[7:8]
	v_mul_f64 v[9:10], v[11:12], v[7:8]
	v_fma_f64 v[2:3], -v[2:3], v[9:10], v[11:12]
	v_div_fmas_f64 v[2:3], v[2:3], v[7:8], v[9:10]
	v_div_fixup_f64 v[2:3], v[2:3], v[5:6], v[39:40]
	v_cndmask_b32_e64 v7, v2, 0, s4
	v_add_co_u32 v2, vcc_lo, 0x3000, v57
	v_cndmask_b32_e64 v8, v3, 0x7ff80000, s4
	v_add_co_ci_u32_e64 v3, null, 0, v58, vcc_lo
	global_store_dwordx2 v[2:3], v[7:8], off
	s_and_b32 exec_lo, exec_lo, s1
	s_cbranch_execz .LBB695_706
; %bb.691:
	v_div_scale_f64 v[7:8], null, v[5:6], v[5:6], v[37:38]
	v_div_scale_f64 v[13:14], vcc_lo, v[37:38], v[5:6], v[37:38]
	v_readlane_b32 s1, v126, 21
	v_rcp_f64_e32 v[9:10], v[7:8]
	v_fma_f64 v[11:12], -v[7:8], v[9:10], 1.0
	v_fma_f64 v[9:10], v[9:10], v[11:12], v[9:10]
	v_fma_f64 v[11:12], -v[7:8], v[9:10], 1.0
	v_fma_f64 v[9:10], v[9:10], v[11:12], v[9:10]
	v_mul_f64 v[11:12], v[13:14], v[9:10]
	v_fma_f64 v[7:8], -v[7:8], v[11:12], v[13:14]
	v_div_fmas_f64 v[7:8], v[7:8], v[9:10], v[11:12]
	v_div_fixup_f64 v[7:8], v[7:8], v[5:6], v[37:38]
	v_cndmask_b32_e64 v8, v8, 0x7ff80000, s4
	v_cndmask_b32_e64 v7, v7, 0, s4
	global_store_dwordx2 v[2:3], v[7:8], off offset:256
	s_and_b32 exec_lo, exec_lo, s1
	s_cbranch_execz .LBB695_706
; %bb.692:
	v_div_scale_f64 v[7:8], null, v[5:6], v[5:6], v[35:36]
	v_div_scale_f64 v[13:14], vcc_lo, v[35:36], v[5:6], v[35:36]
	v_readlane_b32 s1, v126, 22
	v_rcp_f64_e32 v[9:10], v[7:8]
	v_fma_f64 v[11:12], -v[7:8], v[9:10], 1.0
	v_fma_f64 v[9:10], v[9:10], v[11:12], v[9:10]
	v_fma_f64 v[11:12], -v[7:8], v[9:10], 1.0
	v_fma_f64 v[9:10], v[9:10], v[11:12], v[9:10]
	v_mul_f64 v[11:12], v[13:14], v[9:10]
	v_fma_f64 v[7:8], -v[7:8], v[11:12], v[13:14]
	v_div_fmas_f64 v[7:8], v[7:8], v[9:10], v[11:12]
	v_div_fixup_f64 v[7:8], v[7:8], v[5:6], v[35:36]
	v_cndmask_b32_e64 v8, v8, 0x7ff80000, s4
	v_cndmask_b32_e64 v7, v7, 0, s4
	global_store_dwordx2 v[2:3], v[7:8], off offset:512
	;; [unrolled: 18-line block ×7, first 2 shown]
	s_and_b32 exec_lo, exec_lo, s1
	s_cbranch_execz .LBB695_706
; %bb.698:
	v_div_scale_f64 v[2:3], null, v[5:6], v[5:6], v[23:24]
	v_div_scale_f64 v[11:12], vcc_lo, v[23:24], v[5:6], v[23:24]
	v_readlane_b32 s1, v126, 28
	v_rcp_f64_e32 v[7:8], v[2:3]
	v_fma_f64 v[9:10], -v[2:3], v[7:8], 1.0
	v_fma_f64 v[7:8], v[7:8], v[9:10], v[7:8]
	v_fma_f64 v[9:10], -v[2:3], v[7:8], 1.0
	v_fma_f64 v[7:8], v[7:8], v[9:10], v[7:8]
	v_mul_f64 v[9:10], v[11:12], v[7:8]
	v_fma_f64 v[2:3], -v[2:3], v[9:10], v[11:12]
	v_div_fmas_f64 v[2:3], v[2:3], v[7:8], v[9:10]
	v_div_fixup_f64 v[2:3], v[2:3], v[5:6], v[23:24]
	v_cndmask_b32_e64 v7, v2, 0, s4
	v_add_co_u32 v2, vcc_lo, 0x3800, v57
	v_cndmask_b32_e64 v8, v3, 0x7ff80000, s4
	v_add_co_ci_u32_e64 v3, null, 0, v58, vcc_lo
	global_store_dwordx2 v[2:3], v[7:8], off
	s_and_b32 exec_lo, exec_lo, s1
	s_cbranch_execz .LBB695_706
; %bb.699:
	v_div_scale_f64 v[7:8], null, v[5:6], v[5:6], v[21:22]
	v_div_scale_f64 v[13:14], vcc_lo, v[21:22], v[5:6], v[21:22]
	v_readlane_b32 s1, v126, 29
	v_rcp_f64_e32 v[9:10], v[7:8]
	v_fma_f64 v[11:12], -v[7:8], v[9:10], 1.0
	v_fma_f64 v[9:10], v[9:10], v[11:12], v[9:10]
	v_fma_f64 v[11:12], -v[7:8], v[9:10], 1.0
	v_fma_f64 v[9:10], v[9:10], v[11:12], v[9:10]
	v_mul_f64 v[11:12], v[13:14], v[9:10]
	v_fma_f64 v[7:8], -v[7:8], v[11:12], v[13:14]
	v_div_fmas_f64 v[7:8], v[7:8], v[9:10], v[11:12]
	v_div_fixup_f64 v[7:8], v[7:8], v[5:6], v[21:22]
	v_cndmask_b32_e64 v8, v8, 0x7ff80000, s4
	v_cndmask_b32_e64 v7, v7, 0, s4
	global_store_dwordx2 v[2:3], v[7:8], off offset:256
	s_and_b32 exec_lo, exec_lo, s1
	s_cbranch_execz .LBB695_706
; %bb.700:
	v_div_scale_f64 v[7:8], null, v[5:6], v[5:6], v[75:76]
	v_div_scale_f64 v[13:14], vcc_lo, v[75:76], v[5:6], v[75:76]
	v_readlane_b32 s1, v126, 30
	v_rcp_f64_e32 v[9:10], v[7:8]
	v_fma_f64 v[11:12], -v[7:8], v[9:10], 1.0
	v_fma_f64 v[9:10], v[9:10], v[11:12], v[9:10]
	v_fma_f64 v[11:12], -v[7:8], v[9:10], 1.0
	v_fma_f64 v[9:10], v[9:10], v[11:12], v[9:10]
	v_mul_f64 v[11:12], v[13:14], v[9:10]
	v_fma_f64 v[7:8], -v[7:8], v[11:12], v[13:14]
	v_div_fmas_f64 v[7:8], v[7:8], v[9:10], v[11:12]
	v_div_fixup_f64 v[7:8], v[7:8], v[5:6], v[75:76]
	v_cndmask_b32_e64 v8, v8, 0x7ff80000, s4
	v_cndmask_b32_e64 v7, v7, 0, s4
	global_store_dwordx2 v[2:3], v[7:8], off offset:512
	;; [unrolled: 18-line block ×5, first 2 shown]
	s_and_b32 exec_lo, exec_lo, s1
	s_cbranch_execz .LBB695_706
; %bb.704:
	v_div_scale_f64 v[0:1], null, v[5:6], v[5:6], v[85:86]
	v_div_scale_f64 v[11:12], vcc_lo, v[85:86], v[5:6], v[85:86]
	v_rcp_f64_e32 v[7:8], v[0:1]
	v_fma_f64 v[9:10], -v[0:1], v[7:8], 1.0
	v_fma_f64 v[7:8], v[7:8], v[9:10], v[7:8]
	v_fma_f64 v[9:10], -v[0:1], v[7:8], 1.0
	v_fma_f64 v[7:8], v[7:8], v[9:10], v[7:8]
	v_mul_f64 v[9:10], v[11:12], v[7:8]
	v_fma_f64 v[0:1], -v[0:1], v[9:10], v[11:12]
	v_div_fmas_f64 v[0:1], v[0:1], v[7:8], v[9:10]
	v_div_fixup_f64 v[0:1], v[0:1], v[5:6], v[85:86]
	v_cndmask_b32_e64 v1, v1, 0x7ff80000, s4
	v_cndmask_b32_e64 v0, v0, 0, s4
	global_store_dwordx2 v[2:3], v[0:1], off offset:1536
	s_and_b32 exec_lo, exec_lo, s0
	s_cbranch_execz .LBB695_706
; %bb.705:
	v_div_scale_f64 v[0:1], null, v[5:6], v[5:6], v[83:84]
	v_div_scale_f64 v[11:12], vcc_lo, v[83:84], v[5:6], v[83:84]
	v_rcp_f64_e32 v[7:8], v[0:1]
	v_fma_f64 v[9:10], -v[0:1], v[7:8], 1.0
	v_fma_f64 v[7:8], v[7:8], v[9:10], v[7:8]
	v_fma_f64 v[9:10], -v[0:1], v[7:8], 1.0
	v_fma_f64 v[7:8], v[7:8], v[9:10], v[7:8]
	v_mul_f64 v[9:10], v[11:12], v[7:8]
	v_fma_f64 v[0:1], -v[0:1], v[9:10], v[11:12]
	v_div_fmas_f64 v[0:1], v[0:1], v[7:8], v[9:10]
	v_div_fixup_f64 v[0:1], v[0:1], v[5:6], v[83:84]
	v_cndmask_b32_e64 v1, v1, 0x7ff80000, s4
	v_cndmask_b32_e64 v0, v0, 0, s4
	global_store_dwordx2 v[2:3], v[0:1], off offset:1792
.LBB695_706:
	s_endpgm
	.section	.rodata,"a",@progbits
	.p2align	6, 0x0
	.amdhsa_kernel _ZN12_GLOBAL__N_120softmax_warp_forwardIdddLi11ELb0ELb1ELi32EEEvPT0_PKT_iiiPKbib
		.amdhsa_group_segment_fixed_size 0
		.amdhsa_private_segment_fixed_size 168
		.amdhsa_kernarg_size 304
		.amdhsa_user_sgpr_count 6
		.amdhsa_user_sgpr_private_segment_buffer 1
		.amdhsa_user_sgpr_dispatch_ptr 0
		.amdhsa_user_sgpr_queue_ptr 0
		.amdhsa_user_sgpr_kernarg_segment_ptr 1
		.amdhsa_user_sgpr_dispatch_id 0
		.amdhsa_user_sgpr_flat_scratch_init 0
		.amdhsa_user_sgpr_private_segment_size 0
		.amdhsa_wavefront_size32 1
		.amdhsa_uses_dynamic_stack 0
		.amdhsa_system_sgpr_private_segment_wavefront_offset 1
		.amdhsa_system_sgpr_workgroup_id_x 1
		.amdhsa_system_sgpr_workgroup_id_y 0
		.amdhsa_system_sgpr_workgroup_id_z 0
		.amdhsa_system_sgpr_workgroup_info 0
		.amdhsa_system_vgpr_workitem_id 1
		.amdhsa_next_free_vgpr 128
		.amdhsa_next_free_sgpr 105
		.amdhsa_reserve_vcc 1
		.amdhsa_reserve_flat_scratch 0
		.amdhsa_float_round_mode_32 0
		.amdhsa_float_round_mode_16_64 0
		.amdhsa_float_denorm_mode_32 3
		.amdhsa_float_denorm_mode_16_64 3
		.amdhsa_dx10_clamp 1
		.amdhsa_ieee_mode 1
		.amdhsa_fp16_overflow 0
		.amdhsa_workgroup_processor_mode 1
		.amdhsa_memory_ordered 1
		.amdhsa_forward_progress 1
		.amdhsa_shared_vgpr_count 0
		.amdhsa_exception_fp_ieee_invalid_op 0
		.amdhsa_exception_fp_denorm_src 0
		.amdhsa_exception_fp_ieee_div_zero 0
		.amdhsa_exception_fp_ieee_overflow 0
		.amdhsa_exception_fp_ieee_underflow 0
		.amdhsa_exception_fp_ieee_inexact 0
		.amdhsa_exception_int_div_zero 0
	.end_amdhsa_kernel
	.section	.text._ZN12_GLOBAL__N_120softmax_warp_forwardIdddLi11ELb0ELb1ELi32EEEvPT0_PKT_iiiPKbib,"axG",@progbits,_ZN12_GLOBAL__N_120softmax_warp_forwardIdddLi11ELb0ELb1ELi32EEEvPT0_PKT_iiiPKbib,comdat
.Lfunc_end695:
	.size	_ZN12_GLOBAL__N_120softmax_warp_forwardIdddLi11ELb0ELb1ELi32EEEvPT0_PKT_iiiPKbib, .Lfunc_end695-_ZN12_GLOBAL__N_120softmax_warp_forwardIdddLi11ELb0ELb1ELi32EEEvPT0_PKT_iiiPKbib
                                        ; -- End function
	.set _ZN12_GLOBAL__N_120softmax_warp_forwardIdddLi11ELb0ELb1ELi32EEEvPT0_PKT_iiiPKbib.num_vgpr, 128
	.set _ZN12_GLOBAL__N_120softmax_warp_forwardIdddLi11ELb0ELb1ELi32EEEvPT0_PKT_iiiPKbib.num_agpr, 0
	.set _ZN12_GLOBAL__N_120softmax_warp_forwardIdddLi11ELb0ELb1ELi32EEEvPT0_PKT_iiiPKbib.numbered_sgpr, 105
	.set _ZN12_GLOBAL__N_120softmax_warp_forwardIdddLi11ELb0ELb1ELi32EEEvPT0_PKT_iiiPKbib.num_named_barrier, 0
	.set _ZN12_GLOBAL__N_120softmax_warp_forwardIdddLi11ELb0ELb1ELi32EEEvPT0_PKT_iiiPKbib.private_seg_size, 168
	.set _ZN12_GLOBAL__N_120softmax_warp_forwardIdddLi11ELb0ELb1ELi32EEEvPT0_PKT_iiiPKbib.uses_vcc, 1
	.set _ZN12_GLOBAL__N_120softmax_warp_forwardIdddLi11ELb0ELb1ELi32EEEvPT0_PKT_iiiPKbib.uses_flat_scratch, 0
	.set _ZN12_GLOBAL__N_120softmax_warp_forwardIdddLi11ELb0ELb1ELi32EEEvPT0_PKT_iiiPKbib.has_dyn_sized_stack, 0
	.set _ZN12_GLOBAL__N_120softmax_warp_forwardIdddLi11ELb0ELb1ELi32EEEvPT0_PKT_iiiPKbib.has_recursion, 0
	.set _ZN12_GLOBAL__N_120softmax_warp_forwardIdddLi11ELb0ELb1ELi32EEEvPT0_PKT_iiiPKbib.has_indirect_call, 0
	.section	.AMDGPU.csdata,"",@progbits
; Kernel info:
; codeLenInByte = 52996
; TotalNumSgprs: 107
; NumVgprs: 128
; ScratchSize: 168
; MemoryBound: 0
; FloatMode: 240
; IeeeMode: 1
; LDSByteSize: 0 bytes/workgroup (compile time only)
; SGPRBlocks: 0
; VGPRBlocks: 15
; NumSGPRsForWavesPerEU: 107
; NumVGPRsForWavesPerEU: 128
; Occupancy: 8
; WaveLimiterHint : 0
; COMPUTE_PGM_RSRC2:SCRATCH_EN: 1
; COMPUTE_PGM_RSRC2:USER_SGPR: 6
; COMPUTE_PGM_RSRC2:TRAP_HANDLER: 0
; COMPUTE_PGM_RSRC2:TGID_X_EN: 1
; COMPUTE_PGM_RSRC2:TGID_Y_EN: 0
; COMPUTE_PGM_RSRC2:TGID_Z_EN: 0
; COMPUTE_PGM_RSRC2:TIDIG_COMP_CNT: 1
	.section	.text._ZN12_GLOBAL__N_120softmax_warp_forwardIfffLi0ELb0ELb1ELi64EEEvPT0_PKT_iiiPKbib,"axG",@progbits,_ZN12_GLOBAL__N_120softmax_warp_forwardIfffLi0ELb0ELb1ELi64EEEvPT0_PKT_iiiPKbib,comdat
	.globl	_ZN12_GLOBAL__N_120softmax_warp_forwardIfffLi0ELb0ELb1ELi64EEEvPT0_PKT_iiiPKbib ; -- Begin function _ZN12_GLOBAL__N_120softmax_warp_forwardIfffLi0ELb0ELb1ELi64EEEvPT0_PKT_iiiPKbib
	.p2align	8
	.type	_ZN12_GLOBAL__N_120softmax_warp_forwardIfffLi0ELb0ELb1ELi64EEEvPT0_PKT_iiiPKbib,@function
_ZN12_GLOBAL__N_120softmax_warp_forwardIfffLi0ELb0ELb1ELi64EEEvPT0_PKT_iiiPKbib: ; @_ZN12_GLOBAL__N_120softmax_warp_forwardIfffLi0ELb0ELb1ELi64EEEvPT0_PKT_iiiPKbib
; %bb.0:
	s_clause 0x2
	s_load_dwordx2 s[8:9], s[4:5], 0x28
	s_load_dword s10, s[4:5], 0x3c
	s_load_dwordx4 s[0:3], s[4:5], 0x10
	s_waitcnt lgkmcnt(0)
	s_bitcmp1_b32 s9, 0
	s_cselect_b32 s7, -1, 0
	s_lshr_b32 s3, s10, 16
	s_and_b32 s3, s3, 0xffff
	s_bitcmp0_b32 s9, 0
	s_mul_i32 s6, s6, s3
	v_add_lshl_u32 v5, s6, v1, 1
	v_mul_lo_u32 v6, v5, s1
	v_add_nc_u32_e32 v1, v6, v0
	v_ashrrev_i32_e32 v2, 31, v1
	v_mov_b32_e32 v4, v2
	v_mov_b32_e32 v3, v1
	s_cbranch_scc1 .LBB696_2
; %bb.1:
	s_abs_i32 s3, s8
	v_sub_nc_u32_e32 v7, 0, v6
	v_cvt_f32_u32_e32 v3, s3
	s_sub_i32 s6, 0, s3
	v_max_i32_e32 v7, v6, v7
	v_rcp_iflag_f32_e32 v3, v3
	v_xor_b32_e32 v6, s8, v6
	v_ashrrev_i32_e32 v6, 31, v6
	v_mul_f32_e32 v3, 0x4f7ffffe, v3
	v_cvt_u32_f32_e32 v3, v3
	v_mul_lo_u32 v4, s6, v3
	v_mul_hi_u32 v4, v3, v4
	v_add_nc_u32_e32 v3, v3, v4
	v_mul_hi_u32 v3, v7, v3
	v_mul_lo_u32 v4, v3, s3
	v_sub_nc_u32_e32 v4, v7, v4
	v_add_nc_u32_e32 v7, 1, v3
	v_subrev_nc_u32_e32 v8, s3, v4
	v_cmp_le_u32_e32 vcc_lo, s3, v4
	v_cndmask_b32_e32 v3, v3, v7, vcc_lo
	v_cndmask_b32_e32 v4, v4, v8, vcc_lo
	v_add_nc_u32_e32 v7, 1, v3
	v_cmp_le_u32_e32 vcc_lo, s3, v4
	v_cndmask_b32_e32 v3, v3, v7, vcc_lo
	v_xor_b32_e32 v3, v3, v6
	v_sub_nc_u32_e32 v3, v3, v6
	v_mad_u64_u32 v[3:4], null, v3, s1, v[0:1]
	v_ashrrev_i32_e32 v4, 31, v3
.LBB696_2:
	s_load_dwordx4 s[8:11], s[4:5], 0x0
	v_lshlrev_b64 v[1:2], 2, v[1:2]
	v_sub_nc_u32_e32 v11, s0, v5
	v_cmp_gt_i32_e64 s0, s2, v0
	v_mov_b32_e32 v8, 0xff800000
	v_mov_b32_e32 v7, 0xff800000
	v_cmp_lt_i32_e32 vcc_lo, 0, v11
	s_waitcnt lgkmcnt(0)
	v_add_co_u32 v5, s1, s10, v1
	v_add_co_ci_u32_e64 v6, null, s11, v2, s1
	s_and_b32 s10, s0, vcc_lo
	s_and_saveexec_b32 s1, s10
	s_cbranch_execz .LBB696_4
; %bb.3:
	global_load_dword v7, v[5:6], off
.LBB696_4:
	s_or_b32 exec_lo, exec_lo, s1
	v_cmp_lt_i32_e64 s1, 1, v11
	s_and_b32 s6, s0, s1
	s_and_saveexec_b32 s11, s6
	s_cbranch_execz .LBB696_6
; %bb.5:
	s_mov_b32 s3, 0
	s_lshl_b64 s[12:13], s[2:3], 2
	v_add_co_u32 v5, s1, v5, s12
	v_add_co_ci_u32_e64 v6, null, s13, v6, s1
	global_load_dword v8, v[5:6], off
.LBB696_6:
	s_or_b32 exec_lo, exec_lo, s11
	s_load_dwordx2 s[4:5], s[4:5], 0x20
	v_mov_b32_e32 v12, 0xff800000
	s_waitcnt lgkmcnt(0)
	v_add_co_u32 v5, s1, s4, v3
	v_add_co_ci_u32_e64 v6, null, s5, v4, s1
	s_and_saveexec_b32 s3, s10
	s_cbranch_execz .LBB696_8
; %bb.7:
	global_load_ubyte v0, v[5:6], off
	s_waitcnt vmcnt(0)
	v_and_b32_e32 v0, 1, v0
	v_cmp_eq_u32_e64 s1, 1, v0
	v_cndmask_b32_e64 v12, v7, 0xff800000, s1
.LBB696_8:
	s_or_b32 exec_lo, exec_lo, s3
	s_xor_b32 s3, s10, -1
	s_mov_b32 s1, 0
	s_and_saveexec_b32 s4, s6
	s_cbranch_execz .LBB696_12
; %bb.9:
	s_and_b32 s1, s7, exec_lo
	s_cselect_b32 s1, 0, s2
	s_cselect_b32 s5, 0, 0
	v_add_co_u32 v3, s1, v5, s1
	v_add_co_ci_u32_e64 v4, null, s5, v6, s1
	s_mov_b32 s5, 0
	global_load_ubyte v0, v[3:4], off
	s_waitcnt vmcnt(0)
	v_and_b32_e32 v0, 1, v0
	v_cmp_eq_u32_e64 s1, 1, v0
	s_xor_b32 s10, s1, -1
	s_and_saveexec_b32 s1, s10
; %bb.10:
	s_mov_b32 s5, exec_lo
; %bb.11:
	s_or_b32 exec_lo, exec_lo, s1
	s_and_b32 s1, s5, exec_lo
.LBB696_12:
	s_or_b32 exec_lo, exec_lo, s4
	s_waitcnt vmcnt(0)
	v_cndmask_b32_e64 v0, 0xff800000, v8, s1
                                        ; implicit-def: $vgpr9_vgpr10
	s_and_saveexec_b32 s1, s3
	s_xor_b32 s1, exec_lo, s1
; %bb.13:
	v_mov_b32_e32 v7, 0
	v_mov_b32_e32 v10, v8
                                        ; implicit-def: $vgpr12
	v_mov_b32_e32 v9, v7
                                        ; implicit-def: $vgpr8
                                        ; implicit-def: $vgpr7
; %bb.14:
	s_or_saveexec_b32 s3, s1
	v_mov_b32_e32 v3, 0
	s_xor_b32 s4, s6, -1
	v_mov_b32_e32 v4, v3
	s_xor_b32 exec_lo, exec_lo, s3
	s_cbranch_execz .LBB696_20
; %bb.15:
	global_load_ubyte v4, v[5:6], off
	s_waitcnt vmcnt(0)
	v_and_b32_e32 v9, 1, v4
	v_mov_b32_e32 v4, v8
	v_cmp_eq_u32_e64 s1, 1, v9
	v_mov_b32_e32 v10, v4
	v_mov_b32_e32 v9, v3
	s_xor_b32 s1, s1, -1
	s_and_saveexec_b32 s5, s1
	s_xor_b32 s5, exec_lo, s5
	s_cbranch_execz .LBB696_17
; %bb.16:
	v_sub_f32_e32 v4, v7, v12
	v_mov_b32_e32 v13, v3
	v_mul_f32_e32 v7, 0x3fb8aa3b, v4
	v_cmp_ngt_f32_e64 s1, 0xc2ce8ed0, v4
	v_fma_f32 v9, 0x3fb8aa3b, v4, -v7
	v_rndne_f32_e32 v10, v7
	v_fmamk_f32 v9, v4, 0x32a5705f, v9
	v_sub_f32_e32 v7, v7, v10
	v_add_f32_e32 v7, v7, v9
	v_cvt_i32_f32_e32 v9, v10
	v_exp_f32_e32 v7, v7
	v_ldexp_f32 v7, v7, v9
	v_cndmask_b32_e64 v7, 0, v7, s1
	v_cmp_nlt_f32_e64 s1, 0x42b17218, v4
	v_cndmask_b32_e64 v7, 0x7f800000, v7, s1
	v_mov_b32_e32 v10, v8
	v_mov_b32_e32 v12, v7
	;; [unrolled: 1-line block ×5, first 2 shown]
.LBB696_17:
	s_andn2_saveexec_b32 s1, s5
; %bb.18:
	v_mov_b32_e32 v3, 0
	v_mov_b32_e32 v4, v3
; %bb.19:
	s_or_b32 exec_lo, exec_lo, s1
.LBB696_20:
	s_or_b32 exec_lo, exec_lo, s3
                                        ; implicit-def: $vgpr7_vgpr8
	s_and_saveexec_b32 s1, s4
	s_xor_b32 s1, exec_lo, s1
	s_cbranch_execz .LBB696_23
; %bb.21:
	v_mov_b32_e32 v10, 0
	v_mov_b32_e32 v7, v9
                                        ; implicit-def: $vgpr5
                                        ; implicit-def: $vgpr0
	v_mov_b32_e32 v8, v10
                                        ; implicit-def: $vgpr9_vgpr10
	s_andn2_saveexec_b32 s3, s1
	s_cbranch_execnz .LBB696_24
.LBB696_22:
	s_or_b32 exec_lo, exec_lo, s3
	s_and_saveexec_b32 s1, vcc_lo
	s_cbranch_execnz .LBB696_27
	s_branch .LBB696_35
.LBB696_23:
	s_andn2_saveexec_b32 s3, s1
	s_cbranch_execz .LBB696_22
.LBB696_24:
	s_and_b32 s1, s7, exec_lo
	s_cselect_b32 s1, 0, s2
	s_cselect_b32 s4, 0, 0
	v_add_co_u32 v5, s1, v5, s1
	v_add_co_ci_u32_e64 v6, null, s4, v6, s1
	v_mov_b32_e32 v8, 0
	v_mov_b32_e32 v7, v9
	global_load_ubyte v5, v[5:6], off
	s_waitcnt vmcnt(0)
	v_and_b32_e32 v5, 1, v5
	v_cmp_eq_u32_e64 s1, 1, v5
	s_xor_b32 s1, s1, -1
	s_and_saveexec_b32 s4, s1
	s_xor_b32 s4, exec_lo, s4
	s_cbranch_execz .LBB696_26
; %bb.25:
	v_sub_f32_e32 v0, v10, v0
	v_mul_f32_e32 v5, 0x3fb8aa3b, v0
	v_cmp_ngt_f32_e64 s1, 0xc2ce8ed0, v0
	v_fma_f32 v6, 0x3fb8aa3b, v0, -v5
	v_rndne_f32_e32 v7, v5
	v_fmamk_f32 v6, v0, 0x32a5705f, v6
	v_sub_f32_e32 v5, v5, v7
	v_add_f32_e32 v5, v5, v6
	v_cvt_i32_f32_e32 v6, v7
	v_exp_f32_e32 v5, v5
	v_ldexp_f32 v5, v5, v6
	v_cndmask_b32_e64 v5, 0, v5, s1
	v_cmp_nlt_f32_e64 s1, 0x42b17218, v0
	v_cndmask_b32_e64 v10, 0x7f800000, v5, s1
	v_mov_b32_e32 v7, v9
	v_add_f32_e32 v4, v4, v10
	v_mov_b32_e32 v8, v10
.LBB696_26:
	s_andn2_saveexec_b32 s1, s4
	s_or_b32 exec_lo, exec_lo, s1
	s_or_b32 exec_lo, exec_lo, s3
	s_and_saveexec_b32 s1, vcc_lo
	s_cbranch_execz .LBB696_35
.LBB696_27:
	v_add_co_u32 v0, vcc_lo, s8, v1
	v_add_co_ci_u32_e64 v1, null, s9, v2, vcc_lo
	s_and_saveexec_b32 s1, s0
	s_cbranch_execz .LBB696_31
; %bb.28:
	v_mov_b32_e32 v2, 0x7fc00000
	s_mov_b32 s3, exec_lo
	v_cmpx_neq_f32_e32 0, v3
	s_cbranch_execz .LBB696_30
; %bb.29:
	v_div_scale_f32 v2, null, v3, v3, v7
	v_rcp_f32_e32 v5, v2
	v_fma_f32 v6, -v2, v5, 1.0
	v_fmac_f32_e32 v5, v6, v5
	v_div_scale_f32 v6, vcc_lo, v7, v3, v7
	v_mul_f32_e32 v9, v6, v5
	v_fma_f32 v10, -v2, v9, v6
	v_fmac_f32_e32 v9, v10, v5
	v_fma_f32 v2, -v2, v9, v6
	v_div_fmas_f32 v2, v2, v5, v9
	v_div_fixup_f32 v2, v2, v3, v7
.LBB696_30:
	s_or_b32 exec_lo, exec_lo, s3
	global_store_dword v[0:1], v2, off
.LBB696_31:
	s_or_b32 exec_lo, exec_lo, s1
	v_cmp_ne_u32_e32 vcc_lo, 1, v11
	s_and_b32 s0, vcc_lo, s0
	s_and_b32 exec_lo, exec_lo, s0
	s_cbranch_execz .LBB696_35
; %bb.32:
	v_mov_b32_e32 v2, 0x7fc00000
	s_mov_b32 s3, 0
	s_mov_b32 s0, exec_lo
	v_cmpx_neq_f32_e32 0, v4
	s_cbranch_execz .LBB696_34
; %bb.33:
	v_div_scale_f32 v2, null, v4, v4, v8
	v_rcp_f32_e32 v3, v2
	v_fma_f32 v5, -v2, v3, 1.0
	v_fmac_f32_e32 v3, v5, v3
	v_div_scale_f32 v5, vcc_lo, v8, v4, v8
	v_mul_f32_e32 v6, v5, v3
	v_fma_f32 v7, -v2, v6, v5
	v_fmac_f32_e32 v6, v7, v3
	v_fma_f32 v2, -v2, v6, v5
	v_div_fmas_f32 v2, v2, v3, v6
	v_div_fixup_f32 v2, v2, v4, v8
.LBB696_34:
	s_or_b32 exec_lo, exec_lo, s0
	s_lshl_b64 s[0:1], s[2:3], 2
	v_add_co_u32 v0, vcc_lo, v0, s0
	v_add_co_ci_u32_e64 v1, null, s1, v1, vcc_lo
	global_store_dword v[0:1], v2, off
	s_endpgm
.LBB696_35:
	s_endpgm
	.section	.rodata,"a",@progbits
	.p2align	6, 0x0
	.amdhsa_kernel _ZN12_GLOBAL__N_120softmax_warp_forwardIfffLi0ELb0ELb1ELi64EEEvPT0_PKT_iiiPKbib
		.amdhsa_group_segment_fixed_size 0
		.amdhsa_private_segment_fixed_size 0
		.amdhsa_kernarg_size 304
		.amdhsa_user_sgpr_count 6
		.amdhsa_user_sgpr_private_segment_buffer 1
		.amdhsa_user_sgpr_dispatch_ptr 0
		.amdhsa_user_sgpr_queue_ptr 0
		.amdhsa_user_sgpr_kernarg_segment_ptr 1
		.amdhsa_user_sgpr_dispatch_id 0
		.amdhsa_user_sgpr_flat_scratch_init 0
		.amdhsa_user_sgpr_private_segment_size 0
		.amdhsa_wavefront_size32 1
		.amdhsa_uses_dynamic_stack 0
		.amdhsa_system_sgpr_private_segment_wavefront_offset 0
		.amdhsa_system_sgpr_workgroup_id_x 1
		.amdhsa_system_sgpr_workgroup_id_y 0
		.amdhsa_system_sgpr_workgroup_id_z 0
		.amdhsa_system_sgpr_workgroup_info 0
		.amdhsa_system_vgpr_workitem_id 1
		.amdhsa_next_free_vgpr 14
		.amdhsa_next_free_sgpr 14
		.amdhsa_reserve_vcc 1
		.amdhsa_reserve_flat_scratch 0
		.amdhsa_float_round_mode_32 0
		.amdhsa_float_round_mode_16_64 0
		.amdhsa_float_denorm_mode_32 3
		.amdhsa_float_denorm_mode_16_64 3
		.amdhsa_dx10_clamp 1
		.amdhsa_ieee_mode 1
		.amdhsa_fp16_overflow 0
		.amdhsa_workgroup_processor_mode 1
		.amdhsa_memory_ordered 1
		.amdhsa_forward_progress 1
		.amdhsa_shared_vgpr_count 0
		.amdhsa_exception_fp_ieee_invalid_op 0
		.amdhsa_exception_fp_denorm_src 0
		.amdhsa_exception_fp_ieee_div_zero 0
		.amdhsa_exception_fp_ieee_overflow 0
		.amdhsa_exception_fp_ieee_underflow 0
		.amdhsa_exception_fp_ieee_inexact 0
		.amdhsa_exception_int_div_zero 0
	.end_amdhsa_kernel
	.section	.text._ZN12_GLOBAL__N_120softmax_warp_forwardIfffLi0ELb0ELb1ELi64EEEvPT0_PKT_iiiPKbib,"axG",@progbits,_ZN12_GLOBAL__N_120softmax_warp_forwardIfffLi0ELb0ELb1ELi64EEEvPT0_PKT_iiiPKbib,comdat
.Lfunc_end696:
	.size	_ZN12_GLOBAL__N_120softmax_warp_forwardIfffLi0ELb0ELb1ELi64EEEvPT0_PKT_iiiPKbib, .Lfunc_end696-_ZN12_GLOBAL__N_120softmax_warp_forwardIfffLi0ELb0ELb1ELi64EEEvPT0_PKT_iiiPKbib
                                        ; -- End function
	.set _ZN12_GLOBAL__N_120softmax_warp_forwardIfffLi0ELb0ELb1ELi64EEEvPT0_PKT_iiiPKbib.num_vgpr, 14
	.set _ZN12_GLOBAL__N_120softmax_warp_forwardIfffLi0ELb0ELb1ELi64EEEvPT0_PKT_iiiPKbib.num_agpr, 0
	.set _ZN12_GLOBAL__N_120softmax_warp_forwardIfffLi0ELb0ELb1ELi64EEEvPT0_PKT_iiiPKbib.numbered_sgpr, 14
	.set _ZN12_GLOBAL__N_120softmax_warp_forwardIfffLi0ELb0ELb1ELi64EEEvPT0_PKT_iiiPKbib.num_named_barrier, 0
	.set _ZN12_GLOBAL__N_120softmax_warp_forwardIfffLi0ELb0ELb1ELi64EEEvPT0_PKT_iiiPKbib.private_seg_size, 0
	.set _ZN12_GLOBAL__N_120softmax_warp_forwardIfffLi0ELb0ELb1ELi64EEEvPT0_PKT_iiiPKbib.uses_vcc, 1
	.set _ZN12_GLOBAL__N_120softmax_warp_forwardIfffLi0ELb0ELb1ELi64EEEvPT0_PKT_iiiPKbib.uses_flat_scratch, 0
	.set _ZN12_GLOBAL__N_120softmax_warp_forwardIfffLi0ELb0ELb1ELi64EEEvPT0_PKT_iiiPKbib.has_dyn_sized_stack, 0
	.set _ZN12_GLOBAL__N_120softmax_warp_forwardIfffLi0ELb0ELb1ELi64EEEvPT0_PKT_iiiPKbib.has_recursion, 0
	.set _ZN12_GLOBAL__N_120softmax_warp_forwardIfffLi0ELb0ELb1ELi64EEEvPT0_PKT_iiiPKbib.has_indirect_call, 0
	.section	.AMDGPU.csdata,"",@progbits
; Kernel info:
; codeLenInByte = 1372
; TotalNumSgprs: 16
; NumVgprs: 14
; ScratchSize: 0
; MemoryBound: 0
; FloatMode: 240
; IeeeMode: 1
; LDSByteSize: 0 bytes/workgroup (compile time only)
; SGPRBlocks: 0
; VGPRBlocks: 1
; NumSGPRsForWavesPerEU: 16
; NumVGPRsForWavesPerEU: 14
; Occupancy: 16
; WaveLimiterHint : 0
; COMPUTE_PGM_RSRC2:SCRATCH_EN: 0
; COMPUTE_PGM_RSRC2:USER_SGPR: 6
; COMPUTE_PGM_RSRC2:TRAP_HANDLER: 0
; COMPUTE_PGM_RSRC2:TGID_X_EN: 1
; COMPUTE_PGM_RSRC2:TGID_Y_EN: 0
; COMPUTE_PGM_RSRC2:TGID_Z_EN: 0
; COMPUTE_PGM_RSRC2:TIDIG_COMP_CNT: 1
	.section	.text._ZN12_GLOBAL__N_120softmax_warp_forwardIfffLi0ELb0ELb1ELi32EEEvPT0_PKT_iiiPKbib,"axG",@progbits,_ZN12_GLOBAL__N_120softmax_warp_forwardIfffLi0ELb0ELb1ELi32EEEvPT0_PKT_iiiPKbib,comdat
	.globl	_ZN12_GLOBAL__N_120softmax_warp_forwardIfffLi0ELb0ELb1ELi32EEEvPT0_PKT_iiiPKbib ; -- Begin function _ZN12_GLOBAL__N_120softmax_warp_forwardIfffLi0ELb0ELb1ELi32EEEvPT0_PKT_iiiPKbib
	.p2align	8
	.type	_ZN12_GLOBAL__N_120softmax_warp_forwardIfffLi0ELb0ELb1ELi32EEEvPT0_PKT_iiiPKbib,@function
_ZN12_GLOBAL__N_120softmax_warp_forwardIfffLi0ELb0ELb1ELi32EEEvPT0_PKT_iiiPKbib: ; @_ZN12_GLOBAL__N_120softmax_warp_forwardIfffLi0ELb0ELb1ELi32EEEvPT0_PKT_iiiPKbib
; %bb.0:
	s_clause 0x2
	s_load_dwordx2 s[8:9], s[4:5], 0x28
	s_load_dword s10, s[4:5], 0x3c
	s_load_dwordx4 s[0:3], s[4:5], 0x10
	s_waitcnt lgkmcnt(0)
	s_bitcmp1_b32 s9, 0
	s_cselect_b32 s7, -1, 0
	s_lshr_b32 s3, s10, 16
	s_and_b32 s3, s3, 0xffff
	s_bitcmp0_b32 s9, 0
	s_mul_i32 s6, s6, s3
	v_add_lshl_u32 v5, s6, v1, 1
	v_mul_lo_u32 v6, v5, s1
	v_add_nc_u32_e32 v1, v6, v0
	v_ashrrev_i32_e32 v2, 31, v1
	v_mov_b32_e32 v4, v2
	v_mov_b32_e32 v3, v1
	s_cbranch_scc1 .LBB697_2
; %bb.1:
	s_abs_i32 s3, s8
	v_sub_nc_u32_e32 v7, 0, v6
	v_cvt_f32_u32_e32 v3, s3
	s_sub_i32 s6, 0, s3
	v_max_i32_e32 v7, v6, v7
	v_rcp_iflag_f32_e32 v3, v3
	v_xor_b32_e32 v6, s8, v6
	v_ashrrev_i32_e32 v6, 31, v6
	v_mul_f32_e32 v3, 0x4f7ffffe, v3
	v_cvt_u32_f32_e32 v3, v3
	v_mul_lo_u32 v4, s6, v3
	v_mul_hi_u32 v4, v3, v4
	v_add_nc_u32_e32 v3, v3, v4
	v_mul_hi_u32 v3, v7, v3
	v_mul_lo_u32 v4, v3, s3
	v_sub_nc_u32_e32 v4, v7, v4
	v_add_nc_u32_e32 v7, 1, v3
	v_subrev_nc_u32_e32 v8, s3, v4
	v_cmp_le_u32_e32 vcc_lo, s3, v4
	v_cndmask_b32_e32 v3, v3, v7, vcc_lo
	v_cndmask_b32_e32 v4, v4, v8, vcc_lo
	v_add_nc_u32_e32 v7, 1, v3
	v_cmp_le_u32_e32 vcc_lo, s3, v4
	v_cndmask_b32_e32 v3, v3, v7, vcc_lo
	v_xor_b32_e32 v3, v3, v6
	v_sub_nc_u32_e32 v3, v3, v6
	v_mad_u64_u32 v[3:4], null, v3, s1, v[0:1]
	v_ashrrev_i32_e32 v4, 31, v3
.LBB697_2:
	s_load_dwordx4 s[8:11], s[4:5], 0x0
	v_lshlrev_b64 v[1:2], 2, v[1:2]
	v_sub_nc_u32_e32 v11, s0, v5
	v_cmp_gt_i32_e64 s0, s2, v0
	v_mov_b32_e32 v8, 0xff800000
	v_mov_b32_e32 v7, 0xff800000
	v_cmp_lt_i32_e32 vcc_lo, 0, v11
	s_waitcnt lgkmcnt(0)
	v_add_co_u32 v5, s1, s10, v1
	v_add_co_ci_u32_e64 v6, null, s11, v2, s1
	s_and_b32 s10, s0, vcc_lo
	s_and_saveexec_b32 s1, s10
	s_cbranch_execz .LBB697_4
; %bb.3:
	global_load_dword v7, v[5:6], off
.LBB697_4:
	s_or_b32 exec_lo, exec_lo, s1
	v_cmp_lt_i32_e64 s1, 1, v11
	s_and_b32 s6, s0, s1
	s_and_saveexec_b32 s11, s6
	s_cbranch_execz .LBB697_6
; %bb.5:
	s_mov_b32 s3, 0
	s_lshl_b64 s[12:13], s[2:3], 2
	v_add_co_u32 v5, s1, v5, s12
	v_add_co_ci_u32_e64 v6, null, s13, v6, s1
	global_load_dword v8, v[5:6], off
.LBB697_6:
	s_or_b32 exec_lo, exec_lo, s11
	s_load_dwordx2 s[4:5], s[4:5], 0x20
	v_mov_b32_e32 v12, 0xff800000
	s_waitcnt lgkmcnt(0)
	v_add_co_u32 v5, s1, s4, v3
	v_add_co_ci_u32_e64 v6, null, s5, v4, s1
	s_and_saveexec_b32 s3, s10
	s_cbranch_execz .LBB697_8
; %bb.7:
	global_load_ubyte v0, v[5:6], off
	s_waitcnt vmcnt(0)
	v_and_b32_e32 v0, 1, v0
	v_cmp_eq_u32_e64 s1, 1, v0
	v_cndmask_b32_e64 v12, v7, 0xff800000, s1
.LBB697_8:
	s_or_b32 exec_lo, exec_lo, s3
	s_xor_b32 s3, s10, -1
	s_mov_b32 s1, 0
	s_and_saveexec_b32 s4, s6
	s_cbranch_execz .LBB697_12
; %bb.9:
	s_and_b32 s1, s7, exec_lo
	s_cselect_b32 s1, 0, s2
	s_cselect_b32 s5, 0, 0
	v_add_co_u32 v3, s1, v5, s1
	v_add_co_ci_u32_e64 v4, null, s5, v6, s1
	s_mov_b32 s5, 0
	global_load_ubyte v0, v[3:4], off
	s_waitcnt vmcnt(0)
	v_and_b32_e32 v0, 1, v0
	v_cmp_eq_u32_e64 s1, 1, v0
	s_xor_b32 s10, s1, -1
	s_and_saveexec_b32 s1, s10
; %bb.10:
	s_mov_b32 s5, exec_lo
; %bb.11:
	s_or_b32 exec_lo, exec_lo, s1
	s_and_b32 s1, s5, exec_lo
.LBB697_12:
	s_or_b32 exec_lo, exec_lo, s4
	s_waitcnt vmcnt(0)
	v_cndmask_b32_e64 v0, 0xff800000, v8, s1
                                        ; implicit-def: $vgpr9_vgpr10
	s_and_saveexec_b32 s1, s3
	s_xor_b32 s1, exec_lo, s1
; %bb.13:
	v_mov_b32_e32 v7, 0
	v_mov_b32_e32 v10, v8
                                        ; implicit-def: $vgpr12
	v_mov_b32_e32 v9, v7
                                        ; implicit-def: $vgpr8
                                        ; implicit-def: $vgpr7
; %bb.14:
	s_or_saveexec_b32 s3, s1
	v_mov_b32_e32 v3, 0
	s_xor_b32 s4, s6, -1
	v_mov_b32_e32 v4, v3
	s_xor_b32 exec_lo, exec_lo, s3
	s_cbranch_execz .LBB697_20
; %bb.15:
	global_load_ubyte v4, v[5:6], off
	s_waitcnt vmcnt(0)
	v_and_b32_e32 v9, 1, v4
	v_mov_b32_e32 v4, v8
	v_cmp_eq_u32_e64 s1, 1, v9
	v_mov_b32_e32 v10, v4
	v_mov_b32_e32 v9, v3
	s_xor_b32 s1, s1, -1
	s_and_saveexec_b32 s5, s1
	s_xor_b32 s5, exec_lo, s5
	s_cbranch_execz .LBB697_17
; %bb.16:
	v_sub_f32_e32 v4, v7, v12
	v_mov_b32_e32 v13, v3
	v_mul_f32_e32 v7, 0x3fb8aa3b, v4
	v_cmp_ngt_f32_e64 s1, 0xc2ce8ed0, v4
	v_fma_f32 v9, 0x3fb8aa3b, v4, -v7
	v_rndne_f32_e32 v10, v7
	v_fmamk_f32 v9, v4, 0x32a5705f, v9
	v_sub_f32_e32 v7, v7, v10
	v_add_f32_e32 v7, v7, v9
	v_cvt_i32_f32_e32 v9, v10
	v_exp_f32_e32 v7, v7
	v_ldexp_f32 v7, v7, v9
	v_cndmask_b32_e64 v7, 0, v7, s1
	v_cmp_nlt_f32_e64 s1, 0x42b17218, v4
	v_cndmask_b32_e64 v7, 0x7f800000, v7, s1
	v_mov_b32_e32 v10, v8
	v_mov_b32_e32 v12, v7
	v_mov_b32_e32 v9, v7
	v_mov_b32_e32 v3, v12
	v_mov_b32_e32 v4, v13
.LBB697_17:
	s_andn2_saveexec_b32 s1, s5
; %bb.18:
	v_mov_b32_e32 v3, 0
	v_mov_b32_e32 v4, v3
; %bb.19:
	s_or_b32 exec_lo, exec_lo, s1
.LBB697_20:
	s_or_b32 exec_lo, exec_lo, s3
                                        ; implicit-def: $vgpr7_vgpr8
	s_and_saveexec_b32 s1, s4
	s_xor_b32 s1, exec_lo, s1
	s_cbranch_execz .LBB697_23
; %bb.21:
	v_mov_b32_e32 v10, 0
	v_mov_b32_e32 v7, v9
                                        ; implicit-def: $vgpr5
                                        ; implicit-def: $vgpr0
	v_mov_b32_e32 v8, v10
                                        ; implicit-def: $vgpr9_vgpr10
	s_andn2_saveexec_b32 s3, s1
	s_cbranch_execnz .LBB697_24
.LBB697_22:
	s_or_b32 exec_lo, exec_lo, s3
	s_and_saveexec_b32 s1, vcc_lo
	s_cbranch_execnz .LBB697_27
	s_branch .LBB697_35
.LBB697_23:
	s_andn2_saveexec_b32 s3, s1
	s_cbranch_execz .LBB697_22
.LBB697_24:
	s_and_b32 s1, s7, exec_lo
	s_cselect_b32 s1, 0, s2
	s_cselect_b32 s4, 0, 0
	v_add_co_u32 v5, s1, v5, s1
	v_add_co_ci_u32_e64 v6, null, s4, v6, s1
	v_mov_b32_e32 v8, 0
	v_mov_b32_e32 v7, v9
	global_load_ubyte v5, v[5:6], off
	s_waitcnt vmcnt(0)
	v_and_b32_e32 v5, 1, v5
	v_cmp_eq_u32_e64 s1, 1, v5
	s_xor_b32 s1, s1, -1
	s_and_saveexec_b32 s4, s1
	s_xor_b32 s4, exec_lo, s4
	s_cbranch_execz .LBB697_26
; %bb.25:
	v_sub_f32_e32 v0, v10, v0
	v_mul_f32_e32 v5, 0x3fb8aa3b, v0
	v_cmp_ngt_f32_e64 s1, 0xc2ce8ed0, v0
	v_fma_f32 v6, 0x3fb8aa3b, v0, -v5
	v_rndne_f32_e32 v7, v5
	v_fmamk_f32 v6, v0, 0x32a5705f, v6
	v_sub_f32_e32 v5, v5, v7
	v_add_f32_e32 v5, v5, v6
	v_cvt_i32_f32_e32 v6, v7
	v_exp_f32_e32 v5, v5
	v_ldexp_f32 v5, v5, v6
	v_cndmask_b32_e64 v5, 0, v5, s1
	v_cmp_nlt_f32_e64 s1, 0x42b17218, v0
	v_cndmask_b32_e64 v10, 0x7f800000, v5, s1
	v_mov_b32_e32 v7, v9
	v_add_f32_e32 v4, v4, v10
	v_mov_b32_e32 v8, v10
.LBB697_26:
	s_andn2_saveexec_b32 s1, s4
	s_or_b32 exec_lo, exec_lo, s1
	s_or_b32 exec_lo, exec_lo, s3
	s_and_saveexec_b32 s1, vcc_lo
	s_cbranch_execz .LBB697_35
.LBB697_27:
	v_add_co_u32 v0, vcc_lo, s8, v1
	v_add_co_ci_u32_e64 v1, null, s9, v2, vcc_lo
	s_and_saveexec_b32 s1, s0
	s_cbranch_execz .LBB697_31
; %bb.28:
	v_mov_b32_e32 v2, 0x7fc00000
	s_mov_b32 s3, exec_lo
	v_cmpx_neq_f32_e32 0, v3
	s_cbranch_execz .LBB697_30
; %bb.29:
	v_div_scale_f32 v2, null, v3, v3, v7
	v_rcp_f32_e32 v5, v2
	v_fma_f32 v6, -v2, v5, 1.0
	v_fmac_f32_e32 v5, v6, v5
	v_div_scale_f32 v6, vcc_lo, v7, v3, v7
	v_mul_f32_e32 v9, v6, v5
	v_fma_f32 v10, -v2, v9, v6
	v_fmac_f32_e32 v9, v10, v5
	v_fma_f32 v2, -v2, v9, v6
	v_div_fmas_f32 v2, v2, v5, v9
	v_div_fixup_f32 v2, v2, v3, v7
.LBB697_30:
	s_or_b32 exec_lo, exec_lo, s3
	global_store_dword v[0:1], v2, off
.LBB697_31:
	s_or_b32 exec_lo, exec_lo, s1
	v_cmp_ne_u32_e32 vcc_lo, 1, v11
	s_and_b32 s0, vcc_lo, s0
	s_and_b32 exec_lo, exec_lo, s0
	s_cbranch_execz .LBB697_35
; %bb.32:
	v_mov_b32_e32 v2, 0x7fc00000
	s_mov_b32 s3, 0
	s_mov_b32 s0, exec_lo
	v_cmpx_neq_f32_e32 0, v4
	s_cbranch_execz .LBB697_34
; %bb.33:
	v_div_scale_f32 v2, null, v4, v4, v8
	v_rcp_f32_e32 v3, v2
	v_fma_f32 v5, -v2, v3, 1.0
	v_fmac_f32_e32 v3, v5, v3
	v_div_scale_f32 v5, vcc_lo, v8, v4, v8
	v_mul_f32_e32 v6, v5, v3
	v_fma_f32 v7, -v2, v6, v5
	v_fmac_f32_e32 v6, v7, v3
	v_fma_f32 v2, -v2, v6, v5
	v_div_fmas_f32 v2, v2, v3, v6
	v_div_fixup_f32 v2, v2, v4, v8
.LBB697_34:
	s_or_b32 exec_lo, exec_lo, s0
	s_lshl_b64 s[0:1], s[2:3], 2
	v_add_co_u32 v0, vcc_lo, v0, s0
	v_add_co_ci_u32_e64 v1, null, s1, v1, vcc_lo
	global_store_dword v[0:1], v2, off
	s_endpgm
.LBB697_35:
	s_endpgm
	.section	.rodata,"a",@progbits
	.p2align	6, 0x0
	.amdhsa_kernel _ZN12_GLOBAL__N_120softmax_warp_forwardIfffLi0ELb0ELb1ELi32EEEvPT0_PKT_iiiPKbib
		.amdhsa_group_segment_fixed_size 0
		.amdhsa_private_segment_fixed_size 0
		.amdhsa_kernarg_size 304
		.amdhsa_user_sgpr_count 6
		.amdhsa_user_sgpr_private_segment_buffer 1
		.amdhsa_user_sgpr_dispatch_ptr 0
		.amdhsa_user_sgpr_queue_ptr 0
		.amdhsa_user_sgpr_kernarg_segment_ptr 1
		.amdhsa_user_sgpr_dispatch_id 0
		.amdhsa_user_sgpr_flat_scratch_init 0
		.amdhsa_user_sgpr_private_segment_size 0
		.amdhsa_wavefront_size32 1
		.amdhsa_uses_dynamic_stack 0
		.amdhsa_system_sgpr_private_segment_wavefront_offset 0
		.amdhsa_system_sgpr_workgroup_id_x 1
		.amdhsa_system_sgpr_workgroup_id_y 0
		.amdhsa_system_sgpr_workgroup_id_z 0
		.amdhsa_system_sgpr_workgroup_info 0
		.amdhsa_system_vgpr_workitem_id 1
		.amdhsa_next_free_vgpr 14
		.amdhsa_next_free_sgpr 14
		.amdhsa_reserve_vcc 1
		.amdhsa_reserve_flat_scratch 0
		.amdhsa_float_round_mode_32 0
		.amdhsa_float_round_mode_16_64 0
		.amdhsa_float_denorm_mode_32 3
		.amdhsa_float_denorm_mode_16_64 3
		.amdhsa_dx10_clamp 1
		.amdhsa_ieee_mode 1
		.amdhsa_fp16_overflow 0
		.amdhsa_workgroup_processor_mode 1
		.amdhsa_memory_ordered 1
		.amdhsa_forward_progress 1
		.amdhsa_shared_vgpr_count 0
		.amdhsa_exception_fp_ieee_invalid_op 0
		.amdhsa_exception_fp_denorm_src 0
		.amdhsa_exception_fp_ieee_div_zero 0
		.amdhsa_exception_fp_ieee_overflow 0
		.amdhsa_exception_fp_ieee_underflow 0
		.amdhsa_exception_fp_ieee_inexact 0
		.amdhsa_exception_int_div_zero 0
	.end_amdhsa_kernel
	.section	.text._ZN12_GLOBAL__N_120softmax_warp_forwardIfffLi0ELb0ELb1ELi32EEEvPT0_PKT_iiiPKbib,"axG",@progbits,_ZN12_GLOBAL__N_120softmax_warp_forwardIfffLi0ELb0ELb1ELi32EEEvPT0_PKT_iiiPKbib,comdat
.Lfunc_end697:
	.size	_ZN12_GLOBAL__N_120softmax_warp_forwardIfffLi0ELb0ELb1ELi32EEEvPT0_PKT_iiiPKbib, .Lfunc_end697-_ZN12_GLOBAL__N_120softmax_warp_forwardIfffLi0ELb0ELb1ELi32EEEvPT0_PKT_iiiPKbib
                                        ; -- End function
	.set _ZN12_GLOBAL__N_120softmax_warp_forwardIfffLi0ELb0ELb1ELi32EEEvPT0_PKT_iiiPKbib.num_vgpr, 14
	.set _ZN12_GLOBAL__N_120softmax_warp_forwardIfffLi0ELb0ELb1ELi32EEEvPT0_PKT_iiiPKbib.num_agpr, 0
	.set _ZN12_GLOBAL__N_120softmax_warp_forwardIfffLi0ELb0ELb1ELi32EEEvPT0_PKT_iiiPKbib.numbered_sgpr, 14
	.set _ZN12_GLOBAL__N_120softmax_warp_forwardIfffLi0ELb0ELb1ELi32EEEvPT0_PKT_iiiPKbib.num_named_barrier, 0
	.set _ZN12_GLOBAL__N_120softmax_warp_forwardIfffLi0ELb0ELb1ELi32EEEvPT0_PKT_iiiPKbib.private_seg_size, 0
	.set _ZN12_GLOBAL__N_120softmax_warp_forwardIfffLi0ELb0ELb1ELi32EEEvPT0_PKT_iiiPKbib.uses_vcc, 1
	.set _ZN12_GLOBAL__N_120softmax_warp_forwardIfffLi0ELb0ELb1ELi32EEEvPT0_PKT_iiiPKbib.uses_flat_scratch, 0
	.set _ZN12_GLOBAL__N_120softmax_warp_forwardIfffLi0ELb0ELb1ELi32EEEvPT0_PKT_iiiPKbib.has_dyn_sized_stack, 0
	.set _ZN12_GLOBAL__N_120softmax_warp_forwardIfffLi0ELb0ELb1ELi32EEEvPT0_PKT_iiiPKbib.has_recursion, 0
	.set _ZN12_GLOBAL__N_120softmax_warp_forwardIfffLi0ELb0ELb1ELi32EEEvPT0_PKT_iiiPKbib.has_indirect_call, 0
	.section	.AMDGPU.csdata,"",@progbits
; Kernel info:
; codeLenInByte = 1372
; TotalNumSgprs: 16
; NumVgprs: 14
; ScratchSize: 0
; MemoryBound: 0
; FloatMode: 240
; IeeeMode: 1
; LDSByteSize: 0 bytes/workgroup (compile time only)
; SGPRBlocks: 0
; VGPRBlocks: 1
; NumSGPRsForWavesPerEU: 16
; NumVGPRsForWavesPerEU: 14
; Occupancy: 16
; WaveLimiterHint : 0
; COMPUTE_PGM_RSRC2:SCRATCH_EN: 0
; COMPUTE_PGM_RSRC2:USER_SGPR: 6
; COMPUTE_PGM_RSRC2:TRAP_HANDLER: 0
; COMPUTE_PGM_RSRC2:TGID_X_EN: 1
; COMPUTE_PGM_RSRC2:TGID_Y_EN: 0
; COMPUTE_PGM_RSRC2:TGID_Z_EN: 0
; COMPUTE_PGM_RSRC2:TIDIG_COMP_CNT: 1
	.section	.text._ZN12_GLOBAL__N_120softmax_warp_forwardIfffLi1ELb0ELb1ELi64EEEvPT0_PKT_iiiPKbib,"axG",@progbits,_ZN12_GLOBAL__N_120softmax_warp_forwardIfffLi1ELb0ELb1ELi64EEEvPT0_PKT_iiiPKbib,comdat
	.globl	_ZN12_GLOBAL__N_120softmax_warp_forwardIfffLi1ELb0ELb1ELi64EEEvPT0_PKT_iiiPKbib ; -- Begin function _ZN12_GLOBAL__N_120softmax_warp_forwardIfffLi1ELb0ELb1ELi64EEEvPT0_PKT_iiiPKbib
	.p2align	8
	.type	_ZN12_GLOBAL__N_120softmax_warp_forwardIfffLi1ELb0ELb1ELi64EEEvPT0_PKT_iiiPKbib,@function
_ZN12_GLOBAL__N_120softmax_warp_forwardIfffLi1ELb0ELb1ELi64EEEvPT0_PKT_iiiPKbib: ; @_ZN12_GLOBAL__N_120softmax_warp_forwardIfffLi1ELb0ELb1ELi64EEEvPT0_PKT_iiiPKbib
; %bb.0:
	s_clause 0x2
	s_load_dwordx2 s[8:9], s[4:5], 0x28
	s_load_dword s10, s[4:5], 0x3c
	s_load_dwordx4 s[0:3], s[4:5], 0x10
	s_waitcnt lgkmcnt(0)
	s_bitcmp1_b32 s9, 0
	s_cselect_b32 s7, -1, 0
	s_lshr_b32 s3, s10, 16
	s_and_b32 s3, s3, 0xffff
	s_bitcmp0_b32 s9, 0
	s_mul_i32 s6, s6, s3
	v_add_lshl_u32 v5, s6, v1, 1
	v_mul_lo_u32 v6, v5, s1
	v_add_nc_u32_e32 v1, v6, v0
	v_ashrrev_i32_e32 v2, 31, v1
	v_mov_b32_e32 v4, v2
	v_mov_b32_e32 v3, v1
	s_cbranch_scc1 .LBB698_2
; %bb.1:
	s_abs_i32 s3, s8
	v_sub_nc_u32_e32 v7, 0, v6
	v_cvt_f32_u32_e32 v3, s3
	s_sub_i32 s6, 0, s3
	v_max_i32_e32 v7, v6, v7
	v_rcp_iflag_f32_e32 v3, v3
	v_xor_b32_e32 v6, s8, v6
	v_ashrrev_i32_e32 v6, 31, v6
	v_mul_f32_e32 v3, 0x4f7ffffe, v3
	v_cvt_u32_f32_e32 v3, v3
	v_mul_lo_u32 v4, s6, v3
	v_mul_hi_u32 v4, v3, v4
	v_add_nc_u32_e32 v3, v3, v4
	v_mul_hi_u32 v3, v7, v3
	v_mul_lo_u32 v4, v3, s3
	v_sub_nc_u32_e32 v4, v7, v4
	v_add_nc_u32_e32 v7, 1, v3
	v_subrev_nc_u32_e32 v8, s3, v4
	v_cmp_le_u32_e32 vcc_lo, s3, v4
	v_cndmask_b32_e32 v3, v3, v7, vcc_lo
	v_cndmask_b32_e32 v4, v4, v8, vcc_lo
	v_add_nc_u32_e32 v7, 1, v3
	v_cmp_le_u32_e32 vcc_lo, s3, v4
	v_cndmask_b32_e32 v3, v3, v7, vcc_lo
	v_xor_b32_e32 v3, v3, v6
	v_sub_nc_u32_e32 v3, v3, v6
	v_mad_u64_u32 v[3:4], null, v3, s1, v[0:1]
	v_ashrrev_i32_e32 v4, 31, v3
.LBB698_2:
	s_load_dwordx4 s[8:11], s[4:5], 0x0
	v_lshlrev_b64 v[1:2], 2, v[1:2]
	v_sub_nc_u32_e32 v11, s0, v5
	v_cmp_gt_i32_e64 s0, s2, v0
	v_mov_b32_e32 v8, 0xff800000
	v_mov_b32_e32 v7, 0xff800000
	v_cmp_lt_i32_e32 vcc_lo, 0, v11
	s_waitcnt lgkmcnt(0)
	v_add_co_u32 v5, s1, s10, v1
	v_add_co_ci_u32_e64 v6, null, s11, v2, s1
	s_and_b32 s10, s0, vcc_lo
	s_and_saveexec_b32 s1, s10
	s_cbranch_execz .LBB698_4
; %bb.3:
	global_load_dword v7, v[5:6], off
.LBB698_4:
	s_or_b32 exec_lo, exec_lo, s1
	v_cmp_lt_i32_e64 s1, 1, v11
	s_and_b32 s6, s0, s1
	s_and_saveexec_b32 s11, s6
	s_cbranch_execz .LBB698_6
; %bb.5:
	s_mov_b32 s3, 0
	s_lshl_b64 s[12:13], s[2:3], 2
	v_add_co_u32 v5, s1, v5, s12
	v_add_co_ci_u32_e64 v6, null, s13, v6, s1
	global_load_dword v8, v[5:6], off
.LBB698_6:
	s_or_b32 exec_lo, exec_lo, s11
	s_load_dwordx2 s[4:5], s[4:5], 0x20
	v_mov_b32_e32 v14, 0xff800000
	s_waitcnt lgkmcnt(0)
	v_add_co_u32 v5, s1, s4, v3
	v_add_co_ci_u32_e64 v6, null, s5, v4, s1
	s_and_saveexec_b32 s3, s10
	s_cbranch_execz .LBB698_8
; %bb.7:
	global_load_ubyte v0, v[5:6], off
	s_waitcnt vmcnt(0)
	v_and_b32_e32 v0, 1, v0
	v_cmp_eq_u32_e64 s1, 1, v0
	v_cndmask_b32_e64 v14, v7, 0xff800000, s1
.LBB698_8:
	s_or_b32 exec_lo, exec_lo, s3
	s_xor_b32 s3, s10, -1
	s_mov_b32 s5, 0
	s_and_saveexec_b32 s4, s6
	s_cbranch_execz .LBB698_12
; %bb.9:
	s_and_b32 s1, s7, exec_lo
	s_cselect_b32 s1, 0, s2
	s_cselect_b32 s5, 0, 0
	v_add_co_u32 v3, s1, v5, s1
	v_add_co_ci_u32_e64 v4, null, s5, v6, s1
	s_mov_b32 s5, 0
	global_load_ubyte v0, v[3:4], off
	s_waitcnt vmcnt(0)
	v_and_b32_e32 v0, 1, v0
	v_cmp_eq_u32_e64 s1, 1, v0
	s_xor_b32 s10, s1, -1
	s_and_saveexec_b32 s1, s10
; %bb.10:
	s_mov_b32 s5, exec_lo
; %bb.11:
	s_or_b32 exec_lo, exec_lo, s1
	s_and_b32 s5, s5, exec_lo
.LBB698_12:
	s_or_b32 exec_lo, exec_lo, s4
	v_mbcnt_lo_u32_b32 v0, -1, 0
	s_waitcnt vmcnt(0)
	v_cndmask_b32_e64 v12, 0xff800000, v8, s5
                                        ; implicit-def: $vgpr9_vgpr10
	v_and_b32_e32 v3, 30, v0
	v_xor_b32_e32 v4, 1, v0
	v_add_nc_u32_e32 v3, 2, v3
	v_cmp_lt_i32_e64 s1, v4, v3
	v_cndmask_b32_e64 v0, v0, v4, s1
	v_lshlrev_b32_e32 v0, 2, v0
	ds_bpermute_b32 v15, v0, v14
	ds_bpermute_b32 v13, v0, v12
	s_and_saveexec_b32 s1, s3
	s_xor_b32 s1, exec_lo, s1
; %bb.13:
	v_mov_b32_e32 v7, 0
	v_mov_b32_e32 v10, v8
                                        ; implicit-def: $vgpr14
                                        ; implicit-def: $vgpr15
	v_mov_b32_e32 v9, v7
                                        ; implicit-def: $vgpr8
                                        ; implicit-def: $vgpr7
; %bb.14:
	s_or_saveexec_b32 s3, s1
	v_mov_b32_e32 v3, 0
	s_xor_b32 s4, s6, -1
	v_mov_b32_e32 v4, v3
	s_xor_b32 exec_lo, exec_lo, s3
	s_cbranch_execz .LBB698_20
; %bb.15:
	global_load_ubyte v4, v[5:6], off
	s_waitcnt vmcnt(0)
	v_and_b32_e32 v9, 1, v4
	v_mov_b32_e32 v4, v8
	v_cmp_eq_u32_e64 s1, 1, v9
	v_mov_b32_e32 v10, v4
	v_mov_b32_e32 v9, v3
	s_xor_b32 s1, s1, -1
	s_and_saveexec_b32 s5, s1
	s_xor_b32 s5, exec_lo, s5
	s_cbranch_execz .LBB698_17
; %bb.16:
	s_waitcnt lgkmcnt(1)
	v_cmp_lt_f32_e64 s1, v14, v15
	v_cndmask_b32_e64 v4, v14, v15, s1
	v_mov_b32_e32 v15, v3
	v_sub_f32_e32 v4, v7, v4
	v_mul_f32_e32 v7, 0x3fb8aa3b, v4
	v_cmp_ngt_f32_e64 s1, 0xc2ce8ed0, v4
	v_fma_f32 v9, 0x3fb8aa3b, v4, -v7
	v_rndne_f32_e32 v10, v7
	v_fmamk_f32 v9, v4, 0x32a5705f, v9
	v_sub_f32_e32 v7, v7, v10
	v_add_f32_e32 v7, v7, v9
	v_cvt_i32_f32_e32 v9, v10
	v_exp_f32_e32 v7, v7
	v_ldexp_f32 v7, v7, v9
	v_cndmask_b32_e64 v7, 0, v7, s1
	v_cmp_nlt_f32_e64 s1, 0x42b17218, v4
	v_cndmask_b32_e64 v7, 0x7f800000, v7, s1
	v_mov_b32_e32 v10, v8
	v_mov_b32_e32 v14, v7
	;; [unrolled: 1-line block ×5, first 2 shown]
.LBB698_17:
	s_andn2_saveexec_b32 s1, s5
; %bb.18:
	v_mov_b32_e32 v3, 0
	v_mov_b32_e32 v4, v3
; %bb.19:
	s_or_b32 exec_lo, exec_lo, s1
.LBB698_20:
	s_or_b32 exec_lo, exec_lo, s3
                                        ; implicit-def: $vgpr7_vgpr8
	s_and_saveexec_b32 s1, s4
	s_xor_b32 s1, exec_lo, s1
	s_cbranch_execz .LBB698_22
; %bb.21:
	v_mov_b32_e32 v10, 0
	v_mov_b32_e32 v7, v9
                                        ; implicit-def: $vgpr5
                                        ; implicit-def: $vgpr12
                                        ; implicit-def: $vgpr13
	v_mov_b32_e32 v8, v10
                                        ; implicit-def: $vgpr9_vgpr10
	s_andn2_saveexec_b32 s3, s1
	s_cbranch_execz .LBB698_26
	s_branch .LBB698_23
.LBB698_22:
	s_andn2_saveexec_b32 s3, s1
	s_cbranch_execz .LBB698_26
.LBB698_23:
	s_and_b32 s1, s7, exec_lo
	s_cselect_b32 s1, 0, s2
	s_cselect_b32 s4, 0, 0
	v_add_co_u32 v5, s1, v5, s1
	v_add_co_ci_u32_e64 v6, null, s4, v6, s1
	v_mov_b32_e32 v8, 0
	v_mov_b32_e32 v7, v9
	global_load_ubyte v5, v[5:6], off
	s_waitcnt vmcnt(0)
	v_and_b32_e32 v5, 1, v5
	v_cmp_eq_u32_e64 s1, 1, v5
	s_xor_b32 s1, s1, -1
	s_and_saveexec_b32 s4, s1
	s_xor_b32 s4, exec_lo, s4
	s_cbranch_execz .LBB698_25
; %bb.24:
	s_waitcnt lgkmcnt(0)
	v_cmp_lt_f32_e64 s1, v12, v13
	v_cndmask_b32_e64 v5, v12, v13, s1
	v_sub_f32_e32 v5, v10, v5
	v_mul_f32_e32 v6, 0x3fb8aa3b, v5
	v_cmp_ngt_f32_e64 s1, 0xc2ce8ed0, v5
	v_fma_f32 v7, 0x3fb8aa3b, v5, -v6
	v_rndne_f32_e32 v8, v6
	v_fmamk_f32 v7, v5, 0x32a5705f, v7
	v_sub_f32_e32 v6, v6, v8
	v_add_f32_e32 v6, v6, v7
	v_cvt_i32_f32_e32 v7, v8
	v_exp_f32_e32 v6, v6
	v_ldexp_f32 v6, v6, v7
	v_cndmask_b32_e64 v6, 0, v6, s1
	v_cmp_nlt_f32_e64 s1, 0x42b17218, v5
	v_cndmask_b32_e64 v10, 0x7f800000, v6, s1
	v_mov_b32_e32 v7, v9
	v_add_f32_e32 v4, v4, v10
	v_mov_b32_e32 v8, v10
.LBB698_25:
	s_andn2_saveexec_b32 s1, s4
	s_or_b32 exec_lo, exec_lo, s1
.LBB698_26:
	s_or_b32 exec_lo, exec_lo, s3
	ds_bpermute_b32 v6, v0, v3
	ds_bpermute_b32 v5, v0, v4
	s_and_saveexec_b32 s1, vcc_lo
	s_cbranch_execz .LBB698_35
; %bb.27:
	v_add_co_u32 v0, vcc_lo, s8, v1
	v_add_co_ci_u32_e64 v1, null, s9, v2, vcc_lo
	s_and_saveexec_b32 s1, s0
	s_cbranch_execz .LBB698_31
; %bb.28:
	s_waitcnt lgkmcnt(1)
	v_add_f32_e32 v2, v3, v6
	v_mov_b32_e32 v3, 0x7fc00000
	s_mov_b32 s3, exec_lo
	v_cmpx_neq_f32_e32 0, v2
	s_cbranch_execz .LBB698_30
; %bb.29:
	v_div_scale_f32 v3, null, v2, v2, v7
	v_rcp_f32_e32 v6, v3
	v_fma_f32 v9, -v3, v6, 1.0
	v_fmac_f32_e32 v6, v9, v6
	v_div_scale_f32 v9, vcc_lo, v7, v2, v7
	v_mul_f32_e32 v10, v9, v6
	v_fma_f32 v12, -v3, v10, v9
	v_fmac_f32_e32 v10, v12, v6
	v_fma_f32 v3, -v3, v10, v9
	v_div_fmas_f32 v3, v3, v6, v10
	v_div_fixup_f32 v3, v3, v2, v7
.LBB698_30:
	s_or_b32 exec_lo, exec_lo, s3
	global_store_dword v[0:1], v3, off
.LBB698_31:
	s_or_b32 exec_lo, exec_lo, s1
	v_cmp_ne_u32_e32 vcc_lo, 1, v11
	s_and_b32 s0, vcc_lo, s0
	s_and_b32 exec_lo, exec_lo, s0
	s_cbranch_execz .LBB698_35
; %bb.32:
	s_waitcnt lgkmcnt(0)
	v_add_f32_e32 v2, v4, v5
	v_mov_b32_e32 v3, 0x7fc00000
	s_mov_b32 s3, 0
	s_mov_b32 s0, exec_lo
	v_cmpx_neq_f32_e32 0, v2
	s_cbranch_execz .LBB698_34
; %bb.33:
	v_div_scale_f32 v3, null, v2, v2, v8
	v_rcp_f32_e32 v4, v3
	v_fma_f32 v5, -v3, v4, 1.0
	v_fmac_f32_e32 v4, v5, v4
	v_div_scale_f32 v5, vcc_lo, v8, v2, v8
	v_mul_f32_e32 v6, v5, v4
	v_fma_f32 v7, -v3, v6, v5
	v_fmac_f32_e32 v6, v7, v4
	v_fma_f32 v3, -v3, v6, v5
	v_div_fmas_f32 v3, v3, v4, v6
	v_div_fixup_f32 v3, v3, v2, v8
.LBB698_34:
	s_or_b32 exec_lo, exec_lo, s0
	s_lshl_b64 s[0:1], s[2:3], 2
	v_add_co_u32 v0, vcc_lo, v0, s0
	v_add_co_ci_u32_e64 v1, null, s1, v1, vcc_lo
	global_store_dword v[0:1], v3, off
.LBB698_35:
	s_endpgm
	.section	.rodata,"a",@progbits
	.p2align	6, 0x0
	.amdhsa_kernel _ZN12_GLOBAL__N_120softmax_warp_forwardIfffLi1ELb0ELb1ELi64EEEvPT0_PKT_iiiPKbib
		.amdhsa_group_segment_fixed_size 0
		.amdhsa_private_segment_fixed_size 0
		.amdhsa_kernarg_size 304
		.amdhsa_user_sgpr_count 6
		.amdhsa_user_sgpr_private_segment_buffer 1
		.amdhsa_user_sgpr_dispatch_ptr 0
		.amdhsa_user_sgpr_queue_ptr 0
		.amdhsa_user_sgpr_kernarg_segment_ptr 1
		.amdhsa_user_sgpr_dispatch_id 0
		.amdhsa_user_sgpr_flat_scratch_init 0
		.amdhsa_user_sgpr_private_segment_size 0
		.amdhsa_wavefront_size32 1
		.amdhsa_uses_dynamic_stack 0
		.amdhsa_system_sgpr_private_segment_wavefront_offset 0
		.amdhsa_system_sgpr_workgroup_id_x 1
		.amdhsa_system_sgpr_workgroup_id_y 0
		.amdhsa_system_sgpr_workgroup_id_z 0
		.amdhsa_system_sgpr_workgroup_info 0
		.amdhsa_system_vgpr_workitem_id 1
		.amdhsa_next_free_vgpr 16
		.amdhsa_next_free_sgpr 14
		.amdhsa_reserve_vcc 1
		.amdhsa_reserve_flat_scratch 0
		.amdhsa_float_round_mode_32 0
		.amdhsa_float_round_mode_16_64 0
		.amdhsa_float_denorm_mode_32 3
		.amdhsa_float_denorm_mode_16_64 3
		.amdhsa_dx10_clamp 1
		.amdhsa_ieee_mode 1
		.amdhsa_fp16_overflow 0
		.amdhsa_workgroup_processor_mode 1
		.amdhsa_memory_ordered 1
		.amdhsa_forward_progress 1
		.amdhsa_shared_vgpr_count 0
		.amdhsa_exception_fp_ieee_invalid_op 0
		.amdhsa_exception_fp_denorm_src 0
		.amdhsa_exception_fp_ieee_div_zero 0
		.amdhsa_exception_fp_ieee_overflow 0
		.amdhsa_exception_fp_ieee_underflow 0
		.amdhsa_exception_fp_ieee_inexact 0
		.amdhsa_exception_int_div_zero 0
	.end_amdhsa_kernel
	.section	.text._ZN12_GLOBAL__N_120softmax_warp_forwardIfffLi1ELb0ELb1ELi64EEEvPT0_PKT_iiiPKbib,"axG",@progbits,_ZN12_GLOBAL__N_120softmax_warp_forwardIfffLi1ELb0ELb1ELi64EEEvPT0_PKT_iiiPKbib,comdat
.Lfunc_end698:
	.size	_ZN12_GLOBAL__N_120softmax_warp_forwardIfffLi1ELb0ELb1ELi64EEEvPT0_PKT_iiiPKbib, .Lfunc_end698-_ZN12_GLOBAL__N_120softmax_warp_forwardIfffLi1ELb0ELb1ELi64EEEvPT0_PKT_iiiPKbib
                                        ; -- End function
	.set _ZN12_GLOBAL__N_120softmax_warp_forwardIfffLi1ELb0ELb1ELi64EEEvPT0_PKT_iiiPKbib.num_vgpr, 16
	.set _ZN12_GLOBAL__N_120softmax_warp_forwardIfffLi1ELb0ELb1ELi64EEEvPT0_PKT_iiiPKbib.num_agpr, 0
	.set _ZN12_GLOBAL__N_120softmax_warp_forwardIfffLi1ELb0ELb1ELi64EEEvPT0_PKT_iiiPKbib.numbered_sgpr, 14
	.set _ZN12_GLOBAL__N_120softmax_warp_forwardIfffLi1ELb0ELb1ELi64EEEvPT0_PKT_iiiPKbib.num_named_barrier, 0
	.set _ZN12_GLOBAL__N_120softmax_warp_forwardIfffLi1ELb0ELb1ELi64EEEvPT0_PKT_iiiPKbib.private_seg_size, 0
	.set _ZN12_GLOBAL__N_120softmax_warp_forwardIfffLi1ELb0ELb1ELi64EEEvPT0_PKT_iiiPKbib.uses_vcc, 1
	.set _ZN12_GLOBAL__N_120softmax_warp_forwardIfffLi1ELb0ELb1ELi64EEEvPT0_PKT_iiiPKbib.uses_flat_scratch, 0
	.set _ZN12_GLOBAL__N_120softmax_warp_forwardIfffLi1ELb0ELb1ELi64EEEvPT0_PKT_iiiPKbib.has_dyn_sized_stack, 0
	.set _ZN12_GLOBAL__N_120softmax_warp_forwardIfffLi1ELb0ELb1ELi64EEEvPT0_PKT_iiiPKbib.has_recursion, 0
	.set _ZN12_GLOBAL__N_120softmax_warp_forwardIfffLi1ELb0ELb1ELi64EEEvPT0_PKT_iiiPKbib.has_indirect_call, 0
	.section	.AMDGPU.csdata,"",@progbits
; Kernel info:
; codeLenInByte = 1484
; TotalNumSgprs: 16
; NumVgprs: 16
; ScratchSize: 0
; MemoryBound: 0
; FloatMode: 240
; IeeeMode: 1
; LDSByteSize: 0 bytes/workgroup (compile time only)
; SGPRBlocks: 0
; VGPRBlocks: 1
; NumSGPRsForWavesPerEU: 16
; NumVGPRsForWavesPerEU: 16
; Occupancy: 16
; WaveLimiterHint : 0
; COMPUTE_PGM_RSRC2:SCRATCH_EN: 0
; COMPUTE_PGM_RSRC2:USER_SGPR: 6
; COMPUTE_PGM_RSRC2:TRAP_HANDLER: 0
; COMPUTE_PGM_RSRC2:TGID_X_EN: 1
; COMPUTE_PGM_RSRC2:TGID_Y_EN: 0
; COMPUTE_PGM_RSRC2:TGID_Z_EN: 0
; COMPUTE_PGM_RSRC2:TIDIG_COMP_CNT: 1
	.section	.text._ZN12_GLOBAL__N_120softmax_warp_forwardIfffLi1ELb0ELb1ELi32EEEvPT0_PKT_iiiPKbib,"axG",@progbits,_ZN12_GLOBAL__N_120softmax_warp_forwardIfffLi1ELb0ELb1ELi32EEEvPT0_PKT_iiiPKbib,comdat
	.globl	_ZN12_GLOBAL__N_120softmax_warp_forwardIfffLi1ELb0ELb1ELi32EEEvPT0_PKT_iiiPKbib ; -- Begin function _ZN12_GLOBAL__N_120softmax_warp_forwardIfffLi1ELb0ELb1ELi32EEEvPT0_PKT_iiiPKbib
	.p2align	8
	.type	_ZN12_GLOBAL__N_120softmax_warp_forwardIfffLi1ELb0ELb1ELi32EEEvPT0_PKT_iiiPKbib,@function
_ZN12_GLOBAL__N_120softmax_warp_forwardIfffLi1ELb0ELb1ELi32EEEvPT0_PKT_iiiPKbib: ; @_ZN12_GLOBAL__N_120softmax_warp_forwardIfffLi1ELb0ELb1ELi32EEEvPT0_PKT_iiiPKbib
; %bb.0:
	s_clause 0x2
	s_load_dwordx2 s[8:9], s[4:5], 0x28
	s_load_dword s10, s[4:5], 0x3c
	s_load_dwordx4 s[0:3], s[4:5], 0x10
	s_waitcnt lgkmcnt(0)
	s_bitcmp1_b32 s9, 0
	s_cselect_b32 s7, -1, 0
	s_lshr_b32 s3, s10, 16
	s_and_b32 s3, s3, 0xffff
	s_bitcmp0_b32 s9, 0
	s_mul_i32 s6, s6, s3
	v_add_lshl_u32 v5, s6, v1, 1
	v_mul_lo_u32 v6, v5, s1
	v_add_nc_u32_e32 v1, v6, v0
	v_ashrrev_i32_e32 v2, 31, v1
	v_mov_b32_e32 v4, v2
	v_mov_b32_e32 v3, v1
	s_cbranch_scc1 .LBB699_2
; %bb.1:
	s_abs_i32 s3, s8
	v_sub_nc_u32_e32 v7, 0, v6
	v_cvt_f32_u32_e32 v3, s3
	s_sub_i32 s6, 0, s3
	v_max_i32_e32 v7, v6, v7
	v_rcp_iflag_f32_e32 v3, v3
	v_xor_b32_e32 v6, s8, v6
	v_ashrrev_i32_e32 v6, 31, v6
	v_mul_f32_e32 v3, 0x4f7ffffe, v3
	v_cvt_u32_f32_e32 v3, v3
	v_mul_lo_u32 v4, s6, v3
	v_mul_hi_u32 v4, v3, v4
	v_add_nc_u32_e32 v3, v3, v4
	v_mul_hi_u32 v3, v7, v3
	v_mul_lo_u32 v4, v3, s3
	v_sub_nc_u32_e32 v4, v7, v4
	v_add_nc_u32_e32 v7, 1, v3
	v_subrev_nc_u32_e32 v8, s3, v4
	v_cmp_le_u32_e32 vcc_lo, s3, v4
	v_cndmask_b32_e32 v3, v3, v7, vcc_lo
	v_cndmask_b32_e32 v4, v4, v8, vcc_lo
	v_add_nc_u32_e32 v7, 1, v3
	v_cmp_le_u32_e32 vcc_lo, s3, v4
	v_cndmask_b32_e32 v3, v3, v7, vcc_lo
	v_xor_b32_e32 v3, v3, v6
	v_sub_nc_u32_e32 v3, v3, v6
	v_mad_u64_u32 v[3:4], null, v3, s1, v[0:1]
	v_ashrrev_i32_e32 v4, 31, v3
.LBB699_2:
	s_load_dwordx4 s[8:11], s[4:5], 0x0
	v_lshlrev_b64 v[1:2], 2, v[1:2]
	v_sub_nc_u32_e32 v11, s0, v5
	v_cmp_gt_i32_e64 s0, s2, v0
	v_mov_b32_e32 v8, 0xff800000
	v_mov_b32_e32 v7, 0xff800000
	v_cmp_lt_i32_e32 vcc_lo, 0, v11
	s_waitcnt lgkmcnt(0)
	v_add_co_u32 v5, s1, s10, v1
	v_add_co_ci_u32_e64 v6, null, s11, v2, s1
	s_and_b32 s10, s0, vcc_lo
	s_and_saveexec_b32 s1, s10
	s_cbranch_execz .LBB699_4
; %bb.3:
	global_load_dword v7, v[5:6], off
.LBB699_4:
	s_or_b32 exec_lo, exec_lo, s1
	v_cmp_lt_i32_e64 s1, 1, v11
	s_and_b32 s6, s0, s1
	s_and_saveexec_b32 s11, s6
	s_cbranch_execz .LBB699_6
; %bb.5:
	s_mov_b32 s3, 0
	s_lshl_b64 s[12:13], s[2:3], 2
	v_add_co_u32 v5, s1, v5, s12
	v_add_co_ci_u32_e64 v6, null, s13, v6, s1
	global_load_dword v8, v[5:6], off
.LBB699_6:
	s_or_b32 exec_lo, exec_lo, s11
	s_load_dwordx2 s[4:5], s[4:5], 0x20
	v_mov_b32_e32 v14, 0xff800000
	s_waitcnt lgkmcnt(0)
	v_add_co_u32 v5, s1, s4, v3
	v_add_co_ci_u32_e64 v6, null, s5, v4, s1
	s_and_saveexec_b32 s3, s10
	s_cbranch_execz .LBB699_8
; %bb.7:
	global_load_ubyte v0, v[5:6], off
	s_waitcnt vmcnt(0)
	v_and_b32_e32 v0, 1, v0
	v_cmp_eq_u32_e64 s1, 1, v0
	v_cndmask_b32_e64 v14, v7, 0xff800000, s1
.LBB699_8:
	s_or_b32 exec_lo, exec_lo, s3
	s_xor_b32 s3, s10, -1
	s_mov_b32 s5, 0
	s_and_saveexec_b32 s4, s6
	s_cbranch_execz .LBB699_12
; %bb.9:
	s_and_b32 s1, s7, exec_lo
	s_cselect_b32 s1, 0, s2
	s_cselect_b32 s5, 0, 0
	v_add_co_u32 v3, s1, v5, s1
	v_add_co_ci_u32_e64 v4, null, s5, v6, s1
	s_mov_b32 s5, 0
	global_load_ubyte v0, v[3:4], off
	s_waitcnt vmcnt(0)
	v_and_b32_e32 v0, 1, v0
	v_cmp_eq_u32_e64 s1, 1, v0
	s_xor_b32 s10, s1, -1
	s_and_saveexec_b32 s1, s10
; %bb.10:
	s_mov_b32 s5, exec_lo
; %bb.11:
	s_or_b32 exec_lo, exec_lo, s1
	s_and_b32 s5, s5, exec_lo
.LBB699_12:
	s_or_b32 exec_lo, exec_lo, s4
	v_mbcnt_lo_u32_b32 v0, -1, 0
	s_waitcnt vmcnt(0)
	v_cndmask_b32_e64 v12, 0xff800000, v8, s5
                                        ; implicit-def: $vgpr9_vgpr10
	v_and_b32_e32 v3, 30, v0
	v_xor_b32_e32 v4, 1, v0
	v_add_nc_u32_e32 v3, 2, v3
	v_cmp_lt_i32_e64 s1, v4, v3
	v_cndmask_b32_e64 v0, v0, v4, s1
	v_lshlrev_b32_e32 v0, 2, v0
	ds_bpermute_b32 v15, v0, v14
	ds_bpermute_b32 v13, v0, v12
	s_and_saveexec_b32 s1, s3
	s_xor_b32 s1, exec_lo, s1
; %bb.13:
	v_mov_b32_e32 v7, 0
	v_mov_b32_e32 v10, v8
                                        ; implicit-def: $vgpr14
                                        ; implicit-def: $vgpr15
	v_mov_b32_e32 v9, v7
                                        ; implicit-def: $vgpr8
                                        ; implicit-def: $vgpr7
; %bb.14:
	s_or_saveexec_b32 s3, s1
	v_mov_b32_e32 v3, 0
	s_xor_b32 s4, s6, -1
	v_mov_b32_e32 v4, v3
	s_xor_b32 exec_lo, exec_lo, s3
	s_cbranch_execz .LBB699_20
; %bb.15:
	global_load_ubyte v4, v[5:6], off
	s_waitcnt vmcnt(0)
	v_and_b32_e32 v9, 1, v4
	v_mov_b32_e32 v4, v8
	v_cmp_eq_u32_e64 s1, 1, v9
	v_mov_b32_e32 v10, v4
	v_mov_b32_e32 v9, v3
	s_xor_b32 s1, s1, -1
	s_and_saveexec_b32 s5, s1
	s_xor_b32 s5, exec_lo, s5
	s_cbranch_execz .LBB699_17
; %bb.16:
	s_waitcnt lgkmcnt(1)
	v_cmp_lt_f32_e64 s1, v14, v15
	v_cndmask_b32_e64 v4, v14, v15, s1
	v_mov_b32_e32 v15, v3
	v_sub_f32_e32 v4, v7, v4
	v_mul_f32_e32 v7, 0x3fb8aa3b, v4
	v_cmp_ngt_f32_e64 s1, 0xc2ce8ed0, v4
	v_fma_f32 v9, 0x3fb8aa3b, v4, -v7
	v_rndne_f32_e32 v10, v7
	v_fmamk_f32 v9, v4, 0x32a5705f, v9
	v_sub_f32_e32 v7, v7, v10
	v_add_f32_e32 v7, v7, v9
	v_cvt_i32_f32_e32 v9, v10
	v_exp_f32_e32 v7, v7
	v_ldexp_f32 v7, v7, v9
	v_cndmask_b32_e64 v7, 0, v7, s1
	v_cmp_nlt_f32_e64 s1, 0x42b17218, v4
	v_cndmask_b32_e64 v7, 0x7f800000, v7, s1
	v_mov_b32_e32 v10, v8
	v_mov_b32_e32 v14, v7
	v_mov_b32_e32 v9, v7
	v_mov_b32_e32 v3, v14
	v_mov_b32_e32 v4, v15
.LBB699_17:
	s_andn2_saveexec_b32 s1, s5
; %bb.18:
	v_mov_b32_e32 v3, 0
	v_mov_b32_e32 v4, v3
; %bb.19:
	s_or_b32 exec_lo, exec_lo, s1
.LBB699_20:
	s_or_b32 exec_lo, exec_lo, s3
                                        ; implicit-def: $vgpr7_vgpr8
	s_and_saveexec_b32 s1, s4
	s_xor_b32 s1, exec_lo, s1
	s_cbranch_execz .LBB699_22
; %bb.21:
	v_mov_b32_e32 v10, 0
	v_mov_b32_e32 v7, v9
                                        ; implicit-def: $vgpr5
                                        ; implicit-def: $vgpr12
                                        ; implicit-def: $vgpr13
	v_mov_b32_e32 v8, v10
                                        ; implicit-def: $vgpr9_vgpr10
	s_andn2_saveexec_b32 s3, s1
	s_cbranch_execz .LBB699_26
	s_branch .LBB699_23
.LBB699_22:
	s_andn2_saveexec_b32 s3, s1
	s_cbranch_execz .LBB699_26
.LBB699_23:
	s_and_b32 s1, s7, exec_lo
	s_cselect_b32 s1, 0, s2
	s_cselect_b32 s4, 0, 0
	v_add_co_u32 v5, s1, v5, s1
	v_add_co_ci_u32_e64 v6, null, s4, v6, s1
	v_mov_b32_e32 v8, 0
	v_mov_b32_e32 v7, v9
	global_load_ubyte v5, v[5:6], off
	s_waitcnt vmcnt(0)
	v_and_b32_e32 v5, 1, v5
	v_cmp_eq_u32_e64 s1, 1, v5
	s_xor_b32 s1, s1, -1
	s_and_saveexec_b32 s4, s1
	s_xor_b32 s4, exec_lo, s4
	s_cbranch_execz .LBB699_25
; %bb.24:
	s_waitcnt lgkmcnt(0)
	v_cmp_lt_f32_e64 s1, v12, v13
	v_cndmask_b32_e64 v5, v12, v13, s1
	v_sub_f32_e32 v5, v10, v5
	v_mul_f32_e32 v6, 0x3fb8aa3b, v5
	v_cmp_ngt_f32_e64 s1, 0xc2ce8ed0, v5
	v_fma_f32 v7, 0x3fb8aa3b, v5, -v6
	v_rndne_f32_e32 v8, v6
	v_fmamk_f32 v7, v5, 0x32a5705f, v7
	v_sub_f32_e32 v6, v6, v8
	v_add_f32_e32 v6, v6, v7
	v_cvt_i32_f32_e32 v7, v8
	v_exp_f32_e32 v6, v6
	v_ldexp_f32 v6, v6, v7
	v_cndmask_b32_e64 v6, 0, v6, s1
	v_cmp_nlt_f32_e64 s1, 0x42b17218, v5
	v_cndmask_b32_e64 v10, 0x7f800000, v6, s1
	v_mov_b32_e32 v7, v9
	v_add_f32_e32 v4, v4, v10
	v_mov_b32_e32 v8, v10
.LBB699_25:
	s_andn2_saveexec_b32 s1, s4
	s_or_b32 exec_lo, exec_lo, s1
.LBB699_26:
	s_or_b32 exec_lo, exec_lo, s3
	ds_bpermute_b32 v6, v0, v3
	ds_bpermute_b32 v5, v0, v4
	s_and_saveexec_b32 s1, vcc_lo
	s_cbranch_execz .LBB699_35
; %bb.27:
	v_add_co_u32 v0, vcc_lo, s8, v1
	v_add_co_ci_u32_e64 v1, null, s9, v2, vcc_lo
	s_and_saveexec_b32 s1, s0
	s_cbranch_execz .LBB699_31
; %bb.28:
	s_waitcnt lgkmcnt(1)
	v_add_f32_e32 v2, v3, v6
	v_mov_b32_e32 v3, 0x7fc00000
	s_mov_b32 s3, exec_lo
	v_cmpx_neq_f32_e32 0, v2
	s_cbranch_execz .LBB699_30
; %bb.29:
	v_div_scale_f32 v3, null, v2, v2, v7
	v_rcp_f32_e32 v6, v3
	v_fma_f32 v9, -v3, v6, 1.0
	v_fmac_f32_e32 v6, v9, v6
	v_div_scale_f32 v9, vcc_lo, v7, v2, v7
	v_mul_f32_e32 v10, v9, v6
	v_fma_f32 v12, -v3, v10, v9
	v_fmac_f32_e32 v10, v12, v6
	v_fma_f32 v3, -v3, v10, v9
	v_div_fmas_f32 v3, v3, v6, v10
	v_div_fixup_f32 v3, v3, v2, v7
.LBB699_30:
	s_or_b32 exec_lo, exec_lo, s3
	global_store_dword v[0:1], v3, off
.LBB699_31:
	s_or_b32 exec_lo, exec_lo, s1
	v_cmp_ne_u32_e32 vcc_lo, 1, v11
	s_and_b32 s0, vcc_lo, s0
	s_and_b32 exec_lo, exec_lo, s0
	s_cbranch_execz .LBB699_35
; %bb.32:
	s_waitcnt lgkmcnt(0)
	v_add_f32_e32 v2, v4, v5
	v_mov_b32_e32 v3, 0x7fc00000
	s_mov_b32 s3, 0
	s_mov_b32 s0, exec_lo
	v_cmpx_neq_f32_e32 0, v2
	s_cbranch_execz .LBB699_34
; %bb.33:
	v_div_scale_f32 v3, null, v2, v2, v8
	v_rcp_f32_e32 v4, v3
	v_fma_f32 v5, -v3, v4, 1.0
	v_fmac_f32_e32 v4, v5, v4
	v_div_scale_f32 v5, vcc_lo, v8, v2, v8
	v_mul_f32_e32 v6, v5, v4
	v_fma_f32 v7, -v3, v6, v5
	v_fmac_f32_e32 v6, v7, v4
	v_fma_f32 v3, -v3, v6, v5
	v_div_fmas_f32 v3, v3, v4, v6
	v_div_fixup_f32 v3, v3, v2, v8
.LBB699_34:
	s_or_b32 exec_lo, exec_lo, s0
	s_lshl_b64 s[0:1], s[2:3], 2
	v_add_co_u32 v0, vcc_lo, v0, s0
	v_add_co_ci_u32_e64 v1, null, s1, v1, vcc_lo
	global_store_dword v[0:1], v3, off
.LBB699_35:
	s_endpgm
	.section	.rodata,"a",@progbits
	.p2align	6, 0x0
	.amdhsa_kernel _ZN12_GLOBAL__N_120softmax_warp_forwardIfffLi1ELb0ELb1ELi32EEEvPT0_PKT_iiiPKbib
		.amdhsa_group_segment_fixed_size 0
		.amdhsa_private_segment_fixed_size 0
		.amdhsa_kernarg_size 304
		.amdhsa_user_sgpr_count 6
		.amdhsa_user_sgpr_private_segment_buffer 1
		.amdhsa_user_sgpr_dispatch_ptr 0
		.amdhsa_user_sgpr_queue_ptr 0
		.amdhsa_user_sgpr_kernarg_segment_ptr 1
		.amdhsa_user_sgpr_dispatch_id 0
		.amdhsa_user_sgpr_flat_scratch_init 0
		.amdhsa_user_sgpr_private_segment_size 0
		.amdhsa_wavefront_size32 1
		.amdhsa_uses_dynamic_stack 0
		.amdhsa_system_sgpr_private_segment_wavefront_offset 0
		.amdhsa_system_sgpr_workgroup_id_x 1
		.amdhsa_system_sgpr_workgroup_id_y 0
		.amdhsa_system_sgpr_workgroup_id_z 0
		.amdhsa_system_sgpr_workgroup_info 0
		.amdhsa_system_vgpr_workitem_id 1
		.amdhsa_next_free_vgpr 16
		.amdhsa_next_free_sgpr 14
		.amdhsa_reserve_vcc 1
		.amdhsa_reserve_flat_scratch 0
		.amdhsa_float_round_mode_32 0
		.amdhsa_float_round_mode_16_64 0
		.amdhsa_float_denorm_mode_32 3
		.amdhsa_float_denorm_mode_16_64 3
		.amdhsa_dx10_clamp 1
		.amdhsa_ieee_mode 1
		.amdhsa_fp16_overflow 0
		.amdhsa_workgroup_processor_mode 1
		.amdhsa_memory_ordered 1
		.amdhsa_forward_progress 1
		.amdhsa_shared_vgpr_count 0
		.amdhsa_exception_fp_ieee_invalid_op 0
		.amdhsa_exception_fp_denorm_src 0
		.amdhsa_exception_fp_ieee_div_zero 0
		.amdhsa_exception_fp_ieee_overflow 0
		.amdhsa_exception_fp_ieee_underflow 0
		.amdhsa_exception_fp_ieee_inexact 0
		.amdhsa_exception_int_div_zero 0
	.end_amdhsa_kernel
	.section	.text._ZN12_GLOBAL__N_120softmax_warp_forwardIfffLi1ELb0ELb1ELi32EEEvPT0_PKT_iiiPKbib,"axG",@progbits,_ZN12_GLOBAL__N_120softmax_warp_forwardIfffLi1ELb0ELb1ELi32EEEvPT0_PKT_iiiPKbib,comdat
.Lfunc_end699:
	.size	_ZN12_GLOBAL__N_120softmax_warp_forwardIfffLi1ELb0ELb1ELi32EEEvPT0_PKT_iiiPKbib, .Lfunc_end699-_ZN12_GLOBAL__N_120softmax_warp_forwardIfffLi1ELb0ELb1ELi32EEEvPT0_PKT_iiiPKbib
                                        ; -- End function
	.set _ZN12_GLOBAL__N_120softmax_warp_forwardIfffLi1ELb0ELb1ELi32EEEvPT0_PKT_iiiPKbib.num_vgpr, 16
	.set _ZN12_GLOBAL__N_120softmax_warp_forwardIfffLi1ELb0ELb1ELi32EEEvPT0_PKT_iiiPKbib.num_agpr, 0
	.set _ZN12_GLOBAL__N_120softmax_warp_forwardIfffLi1ELb0ELb1ELi32EEEvPT0_PKT_iiiPKbib.numbered_sgpr, 14
	.set _ZN12_GLOBAL__N_120softmax_warp_forwardIfffLi1ELb0ELb1ELi32EEEvPT0_PKT_iiiPKbib.num_named_barrier, 0
	.set _ZN12_GLOBAL__N_120softmax_warp_forwardIfffLi1ELb0ELb1ELi32EEEvPT0_PKT_iiiPKbib.private_seg_size, 0
	.set _ZN12_GLOBAL__N_120softmax_warp_forwardIfffLi1ELb0ELb1ELi32EEEvPT0_PKT_iiiPKbib.uses_vcc, 1
	.set _ZN12_GLOBAL__N_120softmax_warp_forwardIfffLi1ELb0ELb1ELi32EEEvPT0_PKT_iiiPKbib.uses_flat_scratch, 0
	.set _ZN12_GLOBAL__N_120softmax_warp_forwardIfffLi1ELb0ELb1ELi32EEEvPT0_PKT_iiiPKbib.has_dyn_sized_stack, 0
	.set _ZN12_GLOBAL__N_120softmax_warp_forwardIfffLi1ELb0ELb1ELi32EEEvPT0_PKT_iiiPKbib.has_recursion, 0
	.set _ZN12_GLOBAL__N_120softmax_warp_forwardIfffLi1ELb0ELb1ELi32EEEvPT0_PKT_iiiPKbib.has_indirect_call, 0
	.section	.AMDGPU.csdata,"",@progbits
; Kernel info:
; codeLenInByte = 1484
; TotalNumSgprs: 16
; NumVgprs: 16
; ScratchSize: 0
; MemoryBound: 0
; FloatMode: 240
; IeeeMode: 1
; LDSByteSize: 0 bytes/workgroup (compile time only)
; SGPRBlocks: 0
; VGPRBlocks: 1
; NumSGPRsForWavesPerEU: 16
; NumVGPRsForWavesPerEU: 16
; Occupancy: 16
; WaveLimiterHint : 0
; COMPUTE_PGM_RSRC2:SCRATCH_EN: 0
; COMPUTE_PGM_RSRC2:USER_SGPR: 6
; COMPUTE_PGM_RSRC2:TRAP_HANDLER: 0
; COMPUTE_PGM_RSRC2:TGID_X_EN: 1
; COMPUTE_PGM_RSRC2:TGID_Y_EN: 0
; COMPUTE_PGM_RSRC2:TGID_Z_EN: 0
; COMPUTE_PGM_RSRC2:TIDIG_COMP_CNT: 1
	.section	.text._ZN12_GLOBAL__N_120softmax_warp_forwardIfffLi2ELb0ELb1ELi64EEEvPT0_PKT_iiiPKbib,"axG",@progbits,_ZN12_GLOBAL__N_120softmax_warp_forwardIfffLi2ELb0ELb1ELi64EEEvPT0_PKT_iiiPKbib,comdat
	.globl	_ZN12_GLOBAL__N_120softmax_warp_forwardIfffLi2ELb0ELb1ELi64EEEvPT0_PKT_iiiPKbib ; -- Begin function _ZN12_GLOBAL__N_120softmax_warp_forwardIfffLi2ELb0ELb1ELi64EEEvPT0_PKT_iiiPKbib
	.p2align	8
	.type	_ZN12_GLOBAL__N_120softmax_warp_forwardIfffLi2ELb0ELb1ELi64EEEvPT0_PKT_iiiPKbib,@function
_ZN12_GLOBAL__N_120softmax_warp_forwardIfffLi2ELb0ELb1ELi64EEEvPT0_PKT_iiiPKbib: ; @_ZN12_GLOBAL__N_120softmax_warp_forwardIfffLi2ELb0ELb1ELi64EEEvPT0_PKT_iiiPKbib
; %bb.0:
	s_clause 0x2
	s_load_dwordx2 s[8:9], s[4:5], 0x28
	s_load_dword s10, s[4:5], 0x3c
	s_load_dwordx4 s[0:3], s[4:5], 0x10
	s_waitcnt lgkmcnt(0)
	s_bitcmp1_b32 s9, 0
	s_cselect_b32 s7, -1, 0
	s_lshr_b32 s3, s10, 16
	s_and_b32 s3, s3, 0xffff
	s_bitcmp0_b32 s9, 0
	s_mul_i32 s6, s6, s3
	v_add_lshl_u32 v5, s6, v1, 1
	v_mul_lo_u32 v6, v5, s1
	v_add_nc_u32_e32 v1, v6, v0
	v_ashrrev_i32_e32 v2, 31, v1
	v_mov_b32_e32 v4, v2
	v_mov_b32_e32 v3, v1
	s_cbranch_scc1 .LBB700_2
; %bb.1:
	s_abs_i32 s3, s8
	v_sub_nc_u32_e32 v7, 0, v6
	v_cvt_f32_u32_e32 v3, s3
	s_sub_i32 s6, 0, s3
	v_max_i32_e32 v7, v6, v7
	v_rcp_iflag_f32_e32 v3, v3
	v_xor_b32_e32 v6, s8, v6
	v_ashrrev_i32_e32 v6, 31, v6
	v_mul_f32_e32 v3, 0x4f7ffffe, v3
	v_cvt_u32_f32_e32 v3, v3
	v_mul_lo_u32 v4, s6, v3
	v_mul_hi_u32 v4, v3, v4
	v_add_nc_u32_e32 v3, v3, v4
	v_mul_hi_u32 v3, v7, v3
	v_mul_lo_u32 v4, v3, s3
	v_sub_nc_u32_e32 v4, v7, v4
	v_add_nc_u32_e32 v7, 1, v3
	v_subrev_nc_u32_e32 v8, s3, v4
	v_cmp_le_u32_e32 vcc_lo, s3, v4
	v_cndmask_b32_e32 v3, v3, v7, vcc_lo
	v_cndmask_b32_e32 v4, v4, v8, vcc_lo
	v_add_nc_u32_e32 v7, 1, v3
	v_cmp_le_u32_e32 vcc_lo, s3, v4
	v_cndmask_b32_e32 v3, v3, v7, vcc_lo
	v_xor_b32_e32 v3, v3, v6
	v_sub_nc_u32_e32 v3, v3, v6
	v_mad_u64_u32 v[3:4], null, v3, s1, v[0:1]
	v_ashrrev_i32_e32 v4, 31, v3
.LBB700_2:
	s_load_dwordx4 s[8:11], s[4:5], 0x0
	v_lshlrev_b64 v[1:2], 2, v[1:2]
	v_sub_nc_u32_e32 v11, s0, v5
	v_cmp_gt_i32_e64 s0, s2, v0
	v_mov_b32_e32 v6, 0xff800000
	v_mov_b32_e32 v5, 0xff800000
	v_cmp_lt_i32_e32 vcc_lo, 0, v11
	s_waitcnt lgkmcnt(0)
	v_add_co_u32 v7, s1, s10, v1
	v_add_co_ci_u32_e64 v8, null, s11, v2, s1
	s_and_b32 s10, s0, vcc_lo
	s_and_saveexec_b32 s1, s10
	s_cbranch_execz .LBB700_4
; %bb.3:
	global_load_dword v5, v[7:8], off
.LBB700_4:
	s_or_b32 exec_lo, exec_lo, s1
	v_cmp_lt_i32_e64 s1, 1, v11
	s_and_b32 s6, s0, s1
	s_and_saveexec_b32 s11, s6
	s_cbranch_execz .LBB700_6
; %bb.5:
	s_mov_b32 s3, 0
	s_lshl_b64 s[12:13], s[2:3], 2
	v_add_co_u32 v6, s1, v7, s12
	v_add_co_ci_u32_e64 v7, null, s13, v8, s1
	global_load_dword v6, v[6:7], off
.LBB700_6:
	s_or_b32 exec_lo, exec_lo, s11
	s_load_dwordx2 s[4:5], s[4:5], 0x20
	v_mov_b32_e32 v7, 0xff800000
	s_waitcnt lgkmcnt(0)
	v_add_co_u32 v3, s1, s4, v3
	v_add_co_ci_u32_e64 v4, null, s5, v4, s1
	s_and_saveexec_b32 s3, s10
	s_cbranch_execz .LBB700_8
; %bb.7:
	global_load_ubyte v0, v[3:4], off
	s_waitcnt vmcnt(0)
	v_and_b32_e32 v0, 1, v0
	v_cmp_eq_u32_e64 s1, 1, v0
	v_cndmask_b32_e64 v7, v5, 0xff800000, s1
.LBB700_8:
	s_or_b32 exec_lo, exec_lo, s3
	s_xor_b32 s3, s10, -1
	s_mov_b32 s5, 0
	s_and_saveexec_b32 s4, s6
	s_cbranch_execz .LBB700_12
; %bb.9:
	s_and_b32 s1, s7, exec_lo
	s_cselect_b32 s1, 0, s2
	s_cselect_b32 s5, 0, 0
	v_add_co_u32 v8, s1, v3, s1
	v_add_co_ci_u32_e64 v9, null, s5, v4, s1
	s_mov_b32 s5, 0
	global_load_ubyte v0, v[8:9], off
	s_waitcnt vmcnt(0)
	v_and_b32_e32 v0, 1, v0
	v_cmp_eq_u32_e64 s1, 1, v0
	s_xor_b32 s10, s1, -1
	s_and_saveexec_b32 s1, s10
; %bb.10:
	s_mov_b32 s5, exec_lo
; %bb.11:
	s_or_b32 exec_lo, exec_lo, s1
	s_and_b32 s5, s5, exec_lo
.LBB700_12:
	s_or_b32 exec_lo, exec_lo, s4
	v_mbcnt_lo_u32_b32 v8, -1, 0
	v_and_b32_e32 v0, 28, v8
	v_xor_b32_e32 v9, 2, v8
	v_xor_b32_e32 v12, 1, v8
	v_add_nc_u32_e32 v10, 4, v0
	v_cmp_lt_i32_e64 s1, v9, v10
	v_cndmask_b32_e64 v0, v8, v9, s1
	s_waitcnt vmcnt(0)
	v_cndmask_b32_e64 v9, 0xff800000, v6, s5
	v_cmp_lt_i32_e64 s1, v12, v10
	v_lshlrev_b32_e32 v0, 2, v0
	v_cndmask_b32_e64 v8, v8, v12, s1
	ds_bpermute_b32 v13, v0, v7
	ds_bpermute_b32 v14, v0, v9
	v_lshlrev_b32_e32 v12, 2, v8
	s_waitcnt lgkmcnt(1)
	v_cmp_lt_f32_e64 s1, v7, v13
	v_cndmask_b32_e64 v15, v7, v13, s1
	s_waitcnt lgkmcnt(0)
	v_cmp_lt_f32_e64 s1, v9, v14
	ds_bpermute_b32 v16, v12, v15
	v_cndmask_b32_e64 v13, v9, v14, s1
                                        ; implicit-def: $vgpr9_vgpr10
	ds_bpermute_b32 v14, v12, v13
	s_and_saveexec_b32 s1, s3
	s_xor_b32 s1, exec_lo, s1
; %bb.13:
	v_mov_b32_e32 v5, 0
	v_mov_b32_e32 v10, v6
                                        ; implicit-def: $vgpr15
                                        ; implicit-def: $vgpr16
	v_mov_b32_e32 v9, v5
                                        ; implicit-def: $vgpr6
                                        ; implicit-def: $vgpr5
; %bb.14:
	s_or_saveexec_b32 s3, s1
	v_mov_b32_e32 v7, 0
	s_xor_b32 s4, s6, -1
	v_mov_b32_e32 v8, v7
	s_xor_b32 exec_lo, exec_lo, s3
	s_cbranch_execz .LBB700_20
; %bb.15:
	global_load_ubyte v8, v[3:4], off
	s_waitcnt vmcnt(0)
	v_and_b32_e32 v9, 1, v8
	v_mov_b32_e32 v8, v6
	v_cmp_eq_u32_e64 s1, 1, v9
	v_mov_b32_e32 v10, v8
	v_mov_b32_e32 v9, v7
	s_xor_b32 s1, s1, -1
	s_and_saveexec_b32 s5, s1
	s_xor_b32 s5, exec_lo, s5
	s_cbranch_execz .LBB700_17
; %bb.16:
	s_waitcnt lgkmcnt(1)
	v_cmp_lt_f32_e64 s1, v15, v16
	v_cndmask_b32_e64 v8, v15, v16, s1
	v_mov_b32_e32 v16, v7
	v_sub_f32_e32 v5, v5, v8
	v_mul_f32_e32 v8, 0x3fb8aa3b, v5
	v_cmp_ngt_f32_e64 s1, 0xc2ce8ed0, v5
	v_fma_f32 v9, 0x3fb8aa3b, v5, -v8
	v_rndne_f32_e32 v10, v8
	v_fmamk_f32 v9, v5, 0x32a5705f, v9
	v_sub_f32_e32 v8, v8, v10
	v_add_f32_e32 v8, v8, v9
	v_cvt_i32_f32_e32 v9, v10
	v_exp_f32_e32 v8, v8
	v_ldexp_f32 v8, v8, v9
	v_cndmask_b32_e64 v8, 0, v8, s1
	v_cmp_nlt_f32_e64 s1, 0x42b17218, v5
	v_cndmask_b32_e64 v5, 0x7f800000, v8, s1
	v_mov_b32_e32 v10, v6
	v_mov_b32_e32 v15, v5
	;; [unrolled: 1-line block ×5, first 2 shown]
.LBB700_17:
	s_andn2_saveexec_b32 s1, s5
; %bb.18:
	v_mov_b32_e32 v7, 0
	v_mov_b32_e32 v8, v7
; %bb.19:
	s_or_b32 exec_lo, exec_lo, s1
.LBB700_20:
	s_or_b32 exec_lo, exec_lo, s3
                                        ; implicit-def: $vgpr5_vgpr6
	s_and_saveexec_b32 s1, s4
	s_xor_b32 s1, exec_lo, s1
	s_cbranch_execz .LBB700_22
; %bb.21:
	v_mov_b32_e32 v10, 0
	v_mov_b32_e32 v5, v9
                                        ; implicit-def: $vgpr3
                                        ; implicit-def: $vgpr13
                                        ; implicit-def: $vgpr14
	v_mov_b32_e32 v6, v10
                                        ; implicit-def: $vgpr9_vgpr10
	s_andn2_saveexec_b32 s3, s1
	s_cbranch_execz .LBB700_26
	s_branch .LBB700_23
.LBB700_22:
	s_andn2_saveexec_b32 s3, s1
	s_cbranch_execz .LBB700_26
.LBB700_23:
	s_and_b32 s1, s7, exec_lo
	s_cselect_b32 s1, 0, s2
	s_cselect_b32 s4, 0, 0
	v_add_co_u32 v3, s1, v3, s1
	v_add_co_ci_u32_e64 v4, null, s4, v4, s1
	v_mov_b32_e32 v6, 0
	v_mov_b32_e32 v5, v9
	global_load_ubyte v3, v[3:4], off
	s_waitcnt vmcnt(0)
	v_and_b32_e32 v3, 1, v3
	v_cmp_eq_u32_e64 s1, 1, v3
	s_xor_b32 s1, s1, -1
	s_and_saveexec_b32 s4, s1
	s_xor_b32 s4, exec_lo, s4
	s_cbranch_execz .LBB700_25
; %bb.24:
	s_waitcnt lgkmcnt(0)
	v_cmp_lt_f32_e64 s1, v13, v14
	v_cndmask_b32_e64 v3, v13, v14, s1
	v_sub_f32_e32 v3, v10, v3
	v_mul_f32_e32 v4, 0x3fb8aa3b, v3
	v_cmp_ngt_f32_e64 s1, 0xc2ce8ed0, v3
	v_fma_f32 v5, 0x3fb8aa3b, v3, -v4
	v_rndne_f32_e32 v6, v4
	v_fmamk_f32 v5, v3, 0x32a5705f, v5
	v_sub_f32_e32 v4, v4, v6
	v_add_f32_e32 v4, v4, v5
	v_cvt_i32_f32_e32 v5, v6
	v_exp_f32_e32 v4, v4
	v_ldexp_f32 v4, v4, v5
	v_cndmask_b32_e64 v4, 0, v4, s1
	v_cmp_nlt_f32_e64 s1, 0x42b17218, v3
	v_cndmask_b32_e64 v10, 0x7f800000, v4, s1
	v_mov_b32_e32 v5, v9
	v_add_f32_e32 v8, v8, v10
	v_mov_b32_e32 v6, v10
.LBB700_25:
	s_andn2_saveexec_b32 s1, s4
	s_or_b32 exec_lo, exec_lo, s1
.LBB700_26:
	s_or_b32 exec_lo, exec_lo, s3
	ds_bpermute_b32 v3, v0, v7
	ds_bpermute_b32 v0, v0, v8
	s_waitcnt lgkmcnt(1)
	v_add_f32_e32 v7, v7, v3
	s_waitcnt lgkmcnt(0)
	v_add_f32_e32 v3, v8, v0
	ds_bpermute_b32 v8, v12, v7
	ds_bpermute_b32 v4, v12, v3
	s_and_saveexec_b32 s1, vcc_lo
	s_cbranch_execz .LBB700_35
; %bb.27:
	v_add_co_u32 v0, vcc_lo, s8, v1
	v_add_co_ci_u32_e64 v1, null, s9, v2, vcc_lo
	s_and_saveexec_b32 s1, s0
	s_cbranch_execz .LBB700_31
; %bb.28:
	s_waitcnt lgkmcnt(1)
	v_add_f32_e32 v2, v7, v8
	v_mov_b32_e32 v7, 0x7fc00000
	s_mov_b32 s3, exec_lo
	v_cmpx_neq_f32_e32 0, v2
	s_cbranch_execz .LBB700_30
; %bb.29:
	v_div_scale_f32 v7, null, v2, v2, v5
	v_rcp_f32_e32 v8, v7
	v_fma_f32 v9, -v7, v8, 1.0
	v_fmac_f32_e32 v8, v9, v8
	v_div_scale_f32 v9, vcc_lo, v5, v2, v5
	v_mul_f32_e32 v10, v9, v8
	v_fma_f32 v12, -v7, v10, v9
	v_fmac_f32_e32 v10, v12, v8
	v_fma_f32 v7, -v7, v10, v9
	v_div_fmas_f32 v7, v7, v8, v10
	v_div_fixup_f32 v7, v7, v2, v5
.LBB700_30:
	s_or_b32 exec_lo, exec_lo, s3
	global_store_dword v[0:1], v7, off
.LBB700_31:
	s_or_b32 exec_lo, exec_lo, s1
	v_cmp_ne_u32_e32 vcc_lo, 1, v11
	s_and_b32 s0, vcc_lo, s0
	s_and_b32 exec_lo, exec_lo, s0
	s_cbranch_execz .LBB700_35
; %bb.32:
	s_waitcnt lgkmcnt(0)
	v_add_f32_e32 v2, v3, v4
	v_mov_b32_e32 v3, 0x7fc00000
	s_mov_b32 s3, 0
	s_mov_b32 s0, exec_lo
	v_cmpx_neq_f32_e32 0, v2
	s_cbranch_execz .LBB700_34
; %bb.33:
	v_div_scale_f32 v3, null, v2, v2, v6
	v_rcp_f32_e32 v4, v3
	v_fma_f32 v5, -v3, v4, 1.0
	v_fmac_f32_e32 v4, v5, v4
	v_div_scale_f32 v5, vcc_lo, v6, v2, v6
	v_mul_f32_e32 v7, v5, v4
	v_fma_f32 v8, -v3, v7, v5
	v_fmac_f32_e32 v7, v8, v4
	v_fma_f32 v3, -v3, v7, v5
	v_div_fmas_f32 v3, v3, v4, v7
	v_div_fixup_f32 v3, v3, v2, v6
.LBB700_34:
	s_or_b32 exec_lo, exec_lo, s0
	s_lshl_b64 s[0:1], s[2:3], 2
	v_add_co_u32 v0, vcc_lo, v0, s0
	v_add_co_ci_u32_e64 v1, null, s1, v1, vcc_lo
	global_store_dword v[0:1], v3, off
.LBB700_35:
	s_endpgm
	.section	.rodata,"a",@progbits
	.p2align	6, 0x0
	.amdhsa_kernel _ZN12_GLOBAL__N_120softmax_warp_forwardIfffLi2ELb0ELb1ELi64EEEvPT0_PKT_iiiPKbib
		.amdhsa_group_segment_fixed_size 0
		.amdhsa_private_segment_fixed_size 0
		.amdhsa_kernarg_size 304
		.amdhsa_user_sgpr_count 6
		.amdhsa_user_sgpr_private_segment_buffer 1
		.amdhsa_user_sgpr_dispatch_ptr 0
		.amdhsa_user_sgpr_queue_ptr 0
		.amdhsa_user_sgpr_kernarg_segment_ptr 1
		.amdhsa_user_sgpr_dispatch_id 0
		.amdhsa_user_sgpr_flat_scratch_init 0
		.amdhsa_user_sgpr_private_segment_size 0
		.amdhsa_wavefront_size32 1
		.amdhsa_uses_dynamic_stack 0
		.amdhsa_system_sgpr_private_segment_wavefront_offset 0
		.amdhsa_system_sgpr_workgroup_id_x 1
		.amdhsa_system_sgpr_workgroup_id_y 0
		.amdhsa_system_sgpr_workgroup_id_z 0
		.amdhsa_system_sgpr_workgroup_info 0
		.amdhsa_system_vgpr_workitem_id 1
		.amdhsa_next_free_vgpr 17
		.amdhsa_next_free_sgpr 14
		.amdhsa_reserve_vcc 1
		.amdhsa_reserve_flat_scratch 0
		.amdhsa_float_round_mode_32 0
		.amdhsa_float_round_mode_16_64 0
		.amdhsa_float_denorm_mode_32 3
		.amdhsa_float_denorm_mode_16_64 3
		.amdhsa_dx10_clamp 1
		.amdhsa_ieee_mode 1
		.amdhsa_fp16_overflow 0
		.amdhsa_workgroup_processor_mode 1
		.amdhsa_memory_ordered 1
		.amdhsa_forward_progress 1
		.amdhsa_shared_vgpr_count 0
		.amdhsa_exception_fp_ieee_invalid_op 0
		.amdhsa_exception_fp_denorm_src 0
		.amdhsa_exception_fp_ieee_div_zero 0
		.amdhsa_exception_fp_ieee_overflow 0
		.amdhsa_exception_fp_ieee_underflow 0
		.amdhsa_exception_fp_ieee_inexact 0
		.amdhsa_exception_int_div_zero 0
	.end_amdhsa_kernel
	.section	.text._ZN12_GLOBAL__N_120softmax_warp_forwardIfffLi2ELb0ELb1ELi64EEEvPT0_PKT_iiiPKbib,"axG",@progbits,_ZN12_GLOBAL__N_120softmax_warp_forwardIfffLi2ELb0ELb1ELi64EEEvPT0_PKT_iiiPKbib,comdat
.Lfunc_end700:
	.size	_ZN12_GLOBAL__N_120softmax_warp_forwardIfffLi2ELb0ELb1ELi64EEEvPT0_PKT_iiiPKbib, .Lfunc_end700-_ZN12_GLOBAL__N_120softmax_warp_forwardIfffLi2ELb0ELb1ELi64EEEvPT0_PKT_iiiPKbib
                                        ; -- End function
	.set _ZN12_GLOBAL__N_120softmax_warp_forwardIfffLi2ELb0ELb1ELi64EEEvPT0_PKT_iiiPKbib.num_vgpr, 17
	.set _ZN12_GLOBAL__N_120softmax_warp_forwardIfffLi2ELb0ELb1ELi64EEEvPT0_PKT_iiiPKbib.num_agpr, 0
	.set _ZN12_GLOBAL__N_120softmax_warp_forwardIfffLi2ELb0ELb1ELi64EEEvPT0_PKT_iiiPKbib.numbered_sgpr, 14
	.set _ZN12_GLOBAL__N_120softmax_warp_forwardIfffLi2ELb0ELb1ELi64EEEvPT0_PKT_iiiPKbib.num_named_barrier, 0
	.set _ZN12_GLOBAL__N_120softmax_warp_forwardIfffLi2ELb0ELb1ELi64EEEvPT0_PKT_iiiPKbib.private_seg_size, 0
	.set _ZN12_GLOBAL__N_120softmax_warp_forwardIfffLi2ELb0ELb1ELi64EEEvPT0_PKT_iiiPKbib.uses_vcc, 1
	.set _ZN12_GLOBAL__N_120softmax_warp_forwardIfffLi2ELb0ELb1ELi64EEEvPT0_PKT_iiiPKbib.uses_flat_scratch, 0
	.set _ZN12_GLOBAL__N_120softmax_warp_forwardIfffLi2ELb0ELb1ELi64EEEvPT0_PKT_iiiPKbib.has_dyn_sized_stack, 0
	.set _ZN12_GLOBAL__N_120softmax_warp_forwardIfffLi2ELb0ELb1ELi64EEEvPT0_PKT_iiiPKbib.has_recursion, 0
	.set _ZN12_GLOBAL__N_120softmax_warp_forwardIfffLi2ELb0ELb1ELi64EEEvPT0_PKT_iiiPKbib.has_indirect_call, 0
	.section	.AMDGPU.csdata,"",@progbits
; Kernel info:
; codeLenInByte = 1596
; TotalNumSgprs: 16
; NumVgprs: 17
; ScratchSize: 0
; MemoryBound: 0
; FloatMode: 240
; IeeeMode: 1
; LDSByteSize: 0 bytes/workgroup (compile time only)
; SGPRBlocks: 0
; VGPRBlocks: 2
; NumSGPRsForWavesPerEU: 16
; NumVGPRsForWavesPerEU: 17
; Occupancy: 16
; WaveLimiterHint : 0
; COMPUTE_PGM_RSRC2:SCRATCH_EN: 0
; COMPUTE_PGM_RSRC2:USER_SGPR: 6
; COMPUTE_PGM_RSRC2:TRAP_HANDLER: 0
; COMPUTE_PGM_RSRC2:TGID_X_EN: 1
; COMPUTE_PGM_RSRC2:TGID_Y_EN: 0
; COMPUTE_PGM_RSRC2:TGID_Z_EN: 0
; COMPUTE_PGM_RSRC2:TIDIG_COMP_CNT: 1
	.section	.text._ZN12_GLOBAL__N_120softmax_warp_forwardIfffLi2ELb0ELb1ELi32EEEvPT0_PKT_iiiPKbib,"axG",@progbits,_ZN12_GLOBAL__N_120softmax_warp_forwardIfffLi2ELb0ELb1ELi32EEEvPT0_PKT_iiiPKbib,comdat
	.globl	_ZN12_GLOBAL__N_120softmax_warp_forwardIfffLi2ELb0ELb1ELi32EEEvPT0_PKT_iiiPKbib ; -- Begin function _ZN12_GLOBAL__N_120softmax_warp_forwardIfffLi2ELb0ELb1ELi32EEEvPT0_PKT_iiiPKbib
	.p2align	8
	.type	_ZN12_GLOBAL__N_120softmax_warp_forwardIfffLi2ELb0ELb1ELi32EEEvPT0_PKT_iiiPKbib,@function
_ZN12_GLOBAL__N_120softmax_warp_forwardIfffLi2ELb0ELb1ELi32EEEvPT0_PKT_iiiPKbib: ; @_ZN12_GLOBAL__N_120softmax_warp_forwardIfffLi2ELb0ELb1ELi32EEEvPT0_PKT_iiiPKbib
; %bb.0:
	s_clause 0x2
	s_load_dwordx2 s[8:9], s[4:5], 0x28
	s_load_dword s10, s[4:5], 0x3c
	s_load_dwordx4 s[0:3], s[4:5], 0x10
	s_waitcnt lgkmcnt(0)
	s_bitcmp1_b32 s9, 0
	s_cselect_b32 s7, -1, 0
	s_lshr_b32 s3, s10, 16
	s_and_b32 s3, s3, 0xffff
	s_bitcmp0_b32 s9, 0
	s_mul_i32 s6, s6, s3
	v_add_lshl_u32 v5, s6, v1, 1
	v_mul_lo_u32 v6, v5, s1
	v_add_nc_u32_e32 v1, v6, v0
	v_ashrrev_i32_e32 v2, 31, v1
	v_mov_b32_e32 v4, v2
	v_mov_b32_e32 v3, v1
	s_cbranch_scc1 .LBB701_2
; %bb.1:
	s_abs_i32 s3, s8
	v_sub_nc_u32_e32 v7, 0, v6
	v_cvt_f32_u32_e32 v3, s3
	s_sub_i32 s6, 0, s3
	v_max_i32_e32 v7, v6, v7
	v_rcp_iflag_f32_e32 v3, v3
	v_xor_b32_e32 v6, s8, v6
	v_ashrrev_i32_e32 v6, 31, v6
	v_mul_f32_e32 v3, 0x4f7ffffe, v3
	v_cvt_u32_f32_e32 v3, v3
	v_mul_lo_u32 v4, s6, v3
	v_mul_hi_u32 v4, v3, v4
	v_add_nc_u32_e32 v3, v3, v4
	v_mul_hi_u32 v3, v7, v3
	v_mul_lo_u32 v4, v3, s3
	v_sub_nc_u32_e32 v4, v7, v4
	v_add_nc_u32_e32 v7, 1, v3
	v_subrev_nc_u32_e32 v8, s3, v4
	v_cmp_le_u32_e32 vcc_lo, s3, v4
	v_cndmask_b32_e32 v3, v3, v7, vcc_lo
	v_cndmask_b32_e32 v4, v4, v8, vcc_lo
	v_add_nc_u32_e32 v7, 1, v3
	v_cmp_le_u32_e32 vcc_lo, s3, v4
	v_cndmask_b32_e32 v3, v3, v7, vcc_lo
	v_xor_b32_e32 v3, v3, v6
	v_sub_nc_u32_e32 v3, v3, v6
	v_mad_u64_u32 v[3:4], null, v3, s1, v[0:1]
	v_ashrrev_i32_e32 v4, 31, v3
.LBB701_2:
	s_load_dwordx4 s[8:11], s[4:5], 0x0
	v_lshlrev_b64 v[1:2], 2, v[1:2]
	v_sub_nc_u32_e32 v11, s0, v5
	v_cmp_gt_i32_e64 s0, s2, v0
	v_mov_b32_e32 v6, 0xff800000
	v_mov_b32_e32 v5, 0xff800000
	v_cmp_lt_i32_e32 vcc_lo, 0, v11
	s_waitcnt lgkmcnt(0)
	v_add_co_u32 v7, s1, s10, v1
	v_add_co_ci_u32_e64 v8, null, s11, v2, s1
	s_and_b32 s10, s0, vcc_lo
	s_and_saveexec_b32 s1, s10
	s_cbranch_execz .LBB701_4
; %bb.3:
	global_load_dword v5, v[7:8], off
.LBB701_4:
	s_or_b32 exec_lo, exec_lo, s1
	v_cmp_lt_i32_e64 s1, 1, v11
	s_and_b32 s6, s0, s1
	s_and_saveexec_b32 s11, s6
	s_cbranch_execz .LBB701_6
; %bb.5:
	s_mov_b32 s3, 0
	s_lshl_b64 s[12:13], s[2:3], 2
	v_add_co_u32 v6, s1, v7, s12
	v_add_co_ci_u32_e64 v7, null, s13, v8, s1
	global_load_dword v6, v[6:7], off
.LBB701_6:
	s_or_b32 exec_lo, exec_lo, s11
	s_load_dwordx2 s[4:5], s[4:5], 0x20
	v_mov_b32_e32 v7, 0xff800000
	s_waitcnt lgkmcnt(0)
	v_add_co_u32 v3, s1, s4, v3
	v_add_co_ci_u32_e64 v4, null, s5, v4, s1
	s_and_saveexec_b32 s3, s10
	s_cbranch_execz .LBB701_8
; %bb.7:
	global_load_ubyte v0, v[3:4], off
	s_waitcnt vmcnt(0)
	v_and_b32_e32 v0, 1, v0
	v_cmp_eq_u32_e64 s1, 1, v0
	v_cndmask_b32_e64 v7, v5, 0xff800000, s1
.LBB701_8:
	s_or_b32 exec_lo, exec_lo, s3
	s_xor_b32 s3, s10, -1
	s_mov_b32 s5, 0
	s_and_saveexec_b32 s4, s6
	s_cbranch_execz .LBB701_12
; %bb.9:
	s_and_b32 s1, s7, exec_lo
	s_cselect_b32 s1, 0, s2
	s_cselect_b32 s5, 0, 0
	v_add_co_u32 v8, s1, v3, s1
	v_add_co_ci_u32_e64 v9, null, s5, v4, s1
	s_mov_b32 s5, 0
	global_load_ubyte v0, v[8:9], off
	s_waitcnt vmcnt(0)
	v_and_b32_e32 v0, 1, v0
	v_cmp_eq_u32_e64 s1, 1, v0
	s_xor_b32 s10, s1, -1
	s_and_saveexec_b32 s1, s10
; %bb.10:
	s_mov_b32 s5, exec_lo
; %bb.11:
	s_or_b32 exec_lo, exec_lo, s1
	s_and_b32 s5, s5, exec_lo
.LBB701_12:
	s_or_b32 exec_lo, exec_lo, s4
	v_mbcnt_lo_u32_b32 v8, -1, 0
	v_and_b32_e32 v0, 28, v8
	v_xor_b32_e32 v9, 2, v8
	v_xor_b32_e32 v12, 1, v8
	v_add_nc_u32_e32 v10, 4, v0
	v_cmp_lt_i32_e64 s1, v9, v10
	v_cndmask_b32_e64 v0, v8, v9, s1
	s_waitcnt vmcnt(0)
	v_cndmask_b32_e64 v9, 0xff800000, v6, s5
	v_cmp_lt_i32_e64 s1, v12, v10
	v_lshlrev_b32_e32 v0, 2, v0
	v_cndmask_b32_e64 v8, v8, v12, s1
	ds_bpermute_b32 v13, v0, v7
	ds_bpermute_b32 v14, v0, v9
	v_lshlrev_b32_e32 v12, 2, v8
	s_waitcnt lgkmcnt(1)
	v_cmp_lt_f32_e64 s1, v7, v13
	v_cndmask_b32_e64 v15, v7, v13, s1
	s_waitcnt lgkmcnt(0)
	v_cmp_lt_f32_e64 s1, v9, v14
	ds_bpermute_b32 v16, v12, v15
	v_cndmask_b32_e64 v13, v9, v14, s1
                                        ; implicit-def: $vgpr9_vgpr10
	ds_bpermute_b32 v14, v12, v13
	s_and_saveexec_b32 s1, s3
	s_xor_b32 s1, exec_lo, s1
; %bb.13:
	v_mov_b32_e32 v5, 0
	v_mov_b32_e32 v10, v6
                                        ; implicit-def: $vgpr15
                                        ; implicit-def: $vgpr16
	v_mov_b32_e32 v9, v5
                                        ; implicit-def: $vgpr6
                                        ; implicit-def: $vgpr5
; %bb.14:
	s_or_saveexec_b32 s3, s1
	v_mov_b32_e32 v7, 0
	s_xor_b32 s4, s6, -1
	v_mov_b32_e32 v8, v7
	s_xor_b32 exec_lo, exec_lo, s3
	s_cbranch_execz .LBB701_20
; %bb.15:
	global_load_ubyte v8, v[3:4], off
	s_waitcnt vmcnt(0)
	v_and_b32_e32 v9, 1, v8
	v_mov_b32_e32 v8, v6
	v_cmp_eq_u32_e64 s1, 1, v9
	v_mov_b32_e32 v10, v8
	v_mov_b32_e32 v9, v7
	s_xor_b32 s1, s1, -1
	s_and_saveexec_b32 s5, s1
	s_xor_b32 s5, exec_lo, s5
	s_cbranch_execz .LBB701_17
; %bb.16:
	s_waitcnt lgkmcnt(1)
	v_cmp_lt_f32_e64 s1, v15, v16
	v_cndmask_b32_e64 v8, v15, v16, s1
	v_mov_b32_e32 v16, v7
	v_sub_f32_e32 v5, v5, v8
	v_mul_f32_e32 v8, 0x3fb8aa3b, v5
	v_cmp_ngt_f32_e64 s1, 0xc2ce8ed0, v5
	v_fma_f32 v9, 0x3fb8aa3b, v5, -v8
	v_rndne_f32_e32 v10, v8
	v_fmamk_f32 v9, v5, 0x32a5705f, v9
	v_sub_f32_e32 v8, v8, v10
	v_add_f32_e32 v8, v8, v9
	v_cvt_i32_f32_e32 v9, v10
	v_exp_f32_e32 v8, v8
	v_ldexp_f32 v8, v8, v9
	v_cndmask_b32_e64 v8, 0, v8, s1
	v_cmp_nlt_f32_e64 s1, 0x42b17218, v5
	v_cndmask_b32_e64 v5, 0x7f800000, v8, s1
	v_mov_b32_e32 v10, v6
	v_mov_b32_e32 v15, v5
	;; [unrolled: 1-line block ×5, first 2 shown]
.LBB701_17:
	s_andn2_saveexec_b32 s1, s5
; %bb.18:
	v_mov_b32_e32 v7, 0
	v_mov_b32_e32 v8, v7
; %bb.19:
	s_or_b32 exec_lo, exec_lo, s1
.LBB701_20:
	s_or_b32 exec_lo, exec_lo, s3
                                        ; implicit-def: $vgpr5_vgpr6
	s_and_saveexec_b32 s1, s4
	s_xor_b32 s1, exec_lo, s1
	s_cbranch_execz .LBB701_22
; %bb.21:
	v_mov_b32_e32 v10, 0
	v_mov_b32_e32 v5, v9
                                        ; implicit-def: $vgpr3
                                        ; implicit-def: $vgpr13
                                        ; implicit-def: $vgpr14
	v_mov_b32_e32 v6, v10
                                        ; implicit-def: $vgpr9_vgpr10
	s_andn2_saveexec_b32 s3, s1
	s_cbranch_execz .LBB701_26
	s_branch .LBB701_23
.LBB701_22:
	s_andn2_saveexec_b32 s3, s1
	s_cbranch_execz .LBB701_26
.LBB701_23:
	s_and_b32 s1, s7, exec_lo
	s_cselect_b32 s1, 0, s2
	s_cselect_b32 s4, 0, 0
	v_add_co_u32 v3, s1, v3, s1
	v_add_co_ci_u32_e64 v4, null, s4, v4, s1
	v_mov_b32_e32 v6, 0
	v_mov_b32_e32 v5, v9
	global_load_ubyte v3, v[3:4], off
	s_waitcnt vmcnt(0)
	v_and_b32_e32 v3, 1, v3
	v_cmp_eq_u32_e64 s1, 1, v3
	s_xor_b32 s1, s1, -1
	s_and_saveexec_b32 s4, s1
	s_xor_b32 s4, exec_lo, s4
	s_cbranch_execz .LBB701_25
; %bb.24:
	s_waitcnt lgkmcnt(0)
	v_cmp_lt_f32_e64 s1, v13, v14
	v_cndmask_b32_e64 v3, v13, v14, s1
	v_sub_f32_e32 v3, v10, v3
	v_mul_f32_e32 v4, 0x3fb8aa3b, v3
	v_cmp_ngt_f32_e64 s1, 0xc2ce8ed0, v3
	v_fma_f32 v5, 0x3fb8aa3b, v3, -v4
	v_rndne_f32_e32 v6, v4
	v_fmamk_f32 v5, v3, 0x32a5705f, v5
	v_sub_f32_e32 v4, v4, v6
	v_add_f32_e32 v4, v4, v5
	v_cvt_i32_f32_e32 v5, v6
	v_exp_f32_e32 v4, v4
	v_ldexp_f32 v4, v4, v5
	v_cndmask_b32_e64 v4, 0, v4, s1
	v_cmp_nlt_f32_e64 s1, 0x42b17218, v3
	v_cndmask_b32_e64 v10, 0x7f800000, v4, s1
	v_mov_b32_e32 v5, v9
	v_add_f32_e32 v8, v8, v10
	v_mov_b32_e32 v6, v10
.LBB701_25:
	s_andn2_saveexec_b32 s1, s4
	s_or_b32 exec_lo, exec_lo, s1
.LBB701_26:
	s_or_b32 exec_lo, exec_lo, s3
	ds_bpermute_b32 v3, v0, v7
	ds_bpermute_b32 v0, v0, v8
	s_waitcnt lgkmcnt(1)
	v_add_f32_e32 v7, v7, v3
	s_waitcnt lgkmcnt(0)
	v_add_f32_e32 v3, v8, v0
	ds_bpermute_b32 v8, v12, v7
	ds_bpermute_b32 v4, v12, v3
	s_and_saveexec_b32 s1, vcc_lo
	s_cbranch_execz .LBB701_35
; %bb.27:
	v_add_co_u32 v0, vcc_lo, s8, v1
	v_add_co_ci_u32_e64 v1, null, s9, v2, vcc_lo
	s_and_saveexec_b32 s1, s0
	s_cbranch_execz .LBB701_31
; %bb.28:
	s_waitcnt lgkmcnt(1)
	v_add_f32_e32 v2, v7, v8
	v_mov_b32_e32 v7, 0x7fc00000
	s_mov_b32 s3, exec_lo
	v_cmpx_neq_f32_e32 0, v2
	s_cbranch_execz .LBB701_30
; %bb.29:
	v_div_scale_f32 v7, null, v2, v2, v5
	v_rcp_f32_e32 v8, v7
	v_fma_f32 v9, -v7, v8, 1.0
	v_fmac_f32_e32 v8, v9, v8
	v_div_scale_f32 v9, vcc_lo, v5, v2, v5
	v_mul_f32_e32 v10, v9, v8
	v_fma_f32 v12, -v7, v10, v9
	v_fmac_f32_e32 v10, v12, v8
	v_fma_f32 v7, -v7, v10, v9
	v_div_fmas_f32 v7, v7, v8, v10
	v_div_fixup_f32 v7, v7, v2, v5
.LBB701_30:
	s_or_b32 exec_lo, exec_lo, s3
	global_store_dword v[0:1], v7, off
.LBB701_31:
	s_or_b32 exec_lo, exec_lo, s1
	v_cmp_ne_u32_e32 vcc_lo, 1, v11
	s_and_b32 s0, vcc_lo, s0
	s_and_b32 exec_lo, exec_lo, s0
	s_cbranch_execz .LBB701_35
; %bb.32:
	s_waitcnt lgkmcnt(0)
	v_add_f32_e32 v2, v3, v4
	v_mov_b32_e32 v3, 0x7fc00000
	s_mov_b32 s3, 0
	s_mov_b32 s0, exec_lo
	v_cmpx_neq_f32_e32 0, v2
	s_cbranch_execz .LBB701_34
; %bb.33:
	v_div_scale_f32 v3, null, v2, v2, v6
	v_rcp_f32_e32 v4, v3
	v_fma_f32 v5, -v3, v4, 1.0
	v_fmac_f32_e32 v4, v5, v4
	v_div_scale_f32 v5, vcc_lo, v6, v2, v6
	v_mul_f32_e32 v7, v5, v4
	v_fma_f32 v8, -v3, v7, v5
	v_fmac_f32_e32 v7, v8, v4
	v_fma_f32 v3, -v3, v7, v5
	v_div_fmas_f32 v3, v3, v4, v7
	v_div_fixup_f32 v3, v3, v2, v6
.LBB701_34:
	s_or_b32 exec_lo, exec_lo, s0
	s_lshl_b64 s[0:1], s[2:3], 2
	v_add_co_u32 v0, vcc_lo, v0, s0
	v_add_co_ci_u32_e64 v1, null, s1, v1, vcc_lo
	global_store_dword v[0:1], v3, off
.LBB701_35:
	s_endpgm
	.section	.rodata,"a",@progbits
	.p2align	6, 0x0
	.amdhsa_kernel _ZN12_GLOBAL__N_120softmax_warp_forwardIfffLi2ELb0ELb1ELi32EEEvPT0_PKT_iiiPKbib
		.amdhsa_group_segment_fixed_size 0
		.amdhsa_private_segment_fixed_size 0
		.amdhsa_kernarg_size 304
		.amdhsa_user_sgpr_count 6
		.amdhsa_user_sgpr_private_segment_buffer 1
		.amdhsa_user_sgpr_dispatch_ptr 0
		.amdhsa_user_sgpr_queue_ptr 0
		.amdhsa_user_sgpr_kernarg_segment_ptr 1
		.amdhsa_user_sgpr_dispatch_id 0
		.amdhsa_user_sgpr_flat_scratch_init 0
		.amdhsa_user_sgpr_private_segment_size 0
		.amdhsa_wavefront_size32 1
		.amdhsa_uses_dynamic_stack 0
		.amdhsa_system_sgpr_private_segment_wavefront_offset 0
		.amdhsa_system_sgpr_workgroup_id_x 1
		.amdhsa_system_sgpr_workgroup_id_y 0
		.amdhsa_system_sgpr_workgroup_id_z 0
		.amdhsa_system_sgpr_workgroup_info 0
		.amdhsa_system_vgpr_workitem_id 1
		.amdhsa_next_free_vgpr 17
		.amdhsa_next_free_sgpr 14
		.amdhsa_reserve_vcc 1
		.amdhsa_reserve_flat_scratch 0
		.amdhsa_float_round_mode_32 0
		.amdhsa_float_round_mode_16_64 0
		.amdhsa_float_denorm_mode_32 3
		.amdhsa_float_denorm_mode_16_64 3
		.amdhsa_dx10_clamp 1
		.amdhsa_ieee_mode 1
		.amdhsa_fp16_overflow 0
		.amdhsa_workgroup_processor_mode 1
		.amdhsa_memory_ordered 1
		.amdhsa_forward_progress 1
		.amdhsa_shared_vgpr_count 0
		.amdhsa_exception_fp_ieee_invalid_op 0
		.amdhsa_exception_fp_denorm_src 0
		.amdhsa_exception_fp_ieee_div_zero 0
		.amdhsa_exception_fp_ieee_overflow 0
		.amdhsa_exception_fp_ieee_underflow 0
		.amdhsa_exception_fp_ieee_inexact 0
		.amdhsa_exception_int_div_zero 0
	.end_amdhsa_kernel
	.section	.text._ZN12_GLOBAL__N_120softmax_warp_forwardIfffLi2ELb0ELb1ELi32EEEvPT0_PKT_iiiPKbib,"axG",@progbits,_ZN12_GLOBAL__N_120softmax_warp_forwardIfffLi2ELb0ELb1ELi32EEEvPT0_PKT_iiiPKbib,comdat
.Lfunc_end701:
	.size	_ZN12_GLOBAL__N_120softmax_warp_forwardIfffLi2ELb0ELb1ELi32EEEvPT0_PKT_iiiPKbib, .Lfunc_end701-_ZN12_GLOBAL__N_120softmax_warp_forwardIfffLi2ELb0ELb1ELi32EEEvPT0_PKT_iiiPKbib
                                        ; -- End function
	.set _ZN12_GLOBAL__N_120softmax_warp_forwardIfffLi2ELb0ELb1ELi32EEEvPT0_PKT_iiiPKbib.num_vgpr, 17
	.set _ZN12_GLOBAL__N_120softmax_warp_forwardIfffLi2ELb0ELb1ELi32EEEvPT0_PKT_iiiPKbib.num_agpr, 0
	.set _ZN12_GLOBAL__N_120softmax_warp_forwardIfffLi2ELb0ELb1ELi32EEEvPT0_PKT_iiiPKbib.numbered_sgpr, 14
	.set _ZN12_GLOBAL__N_120softmax_warp_forwardIfffLi2ELb0ELb1ELi32EEEvPT0_PKT_iiiPKbib.num_named_barrier, 0
	.set _ZN12_GLOBAL__N_120softmax_warp_forwardIfffLi2ELb0ELb1ELi32EEEvPT0_PKT_iiiPKbib.private_seg_size, 0
	.set _ZN12_GLOBAL__N_120softmax_warp_forwardIfffLi2ELb0ELb1ELi32EEEvPT0_PKT_iiiPKbib.uses_vcc, 1
	.set _ZN12_GLOBAL__N_120softmax_warp_forwardIfffLi2ELb0ELb1ELi32EEEvPT0_PKT_iiiPKbib.uses_flat_scratch, 0
	.set _ZN12_GLOBAL__N_120softmax_warp_forwardIfffLi2ELb0ELb1ELi32EEEvPT0_PKT_iiiPKbib.has_dyn_sized_stack, 0
	.set _ZN12_GLOBAL__N_120softmax_warp_forwardIfffLi2ELb0ELb1ELi32EEEvPT0_PKT_iiiPKbib.has_recursion, 0
	.set _ZN12_GLOBAL__N_120softmax_warp_forwardIfffLi2ELb0ELb1ELi32EEEvPT0_PKT_iiiPKbib.has_indirect_call, 0
	.section	.AMDGPU.csdata,"",@progbits
; Kernel info:
; codeLenInByte = 1596
; TotalNumSgprs: 16
; NumVgprs: 17
; ScratchSize: 0
; MemoryBound: 0
; FloatMode: 240
; IeeeMode: 1
; LDSByteSize: 0 bytes/workgroup (compile time only)
; SGPRBlocks: 0
; VGPRBlocks: 2
; NumSGPRsForWavesPerEU: 16
; NumVGPRsForWavesPerEU: 17
; Occupancy: 16
; WaveLimiterHint : 0
; COMPUTE_PGM_RSRC2:SCRATCH_EN: 0
; COMPUTE_PGM_RSRC2:USER_SGPR: 6
; COMPUTE_PGM_RSRC2:TRAP_HANDLER: 0
; COMPUTE_PGM_RSRC2:TGID_X_EN: 1
; COMPUTE_PGM_RSRC2:TGID_Y_EN: 0
; COMPUTE_PGM_RSRC2:TGID_Z_EN: 0
; COMPUTE_PGM_RSRC2:TIDIG_COMP_CNT: 1
	.section	.text._ZN12_GLOBAL__N_120softmax_warp_forwardIfffLi3ELb0ELb1ELi64EEEvPT0_PKT_iiiPKbib,"axG",@progbits,_ZN12_GLOBAL__N_120softmax_warp_forwardIfffLi3ELb0ELb1ELi64EEEvPT0_PKT_iiiPKbib,comdat
	.globl	_ZN12_GLOBAL__N_120softmax_warp_forwardIfffLi3ELb0ELb1ELi64EEEvPT0_PKT_iiiPKbib ; -- Begin function _ZN12_GLOBAL__N_120softmax_warp_forwardIfffLi3ELb0ELb1ELi64EEEvPT0_PKT_iiiPKbib
	.p2align	8
	.type	_ZN12_GLOBAL__N_120softmax_warp_forwardIfffLi3ELb0ELb1ELi64EEEvPT0_PKT_iiiPKbib,@function
_ZN12_GLOBAL__N_120softmax_warp_forwardIfffLi3ELb0ELb1ELi64EEEvPT0_PKT_iiiPKbib: ; @_ZN12_GLOBAL__N_120softmax_warp_forwardIfffLi3ELb0ELb1ELi64EEEvPT0_PKT_iiiPKbib
; %bb.0:
	s_clause 0x2
	s_load_dwordx2 s[8:9], s[4:5], 0x28
	s_load_dword s10, s[4:5], 0x3c
	s_load_dwordx4 s[0:3], s[4:5], 0x10
	s_waitcnt lgkmcnt(0)
	s_bitcmp1_b32 s9, 0
	s_cselect_b32 s7, -1, 0
	s_lshr_b32 s3, s10, 16
	s_and_b32 s3, s3, 0xffff
	s_bitcmp0_b32 s9, 0
	s_mul_i32 s6, s6, s3
	v_add_lshl_u32 v5, s6, v1, 1
	v_mul_lo_u32 v6, v5, s1
	v_add_nc_u32_e32 v1, v6, v0
	v_ashrrev_i32_e32 v2, 31, v1
	v_mov_b32_e32 v4, v2
	v_mov_b32_e32 v3, v1
	s_cbranch_scc1 .LBB702_2
; %bb.1:
	s_abs_i32 s3, s8
	v_sub_nc_u32_e32 v7, 0, v6
	v_cvt_f32_u32_e32 v3, s3
	s_sub_i32 s6, 0, s3
	v_max_i32_e32 v7, v6, v7
	v_rcp_iflag_f32_e32 v3, v3
	v_xor_b32_e32 v6, s8, v6
	v_ashrrev_i32_e32 v6, 31, v6
	v_mul_f32_e32 v3, 0x4f7ffffe, v3
	v_cvt_u32_f32_e32 v3, v3
	v_mul_lo_u32 v4, s6, v3
	v_mul_hi_u32 v4, v3, v4
	v_add_nc_u32_e32 v3, v3, v4
	v_mul_hi_u32 v3, v7, v3
	v_mul_lo_u32 v4, v3, s3
	v_sub_nc_u32_e32 v4, v7, v4
	v_add_nc_u32_e32 v7, 1, v3
	v_subrev_nc_u32_e32 v8, s3, v4
	v_cmp_le_u32_e32 vcc_lo, s3, v4
	v_cndmask_b32_e32 v3, v3, v7, vcc_lo
	v_cndmask_b32_e32 v4, v4, v8, vcc_lo
	v_add_nc_u32_e32 v7, 1, v3
	v_cmp_le_u32_e32 vcc_lo, s3, v4
	v_cndmask_b32_e32 v3, v3, v7, vcc_lo
	v_xor_b32_e32 v3, v3, v6
	v_sub_nc_u32_e32 v3, v3, v6
	v_mad_u64_u32 v[3:4], null, v3, s1, v[0:1]
	v_ashrrev_i32_e32 v4, 31, v3
.LBB702_2:
	s_load_dwordx4 s[8:11], s[4:5], 0x0
	v_lshlrev_b64 v[1:2], 2, v[1:2]
	v_sub_nc_u32_e32 v11, s0, v5
	v_cmp_gt_i32_e64 s0, s2, v0
	v_mov_b32_e32 v6, 0xff800000
	v_mov_b32_e32 v5, 0xff800000
	v_cmp_lt_i32_e32 vcc_lo, 0, v11
	s_waitcnt lgkmcnt(0)
	v_add_co_u32 v7, s1, s10, v1
	v_add_co_ci_u32_e64 v8, null, s11, v2, s1
	s_and_b32 s10, s0, vcc_lo
	s_and_saveexec_b32 s1, s10
	s_cbranch_execz .LBB702_4
; %bb.3:
	global_load_dword v5, v[7:8], off
.LBB702_4:
	s_or_b32 exec_lo, exec_lo, s1
	v_cmp_lt_i32_e64 s1, 1, v11
	s_and_b32 s6, s0, s1
	s_and_saveexec_b32 s11, s6
	s_cbranch_execz .LBB702_6
; %bb.5:
	s_mov_b32 s3, 0
	s_lshl_b64 s[12:13], s[2:3], 2
	v_add_co_u32 v6, s1, v7, s12
	v_add_co_ci_u32_e64 v7, null, s13, v8, s1
	global_load_dword v6, v[6:7], off
.LBB702_6:
	s_or_b32 exec_lo, exec_lo, s11
	s_load_dwordx2 s[4:5], s[4:5], 0x20
	v_mov_b32_e32 v7, 0xff800000
	s_waitcnt lgkmcnt(0)
	v_add_co_u32 v3, s1, s4, v3
	v_add_co_ci_u32_e64 v4, null, s5, v4, s1
	s_and_saveexec_b32 s3, s10
	s_cbranch_execz .LBB702_8
; %bb.7:
	global_load_ubyte v0, v[3:4], off
	s_waitcnt vmcnt(0)
	v_and_b32_e32 v0, 1, v0
	v_cmp_eq_u32_e64 s1, 1, v0
	v_cndmask_b32_e64 v7, v5, 0xff800000, s1
.LBB702_8:
	s_or_b32 exec_lo, exec_lo, s3
	s_xor_b32 s3, s10, -1
	s_mov_b32 s5, 0
	s_and_saveexec_b32 s4, s6
	s_cbranch_execz .LBB702_12
; %bb.9:
	s_and_b32 s1, s7, exec_lo
	s_cselect_b32 s1, 0, s2
	s_cselect_b32 s5, 0, 0
	v_add_co_u32 v8, s1, v3, s1
	v_add_co_ci_u32_e64 v9, null, s5, v4, s1
	s_mov_b32 s5, 0
	global_load_ubyte v0, v[8:9], off
	s_waitcnt vmcnt(0)
	v_and_b32_e32 v0, 1, v0
	v_cmp_eq_u32_e64 s1, 1, v0
	s_xor_b32 s10, s1, -1
	s_and_saveexec_b32 s1, s10
; %bb.10:
	s_mov_b32 s5, exec_lo
; %bb.11:
	s_or_b32 exec_lo, exec_lo, s1
	s_and_b32 s5, s5, exec_lo
.LBB702_12:
	s_or_b32 exec_lo, exec_lo, s4
	v_mbcnt_lo_u32_b32 v8, -1, 0
	v_and_b32_e32 v0, 24, v8
	v_xor_b32_e32 v9, 4, v8
	v_xor_b32_e32 v12, 2, v8
	v_add_nc_u32_e32 v10, 8, v0
	v_cmp_lt_i32_e64 s1, v9, v10
	v_cndmask_b32_e64 v0, v8, v9, s1
	s_waitcnt vmcnt(0)
	v_cndmask_b32_e64 v9, 0xff800000, v6, s5
	v_cmp_lt_i32_e64 s1, v12, v10
	v_lshlrev_b32_e32 v0, 2, v0
	v_cndmask_b32_e64 v12, v8, v12, s1
	ds_bpermute_b32 v13, v0, v7
	ds_bpermute_b32 v14, v0, v9
	v_lshlrev_b32_e32 v12, 2, v12
	s_waitcnt lgkmcnt(1)
	v_cmp_lt_f32_e64 s1, v7, v13
	v_cndmask_b32_e64 v7, v7, v13, s1
	s_waitcnt lgkmcnt(0)
	v_cmp_lt_f32_e64 s1, v9, v14
	v_xor_b32_e32 v13, 1, v8
	v_cndmask_b32_e64 v9, v9, v14, s1
	ds_bpermute_b32 v14, v12, v7
	v_cmp_lt_i32_e64 s1, v13, v10
	ds_bpermute_b32 v15, v12, v9
	v_cndmask_b32_e64 v8, v8, v13, s1
	v_lshlrev_b32_e32 v13, 2, v8
	s_waitcnt lgkmcnt(1)
	v_cmp_lt_f32_e64 s1, v7, v14
	v_cndmask_b32_e64 v16, v7, v14, s1
	s_waitcnt lgkmcnt(0)
	v_cmp_lt_f32_e64 s1, v9, v15
	ds_bpermute_b32 v17, v13, v16
	v_cndmask_b32_e64 v14, v9, v15, s1
                                        ; implicit-def: $vgpr9_vgpr10
	ds_bpermute_b32 v15, v13, v14
	s_and_saveexec_b32 s1, s3
	s_xor_b32 s1, exec_lo, s1
; %bb.13:
	v_mov_b32_e32 v5, 0
	v_mov_b32_e32 v10, v6
                                        ; implicit-def: $vgpr16
                                        ; implicit-def: $vgpr17
	v_mov_b32_e32 v9, v5
                                        ; implicit-def: $vgpr6
                                        ; implicit-def: $vgpr5
; %bb.14:
	s_or_saveexec_b32 s3, s1
	v_mov_b32_e32 v7, 0
	s_xor_b32 s4, s6, -1
	v_mov_b32_e32 v8, v7
	s_xor_b32 exec_lo, exec_lo, s3
	s_cbranch_execz .LBB702_20
; %bb.15:
	global_load_ubyte v8, v[3:4], off
	s_waitcnt vmcnt(0)
	v_and_b32_e32 v9, 1, v8
	v_mov_b32_e32 v8, v6
	v_cmp_eq_u32_e64 s1, 1, v9
	v_mov_b32_e32 v10, v8
	v_mov_b32_e32 v9, v7
	s_xor_b32 s1, s1, -1
	s_and_saveexec_b32 s5, s1
	s_xor_b32 s5, exec_lo, s5
	s_cbranch_execz .LBB702_17
; %bb.16:
	s_waitcnt lgkmcnt(1)
	v_cmp_lt_f32_e64 s1, v16, v17
	v_cndmask_b32_e64 v8, v16, v17, s1
	v_mov_b32_e32 v17, v7
	v_sub_f32_e32 v5, v5, v8
	v_mul_f32_e32 v8, 0x3fb8aa3b, v5
	v_cmp_ngt_f32_e64 s1, 0xc2ce8ed0, v5
	v_fma_f32 v9, 0x3fb8aa3b, v5, -v8
	v_rndne_f32_e32 v10, v8
	v_fmamk_f32 v9, v5, 0x32a5705f, v9
	v_sub_f32_e32 v8, v8, v10
	v_add_f32_e32 v8, v8, v9
	v_cvt_i32_f32_e32 v9, v10
	v_exp_f32_e32 v8, v8
	v_ldexp_f32 v8, v8, v9
	v_cndmask_b32_e64 v8, 0, v8, s1
	v_cmp_nlt_f32_e64 s1, 0x42b17218, v5
	v_cndmask_b32_e64 v5, 0x7f800000, v8, s1
	v_mov_b32_e32 v10, v6
	v_mov_b32_e32 v16, v5
	;; [unrolled: 1-line block ×5, first 2 shown]
.LBB702_17:
	s_andn2_saveexec_b32 s1, s5
; %bb.18:
	v_mov_b32_e32 v7, 0
	v_mov_b32_e32 v8, v7
; %bb.19:
	s_or_b32 exec_lo, exec_lo, s1
.LBB702_20:
	s_or_b32 exec_lo, exec_lo, s3
                                        ; implicit-def: $vgpr5_vgpr6
	s_and_saveexec_b32 s1, s4
	s_xor_b32 s1, exec_lo, s1
	s_cbranch_execz .LBB702_22
; %bb.21:
	v_mov_b32_e32 v10, 0
	v_mov_b32_e32 v5, v9
                                        ; implicit-def: $vgpr3
                                        ; implicit-def: $vgpr14
                                        ; implicit-def: $vgpr15
	v_mov_b32_e32 v6, v10
                                        ; implicit-def: $vgpr9_vgpr10
	s_andn2_saveexec_b32 s3, s1
	s_cbranch_execz .LBB702_26
	s_branch .LBB702_23
.LBB702_22:
	s_andn2_saveexec_b32 s3, s1
	s_cbranch_execz .LBB702_26
.LBB702_23:
	s_and_b32 s1, s7, exec_lo
	s_cselect_b32 s1, 0, s2
	s_cselect_b32 s4, 0, 0
	v_add_co_u32 v3, s1, v3, s1
	v_add_co_ci_u32_e64 v4, null, s4, v4, s1
	v_mov_b32_e32 v6, 0
	v_mov_b32_e32 v5, v9
	global_load_ubyte v3, v[3:4], off
	s_waitcnt vmcnt(0)
	v_and_b32_e32 v3, 1, v3
	v_cmp_eq_u32_e64 s1, 1, v3
	s_xor_b32 s1, s1, -1
	s_and_saveexec_b32 s4, s1
	s_xor_b32 s4, exec_lo, s4
	s_cbranch_execz .LBB702_25
; %bb.24:
	s_waitcnt lgkmcnt(0)
	v_cmp_lt_f32_e64 s1, v14, v15
	v_cndmask_b32_e64 v3, v14, v15, s1
	v_sub_f32_e32 v3, v10, v3
	v_mul_f32_e32 v4, 0x3fb8aa3b, v3
	v_cmp_ngt_f32_e64 s1, 0xc2ce8ed0, v3
	v_fma_f32 v5, 0x3fb8aa3b, v3, -v4
	v_rndne_f32_e32 v6, v4
	v_fmamk_f32 v5, v3, 0x32a5705f, v5
	v_sub_f32_e32 v4, v4, v6
	v_add_f32_e32 v4, v4, v5
	v_cvt_i32_f32_e32 v5, v6
	v_exp_f32_e32 v4, v4
	v_ldexp_f32 v4, v4, v5
	v_cndmask_b32_e64 v4, 0, v4, s1
	v_cmp_nlt_f32_e64 s1, 0x42b17218, v3
	v_cndmask_b32_e64 v10, 0x7f800000, v4, s1
	v_mov_b32_e32 v5, v9
	v_add_f32_e32 v8, v8, v10
	v_mov_b32_e32 v6, v10
.LBB702_25:
	s_andn2_saveexec_b32 s1, s4
	s_or_b32 exec_lo, exec_lo, s1
.LBB702_26:
	s_or_b32 exec_lo, exec_lo, s3
	ds_bpermute_b32 v3, v0, v7
	ds_bpermute_b32 v0, v0, v8
	s_waitcnt lgkmcnt(1)
	v_add_f32_e32 v3, v7, v3
	s_waitcnt lgkmcnt(0)
	v_add_f32_e32 v0, v8, v0
	ds_bpermute_b32 v4, v12, v3
	ds_bpermute_b32 v8, v12, v0
	s_waitcnt lgkmcnt(1)
	v_add_f32_e32 v7, v3, v4
	s_waitcnt lgkmcnt(0)
	v_add_f32_e32 v3, v0, v8
	ds_bpermute_b32 v8, v13, v7
	ds_bpermute_b32 v4, v13, v3
	s_and_saveexec_b32 s1, vcc_lo
	s_cbranch_execz .LBB702_35
; %bb.27:
	v_add_co_u32 v0, vcc_lo, s8, v1
	v_add_co_ci_u32_e64 v1, null, s9, v2, vcc_lo
	s_and_saveexec_b32 s1, s0
	s_cbranch_execz .LBB702_31
; %bb.28:
	s_waitcnt lgkmcnt(1)
	v_add_f32_e32 v2, v7, v8
	v_mov_b32_e32 v7, 0x7fc00000
	s_mov_b32 s3, exec_lo
	v_cmpx_neq_f32_e32 0, v2
	s_cbranch_execz .LBB702_30
; %bb.29:
	v_div_scale_f32 v7, null, v2, v2, v5
	v_rcp_f32_e32 v8, v7
	v_fma_f32 v9, -v7, v8, 1.0
	v_fmac_f32_e32 v8, v9, v8
	v_div_scale_f32 v9, vcc_lo, v5, v2, v5
	v_mul_f32_e32 v10, v9, v8
	v_fma_f32 v12, -v7, v10, v9
	v_fmac_f32_e32 v10, v12, v8
	v_fma_f32 v7, -v7, v10, v9
	v_div_fmas_f32 v7, v7, v8, v10
	v_div_fixup_f32 v7, v7, v2, v5
.LBB702_30:
	s_or_b32 exec_lo, exec_lo, s3
	global_store_dword v[0:1], v7, off
.LBB702_31:
	s_or_b32 exec_lo, exec_lo, s1
	v_cmp_ne_u32_e32 vcc_lo, 1, v11
	s_and_b32 s0, vcc_lo, s0
	s_and_b32 exec_lo, exec_lo, s0
	s_cbranch_execz .LBB702_35
; %bb.32:
	s_waitcnt lgkmcnt(0)
	v_add_f32_e32 v2, v3, v4
	v_mov_b32_e32 v3, 0x7fc00000
	s_mov_b32 s3, 0
	s_mov_b32 s0, exec_lo
	v_cmpx_neq_f32_e32 0, v2
	s_cbranch_execz .LBB702_34
; %bb.33:
	v_div_scale_f32 v3, null, v2, v2, v6
	v_rcp_f32_e32 v4, v3
	v_fma_f32 v5, -v3, v4, 1.0
	v_fmac_f32_e32 v4, v5, v4
	v_div_scale_f32 v5, vcc_lo, v6, v2, v6
	v_mul_f32_e32 v7, v5, v4
	v_fma_f32 v8, -v3, v7, v5
	v_fmac_f32_e32 v7, v8, v4
	v_fma_f32 v3, -v3, v7, v5
	v_div_fmas_f32 v3, v3, v4, v7
	v_div_fixup_f32 v3, v3, v2, v6
.LBB702_34:
	s_or_b32 exec_lo, exec_lo, s0
	s_lshl_b64 s[0:1], s[2:3], 2
	v_add_co_u32 v0, vcc_lo, v0, s0
	v_add_co_ci_u32_e64 v1, null, s1, v1, vcc_lo
	global_store_dword v[0:1], v3, off
.LBB702_35:
	s_endpgm
	.section	.rodata,"a",@progbits
	.p2align	6, 0x0
	.amdhsa_kernel _ZN12_GLOBAL__N_120softmax_warp_forwardIfffLi3ELb0ELb1ELi64EEEvPT0_PKT_iiiPKbib
		.amdhsa_group_segment_fixed_size 0
		.amdhsa_private_segment_fixed_size 0
		.amdhsa_kernarg_size 304
		.amdhsa_user_sgpr_count 6
		.amdhsa_user_sgpr_private_segment_buffer 1
		.amdhsa_user_sgpr_dispatch_ptr 0
		.amdhsa_user_sgpr_queue_ptr 0
		.amdhsa_user_sgpr_kernarg_segment_ptr 1
		.amdhsa_user_sgpr_dispatch_id 0
		.amdhsa_user_sgpr_flat_scratch_init 0
		.amdhsa_user_sgpr_private_segment_size 0
		.amdhsa_wavefront_size32 1
		.amdhsa_uses_dynamic_stack 0
		.amdhsa_system_sgpr_private_segment_wavefront_offset 0
		.amdhsa_system_sgpr_workgroup_id_x 1
		.amdhsa_system_sgpr_workgroup_id_y 0
		.amdhsa_system_sgpr_workgroup_id_z 0
		.amdhsa_system_sgpr_workgroup_info 0
		.amdhsa_system_vgpr_workitem_id 1
		.amdhsa_next_free_vgpr 18
		.amdhsa_next_free_sgpr 14
		.amdhsa_reserve_vcc 1
		.amdhsa_reserve_flat_scratch 0
		.amdhsa_float_round_mode_32 0
		.amdhsa_float_round_mode_16_64 0
		.amdhsa_float_denorm_mode_32 3
		.amdhsa_float_denorm_mode_16_64 3
		.amdhsa_dx10_clamp 1
		.amdhsa_ieee_mode 1
		.amdhsa_fp16_overflow 0
		.amdhsa_workgroup_processor_mode 1
		.amdhsa_memory_ordered 1
		.amdhsa_forward_progress 1
		.amdhsa_shared_vgpr_count 0
		.amdhsa_exception_fp_ieee_invalid_op 0
		.amdhsa_exception_fp_denorm_src 0
		.amdhsa_exception_fp_ieee_div_zero 0
		.amdhsa_exception_fp_ieee_overflow 0
		.amdhsa_exception_fp_ieee_underflow 0
		.amdhsa_exception_fp_ieee_inexact 0
		.amdhsa_exception_int_div_zero 0
	.end_amdhsa_kernel
	.section	.text._ZN12_GLOBAL__N_120softmax_warp_forwardIfffLi3ELb0ELb1ELi64EEEvPT0_PKT_iiiPKbib,"axG",@progbits,_ZN12_GLOBAL__N_120softmax_warp_forwardIfffLi3ELb0ELb1ELi64EEEvPT0_PKT_iiiPKbib,comdat
.Lfunc_end702:
	.size	_ZN12_GLOBAL__N_120softmax_warp_forwardIfffLi3ELb0ELb1ELi64EEEvPT0_PKT_iiiPKbib, .Lfunc_end702-_ZN12_GLOBAL__N_120softmax_warp_forwardIfffLi3ELb0ELb1ELi64EEEvPT0_PKT_iiiPKbib
                                        ; -- End function
	.set _ZN12_GLOBAL__N_120softmax_warp_forwardIfffLi3ELb0ELb1ELi64EEEvPT0_PKT_iiiPKbib.num_vgpr, 18
	.set _ZN12_GLOBAL__N_120softmax_warp_forwardIfffLi3ELb0ELb1ELi64EEEvPT0_PKT_iiiPKbib.num_agpr, 0
	.set _ZN12_GLOBAL__N_120softmax_warp_forwardIfffLi3ELb0ELb1ELi64EEEvPT0_PKT_iiiPKbib.numbered_sgpr, 14
	.set _ZN12_GLOBAL__N_120softmax_warp_forwardIfffLi3ELb0ELb1ELi64EEEvPT0_PKT_iiiPKbib.num_named_barrier, 0
	.set _ZN12_GLOBAL__N_120softmax_warp_forwardIfffLi3ELb0ELb1ELi64EEEvPT0_PKT_iiiPKbib.private_seg_size, 0
	.set _ZN12_GLOBAL__N_120softmax_warp_forwardIfffLi3ELb0ELb1ELi64EEEvPT0_PKT_iiiPKbib.uses_vcc, 1
	.set _ZN12_GLOBAL__N_120softmax_warp_forwardIfffLi3ELb0ELb1ELi64EEEvPT0_PKT_iiiPKbib.uses_flat_scratch, 0
	.set _ZN12_GLOBAL__N_120softmax_warp_forwardIfffLi3ELb0ELb1ELi64EEEvPT0_PKT_iiiPKbib.has_dyn_sized_stack, 0
	.set _ZN12_GLOBAL__N_120softmax_warp_forwardIfffLi3ELb0ELb1ELi64EEEvPT0_PKT_iiiPKbib.has_recursion, 0
	.set _ZN12_GLOBAL__N_120softmax_warp_forwardIfffLi3ELb0ELb1ELi64EEEvPT0_PKT_iiiPKbib.has_indirect_call, 0
	.section	.AMDGPU.csdata,"",@progbits
; Kernel info:
; codeLenInByte = 1708
; TotalNumSgprs: 16
; NumVgprs: 18
; ScratchSize: 0
; MemoryBound: 0
; FloatMode: 240
; IeeeMode: 1
; LDSByteSize: 0 bytes/workgroup (compile time only)
; SGPRBlocks: 0
; VGPRBlocks: 2
; NumSGPRsForWavesPerEU: 16
; NumVGPRsForWavesPerEU: 18
; Occupancy: 16
; WaveLimiterHint : 0
; COMPUTE_PGM_RSRC2:SCRATCH_EN: 0
; COMPUTE_PGM_RSRC2:USER_SGPR: 6
; COMPUTE_PGM_RSRC2:TRAP_HANDLER: 0
; COMPUTE_PGM_RSRC2:TGID_X_EN: 1
; COMPUTE_PGM_RSRC2:TGID_Y_EN: 0
; COMPUTE_PGM_RSRC2:TGID_Z_EN: 0
; COMPUTE_PGM_RSRC2:TIDIG_COMP_CNT: 1
	.section	.text._ZN12_GLOBAL__N_120softmax_warp_forwardIfffLi3ELb0ELb1ELi32EEEvPT0_PKT_iiiPKbib,"axG",@progbits,_ZN12_GLOBAL__N_120softmax_warp_forwardIfffLi3ELb0ELb1ELi32EEEvPT0_PKT_iiiPKbib,comdat
	.globl	_ZN12_GLOBAL__N_120softmax_warp_forwardIfffLi3ELb0ELb1ELi32EEEvPT0_PKT_iiiPKbib ; -- Begin function _ZN12_GLOBAL__N_120softmax_warp_forwardIfffLi3ELb0ELb1ELi32EEEvPT0_PKT_iiiPKbib
	.p2align	8
	.type	_ZN12_GLOBAL__N_120softmax_warp_forwardIfffLi3ELb0ELb1ELi32EEEvPT0_PKT_iiiPKbib,@function
_ZN12_GLOBAL__N_120softmax_warp_forwardIfffLi3ELb0ELb1ELi32EEEvPT0_PKT_iiiPKbib: ; @_ZN12_GLOBAL__N_120softmax_warp_forwardIfffLi3ELb0ELb1ELi32EEEvPT0_PKT_iiiPKbib
; %bb.0:
	s_clause 0x2
	s_load_dwordx2 s[8:9], s[4:5], 0x28
	s_load_dword s10, s[4:5], 0x3c
	s_load_dwordx4 s[0:3], s[4:5], 0x10
	s_waitcnt lgkmcnt(0)
	s_bitcmp1_b32 s9, 0
	s_cselect_b32 s7, -1, 0
	s_lshr_b32 s3, s10, 16
	s_and_b32 s3, s3, 0xffff
	s_bitcmp0_b32 s9, 0
	s_mul_i32 s6, s6, s3
	v_add_lshl_u32 v5, s6, v1, 1
	v_mul_lo_u32 v6, v5, s1
	v_add_nc_u32_e32 v1, v6, v0
	v_ashrrev_i32_e32 v2, 31, v1
	v_mov_b32_e32 v4, v2
	v_mov_b32_e32 v3, v1
	s_cbranch_scc1 .LBB703_2
; %bb.1:
	s_abs_i32 s3, s8
	v_sub_nc_u32_e32 v7, 0, v6
	v_cvt_f32_u32_e32 v3, s3
	s_sub_i32 s6, 0, s3
	v_max_i32_e32 v7, v6, v7
	v_rcp_iflag_f32_e32 v3, v3
	v_xor_b32_e32 v6, s8, v6
	v_ashrrev_i32_e32 v6, 31, v6
	v_mul_f32_e32 v3, 0x4f7ffffe, v3
	v_cvt_u32_f32_e32 v3, v3
	v_mul_lo_u32 v4, s6, v3
	v_mul_hi_u32 v4, v3, v4
	v_add_nc_u32_e32 v3, v3, v4
	v_mul_hi_u32 v3, v7, v3
	v_mul_lo_u32 v4, v3, s3
	v_sub_nc_u32_e32 v4, v7, v4
	v_add_nc_u32_e32 v7, 1, v3
	v_subrev_nc_u32_e32 v8, s3, v4
	v_cmp_le_u32_e32 vcc_lo, s3, v4
	v_cndmask_b32_e32 v3, v3, v7, vcc_lo
	v_cndmask_b32_e32 v4, v4, v8, vcc_lo
	v_add_nc_u32_e32 v7, 1, v3
	v_cmp_le_u32_e32 vcc_lo, s3, v4
	v_cndmask_b32_e32 v3, v3, v7, vcc_lo
	v_xor_b32_e32 v3, v3, v6
	v_sub_nc_u32_e32 v3, v3, v6
	v_mad_u64_u32 v[3:4], null, v3, s1, v[0:1]
	v_ashrrev_i32_e32 v4, 31, v3
.LBB703_2:
	s_load_dwordx4 s[8:11], s[4:5], 0x0
	v_lshlrev_b64 v[1:2], 2, v[1:2]
	v_sub_nc_u32_e32 v11, s0, v5
	v_cmp_gt_i32_e64 s0, s2, v0
	v_mov_b32_e32 v6, 0xff800000
	v_mov_b32_e32 v5, 0xff800000
	v_cmp_lt_i32_e32 vcc_lo, 0, v11
	s_waitcnt lgkmcnt(0)
	v_add_co_u32 v7, s1, s10, v1
	v_add_co_ci_u32_e64 v8, null, s11, v2, s1
	s_and_b32 s10, s0, vcc_lo
	s_and_saveexec_b32 s1, s10
	s_cbranch_execz .LBB703_4
; %bb.3:
	global_load_dword v5, v[7:8], off
.LBB703_4:
	s_or_b32 exec_lo, exec_lo, s1
	v_cmp_lt_i32_e64 s1, 1, v11
	s_and_b32 s6, s0, s1
	s_and_saveexec_b32 s11, s6
	s_cbranch_execz .LBB703_6
; %bb.5:
	s_mov_b32 s3, 0
	s_lshl_b64 s[12:13], s[2:3], 2
	v_add_co_u32 v6, s1, v7, s12
	v_add_co_ci_u32_e64 v7, null, s13, v8, s1
	global_load_dword v6, v[6:7], off
.LBB703_6:
	s_or_b32 exec_lo, exec_lo, s11
	s_load_dwordx2 s[4:5], s[4:5], 0x20
	v_mov_b32_e32 v7, 0xff800000
	s_waitcnt lgkmcnt(0)
	v_add_co_u32 v3, s1, s4, v3
	v_add_co_ci_u32_e64 v4, null, s5, v4, s1
	s_and_saveexec_b32 s3, s10
	s_cbranch_execz .LBB703_8
; %bb.7:
	global_load_ubyte v0, v[3:4], off
	s_waitcnt vmcnt(0)
	v_and_b32_e32 v0, 1, v0
	v_cmp_eq_u32_e64 s1, 1, v0
	v_cndmask_b32_e64 v7, v5, 0xff800000, s1
.LBB703_8:
	s_or_b32 exec_lo, exec_lo, s3
	s_xor_b32 s3, s10, -1
	s_mov_b32 s5, 0
	s_and_saveexec_b32 s4, s6
	s_cbranch_execz .LBB703_12
; %bb.9:
	s_and_b32 s1, s7, exec_lo
	s_cselect_b32 s1, 0, s2
	s_cselect_b32 s5, 0, 0
	v_add_co_u32 v8, s1, v3, s1
	v_add_co_ci_u32_e64 v9, null, s5, v4, s1
	s_mov_b32 s5, 0
	global_load_ubyte v0, v[8:9], off
	s_waitcnt vmcnt(0)
	v_and_b32_e32 v0, 1, v0
	v_cmp_eq_u32_e64 s1, 1, v0
	s_xor_b32 s10, s1, -1
	s_and_saveexec_b32 s1, s10
; %bb.10:
	s_mov_b32 s5, exec_lo
; %bb.11:
	s_or_b32 exec_lo, exec_lo, s1
	s_and_b32 s5, s5, exec_lo
.LBB703_12:
	s_or_b32 exec_lo, exec_lo, s4
	v_mbcnt_lo_u32_b32 v8, -1, 0
	v_and_b32_e32 v0, 24, v8
	v_xor_b32_e32 v9, 4, v8
	v_xor_b32_e32 v12, 2, v8
	v_add_nc_u32_e32 v10, 8, v0
	v_cmp_lt_i32_e64 s1, v9, v10
	v_cndmask_b32_e64 v0, v8, v9, s1
	s_waitcnt vmcnt(0)
	v_cndmask_b32_e64 v9, 0xff800000, v6, s5
	v_cmp_lt_i32_e64 s1, v12, v10
	v_lshlrev_b32_e32 v0, 2, v0
	v_cndmask_b32_e64 v12, v8, v12, s1
	ds_bpermute_b32 v13, v0, v7
	ds_bpermute_b32 v14, v0, v9
	v_lshlrev_b32_e32 v12, 2, v12
	s_waitcnt lgkmcnt(1)
	v_cmp_lt_f32_e64 s1, v7, v13
	v_cndmask_b32_e64 v7, v7, v13, s1
	s_waitcnt lgkmcnt(0)
	v_cmp_lt_f32_e64 s1, v9, v14
	v_xor_b32_e32 v13, 1, v8
	v_cndmask_b32_e64 v9, v9, v14, s1
	ds_bpermute_b32 v14, v12, v7
	v_cmp_lt_i32_e64 s1, v13, v10
	ds_bpermute_b32 v15, v12, v9
	v_cndmask_b32_e64 v8, v8, v13, s1
	v_lshlrev_b32_e32 v13, 2, v8
	s_waitcnt lgkmcnt(1)
	v_cmp_lt_f32_e64 s1, v7, v14
	v_cndmask_b32_e64 v16, v7, v14, s1
	s_waitcnt lgkmcnt(0)
	v_cmp_lt_f32_e64 s1, v9, v15
	ds_bpermute_b32 v17, v13, v16
	v_cndmask_b32_e64 v14, v9, v15, s1
                                        ; implicit-def: $vgpr9_vgpr10
	ds_bpermute_b32 v15, v13, v14
	s_and_saveexec_b32 s1, s3
	s_xor_b32 s1, exec_lo, s1
; %bb.13:
	v_mov_b32_e32 v5, 0
	v_mov_b32_e32 v10, v6
                                        ; implicit-def: $vgpr16
                                        ; implicit-def: $vgpr17
	v_mov_b32_e32 v9, v5
                                        ; implicit-def: $vgpr6
                                        ; implicit-def: $vgpr5
; %bb.14:
	s_or_saveexec_b32 s3, s1
	v_mov_b32_e32 v7, 0
	s_xor_b32 s4, s6, -1
	v_mov_b32_e32 v8, v7
	s_xor_b32 exec_lo, exec_lo, s3
	s_cbranch_execz .LBB703_20
; %bb.15:
	global_load_ubyte v8, v[3:4], off
	s_waitcnt vmcnt(0)
	v_and_b32_e32 v9, 1, v8
	v_mov_b32_e32 v8, v6
	v_cmp_eq_u32_e64 s1, 1, v9
	v_mov_b32_e32 v10, v8
	v_mov_b32_e32 v9, v7
	s_xor_b32 s1, s1, -1
	s_and_saveexec_b32 s5, s1
	s_xor_b32 s5, exec_lo, s5
	s_cbranch_execz .LBB703_17
; %bb.16:
	s_waitcnt lgkmcnt(1)
	v_cmp_lt_f32_e64 s1, v16, v17
	v_cndmask_b32_e64 v8, v16, v17, s1
	v_mov_b32_e32 v17, v7
	v_sub_f32_e32 v5, v5, v8
	v_mul_f32_e32 v8, 0x3fb8aa3b, v5
	v_cmp_ngt_f32_e64 s1, 0xc2ce8ed0, v5
	v_fma_f32 v9, 0x3fb8aa3b, v5, -v8
	v_rndne_f32_e32 v10, v8
	v_fmamk_f32 v9, v5, 0x32a5705f, v9
	v_sub_f32_e32 v8, v8, v10
	v_add_f32_e32 v8, v8, v9
	v_cvt_i32_f32_e32 v9, v10
	v_exp_f32_e32 v8, v8
	v_ldexp_f32 v8, v8, v9
	v_cndmask_b32_e64 v8, 0, v8, s1
	v_cmp_nlt_f32_e64 s1, 0x42b17218, v5
	v_cndmask_b32_e64 v5, 0x7f800000, v8, s1
	v_mov_b32_e32 v10, v6
	v_mov_b32_e32 v16, v5
	;; [unrolled: 1-line block ×5, first 2 shown]
.LBB703_17:
	s_andn2_saveexec_b32 s1, s5
; %bb.18:
	v_mov_b32_e32 v7, 0
	v_mov_b32_e32 v8, v7
; %bb.19:
	s_or_b32 exec_lo, exec_lo, s1
.LBB703_20:
	s_or_b32 exec_lo, exec_lo, s3
                                        ; implicit-def: $vgpr5_vgpr6
	s_and_saveexec_b32 s1, s4
	s_xor_b32 s1, exec_lo, s1
	s_cbranch_execz .LBB703_22
; %bb.21:
	v_mov_b32_e32 v10, 0
	v_mov_b32_e32 v5, v9
                                        ; implicit-def: $vgpr3
                                        ; implicit-def: $vgpr14
                                        ; implicit-def: $vgpr15
	v_mov_b32_e32 v6, v10
                                        ; implicit-def: $vgpr9_vgpr10
	s_andn2_saveexec_b32 s3, s1
	s_cbranch_execz .LBB703_26
	s_branch .LBB703_23
.LBB703_22:
	s_andn2_saveexec_b32 s3, s1
	s_cbranch_execz .LBB703_26
.LBB703_23:
	s_and_b32 s1, s7, exec_lo
	s_cselect_b32 s1, 0, s2
	s_cselect_b32 s4, 0, 0
	v_add_co_u32 v3, s1, v3, s1
	v_add_co_ci_u32_e64 v4, null, s4, v4, s1
	v_mov_b32_e32 v6, 0
	v_mov_b32_e32 v5, v9
	global_load_ubyte v3, v[3:4], off
	s_waitcnt vmcnt(0)
	v_and_b32_e32 v3, 1, v3
	v_cmp_eq_u32_e64 s1, 1, v3
	s_xor_b32 s1, s1, -1
	s_and_saveexec_b32 s4, s1
	s_xor_b32 s4, exec_lo, s4
	s_cbranch_execz .LBB703_25
; %bb.24:
	s_waitcnt lgkmcnt(0)
	v_cmp_lt_f32_e64 s1, v14, v15
	v_cndmask_b32_e64 v3, v14, v15, s1
	v_sub_f32_e32 v3, v10, v3
	v_mul_f32_e32 v4, 0x3fb8aa3b, v3
	v_cmp_ngt_f32_e64 s1, 0xc2ce8ed0, v3
	v_fma_f32 v5, 0x3fb8aa3b, v3, -v4
	v_rndne_f32_e32 v6, v4
	v_fmamk_f32 v5, v3, 0x32a5705f, v5
	v_sub_f32_e32 v4, v4, v6
	v_add_f32_e32 v4, v4, v5
	v_cvt_i32_f32_e32 v5, v6
	v_exp_f32_e32 v4, v4
	v_ldexp_f32 v4, v4, v5
	v_cndmask_b32_e64 v4, 0, v4, s1
	v_cmp_nlt_f32_e64 s1, 0x42b17218, v3
	v_cndmask_b32_e64 v10, 0x7f800000, v4, s1
	v_mov_b32_e32 v5, v9
	v_add_f32_e32 v8, v8, v10
	v_mov_b32_e32 v6, v10
.LBB703_25:
	s_andn2_saveexec_b32 s1, s4
	s_or_b32 exec_lo, exec_lo, s1
.LBB703_26:
	s_or_b32 exec_lo, exec_lo, s3
	ds_bpermute_b32 v3, v0, v7
	ds_bpermute_b32 v0, v0, v8
	s_waitcnt lgkmcnt(1)
	v_add_f32_e32 v3, v7, v3
	s_waitcnt lgkmcnt(0)
	v_add_f32_e32 v0, v8, v0
	ds_bpermute_b32 v4, v12, v3
	ds_bpermute_b32 v8, v12, v0
	s_waitcnt lgkmcnt(1)
	v_add_f32_e32 v7, v3, v4
	s_waitcnt lgkmcnt(0)
	v_add_f32_e32 v3, v0, v8
	ds_bpermute_b32 v8, v13, v7
	ds_bpermute_b32 v4, v13, v3
	s_and_saveexec_b32 s1, vcc_lo
	s_cbranch_execz .LBB703_35
; %bb.27:
	v_add_co_u32 v0, vcc_lo, s8, v1
	v_add_co_ci_u32_e64 v1, null, s9, v2, vcc_lo
	s_and_saveexec_b32 s1, s0
	s_cbranch_execz .LBB703_31
; %bb.28:
	s_waitcnt lgkmcnt(1)
	v_add_f32_e32 v2, v7, v8
	v_mov_b32_e32 v7, 0x7fc00000
	s_mov_b32 s3, exec_lo
	v_cmpx_neq_f32_e32 0, v2
	s_cbranch_execz .LBB703_30
; %bb.29:
	v_div_scale_f32 v7, null, v2, v2, v5
	v_rcp_f32_e32 v8, v7
	v_fma_f32 v9, -v7, v8, 1.0
	v_fmac_f32_e32 v8, v9, v8
	v_div_scale_f32 v9, vcc_lo, v5, v2, v5
	v_mul_f32_e32 v10, v9, v8
	v_fma_f32 v12, -v7, v10, v9
	v_fmac_f32_e32 v10, v12, v8
	v_fma_f32 v7, -v7, v10, v9
	v_div_fmas_f32 v7, v7, v8, v10
	v_div_fixup_f32 v7, v7, v2, v5
.LBB703_30:
	s_or_b32 exec_lo, exec_lo, s3
	global_store_dword v[0:1], v7, off
.LBB703_31:
	s_or_b32 exec_lo, exec_lo, s1
	v_cmp_ne_u32_e32 vcc_lo, 1, v11
	s_and_b32 s0, vcc_lo, s0
	s_and_b32 exec_lo, exec_lo, s0
	s_cbranch_execz .LBB703_35
; %bb.32:
	s_waitcnt lgkmcnt(0)
	v_add_f32_e32 v2, v3, v4
	v_mov_b32_e32 v3, 0x7fc00000
	s_mov_b32 s3, 0
	s_mov_b32 s0, exec_lo
	v_cmpx_neq_f32_e32 0, v2
	s_cbranch_execz .LBB703_34
; %bb.33:
	v_div_scale_f32 v3, null, v2, v2, v6
	v_rcp_f32_e32 v4, v3
	v_fma_f32 v5, -v3, v4, 1.0
	v_fmac_f32_e32 v4, v5, v4
	v_div_scale_f32 v5, vcc_lo, v6, v2, v6
	v_mul_f32_e32 v7, v5, v4
	v_fma_f32 v8, -v3, v7, v5
	v_fmac_f32_e32 v7, v8, v4
	v_fma_f32 v3, -v3, v7, v5
	v_div_fmas_f32 v3, v3, v4, v7
	v_div_fixup_f32 v3, v3, v2, v6
.LBB703_34:
	s_or_b32 exec_lo, exec_lo, s0
	s_lshl_b64 s[0:1], s[2:3], 2
	v_add_co_u32 v0, vcc_lo, v0, s0
	v_add_co_ci_u32_e64 v1, null, s1, v1, vcc_lo
	global_store_dword v[0:1], v3, off
.LBB703_35:
	s_endpgm
	.section	.rodata,"a",@progbits
	.p2align	6, 0x0
	.amdhsa_kernel _ZN12_GLOBAL__N_120softmax_warp_forwardIfffLi3ELb0ELb1ELi32EEEvPT0_PKT_iiiPKbib
		.amdhsa_group_segment_fixed_size 0
		.amdhsa_private_segment_fixed_size 0
		.amdhsa_kernarg_size 304
		.amdhsa_user_sgpr_count 6
		.amdhsa_user_sgpr_private_segment_buffer 1
		.amdhsa_user_sgpr_dispatch_ptr 0
		.amdhsa_user_sgpr_queue_ptr 0
		.amdhsa_user_sgpr_kernarg_segment_ptr 1
		.amdhsa_user_sgpr_dispatch_id 0
		.amdhsa_user_sgpr_flat_scratch_init 0
		.amdhsa_user_sgpr_private_segment_size 0
		.amdhsa_wavefront_size32 1
		.amdhsa_uses_dynamic_stack 0
		.amdhsa_system_sgpr_private_segment_wavefront_offset 0
		.amdhsa_system_sgpr_workgroup_id_x 1
		.amdhsa_system_sgpr_workgroup_id_y 0
		.amdhsa_system_sgpr_workgroup_id_z 0
		.amdhsa_system_sgpr_workgroup_info 0
		.amdhsa_system_vgpr_workitem_id 1
		.amdhsa_next_free_vgpr 18
		.amdhsa_next_free_sgpr 14
		.amdhsa_reserve_vcc 1
		.amdhsa_reserve_flat_scratch 0
		.amdhsa_float_round_mode_32 0
		.amdhsa_float_round_mode_16_64 0
		.amdhsa_float_denorm_mode_32 3
		.amdhsa_float_denorm_mode_16_64 3
		.amdhsa_dx10_clamp 1
		.amdhsa_ieee_mode 1
		.amdhsa_fp16_overflow 0
		.amdhsa_workgroup_processor_mode 1
		.amdhsa_memory_ordered 1
		.amdhsa_forward_progress 1
		.amdhsa_shared_vgpr_count 0
		.amdhsa_exception_fp_ieee_invalid_op 0
		.amdhsa_exception_fp_denorm_src 0
		.amdhsa_exception_fp_ieee_div_zero 0
		.amdhsa_exception_fp_ieee_overflow 0
		.amdhsa_exception_fp_ieee_underflow 0
		.amdhsa_exception_fp_ieee_inexact 0
		.amdhsa_exception_int_div_zero 0
	.end_amdhsa_kernel
	.section	.text._ZN12_GLOBAL__N_120softmax_warp_forwardIfffLi3ELb0ELb1ELi32EEEvPT0_PKT_iiiPKbib,"axG",@progbits,_ZN12_GLOBAL__N_120softmax_warp_forwardIfffLi3ELb0ELb1ELi32EEEvPT0_PKT_iiiPKbib,comdat
.Lfunc_end703:
	.size	_ZN12_GLOBAL__N_120softmax_warp_forwardIfffLi3ELb0ELb1ELi32EEEvPT0_PKT_iiiPKbib, .Lfunc_end703-_ZN12_GLOBAL__N_120softmax_warp_forwardIfffLi3ELb0ELb1ELi32EEEvPT0_PKT_iiiPKbib
                                        ; -- End function
	.set _ZN12_GLOBAL__N_120softmax_warp_forwardIfffLi3ELb0ELb1ELi32EEEvPT0_PKT_iiiPKbib.num_vgpr, 18
	.set _ZN12_GLOBAL__N_120softmax_warp_forwardIfffLi3ELb0ELb1ELi32EEEvPT0_PKT_iiiPKbib.num_agpr, 0
	.set _ZN12_GLOBAL__N_120softmax_warp_forwardIfffLi3ELb0ELb1ELi32EEEvPT0_PKT_iiiPKbib.numbered_sgpr, 14
	.set _ZN12_GLOBAL__N_120softmax_warp_forwardIfffLi3ELb0ELb1ELi32EEEvPT0_PKT_iiiPKbib.num_named_barrier, 0
	.set _ZN12_GLOBAL__N_120softmax_warp_forwardIfffLi3ELb0ELb1ELi32EEEvPT0_PKT_iiiPKbib.private_seg_size, 0
	.set _ZN12_GLOBAL__N_120softmax_warp_forwardIfffLi3ELb0ELb1ELi32EEEvPT0_PKT_iiiPKbib.uses_vcc, 1
	.set _ZN12_GLOBAL__N_120softmax_warp_forwardIfffLi3ELb0ELb1ELi32EEEvPT0_PKT_iiiPKbib.uses_flat_scratch, 0
	.set _ZN12_GLOBAL__N_120softmax_warp_forwardIfffLi3ELb0ELb1ELi32EEEvPT0_PKT_iiiPKbib.has_dyn_sized_stack, 0
	.set _ZN12_GLOBAL__N_120softmax_warp_forwardIfffLi3ELb0ELb1ELi32EEEvPT0_PKT_iiiPKbib.has_recursion, 0
	.set _ZN12_GLOBAL__N_120softmax_warp_forwardIfffLi3ELb0ELb1ELi32EEEvPT0_PKT_iiiPKbib.has_indirect_call, 0
	.section	.AMDGPU.csdata,"",@progbits
; Kernel info:
; codeLenInByte = 1708
; TotalNumSgprs: 16
; NumVgprs: 18
; ScratchSize: 0
; MemoryBound: 0
; FloatMode: 240
; IeeeMode: 1
; LDSByteSize: 0 bytes/workgroup (compile time only)
; SGPRBlocks: 0
; VGPRBlocks: 2
; NumSGPRsForWavesPerEU: 16
; NumVGPRsForWavesPerEU: 18
; Occupancy: 16
; WaveLimiterHint : 0
; COMPUTE_PGM_RSRC2:SCRATCH_EN: 0
; COMPUTE_PGM_RSRC2:USER_SGPR: 6
; COMPUTE_PGM_RSRC2:TRAP_HANDLER: 0
; COMPUTE_PGM_RSRC2:TGID_X_EN: 1
; COMPUTE_PGM_RSRC2:TGID_Y_EN: 0
; COMPUTE_PGM_RSRC2:TGID_Z_EN: 0
; COMPUTE_PGM_RSRC2:TIDIG_COMP_CNT: 1
	.section	.text._ZN12_GLOBAL__N_120softmax_warp_forwardIfffLi4ELb0ELb1ELi64EEEvPT0_PKT_iiiPKbib,"axG",@progbits,_ZN12_GLOBAL__N_120softmax_warp_forwardIfffLi4ELb0ELb1ELi64EEEvPT0_PKT_iiiPKbib,comdat
	.globl	_ZN12_GLOBAL__N_120softmax_warp_forwardIfffLi4ELb0ELb1ELi64EEEvPT0_PKT_iiiPKbib ; -- Begin function _ZN12_GLOBAL__N_120softmax_warp_forwardIfffLi4ELb0ELb1ELi64EEEvPT0_PKT_iiiPKbib
	.p2align	8
	.type	_ZN12_GLOBAL__N_120softmax_warp_forwardIfffLi4ELb0ELb1ELi64EEEvPT0_PKT_iiiPKbib,@function
_ZN12_GLOBAL__N_120softmax_warp_forwardIfffLi4ELb0ELb1ELi64EEEvPT0_PKT_iiiPKbib: ; @_ZN12_GLOBAL__N_120softmax_warp_forwardIfffLi4ELb0ELb1ELi64EEEvPT0_PKT_iiiPKbib
; %bb.0:
	s_clause 0x2
	s_load_dwordx2 s[8:9], s[4:5], 0x28
	s_load_dword s10, s[4:5], 0x3c
	s_load_dwordx4 s[0:3], s[4:5], 0x10
	s_waitcnt lgkmcnt(0)
	s_bitcmp1_b32 s9, 0
	s_cselect_b32 s7, -1, 0
	s_lshr_b32 s3, s10, 16
	s_and_b32 s3, s3, 0xffff
	s_bitcmp0_b32 s9, 0
	s_mul_i32 s6, s6, s3
	v_add_lshl_u32 v5, s6, v1, 1
	v_mul_lo_u32 v6, v5, s1
	v_add_nc_u32_e32 v1, v6, v0
	v_ashrrev_i32_e32 v2, 31, v1
	v_mov_b32_e32 v4, v2
	v_mov_b32_e32 v3, v1
	s_cbranch_scc1 .LBB704_2
; %bb.1:
	s_abs_i32 s3, s8
	v_sub_nc_u32_e32 v7, 0, v6
	v_cvt_f32_u32_e32 v3, s3
	s_sub_i32 s6, 0, s3
	v_max_i32_e32 v7, v6, v7
	v_rcp_iflag_f32_e32 v3, v3
	v_xor_b32_e32 v6, s8, v6
	v_ashrrev_i32_e32 v6, 31, v6
	v_mul_f32_e32 v3, 0x4f7ffffe, v3
	v_cvt_u32_f32_e32 v3, v3
	v_mul_lo_u32 v4, s6, v3
	v_mul_hi_u32 v4, v3, v4
	v_add_nc_u32_e32 v3, v3, v4
	v_mul_hi_u32 v3, v7, v3
	v_mul_lo_u32 v4, v3, s3
	v_sub_nc_u32_e32 v4, v7, v4
	v_add_nc_u32_e32 v7, 1, v3
	v_subrev_nc_u32_e32 v8, s3, v4
	v_cmp_le_u32_e32 vcc_lo, s3, v4
	v_cndmask_b32_e32 v3, v3, v7, vcc_lo
	v_cndmask_b32_e32 v4, v4, v8, vcc_lo
	v_add_nc_u32_e32 v7, 1, v3
	v_cmp_le_u32_e32 vcc_lo, s3, v4
	v_cndmask_b32_e32 v3, v3, v7, vcc_lo
	v_xor_b32_e32 v3, v3, v6
	v_sub_nc_u32_e32 v3, v3, v6
	v_mad_u64_u32 v[3:4], null, v3, s1, v[0:1]
	v_ashrrev_i32_e32 v4, 31, v3
.LBB704_2:
	s_load_dwordx4 s[8:11], s[4:5], 0x0
	v_lshlrev_b64 v[1:2], 2, v[1:2]
	v_sub_nc_u32_e32 v11, s0, v5
	v_cmp_gt_i32_e64 s0, s2, v0
	v_mov_b32_e32 v6, 0xff800000
	v_mov_b32_e32 v5, 0xff800000
	v_cmp_lt_i32_e32 vcc_lo, 0, v11
	s_waitcnt lgkmcnt(0)
	v_add_co_u32 v7, s1, s10, v1
	v_add_co_ci_u32_e64 v8, null, s11, v2, s1
	s_and_b32 s10, s0, vcc_lo
	s_and_saveexec_b32 s1, s10
	s_cbranch_execz .LBB704_4
; %bb.3:
	global_load_dword v5, v[7:8], off
.LBB704_4:
	s_or_b32 exec_lo, exec_lo, s1
	v_cmp_lt_i32_e64 s1, 1, v11
	s_and_b32 s6, s0, s1
	s_and_saveexec_b32 s11, s6
	s_cbranch_execz .LBB704_6
; %bb.5:
	s_mov_b32 s3, 0
	s_lshl_b64 s[12:13], s[2:3], 2
	v_add_co_u32 v6, s1, v7, s12
	v_add_co_ci_u32_e64 v7, null, s13, v8, s1
	global_load_dword v6, v[6:7], off
.LBB704_6:
	s_or_b32 exec_lo, exec_lo, s11
	s_load_dwordx2 s[4:5], s[4:5], 0x20
	v_mov_b32_e32 v7, 0xff800000
	s_waitcnt lgkmcnt(0)
	v_add_co_u32 v3, s1, s4, v3
	v_add_co_ci_u32_e64 v4, null, s5, v4, s1
	s_and_saveexec_b32 s3, s10
	s_cbranch_execz .LBB704_8
; %bb.7:
	global_load_ubyte v0, v[3:4], off
	s_waitcnt vmcnt(0)
	v_and_b32_e32 v0, 1, v0
	v_cmp_eq_u32_e64 s1, 1, v0
	v_cndmask_b32_e64 v7, v5, 0xff800000, s1
.LBB704_8:
	s_or_b32 exec_lo, exec_lo, s3
	s_xor_b32 s3, s10, -1
	s_mov_b32 s5, 0
	s_and_saveexec_b32 s4, s6
	s_cbranch_execz .LBB704_12
; %bb.9:
	s_and_b32 s1, s7, exec_lo
	s_cselect_b32 s1, 0, s2
	s_cselect_b32 s5, 0, 0
	v_add_co_u32 v8, s1, v3, s1
	v_add_co_ci_u32_e64 v9, null, s5, v4, s1
	s_mov_b32 s5, 0
	global_load_ubyte v0, v[8:9], off
	s_waitcnt vmcnt(0)
	v_and_b32_e32 v0, 1, v0
	v_cmp_eq_u32_e64 s1, 1, v0
	s_xor_b32 s10, s1, -1
	s_and_saveexec_b32 s1, s10
; %bb.10:
	s_mov_b32 s5, exec_lo
; %bb.11:
	s_or_b32 exec_lo, exec_lo, s1
	s_and_b32 s5, s5, exec_lo
.LBB704_12:
	s_or_b32 exec_lo, exec_lo, s4
	v_mbcnt_lo_u32_b32 v8, -1, 0
	v_and_b32_e32 v0, 16, v8
	v_xor_b32_e32 v9, 8, v8
	v_xor_b32_e32 v12, 4, v8
	v_add_nc_u32_e32 v10, 16, v0
	v_cmp_lt_i32_e64 s1, v9, v10
	v_cndmask_b32_e64 v0, v8, v9, s1
	s_waitcnt vmcnt(0)
	v_cndmask_b32_e64 v9, 0xff800000, v6, s5
	v_cmp_lt_i32_e64 s1, v12, v10
	v_lshlrev_b32_e32 v0, 2, v0
	v_cndmask_b32_e64 v12, v8, v12, s1
	ds_bpermute_b32 v13, v0, v7
	ds_bpermute_b32 v14, v0, v9
	v_lshlrev_b32_e32 v12, 2, v12
	s_waitcnt lgkmcnt(1)
	v_cmp_lt_f32_e64 s1, v7, v13
	v_cndmask_b32_e64 v7, v7, v13, s1
	s_waitcnt lgkmcnt(0)
	v_cmp_lt_f32_e64 s1, v9, v14
	v_xor_b32_e32 v13, 2, v8
	v_cndmask_b32_e64 v9, v9, v14, s1
	ds_bpermute_b32 v14, v12, v7
	v_cmp_lt_i32_e64 s1, v13, v10
	ds_bpermute_b32 v15, v12, v9
	v_cndmask_b32_e64 v13, v8, v13, s1
	v_lshlrev_b32_e32 v13, 2, v13
	s_waitcnt lgkmcnt(1)
	v_cmp_lt_f32_e64 s1, v7, v14
	v_cndmask_b32_e64 v7, v7, v14, s1
	s_waitcnt lgkmcnt(0)
	v_cmp_lt_f32_e64 s1, v9, v15
	v_xor_b32_e32 v14, 1, v8
	v_cndmask_b32_e64 v9, v9, v15, s1
	ds_bpermute_b32 v15, v13, v7
	v_cmp_lt_i32_e64 s1, v14, v10
	ds_bpermute_b32 v16, v13, v9
	v_cndmask_b32_e64 v8, v8, v14, s1
	v_lshlrev_b32_e32 v14, 2, v8
	s_waitcnt lgkmcnt(1)
	v_cmp_lt_f32_e64 s1, v7, v15
	v_cndmask_b32_e64 v17, v7, v15, s1
	s_waitcnt lgkmcnt(0)
	v_cmp_lt_f32_e64 s1, v9, v16
	ds_bpermute_b32 v18, v14, v17
	v_cndmask_b32_e64 v15, v9, v16, s1
                                        ; implicit-def: $vgpr9_vgpr10
	ds_bpermute_b32 v16, v14, v15
	s_and_saveexec_b32 s1, s3
	s_xor_b32 s1, exec_lo, s1
; %bb.13:
	v_mov_b32_e32 v5, 0
	v_mov_b32_e32 v10, v6
                                        ; implicit-def: $vgpr17
                                        ; implicit-def: $vgpr18
	v_mov_b32_e32 v9, v5
                                        ; implicit-def: $vgpr6
                                        ; implicit-def: $vgpr5
; %bb.14:
	s_or_saveexec_b32 s3, s1
	v_mov_b32_e32 v7, 0
	s_xor_b32 s4, s6, -1
	v_mov_b32_e32 v8, v7
	s_xor_b32 exec_lo, exec_lo, s3
	s_cbranch_execz .LBB704_20
; %bb.15:
	global_load_ubyte v8, v[3:4], off
	s_waitcnt vmcnt(0)
	v_and_b32_e32 v9, 1, v8
	v_mov_b32_e32 v8, v6
	v_cmp_eq_u32_e64 s1, 1, v9
	v_mov_b32_e32 v10, v8
	v_mov_b32_e32 v9, v7
	s_xor_b32 s1, s1, -1
	s_and_saveexec_b32 s5, s1
	s_xor_b32 s5, exec_lo, s5
	s_cbranch_execz .LBB704_17
; %bb.16:
	s_waitcnt lgkmcnt(1)
	v_cmp_lt_f32_e64 s1, v17, v18
	v_cndmask_b32_e64 v8, v17, v18, s1
	v_mov_b32_e32 v18, v7
	v_sub_f32_e32 v5, v5, v8
	v_mul_f32_e32 v8, 0x3fb8aa3b, v5
	v_cmp_ngt_f32_e64 s1, 0xc2ce8ed0, v5
	v_fma_f32 v9, 0x3fb8aa3b, v5, -v8
	v_rndne_f32_e32 v10, v8
	v_fmamk_f32 v9, v5, 0x32a5705f, v9
	v_sub_f32_e32 v8, v8, v10
	v_add_f32_e32 v8, v8, v9
	v_cvt_i32_f32_e32 v9, v10
	v_exp_f32_e32 v8, v8
	v_ldexp_f32 v8, v8, v9
	v_cndmask_b32_e64 v8, 0, v8, s1
	v_cmp_nlt_f32_e64 s1, 0x42b17218, v5
	v_cndmask_b32_e64 v5, 0x7f800000, v8, s1
	v_mov_b32_e32 v10, v6
	v_mov_b32_e32 v17, v5
	;; [unrolled: 1-line block ×5, first 2 shown]
.LBB704_17:
	s_andn2_saveexec_b32 s1, s5
; %bb.18:
	v_mov_b32_e32 v7, 0
	v_mov_b32_e32 v8, v7
; %bb.19:
	s_or_b32 exec_lo, exec_lo, s1
.LBB704_20:
	s_or_b32 exec_lo, exec_lo, s3
                                        ; implicit-def: $vgpr5_vgpr6
	s_and_saveexec_b32 s1, s4
	s_xor_b32 s1, exec_lo, s1
	s_cbranch_execz .LBB704_22
; %bb.21:
	v_mov_b32_e32 v10, 0
	v_mov_b32_e32 v5, v9
                                        ; implicit-def: $vgpr3
                                        ; implicit-def: $vgpr15
                                        ; implicit-def: $vgpr16
	v_mov_b32_e32 v6, v10
                                        ; implicit-def: $vgpr9_vgpr10
	s_andn2_saveexec_b32 s3, s1
	s_cbranch_execz .LBB704_26
	s_branch .LBB704_23
.LBB704_22:
	s_andn2_saveexec_b32 s3, s1
	s_cbranch_execz .LBB704_26
.LBB704_23:
	s_and_b32 s1, s7, exec_lo
	s_cselect_b32 s1, 0, s2
	s_cselect_b32 s4, 0, 0
	v_add_co_u32 v3, s1, v3, s1
	v_add_co_ci_u32_e64 v4, null, s4, v4, s1
	v_mov_b32_e32 v6, 0
	v_mov_b32_e32 v5, v9
	global_load_ubyte v3, v[3:4], off
	s_waitcnt vmcnt(0)
	v_and_b32_e32 v3, 1, v3
	v_cmp_eq_u32_e64 s1, 1, v3
	s_xor_b32 s1, s1, -1
	s_and_saveexec_b32 s4, s1
	s_xor_b32 s4, exec_lo, s4
	s_cbranch_execz .LBB704_25
; %bb.24:
	s_waitcnt lgkmcnt(0)
	v_cmp_lt_f32_e64 s1, v15, v16
	v_cndmask_b32_e64 v3, v15, v16, s1
	v_sub_f32_e32 v3, v10, v3
	v_mul_f32_e32 v4, 0x3fb8aa3b, v3
	v_cmp_ngt_f32_e64 s1, 0xc2ce8ed0, v3
	v_fma_f32 v5, 0x3fb8aa3b, v3, -v4
	v_rndne_f32_e32 v6, v4
	v_fmamk_f32 v5, v3, 0x32a5705f, v5
	v_sub_f32_e32 v4, v4, v6
	v_add_f32_e32 v4, v4, v5
	v_cvt_i32_f32_e32 v5, v6
	v_exp_f32_e32 v4, v4
	v_ldexp_f32 v4, v4, v5
	v_cndmask_b32_e64 v4, 0, v4, s1
	v_cmp_nlt_f32_e64 s1, 0x42b17218, v3
	v_cndmask_b32_e64 v10, 0x7f800000, v4, s1
	v_mov_b32_e32 v5, v9
	v_add_f32_e32 v8, v8, v10
	v_mov_b32_e32 v6, v10
.LBB704_25:
	s_andn2_saveexec_b32 s1, s4
	s_or_b32 exec_lo, exec_lo, s1
.LBB704_26:
	s_or_b32 exec_lo, exec_lo, s3
	ds_bpermute_b32 v3, v0, v7
	ds_bpermute_b32 v0, v0, v8
	s_waitcnt lgkmcnt(1)
	v_add_f32_e32 v3, v7, v3
	s_waitcnt lgkmcnt(0)
	v_add_f32_e32 v0, v8, v0
	ds_bpermute_b32 v4, v12, v3
	ds_bpermute_b32 v7, v12, v0
	s_waitcnt lgkmcnt(1)
	v_add_f32_e32 v3, v3, v4
	s_waitcnt lgkmcnt(0)
	v_add_f32_e32 v0, v0, v7
	;; [unrolled: 6-line block ×3, first 2 shown]
	ds_bpermute_b32 v8, v14, v7
	ds_bpermute_b32 v4, v14, v3
	s_and_saveexec_b32 s1, vcc_lo
	s_cbranch_execz .LBB704_35
; %bb.27:
	v_add_co_u32 v0, vcc_lo, s8, v1
	v_add_co_ci_u32_e64 v1, null, s9, v2, vcc_lo
	s_and_saveexec_b32 s1, s0
	s_cbranch_execz .LBB704_31
; %bb.28:
	s_waitcnt lgkmcnt(1)
	v_add_f32_e32 v2, v7, v8
	v_mov_b32_e32 v7, 0x7fc00000
	s_mov_b32 s3, exec_lo
	v_cmpx_neq_f32_e32 0, v2
	s_cbranch_execz .LBB704_30
; %bb.29:
	v_div_scale_f32 v7, null, v2, v2, v5
	v_rcp_f32_e32 v8, v7
	v_fma_f32 v9, -v7, v8, 1.0
	v_fmac_f32_e32 v8, v9, v8
	v_div_scale_f32 v9, vcc_lo, v5, v2, v5
	v_mul_f32_e32 v10, v9, v8
	v_fma_f32 v12, -v7, v10, v9
	v_fmac_f32_e32 v10, v12, v8
	v_fma_f32 v7, -v7, v10, v9
	v_div_fmas_f32 v7, v7, v8, v10
	v_div_fixup_f32 v7, v7, v2, v5
.LBB704_30:
	s_or_b32 exec_lo, exec_lo, s3
	global_store_dword v[0:1], v7, off
.LBB704_31:
	s_or_b32 exec_lo, exec_lo, s1
	v_cmp_ne_u32_e32 vcc_lo, 1, v11
	s_and_b32 s0, vcc_lo, s0
	s_and_b32 exec_lo, exec_lo, s0
	s_cbranch_execz .LBB704_35
; %bb.32:
	s_waitcnt lgkmcnt(0)
	v_add_f32_e32 v2, v3, v4
	v_mov_b32_e32 v3, 0x7fc00000
	s_mov_b32 s3, 0
	s_mov_b32 s0, exec_lo
	v_cmpx_neq_f32_e32 0, v2
	s_cbranch_execz .LBB704_34
; %bb.33:
	v_div_scale_f32 v3, null, v2, v2, v6
	v_rcp_f32_e32 v4, v3
	v_fma_f32 v5, -v3, v4, 1.0
	v_fmac_f32_e32 v4, v5, v4
	v_div_scale_f32 v5, vcc_lo, v6, v2, v6
	v_mul_f32_e32 v7, v5, v4
	v_fma_f32 v8, -v3, v7, v5
	v_fmac_f32_e32 v7, v8, v4
	v_fma_f32 v3, -v3, v7, v5
	v_div_fmas_f32 v3, v3, v4, v7
	v_div_fixup_f32 v3, v3, v2, v6
.LBB704_34:
	s_or_b32 exec_lo, exec_lo, s0
	s_lshl_b64 s[0:1], s[2:3], 2
	v_add_co_u32 v0, vcc_lo, v0, s0
	v_add_co_ci_u32_e64 v1, null, s1, v1, vcc_lo
	global_store_dword v[0:1], v3, off
.LBB704_35:
	s_endpgm
	.section	.rodata,"a",@progbits
	.p2align	6, 0x0
	.amdhsa_kernel _ZN12_GLOBAL__N_120softmax_warp_forwardIfffLi4ELb0ELb1ELi64EEEvPT0_PKT_iiiPKbib
		.amdhsa_group_segment_fixed_size 0
		.amdhsa_private_segment_fixed_size 0
		.amdhsa_kernarg_size 304
		.amdhsa_user_sgpr_count 6
		.amdhsa_user_sgpr_private_segment_buffer 1
		.amdhsa_user_sgpr_dispatch_ptr 0
		.amdhsa_user_sgpr_queue_ptr 0
		.amdhsa_user_sgpr_kernarg_segment_ptr 1
		.amdhsa_user_sgpr_dispatch_id 0
		.amdhsa_user_sgpr_flat_scratch_init 0
		.amdhsa_user_sgpr_private_segment_size 0
		.amdhsa_wavefront_size32 1
		.amdhsa_uses_dynamic_stack 0
		.amdhsa_system_sgpr_private_segment_wavefront_offset 0
		.amdhsa_system_sgpr_workgroup_id_x 1
		.amdhsa_system_sgpr_workgroup_id_y 0
		.amdhsa_system_sgpr_workgroup_id_z 0
		.amdhsa_system_sgpr_workgroup_info 0
		.amdhsa_system_vgpr_workitem_id 1
		.amdhsa_next_free_vgpr 19
		.amdhsa_next_free_sgpr 14
		.amdhsa_reserve_vcc 1
		.amdhsa_reserve_flat_scratch 0
		.amdhsa_float_round_mode_32 0
		.amdhsa_float_round_mode_16_64 0
		.amdhsa_float_denorm_mode_32 3
		.amdhsa_float_denorm_mode_16_64 3
		.amdhsa_dx10_clamp 1
		.amdhsa_ieee_mode 1
		.amdhsa_fp16_overflow 0
		.amdhsa_workgroup_processor_mode 1
		.amdhsa_memory_ordered 1
		.amdhsa_forward_progress 1
		.amdhsa_shared_vgpr_count 0
		.amdhsa_exception_fp_ieee_invalid_op 0
		.amdhsa_exception_fp_denorm_src 0
		.amdhsa_exception_fp_ieee_div_zero 0
		.amdhsa_exception_fp_ieee_overflow 0
		.amdhsa_exception_fp_ieee_underflow 0
		.amdhsa_exception_fp_ieee_inexact 0
		.amdhsa_exception_int_div_zero 0
	.end_amdhsa_kernel
	.section	.text._ZN12_GLOBAL__N_120softmax_warp_forwardIfffLi4ELb0ELb1ELi64EEEvPT0_PKT_iiiPKbib,"axG",@progbits,_ZN12_GLOBAL__N_120softmax_warp_forwardIfffLi4ELb0ELb1ELi64EEEvPT0_PKT_iiiPKbib,comdat
.Lfunc_end704:
	.size	_ZN12_GLOBAL__N_120softmax_warp_forwardIfffLi4ELb0ELb1ELi64EEEvPT0_PKT_iiiPKbib, .Lfunc_end704-_ZN12_GLOBAL__N_120softmax_warp_forwardIfffLi4ELb0ELb1ELi64EEEvPT0_PKT_iiiPKbib
                                        ; -- End function
	.set _ZN12_GLOBAL__N_120softmax_warp_forwardIfffLi4ELb0ELb1ELi64EEEvPT0_PKT_iiiPKbib.num_vgpr, 19
	.set _ZN12_GLOBAL__N_120softmax_warp_forwardIfffLi4ELb0ELb1ELi64EEEvPT0_PKT_iiiPKbib.num_agpr, 0
	.set _ZN12_GLOBAL__N_120softmax_warp_forwardIfffLi4ELb0ELb1ELi64EEEvPT0_PKT_iiiPKbib.numbered_sgpr, 14
	.set _ZN12_GLOBAL__N_120softmax_warp_forwardIfffLi4ELb0ELb1ELi64EEEvPT0_PKT_iiiPKbib.num_named_barrier, 0
	.set _ZN12_GLOBAL__N_120softmax_warp_forwardIfffLi4ELb0ELb1ELi64EEEvPT0_PKT_iiiPKbib.private_seg_size, 0
	.set _ZN12_GLOBAL__N_120softmax_warp_forwardIfffLi4ELb0ELb1ELi64EEEvPT0_PKT_iiiPKbib.uses_vcc, 1
	.set _ZN12_GLOBAL__N_120softmax_warp_forwardIfffLi4ELb0ELb1ELi64EEEvPT0_PKT_iiiPKbib.uses_flat_scratch, 0
	.set _ZN12_GLOBAL__N_120softmax_warp_forwardIfffLi4ELb0ELb1ELi64EEEvPT0_PKT_iiiPKbib.has_dyn_sized_stack, 0
	.set _ZN12_GLOBAL__N_120softmax_warp_forwardIfffLi4ELb0ELb1ELi64EEEvPT0_PKT_iiiPKbib.has_recursion, 0
	.set _ZN12_GLOBAL__N_120softmax_warp_forwardIfffLi4ELb0ELb1ELi64EEEvPT0_PKT_iiiPKbib.has_indirect_call, 0
	.section	.AMDGPU.csdata,"",@progbits
; Kernel info:
; codeLenInByte = 1820
; TotalNumSgprs: 16
; NumVgprs: 19
; ScratchSize: 0
; MemoryBound: 0
; FloatMode: 240
; IeeeMode: 1
; LDSByteSize: 0 bytes/workgroup (compile time only)
; SGPRBlocks: 0
; VGPRBlocks: 2
; NumSGPRsForWavesPerEU: 16
; NumVGPRsForWavesPerEU: 19
; Occupancy: 16
; WaveLimiterHint : 0
; COMPUTE_PGM_RSRC2:SCRATCH_EN: 0
; COMPUTE_PGM_RSRC2:USER_SGPR: 6
; COMPUTE_PGM_RSRC2:TRAP_HANDLER: 0
; COMPUTE_PGM_RSRC2:TGID_X_EN: 1
; COMPUTE_PGM_RSRC2:TGID_Y_EN: 0
; COMPUTE_PGM_RSRC2:TGID_Z_EN: 0
; COMPUTE_PGM_RSRC2:TIDIG_COMP_CNT: 1
	.section	.text._ZN12_GLOBAL__N_120softmax_warp_forwardIfffLi4ELb0ELb1ELi32EEEvPT0_PKT_iiiPKbib,"axG",@progbits,_ZN12_GLOBAL__N_120softmax_warp_forwardIfffLi4ELb0ELb1ELi32EEEvPT0_PKT_iiiPKbib,comdat
	.globl	_ZN12_GLOBAL__N_120softmax_warp_forwardIfffLi4ELb0ELb1ELi32EEEvPT0_PKT_iiiPKbib ; -- Begin function _ZN12_GLOBAL__N_120softmax_warp_forwardIfffLi4ELb0ELb1ELi32EEEvPT0_PKT_iiiPKbib
	.p2align	8
	.type	_ZN12_GLOBAL__N_120softmax_warp_forwardIfffLi4ELb0ELb1ELi32EEEvPT0_PKT_iiiPKbib,@function
_ZN12_GLOBAL__N_120softmax_warp_forwardIfffLi4ELb0ELb1ELi32EEEvPT0_PKT_iiiPKbib: ; @_ZN12_GLOBAL__N_120softmax_warp_forwardIfffLi4ELb0ELb1ELi32EEEvPT0_PKT_iiiPKbib
; %bb.0:
	s_clause 0x2
	s_load_dwordx2 s[8:9], s[4:5], 0x28
	s_load_dword s10, s[4:5], 0x3c
	s_load_dwordx4 s[0:3], s[4:5], 0x10
	s_waitcnt lgkmcnt(0)
	s_bitcmp1_b32 s9, 0
	s_cselect_b32 s7, -1, 0
	s_lshr_b32 s3, s10, 16
	s_and_b32 s3, s3, 0xffff
	s_bitcmp0_b32 s9, 0
	s_mul_i32 s6, s6, s3
	v_add_lshl_u32 v5, s6, v1, 1
	v_mul_lo_u32 v6, v5, s1
	v_add_nc_u32_e32 v1, v6, v0
	v_ashrrev_i32_e32 v2, 31, v1
	v_mov_b32_e32 v4, v2
	v_mov_b32_e32 v3, v1
	s_cbranch_scc1 .LBB705_2
; %bb.1:
	s_abs_i32 s3, s8
	v_sub_nc_u32_e32 v7, 0, v6
	v_cvt_f32_u32_e32 v3, s3
	s_sub_i32 s6, 0, s3
	v_max_i32_e32 v7, v6, v7
	v_rcp_iflag_f32_e32 v3, v3
	v_xor_b32_e32 v6, s8, v6
	v_ashrrev_i32_e32 v6, 31, v6
	v_mul_f32_e32 v3, 0x4f7ffffe, v3
	v_cvt_u32_f32_e32 v3, v3
	v_mul_lo_u32 v4, s6, v3
	v_mul_hi_u32 v4, v3, v4
	v_add_nc_u32_e32 v3, v3, v4
	v_mul_hi_u32 v3, v7, v3
	v_mul_lo_u32 v4, v3, s3
	v_sub_nc_u32_e32 v4, v7, v4
	v_add_nc_u32_e32 v7, 1, v3
	v_subrev_nc_u32_e32 v8, s3, v4
	v_cmp_le_u32_e32 vcc_lo, s3, v4
	v_cndmask_b32_e32 v3, v3, v7, vcc_lo
	v_cndmask_b32_e32 v4, v4, v8, vcc_lo
	v_add_nc_u32_e32 v7, 1, v3
	v_cmp_le_u32_e32 vcc_lo, s3, v4
	v_cndmask_b32_e32 v3, v3, v7, vcc_lo
	v_xor_b32_e32 v3, v3, v6
	v_sub_nc_u32_e32 v3, v3, v6
	v_mad_u64_u32 v[3:4], null, v3, s1, v[0:1]
	v_ashrrev_i32_e32 v4, 31, v3
.LBB705_2:
	s_load_dwordx4 s[8:11], s[4:5], 0x0
	v_lshlrev_b64 v[1:2], 2, v[1:2]
	v_sub_nc_u32_e32 v11, s0, v5
	v_cmp_gt_i32_e64 s0, s2, v0
	v_mov_b32_e32 v6, 0xff800000
	v_mov_b32_e32 v5, 0xff800000
	v_cmp_lt_i32_e32 vcc_lo, 0, v11
	s_waitcnt lgkmcnt(0)
	v_add_co_u32 v7, s1, s10, v1
	v_add_co_ci_u32_e64 v8, null, s11, v2, s1
	s_and_b32 s10, s0, vcc_lo
	s_and_saveexec_b32 s1, s10
	s_cbranch_execz .LBB705_4
; %bb.3:
	global_load_dword v5, v[7:8], off
.LBB705_4:
	s_or_b32 exec_lo, exec_lo, s1
	v_cmp_lt_i32_e64 s1, 1, v11
	s_and_b32 s6, s0, s1
	s_and_saveexec_b32 s11, s6
	s_cbranch_execz .LBB705_6
; %bb.5:
	s_mov_b32 s3, 0
	s_lshl_b64 s[12:13], s[2:3], 2
	v_add_co_u32 v6, s1, v7, s12
	v_add_co_ci_u32_e64 v7, null, s13, v8, s1
	global_load_dword v6, v[6:7], off
.LBB705_6:
	s_or_b32 exec_lo, exec_lo, s11
	s_load_dwordx2 s[4:5], s[4:5], 0x20
	v_mov_b32_e32 v7, 0xff800000
	s_waitcnt lgkmcnt(0)
	v_add_co_u32 v3, s1, s4, v3
	v_add_co_ci_u32_e64 v4, null, s5, v4, s1
	s_and_saveexec_b32 s3, s10
	s_cbranch_execz .LBB705_8
; %bb.7:
	global_load_ubyte v0, v[3:4], off
	s_waitcnt vmcnt(0)
	v_and_b32_e32 v0, 1, v0
	v_cmp_eq_u32_e64 s1, 1, v0
	v_cndmask_b32_e64 v7, v5, 0xff800000, s1
.LBB705_8:
	s_or_b32 exec_lo, exec_lo, s3
	s_xor_b32 s3, s10, -1
	s_mov_b32 s5, 0
	s_and_saveexec_b32 s4, s6
	s_cbranch_execz .LBB705_12
; %bb.9:
	s_and_b32 s1, s7, exec_lo
	s_cselect_b32 s1, 0, s2
	s_cselect_b32 s5, 0, 0
	v_add_co_u32 v8, s1, v3, s1
	v_add_co_ci_u32_e64 v9, null, s5, v4, s1
	s_mov_b32 s5, 0
	global_load_ubyte v0, v[8:9], off
	s_waitcnt vmcnt(0)
	v_and_b32_e32 v0, 1, v0
	v_cmp_eq_u32_e64 s1, 1, v0
	s_xor_b32 s10, s1, -1
	s_and_saveexec_b32 s1, s10
; %bb.10:
	s_mov_b32 s5, exec_lo
; %bb.11:
	s_or_b32 exec_lo, exec_lo, s1
	s_and_b32 s5, s5, exec_lo
.LBB705_12:
	s_or_b32 exec_lo, exec_lo, s4
	v_mbcnt_lo_u32_b32 v8, -1, 0
	v_and_b32_e32 v0, 16, v8
	v_xor_b32_e32 v9, 8, v8
	v_xor_b32_e32 v12, 4, v8
	v_add_nc_u32_e32 v10, 16, v0
	v_cmp_lt_i32_e64 s1, v9, v10
	v_cndmask_b32_e64 v0, v8, v9, s1
	s_waitcnt vmcnt(0)
	v_cndmask_b32_e64 v9, 0xff800000, v6, s5
	v_cmp_lt_i32_e64 s1, v12, v10
	v_lshlrev_b32_e32 v0, 2, v0
	v_cndmask_b32_e64 v12, v8, v12, s1
	ds_bpermute_b32 v13, v0, v7
	ds_bpermute_b32 v14, v0, v9
	v_lshlrev_b32_e32 v12, 2, v12
	s_waitcnt lgkmcnt(1)
	v_cmp_lt_f32_e64 s1, v7, v13
	v_cndmask_b32_e64 v7, v7, v13, s1
	s_waitcnt lgkmcnt(0)
	v_cmp_lt_f32_e64 s1, v9, v14
	v_xor_b32_e32 v13, 2, v8
	v_cndmask_b32_e64 v9, v9, v14, s1
	ds_bpermute_b32 v14, v12, v7
	v_cmp_lt_i32_e64 s1, v13, v10
	ds_bpermute_b32 v15, v12, v9
	v_cndmask_b32_e64 v13, v8, v13, s1
	v_lshlrev_b32_e32 v13, 2, v13
	s_waitcnt lgkmcnt(1)
	v_cmp_lt_f32_e64 s1, v7, v14
	v_cndmask_b32_e64 v7, v7, v14, s1
	s_waitcnt lgkmcnt(0)
	v_cmp_lt_f32_e64 s1, v9, v15
	v_xor_b32_e32 v14, 1, v8
	v_cndmask_b32_e64 v9, v9, v15, s1
	ds_bpermute_b32 v15, v13, v7
	v_cmp_lt_i32_e64 s1, v14, v10
	ds_bpermute_b32 v16, v13, v9
	v_cndmask_b32_e64 v8, v8, v14, s1
	v_lshlrev_b32_e32 v14, 2, v8
	s_waitcnt lgkmcnt(1)
	v_cmp_lt_f32_e64 s1, v7, v15
	v_cndmask_b32_e64 v17, v7, v15, s1
	s_waitcnt lgkmcnt(0)
	v_cmp_lt_f32_e64 s1, v9, v16
	ds_bpermute_b32 v18, v14, v17
	v_cndmask_b32_e64 v15, v9, v16, s1
                                        ; implicit-def: $vgpr9_vgpr10
	ds_bpermute_b32 v16, v14, v15
	s_and_saveexec_b32 s1, s3
	s_xor_b32 s1, exec_lo, s1
; %bb.13:
	v_mov_b32_e32 v5, 0
	v_mov_b32_e32 v10, v6
                                        ; implicit-def: $vgpr17
                                        ; implicit-def: $vgpr18
	v_mov_b32_e32 v9, v5
                                        ; implicit-def: $vgpr6
                                        ; implicit-def: $vgpr5
; %bb.14:
	s_or_saveexec_b32 s3, s1
	v_mov_b32_e32 v7, 0
	s_xor_b32 s4, s6, -1
	v_mov_b32_e32 v8, v7
	s_xor_b32 exec_lo, exec_lo, s3
	s_cbranch_execz .LBB705_20
; %bb.15:
	global_load_ubyte v8, v[3:4], off
	s_waitcnt vmcnt(0)
	v_and_b32_e32 v9, 1, v8
	v_mov_b32_e32 v8, v6
	v_cmp_eq_u32_e64 s1, 1, v9
	v_mov_b32_e32 v10, v8
	v_mov_b32_e32 v9, v7
	s_xor_b32 s1, s1, -1
	s_and_saveexec_b32 s5, s1
	s_xor_b32 s5, exec_lo, s5
	s_cbranch_execz .LBB705_17
; %bb.16:
	s_waitcnt lgkmcnt(1)
	v_cmp_lt_f32_e64 s1, v17, v18
	v_cndmask_b32_e64 v8, v17, v18, s1
	v_mov_b32_e32 v18, v7
	v_sub_f32_e32 v5, v5, v8
	v_mul_f32_e32 v8, 0x3fb8aa3b, v5
	v_cmp_ngt_f32_e64 s1, 0xc2ce8ed0, v5
	v_fma_f32 v9, 0x3fb8aa3b, v5, -v8
	v_rndne_f32_e32 v10, v8
	v_fmamk_f32 v9, v5, 0x32a5705f, v9
	v_sub_f32_e32 v8, v8, v10
	v_add_f32_e32 v8, v8, v9
	v_cvt_i32_f32_e32 v9, v10
	v_exp_f32_e32 v8, v8
	v_ldexp_f32 v8, v8, v9
	v_cndmask_b32_e64 v8, 0, v8, s1
	v_cmp_nlt_f32_e64 s1, 0x42b17218, v5
	v_cndmask_b32_e64 v5, 0x7f800000, v8, s1
	v_mov_b32_e32 v10, v6
	v_mov_b32_e32 v17, v5
	;; [unrolled: 1-line block ×5, first 2 shown]
.LBB705_17:
	s_andn2_saveexec_b32 s1, s5
; %bb.18:
	v_mov_b32_e32 v7, 0
	v_mov_b32_e32 v8, v7
; %bb.19:
	s_or_b32 exec_lo, exec_lo, s1
.LBB705_20:
	s_or_b32 exec_lo, exec_lo, s3
                                        ; implicit-def: $vgpr5_vgpr6
	s_and_saveexec_b32 s1, s4
	s_xor_b32 s1, exec_lo, s1
	s_cbranch_execz .LBB705_22
; %bb.21:
	v_mov_b32_e32 v10, 0
	v_mov_b32_e32 v5, v9
                                        ; implicit-def: $vgpr3
                                        ; implicit-def: $vgpr15
                                        ; implicit-def: $vgpr16
	v_mov_b32_e32 v6, v10
                                        ; implicit-def: $vgpr9_vgpr10
	s_andn2_saveexec_b32 s3, s1
	s_cbranch_execz .LBB705_26
	s_branch .LBB705_23
.LBB705_22:
	s_andn2_saveexec_b32 s3, s1
	s_cbranch_execz .LBB705_26
.LBB705_23:
	s_and_b32 s1, s7, exec_lo
	s_cselect_b32 s1, 0, s2
	s_cselect_b32 s4, 0, 0
	v_add_co_u32 v3, s1, v3, s1
	v_add_co_ci_u32_e64 v4, null, s4, v4, s1
	v_mov_b32_e32 v6, 0
	v_mov_b32_e32 v5, v9
	global_load_ubyte v3, v[3:4], off
	s_waitcnt vmcnt(0)
	v_and_b32_e32 v3, 1, v3
	v_cmp_eq_u32_e64 s1, 1, v3
	s_xor_b32 s1, s1, -1
	s_and_saveexec_b32 s4, s1
	s_xor_b32 s4, exec_lo, s4
	s_cbranch_execz .LBB705_25
; %bb.24:
	s_waitcnt lgkmcnt(0)
	v_cmp_lt_f32_e64 s1, v15, v16
	v_cndmask_b32_e64 v3, v15, v16, s1
	v_sub_f32_e32 v3, v10, v3
	v_mul_f32_e32 v4, 0x3fb8aa3b, v3
	v_cmp_ngt_f32_e64 s1, 0xc2ce8ed0, v3
	v_fma_f32 v5, 0x3fb8aa3b, v3, -v4
	v_rndne_f32_e32 v6, v4
	v_fmamk_f32 v5, v3, 0x32a5705f, v5
	v_sub_f32_e32 v4, v4, v6
	v_add_f32_e32 v4, v4, v5
	v_cvt_i32_f32_e32 v5, v6
	v_exp_f32_e32 v4, v4
	v_ldexp_f32 v4, v4, v5
	v_cndmask_b32_e64 v4, 0, v4, s1
	v_cmp_nlt_f32_e64 s1, 0x42b17218, v3
	v_cndmask_b32_e64 v10, 0x7f800000, v4, s1
	v_mov_b32_e32 v5, v9
	v_add_f32_e32 v8, v8, v10
	v_mov_b32_e32 v6, v10
.LBB705_25:
	s_andn2_saveexec_b32 s1, s4
	s_or_b32 exec_lo, exec_lo, s1
.LBB705_26:
	s_or_b32 exec_lo, exec_lo, s3
	ds_bpermute_b32 v3, v0, v7
	ds_bpermute_b32 v0, v0, v8
	s_waitcnt lgkmcnt(1)
	v_add_f32_e32 v3, v7, v3
	s_waitcnt lgkmcnt(0)
	v_add_f32_e32 v0, v8, v0
	ds_bpermute_b32 v4, v12, v3
	ds_bpermute_b32 v7, v12, v0
	s_waitcnt lgkmcnt(1)
	v_add_f32_e32 v3, v3, v4
	s_waitcnt lgkmcnt(0)
	v_add_f32_e32 v0, v0, v7
	;; [unrolled: 6-line block ×3, first 2 shown]
	ds_bpermute_b32 v8, v14, v7
	ds_bpermute_b32 v4, v14, v3
	s_and_saveexec_b32 s1, vcc_lo
	s_cbranch_execz .LBB705_35
; %bb.27:
	v_add_co_u32 v0, vcc_lo, s8, v1
	v_add_co_ci_u32_e64 v1, null, s9, v2, vcc_lo
	s_and_saveexec_b32 s1, s0
	s_cbranch_execz .LBB705_31
; %bb.28:
	s_waitcnt lgkmcnt(1)
	v_add_f32_e32 v2, v7, v8
	v_mov_b32_e32 v7, 0x7fc00000
	s_mov_b32 s3, exec_lo
	v_cmpx_neq_f32_e32 0, v2
	s_cbranch_execz .LBB705_30
; %bb.29:
	v_div_scale_f32 v7, null, v2, v2, v5
	v_rcp_f32_e32 v8, v7
	v_fma_f32 v9, -v7, v8, 1.0
	v_fmac_f32_e32 v8, v9, v8
	v_div_scale_f32 v9, vcc_lo, v5, v2, v5
	v_mul_f32_e32 v10, v9, v8
	v_fma_f32 v12, -v7, v10, v9
	v_fmac_f32_e32 v10, v12, v8
	v_fma_f32 v7, -v7, v10, v9
	v_div_fmas_f32 v7, v7, v8, v10
	v_div_fixup_f32 v7, v7, v2, v5
.LBB705_30:
	s_or_b32 exec_lo, exec_lo, s3
	global_store_dword v[0:1], v7, off
.LBB705_31:
	s_or_b32 exec_lo, exec_lo, s1
	v_cmp_ne_u32_e32 vcc_lo, 1, v11
	s_and_b32 s0, vcc_lo, s0
	s_and_b32 exec_lo, exec_lo, s0
	s_cbranch_execz .LBB705_35
; %bb.32:
	s_waitcnt lgkmcnt(0)
	v_add_f32_e32 v2, v3, v4
	v_mov_b32_e32 v3, 0x7fc00000
	s_mov_b32 s3, 0
	s_mov_b32 s0, exec_lo
	v_cmpx_neq_f32_e32 0, v2
	s_cbranch_execz .LBB705_34
; %bb.33:
	v_div_scale_f32 v3, null, v2, v2, v6
	v_rcp_f32_e32 v4, v3
	v_fma_f32 v5, -v3, v4, 1.0
	v_fmac_f32_e32 v4, v5, v4
	v_div_scale_f32 v5, vcc_lo, v6, v2, v6
	v_mul_f32_e32 v7, v5, v4
	v_fma_f32 v8, -v3, v7, v5
	v_fmac_f32_e32 v7, v8, v4
	v_fma_f32 v3, -v3, v7, v5
	v_div_fmas_f32 v3, v3, v4, v7
	v_div_fixup_f32 v3, v3, v2, v6
.LBB705_34:
	s_or_b32 exec_lo, exec_lo, s0
	s_lshl_b64 s[0:1], s[2:3], 2
	v_add_co_u32 v0, vcc_lo, v0, s0
	v_add_co_ci_u32_e64 v1, null, s1, v1, vcc_lo
	global_store_dword v[0:1], v3, off
.LBB705_35:
	s_endpgm
	.section	.rodata,"a",@progbits
	.p2align	6, 0x0
	.amdhsa_kernel _ZN12_GLOBAL__N_120softmax_warp_forwardIfffLi4ELb0ELb1ELi32EEEvPT0_PKT_iiiPKbib
		.amdhsa_group_segment_fixed_size 0
		.amdhsa_private_segment_fixed_size 0
		.amdhsa_kernarg_size 304
		.amdhsa_user_sgpr_count 6
		.amdhsa_user_sgpr_private_segment_buffer 1
		.amdhsa_user_sgpr_dispatch_ptr 0
		.amdhsa_user_sgpr_queue_ptr 0
		.amdhsa_user_sgpr_kernarg_segment_ptr 1
		.amdhsa_user_sgpr_dispatch_id 0
		.amdhsa_user_sgpr_flat_scratch_init 0
		.amdhsa_user_sgpr_private_segment_size 0
		.amdhsa_wavefront_size32 1
		.amdhsa_uses_dynamic_stack 0
		.amdhsa_system_sgpr_private_segment_wavefront_offset 0
		.amdhsa_system_sgpr_workgroup_id_x 1
		.amdhsa_system_sgpr_workgroup_id_y 0
		.amdhsa_system_sgpr_workgroup_id_z 0
		.amdhsa_system_sgpr_workgroup_info 0
		.amdhsa_system_vgpr_workitem_id 1
		.amdhsa_next_free_vgpr 19
		.amdhsa_next_free_sgpr 14
		.amdhsa_reserve_vcc 1
		.amdhsa_reserve_flat_scratch 0
		.amdhsa_float_round_mode_32 0
		.amdhsa_float_round_mode_16_64 0
		.amdhsa_float_denorm_mode_32 3
		.amdhsa_float_denorm_mode_16_64 3
		.amdhsa_dx10_clamp 1
		.amdhsa_ieee_mode 1
		.amdhsa_fp16_overflow 0
		.amdhsa_workgroup_processor_mode 1
		.amdhsa_memory_ordered 1
		.amdhsa_forward_progress 1
		.amdhsa_shared_vgpr_count 0
		.amdhsa_exception_fp_ieee_invalid_op 0
		.amdhsa_exception_fp_denorm_src 0
		.amdhsa_exception_fp_ieee_div_zero 0
		.amdhsa_exception_fp_ieee_overflow 0
		.amdhsa_exception_fp_ieee_underflow 0
		.amdhsa_exception_fp_ieee_inexact 0
		.amdhsa_exception_int_div_zero 0
	.end_amdhsa_kernel
	.section	.text._ZN12_GLOBAL__N_120softmax_warp_forwardIfffLi4ELb0ELb1ELi32EEEvPT0_PKT_iiiPKbib,"axG",@progbits,_ZN12_GLOBAL__N_120softmax_warp_forwardIfffLi4ELb0ELb1ELi32EEEvPT0_PKT_iiiPKbib,comdat
.Lfunc_end705:
	.size	_ZN12_GLOBAL__N_120softmax_warp_forwardIfffLi4ELb0ELb1ELi32EEEvPT0_PKT_iiiPKbib, .Lfunc_end705-_ZN12_GLOBAL__N_120softmax_warp_forwardIfffLi4ELb0ELb1ELi32EEEvPT0_PKT_iiiPKbib
                                        ; -- End function
	.set _ZN12_GLOBAL__N_120softmax_warp_forwardIfffLi4ELb0ELb1ELi32EEEvPT0_PKT_iiiPKbib.num_vgpr, 19
	.set _ZN12_GLOBAL__N_120softmax_warp_forwardIfffLi4ELb0ELb1ELi32EEEvPT0_PKT_iiiPKbib.num_agpr, 0
	.set _ZN12_GLOBAL__N_120softmax_warp_forwardIfffLi4ELb0ELb1ELi32EEEvPT0_PKT_iiiPKbib.numbered_sgpr, 14
	.set _ZN12_GLOBAL__N_120softmax_warp_forwardIfffLi4ELb0ELb1ELi32EEEvPT0_PKT_iiiPKbib.num_named_barrier, 0
	.set _ZN12_GLOBAL__N_120softmax_warp_forwardIfffLi4ELb0ELb1ELi32EEEvPT0_PKT_iiiPKbib.private_seg_size, 0
	.set _ZN12_GLOBAL__N_120softmax_warp_forwardIfffLi4ELb0ELb1ELi32EEEvPT0_PKT_iiiPKbib.uses_vcc, 1
	.set _ZN12_GLOBAL__N_120softmax_warp_forwardIfffLi4ELb0ELb1ELi32EEEvPT0_PKT_iiiPKbib.uses_flat_scratch, 0
	.set _ZN12_GLOBAL__N_120softmax_warp_forwardIfffLi4ELb0ELb1ELi32EEEvPT0_PKT_iiiPKbib.has_dyn_sized_stack, 0
	.set _ZN12_GLOBAL__N_120softmax_warp_forwardIfffLi4ELb0ELb1ELi32EEEvPT0_PKT_iiiPKbib.has_recursion, 0
	.set _ZN12_GLOBAL__N_120softmax_warp_forwardIfffLi4ELb0ELb1ELi32EEEvPT0_PKT_iiiPKbib.has_indirect_call, 0
	.section	.AMDGPU.csdata,"",@progbits
; Kernel info:
; codeLenInByte = 1820
; TotalNumSgprs: 16
; NumVgprs: 19
; ScratchSize: 0
; MemoryBound: 0
; FloatMode: 240
; IeeeMode: 1
; LDSByteSize: 0 bytes/workgroup (compile time only)
; SGPRBlocks: 0
; VGPRBlocks: 2
; NumSGPRsForWavesPerEU: 16
; NumVGPRsForWavesPerEU: 19
; Occupancy: 16
; WaveLimiterHint : 0
; COMPUTE_PGM_RSRC2:SCRATCH_EN: 0
; COMPUTE_PGM_RSRC2:USER_SGPR: 6
; COMPUTE_PGM_RSRC2:TRAP_HANDLER: 0
; COMPUTE_PGM_RSRC2:TGID_X_EN: 1
; COMPUTE_PGM_RSRC2:TGID_Y_EN: 0
; COMPUTE_PGM_RSRC2:TGID_Z_EN: 0
; COMPUTE_PGM_RSRC2:TIDIG_COMP_CNT: 1
	.section	.text._ZN12_GLOBAL__N_120softmax_warp_forwardIfffLi5ELb0ELb1ELi64EEEvPT0_PKT_iiiPKbib,"axG",@progbits,_ZN12_GLOBAL__N_120softmax_warp_forwardIfffLi5ELb0ELb1ELi64EEEvPT0_PKT_iiiPKbib,comdat
	.globl	_ZN12_GLOBAL__N_120softmax_warp_forwardIfffLi5ELb0ELb1ELi64EEEvPT0_PKT_iiiPKbib ; -- Begin function _ZN12_GLOBAL__N_120softmax_warp_forwardIfffLi5ELb0ELb1ELi64EEEvPT0_PKT_iiiPKbib
	.p2align	8
	.type	_ZN12_GLOBAL__N_120softmax_warp_forwardIfffLi5ELb0ELb1ELi64EEEvPT0_PKT_iiiPKbib,@function
_ZN12_GLOBAL__N_120softmax_warp_forwardIfffLi5ELb0ELb1ELi64EEEvPT0_PKT_iiiPKbib: ; @_ZN12_GLOBAL__N_120softmax_warp_forwardIfffLi5ELb0ELb1ELi64EEEvPT0_PKT_iiiPKbib
; %bb.0:
	s_clause 0x2
	s_load_dwordx2 s[8:9], s[4:5], 0x28
	s_load_dword s10, s[4:5], 0x3c
	s_load_dwordx4 s[0:3], s[4:5], 0x10
	s_waitcnt lgkmcnt(0)
	s_bitcmp1_b32 s9, 0
	s_cselect_b32 s7, -1, 0
	s_lshr_b32 s3, s10, 16
	s_and_b32 s3, s3, 0xffff
	s_bitcmp0_b32 s9, 0
	s_mul_i32 s6, s6, s3
	v_add_lshl_u32 v5, s6, v1, 1
	v_mul_lo_u32 v6, v5, s1
	v_add_nc_u32_e32 v1, v6, v0
	v_ashrrev_i32_e32 v2, 31, v1
	v_mov_b32_e32 v4, v2
	v_mov_b32_e32 v3, v1
	s_cbranch_scc1 .LBB706_2
; %bb.1:
	s_abs_i32 s3, s8
	v_sub_nc_u32_e32 v7, 0, v6
	v_cvt_f32_u32_e32 v3, s3
	s_sub_i32 s6, 0, s3
	v_max_i32_e32 v7, v6, v7
	v_rcp_iflag_f32_e32 v3, v3
	v_xor_b32_e32 v6, s8, v6
	v_ashrrev_i32_e32 v6, 31, v6
	v_mul_f32_e32 v3, 0x4f7ffffe, v3
	v_cvt_u32_f32_e32 v3, v3
	v_mul_lo_u32 v4, s6, v3
	v_mul_hi_u32 v4, v3, v4
	v_add_nc_u32_e32 v3, v3, v4
	v_mul_hi_u32 v3, v7, v3
	v_mul_lo_u32 v4, v3, s3
	v_sub_nc_u32_e32 v4, v7, v4
	v_add_nc_u32_e32 v7, 1, v3
	v_subrev_nc_u32_e32 v8, s3, v4
	v_cmp_le_u32_e32 vcc_lo, s3, v4
	v_cndmask_b32_e32 v3, v3, v7, vcc_lo
	v_cndmask_b32_e32 v4, v4, v8, vcc_lo
	v_add_nc_u32_e32 v7, 1, v3
	v_cmp_le_u32_e32 vcc_lo, s3, v4
	v_cndmask_b32_e32 v3, v3, v7, vcc_lo
	v_xor_b32_e32 v3, v3, v6
	v_sub_nc_u32_e32 v3, v3, v6
	v_mad_u64_u32 v[3:4], null, v3, s1, v[0:1]
	v_ashrrev_i32_e32 v4, 31, v3
.LBB706_2:
	s_load_dwordx4 s[8:11], s[4:5], 0x0
	v_lshlrev_b64 v[1:2], 2, v[1:2]
	v_sub_nc_u32_e32 v11, s0, v5
	v_cmp_gt_i32_e64 s0, s2, v0
	v_mov_b32_e32 v6, 0xff800000
	v_mov_b32_e32 v5, 0xff800000
	v_cmp_lt_i32_e32 vcc_lo, 0, v11
	s_waitcnt lgkmcnt(0)
	v_add_co_u32 v7, s1, s10, v1
	v_add_co_ci_u32_e64 v8, null, s11, v2, s1
	s_and_b32 s10, s0, vcc_lo
	s_and_saveexec_b32 s1, s10
	s_cbranch_execz .LBB706_4
; %bb.3:
	global_load_dword v5, v[7:8], off
.LBB706_4:
	s_or_b32 exec_lo, exec_lo, s1
	v_cmp_lt_i32_e64 s1, 1, v11
	s_and_b32 s6, s0, s1
	s_and_saveexec_b32 s11, s6
	s_cbranch_execz .LBB706_6
; %bb.5:
	s_mov_b32 s3, 0
	s_lshl_b64 s[12:13], s[2:3], 2
	v_add_co_u32 v6, s1, v7, s12
	v_add_co_ci_u32_e64 v7, null, s13, v8, s1
	global_load_dword v6, v[6:7], off
.LBB706_6:
	s_or_b32 exec_lo, exec_lo, s11
	s_load_dwordx2 s[4:5], s[4:5], 0x20
	v_mov_b32_e32 v7, 0xff800000
	s_waitcnt lgkmcnt(0)
	v_add_co_u32 v3, s1, s4, v3
	v_add_co_ci_u32_e64 v4, null, s5, v4, s1
	s_and_saveexec_b32 s3, s10
	s_cbranch_execz .LBB706_8
; %bb.7:
	global_load_ubyte v0, v[3:4], off
	s_waitcnt vmcnt(0)
	v_and_b32_e32 v0, 1, v0
	v_cmp_eq_u32_e64 s1, 1, v0
	v_cndmask_b32_e64 v7, v5, 0xff800000, s1
.LBB706_8:
	s_or_b32 exec_lo, exec_lo, s3
	s_xor_b32 s3, s10, -1
	s_mov_b32 s5, 0
	s_and_saveexec_b32 s4, s6
	s_cbranch_execz .LBB706_12
; %bb.9:
	s_and_b32 s1, s7, exec_lo
	s_cselect_b32 s1, 0, s2
	s_cselect_b32 s5, 0, 0
	v_add_co_u32 v8, s1, v3, s1
	v_add_co_ci_u32_e64 v9, null, s5, v4, s1
	s_mov_b32 s5, 0
	global_load_ubyte v0, v[8:9], off
	s_waitcnt vmcnt(0)
	v_and_b32_e32 v0, 1, v0
	v_cmp_eq_u32_e64 s1, 1, v0
	s_xor_b32 s10, s1, -1
	s_and_saveexec_b32 s1, s10
; %bb.10:
	s_mov_b32 s5, exec_lo
; %bb.11:
	s_or_b32 exec_lo, exec_lo, s1
	s_and_b32 s5, s5, exec_lo
.LBB706_12:
	s_or_b32 exec_lo, exec_lo, s4
	v_mbcnt_lo_u32_b32 v8, -1, 0
	s_waitcnt vmcnt(0)
	v_cndmask_b32_e64 v9, 0xff800000, v6, s5
	v_xor_b32_e32 v0, 16, v8
	v_xor_b32_e32 v12, 8, v8
	v_cmp_gt_i32_e64 s1, 32, v0
	v_cndmask_b32_e64 v0, v8, v0, s1
	v_cmp_gt_i32_e64 s1, 32, v12
	v_lshlrev_b32_e32 v0, 2, v0
	v_cndmask_b32_e64 v12, v8, v12, s1
	ds_bpermute_b32 v10, v0, v7
	ds_bpermute_b32 v13, v0, v9
	v_lshlrev_b32_e32 v12, 2, v12
	s_waitcnt lgkmcnt(1)
	v_cmp_lt_f32_e64 s1, v7, v10
	v_cndmask_b32_e64 v7, v7, v10, s1
	s_waitcnt lgkmcnt(0)
	v_cmp_lt_f32_e64 s1, v9, v13
	ds_bpermute_b32 v10, v12, v7
	v_cndmask_b32_e64 v9, v9, v13, s1
	v_xor_b32_e32 v13, 4, v8
	ds_bpermute_b32 v14, v12, v9
	v_cmp_gt_i32_e64 s1, 32, v13
	v_cndmask_b32_e64 v13, v8, v13, s1
	v_lshlrev_b32_e32 v13, 2, v13
	s_waitcnt lgkmcnt(1)
	v_cmp_lt_f32_e64 s1, v7, v10
	v_cndmask_b32_e64 v7, v7, v10, s1
	s_waitcnt lgkmcnt(0)
	v_cmp_lt_f32_e64 s1, v9, v14
	ds_bpermute_b32 v10, v13, v7
	v_cndmask_b32_e64 v9, v9, v14, s1
	v_xor_b32_e32 v14, 2, v8
	ds_bpermute_b32 v15, v13, v9
	v_cmp_gt_i32_e64 s1, 32, v14
	v_cndmask_b32_e64 v14, v8, v14, s1
	;; [unrolled: 12-line block ×3, first 2 shown]
	v_lshlrev_b32_e32 v15, 2, v8
	s_waitcnt lgkmcnt(1)
	v_cmp_lt_f32_e64 s1, v7, v10
	v_cndmask_b32_e64 v18, v7, v10, s1
	s_waitcnt lgkmcnt(0)
	v_cmp_lt_f32_e64 s1, v9, v16
	ds_bpermute_b32 v19, v15, v18
	v_cndmask_b32_e64 v16, v9, v16, s1
                                        ; implicit-def: $vgpr9_vgpr10
	ds_bpermute_b32 v17, v15, v16
	s_and_saveexec_b32 s1, s3
	s_xor_b32 s1, exec_lo, s1
; %bb.13:
	v_mov_b32_e32 v5, 0
	v_mov_b32_e32 v10, v6
                                        ; implicit-def: $vgpr18
                                        ; implicit-def: $vgpr19
	v_mov_b32_e32 v9, v5
                                        ; implicit-def: $vgpr6
                                        ; implicit-def: $vgpr5
; %bb.14:
	s_or_saveexec_b32 s3, s1
	v_mov_b32_e32 v7, 0
	s_xor_b32 s4, s6, -1
	v_mov_b32_e32 v8, v7
	s_xor_b32 exec_lo, exec_lo, s3
	s_cbranch_execz .LBB706_20
; %bb.15:
	global_load_ubyte v8, v[3:4], off
	s_waitcnt vmcnt(0)
	v_and_b32_e32 v9, 1, v8
	v_mov_b32_e32 v8, v6
	v_cmp_eq_u32_e64 s1, 1, v9
	v_mov_b32_e32 v10, v8
	v_mov_b32_e32 v9, v7
	s_xor_b32 s1, s1, -1
	s_and_saveexec_b32 s5, s1
	s_xor_b32 s5, exec_lo, s5
	s_cbranch_execz .LBB706_17
; %bb.16:
	s_waitcnt lgkmcnt(1)
	v_cmp_lt_f32_e64 s1, v18, v19
	v_cndmask_b32_e64 v8, v18, v19, s1
	v_mov_b32_e32 v19, v7
	v_sub_f32_e32 v5, v5, v8
	v_mul_f32_e32 v8, 0x3fb8aa3b, v5
	v_cmp_ngt_f32_e64 s1, 0xc2ce8ed0, v5
	v_fma_f32 v9, 0x3fb8aa3b, v5, -v8
	v_rndne_f32_e32 v10, v8
	v_fmamk_f32 v9, v5, 0x32a5705f, v9
	v_sub_f32_e32 v8, v8, v10
	v_add_f32_e32 v8, v8, v9
	v_cvt_i32_f32_e32 v9, v10
	v_exp_f32_e32 v8, v8
	v_ldexp_f32 v8, v8, v9
	v_cndmask_b32_e64 v8, 0, v8, s1
	v_cmp_nlt_f32_e64 s1, 0x42b17218, v5
	v_cndmask_b32_e64 v5, 0x7f800000, v8, s1
	v_mov_b32_e32 v10, v6
	v_mov_b32_e32 v18, v5
	;; [unrolled: 1-line block ×5, first 2 shown]
.LBB706_17:
	s_andn2_saveexec_b32 s1, s5
; %bb.18:
	v_mov_b32_e32 v7, 0
	v_mov_b32_e32 v8, v7
; %bb.19:
	s_or_b32 exec_lo, exec_lo, s1
.LBB706_20:
	s_or_b32 exec_lo, exec_lo, s3
                                        ; implicit-def: $vgpr5_vgpr6
	s_and_saveexec_b32 s1, s4
	s_xor_b32 s1, exec_lo, s1
	s_cbranch_execz .LBB706_22
; %bb.21:
	v_mov_b32_e32 v10, 0
	v_mov_b32_e32 v5, v9
                                        ; implicit-def: $vgpr3
                                        ; implicit-def: $vgpr16
                                        ; implicit-def: $vgpr17
	v_mov_b32_e32 v6, v10
                                        ; implicit-def: $vgpr9_vgpr10
	s_andn2_saveexec_b32 s3, s1
	s_cbranch_execz .LBB706_26
	s_branch .LBB706_23
.LBB706_22:
	s_andn2_saveexec_b32 s3, s1
	s_cbranch_execz .LBB706_26
.LBB706_23:
	s_and_b32 s1, s7, exec_lo
	s_cselect_b32 s1, 0, s2
	s_cselect_b32 s4, 0, 0
	v_add_co_u32 v3, s1, v3, s1
	v_add_co_ci_u32_e64 v4, null, s4, v4, s1
	v_mov_b32_e32 v6, 0
	v_mov_b32_e32 v5, v9
	global_load_ubyte v3, v[3:4], off
	s_waitcnt vmcnt(0)
	v_and_b32_e32 v3, 1, v3
	v_cmp_eq_u32_e64 s1, 1, v3
	s_xor_b32 s1, s1, -1
	s_and_saveexec_b32 s4, s1
	s_xor_b32 s4, exec_lo, s4
	s_cbranch_execz .LBB706_25
; %bb.24:
	s_waitcnt lgkmcnt(0)
	v_cmp_lt_f32_e64 s1, v16, v17
	v_cndmask_b32_e64 v3, v16, v17, s1
	v_sub_f32_e32 v3, v10, v3
	v_mul_f32_e32 v4, 0x3fb8aa3b, v3
	v_cmp_ngt_f32_e64 s1, 0xc2ce8ed0, v3
	v_fma_f32 v5, 0x3fb8aa3b, v3, -v4
	v_rndne_f32_e32 v6, v4
	v_fmamk_f32 v5, v3, 0x32a5705f, v5
	v_sub_f32_e32 v4, v4, v6
	v_add_f32_e32 v4, v4, v5
	v_cvt_i32_f32_e32 v5, v6
	v_exp_f32_e32 v4, v4
	v_ldexp_f32 v4, v4, v5
	v_cndmask_b32_e64 v4, 0, v4, s1
	v_cmp_nlt_f32_e64 s1, 0x42b17218, v3
	v_cndmask_b32_e64 v10, 0x7f800000, v4, s1
	v_mov_b32_e32 v5, v9
	v_add_f32_e32 v8, v8, v10
	v_mov_b32_e32 v6, v10
.LBB706_25:
	s_andn2_saveexec_b32 s1, s4
	s_or_b32 exec_lo, exec_lo, s1
.LBB706_26:
	s_or_b32 exec_lo, exec_lo, s3
	ds_bpermute_b32 v3, v0, v7
	ds_bpermute_b32 v0, v0, v8
	s_waitcnt lgkmcnt(1)
	v_add_f32_e32 v3, v7, v3
	s_waitcnt lgkmcnt(0)
	v_add_f32_e32 v0, v8, v0
	ds_bpermute_b32 v4, v12, v3
	ds_bpermute_b32 v7, v12, v0
	s_waitcnt lgkmcnt(1)
	v_add_f32_e32 v3, v3, v4
	s_waitcnt lgkmcnt(0)
	v_add_f32_e32 v0, v0, v7
	;; [unrolled: 6-line block ×4, first 2 shown]
	ds_bpermute_b32 v8, v15, v7
	ds_bpermute_b32 v4, v15, v3
	s_and_saveexec_b32 s1, vcc_lo
	s_cbranch_execz .LBB706_35
; %bb.27:
	v_add_co_u32 v0, vcc_lo, s8, v1
	v_add_co_ci_u32_e64 v1, null, s9, v2, vcc_lo
	s_and_saveexec_b32 s1, s0
	s_cbranch_execz .LBB706_31
; %bb.28:
	s_waitcnt lgkmcnt(1)
	v_add_f32_e32 v2, v7, v8
	v_mov_b32_e32 v7, 0x7fc00000
	s_mov_b32 s3, exec_lo
	v_cmpx_neq_f32_e32 0, v2
	s_cbranch_execz .LBB706_30
; %bb.29:
	v_div_scale_f32 v7, null, v2, v2, v5
	v_rcp_f32_e32 v8, v7
	v_fma_f32 v9, -v7, v8, 1.0
	v_fmac_f32_e32 v8, v9, v8
	v_div_scale_f32 v9, vcc_lo, v5, v2, v5
	v_mul_f32_e32 v10, v9, v8
	v_fma_f32 v12, -v7, v10, v9
	v_fmac_f32_e32 v10, v12, v8
	v_fma_f32 v7, -v7, v10, v9
	v_div_fmas_f32 v7, v7, v8, v10
	v_div_fixup_f32 v7, v7, v2, v5
.LBB706_30:
	s_or_b32 exec_lo, exec_lo, s3
	global_store_dword v[0:1], v7, off
.LBB706_31:
	s_or_b32 exec_lo, exec_lo, s1
	v_cmp_ne_u32_e32 vcc_lo, 1, v11
	s_and_b32 s0, vcc_lo, s0
	s_and_b32 exec_lo, exec_lo, s0
	s_cbranch_execz .LBB706_35
; %bb.32:
	s_waitcnt lgkmcnt(0)
	v_add_f32_e32 v2, v3, v4
	v_mov_b32_e32 v3, 0x7fc00000
	s_mov_b32 s3, 0
	s_mov_b32 s0, exec_lo
	v_cmpx_neq_f32_e32 0, v2
	s_cbranch_execz .LBB706_34
; %bb.33:
	v_div_scale_f32 v3, null, v2, v2, v6
	v_rcp_f32_e32 v4, v3
	v_fma_f32 v5, -v3, v4, 1.0
	v_fmac_f32_e32 v4, v5, v4
	v_div_scale_f32 v5, vcc_lo, v6, v2, v6
	v_mul_f32_e32 v7, v5, v4
	v_fma_f32 v8, -v3, v7, v5
	v_fmac_f32_e32 v7, v8, v4
	v_fma_f32 v3, -v3, v7, v5
	v_div_fmas_f32 v3, v3, v4, v7
	v_div_fixup_f32 v3, v3, v2, v6
.LBB706_34:
	s_or_b32 exec_lo, exec_lo, s0
	s_lshl_b64 s[0:1], s[2:3], 2
	v_add_co_u32 v0, vcc_lo, v0, s0
	v_add_co_ci_u32_e64 v1, null, s1, v1, vcc_lo
	global_store_dword v[0:1], v3, off
.LBB706_35:
	s_endpgm
	.section	.rodata,"a",@progbits
	.p2align	6, 0x0
	.amdhsa_kernel _ZN12_GLOBAL__N_120softmax_warp_forwardIfffLi5ELb0ELb1ELi64EEEvPT0_PKT_iiiPKbib
		.amdhsa_group_segment_fixed_size 0
		.amdhsa_private_segment_fixed_size 0
		.amdhsa_kernarg_size 304
		.amdhsa_user_sgpr_count 6
		.amdhsa_user_sgpr_private_segment_buffer 1
		.amdhsa_user_sgpr_dispatch_ptr 0
		.amdhsa_user_sgpr_queue_ptr 0
		.amdhsa_user_sgpr_kernarg_segment_ptr 1
		.amdhsa_user_sgpr_dispatch_id 0
		.amdhsa_user_sgpr_flat_scratch_init 0
		.amdhsa_user_sgpr_private_segment_size 0
		.amdhsa_wavefront_size32 1
		.amdhsa_uses_dynamic_stack 0
		.amdhsa_system_sgpr_private_segment_wavefront_offset 0
		.amdhsa_system_sgpr_workgroup_id_x 1
		.amdhsa_system_sgpr_workgroup_id_y 0
		.amdhsa_system_sgpr_workgroup_id_z 0
		.amdhsa_system_sgpr_workgroup_info 0
		.amdhsa_system_vgpr_workitem_id 1
		.amdhsa_next_free_vgpr 20
		.amdhsa_next_free_sgpr 14
		.amdhsa_reserve_vcc 1
		.amdhsa_reserve_flat_scratch 0
		.amdhsa_float_round_mode_32 0
		.amdhsa_float_round_mode_16_64 0
		.amdhsa_float_denorm_mode_32 3
		.amdhsa_float_denorm_mode_16_64 3
		.amdhsa_dx10_clamp 1
		.amdhsa_ieee_mode 1
		.amdhsa_fp16_overflow 0
		.amdhsa_workgroup_processor_mode 1
		.amdhsa_memory_ordered 1
		.amdhsa_forward_progress 1
		.amdhsa_shared_vgpr_count 0
		.amdhsa_exception_fp_ieee_invalid_op 0
		.amdhsa_exception_fp_denorm_src 0
		.amdhsa_exception_fp_ieee_div_zero 0
		.amdhsa_exception_fp_ieee_overflow 0
		.amdhsa_exception_fp_ieee_underflow 0
		.amdhsa_exception_fp_ieee_inexact 0
		.amdhsa_exception_int_div_zero 0
	.end_amdhsa_kernel
	.section	.text._ZN12_GLOBAL__N_120softmax_warp_forwardIfffLi5ELb0ELb1ELi64EEEvPT0_PKT_iiiPKbib,"axG",@progbits,_ZN12_GLOBAL__N_120softmax_warp_forwardIfffLi5ELb0ELb1ELi64EEEvPT0_PKT_iiiPKbib,comdat
.Lfunc_end706:
	.size	_ZN12_GLOBAL__N_120softmax_warp_forwardIfffLi5ELb0ELb1ELi64EEEvPT0_PKT_iiiPKbib, .Lfunc_end706-_ZN12_GLOBAL__N_120softmax_warp_forwardIfffLi5ELb0ELb1ELi64EEEvPT0_PKT_iiiPKbib
                                        ; -- End function
	.set _ZN12_GLOBAL__N_120softmax_warp_forwardIfffLi5ELb0ELb1ELi64EEEvPT0_PKT_iiiPKbib.num_vgpr, 20
	.set _ZN12_GLOBAL__N_120softmax_warp_forwardIfffLi5ELb0ELb1ELi64EEEvPT0_PKT_iiiPKbib.num_agpr, 0
	.set _ZN12_GLOBAL__N_120softmax_warp_forwardIfffLi5ELb0ELb1ELi64EEEvPT0_PKT_iiiPKbib.numbered_sgpr, 14
	.set _ZN12_GLOBAL__N_120softmax_warp_forwardIfffLi5ELb0ELb1ELi64EEEvPT0_PKT_iiiPKbib.num_named_barrier, 0
	.set _ZN12_GLOBAL__N_120softmax_warp_forwardIfffLi5ELb0ELb1ELi64EEEvPT0_PKT_iiiPKbib.private_seg_size, 0
	.set _ZN12_GLOBAL__N_120softmax_warp_forwardIfffLi5ELb0ELb1ELi64EEEvPT0_PKT_iiiPKbib.uses_vcc, 1
	.set _ZN12_GLOBAL__N_120softmax_warp_forwardIfffLi5ELb0ELb1ELi64EEEvPT0_PKT_iiiPKbib.uses_flat_scratch, 0
	.set _ZN12_GLOBAL__N_120softmax_warp_forwardIfffLi5ELb0ELb1ELi64EEEvPT0_PKT_iiiPKbib.has_dyn_sized_stack, 0
	.set _ZN12_GLOBAL__N_120softmax_warp_forwardIfffLi5ELb0ELb1ELi64EEEvPT0_PKT_iiiPKbib.has_recursion, 0
	.set _ZN12_GLOBAL__N_120softmax_warp_forwardIfffLi5ELb0ELb1ELi64EEEvPT0_PKT_iiiPKbib.has_indirect_call, 0
	.section	.AMDGPU.csdata,"",@progbits
; Kernel info:
; codeLenInByte = 1924
; TotalNumSgprs: 16
; NumVgprs: 20
; ScratchSize: 0
; MemoryBound: 0
; FloatMode: 240
; IeeeMode: 1
; LDSByteSize: 0 bytes/workgroup (compile time only)
; SGPRBlocks: 0
; VGPRBlocks: 2
; NumSGPRsForWavesPerEU: 16
; NumVGPRsForWavesPerEU: 20
; Occupancy: 16
; WaveLimiterHint : 0
; COMPUTE_PGM_RSRC2:SCRATCH_EN: 0
; COMPUTE_PGM_RSRC2:USER_SGPR: 6
; COMPUTE_PGM_RSRC2:TRAP_HANDLER: 0
; COMPUTE_PGM_RSRC2:TGID_X_EN: 1
; COMPUTE_PGM_RSRC2:TGID_Y_EN: 0
; COMPUTE_PGM_RSRC2:TGID_Z_EN: 0
; COMPUTE_PGM_RSRC2:TIDIG_COMP_CNT: 1
	.section	.text._ZN12_GLOBAL__N_120softmax_warp_forwardIfffLi5ELb0ELb1ELi32EEEvPT0_PKT_iiiPKbib,"axG",@progbits,_ZN12_GLOBAL__N_120softmax_warp_forwardIfffLi5ELb0ELb1ELi32EEEvPT0_PKT_iiiPKbib,comdat
	.globl	_ZN12_GLOBAL__N_120softmax_warp_forwardIfffLi5ELb0ELb1ELi32EEEvPT0_PKT_iiiPKbib ; -- Begin function _ZN12_GLOBAL__N_120softmax_warp_forwardIfffLi5ELb0ELb1ELi32EEEvPT0_PKT_iiiPKbib
	.p2align	8
	.type	_ZN12_GLOBAL__N_120softmax_warp_forwardIfffLi5ELb0ELb1ELi32EEEvPT0_PKT_iiiPKbib,@function
_ZN12_GLOBAL__N_120softmax_warp_forwardIfffLi5ELb0ELb1ELi32EEEvPT0_PKT_iiiPKbib: ; @_ZN12_GLOBAL__N_120softmax_warp_forwardIfffLi5ELb0ELb1ELi32EEEvPT0_PKT_iiiPKbib
; %bb.0:
	s_clause 0x2
	s_load_dwordx2 s[8:9], s[4:5], 0x28
	s_load_dword s10, s[4:5], 0x3c
	s_load_dwordx4 s[0:3], s[4:5], 0x10
	s_waitcnt lgkmcnt(0)
	s_bitcmp1_b32 s9, 0
	s_cselect_b32 s7, -1, 0
	s_lshr_b32 s3, s10, 16
	s_and_b32 s3, s3, 0xffff
	s_bitcmp0_b32 s9, 0
	s_mul_i32 s6, s6, s3
	v_add_lshl_u32 v5, s6, v1, 1
	v_mul_lo_u32 v6, v5, s1
	v_add_nc_u32_e32 v1, v6, v0
	v_ashrrev_i32_e32 v2, 31, v1
	v_mov_b32_e32 v4, v2
	v_mov_b32_e32 v3, v1
	s_cbranch_scc1 .LBB707_2
; %bb.1:
	s_abs_i32 s3, s8
	v_sub_nc_u32_e32 v7, 0, v6
	v_cvt_f32_u32_e32 v3, s3
	s_sub_i32 s6, 0, s3
	v_max_i32_e32 v7, v6, v7
	v_rcp_iflag_f32_e32 v3, v3
	v_xor_b32_e32 v6, s8, v6
	v_ashrrev_i32_e32 v6, 31, v6
	v_mul_f32_e32 v3, 0x4f7ffffe, v3
	v_cvt_u32_f32_e32 v3, v3
	v_mul_lo_u32 v4, s6, v3
	v_mul_hi_u32 v4, v3, v4
	v_add_nc_u32_e32 v3, v3, v4
	v_mul_hi_u32 v3, v7, v3
	v_mul_lo_u32 v4, v3, s3
	v_sub_nc_u32_e32 v4, v7, v4
	v_add_nc_u32_e32 v7, 1, v3
	v_subrev_nc_u32_e32 v8, s3, v4
	v_cmp_le_u32_e32 vcc_lo, s3, v4
	v_cndmask_b32_e32 v3, v3, v7, vcc_lo
	v_cndmask_b32_e32 v4, v4, v8, vcc_lo
	v_add_nc_u32_e32 v7, 1, v3
	v_cmp_le_u32_e32 vcc_lo, s3, v4
	v_cndmask_b32_e32 v3, v3, v7, vcc_lo
	v_xor_b32_e32 v3, v3, v6
	v_sub_nc_u32_e32 v3, v3, v6
	v_mad_u64_u32 v[3:4], null, v3, s1, v[0:1]
	v_ashrrev_i32_e32 v4, 31, v3
.LBB707_2:
	s_load_dwordx4 s[8:11], s[4:5], 0x0
	v_lshlrev_b64 v[1:2], 2, v[1:2]
	v_sub_nc_u32_e32 v11, s0, v5
	v_cmp_gt_i32_e64 s0, s2, v0
	v_mov_b32_e32 v6, 0xff800000
	v_mov_b32_e32 v5, 0xff800000
	v_cmp_lt_i32_e32 vcc_lo, 0, v11
	s_waitcnt lgkmcnt(0)
	v_add_co_u32 v7, s1, s10, v1
	v_add_co_ci_u32_e64 v8, null, s11, v2, s1
	s_and_b32 s10, s0, vcc_lo
	s_and_saveexec_b32 s1, s10
	s_cbranch_execz .LBB707_4
; %bb.3:
	global_load_dword v5, v[7:8], off
.LBB707_4:
	s_or_b32 exec_lo, exec_lo, s1
	v_cmp_lt_i32_e64 s1, 1, v11
	s_and_b32 s6, s0, s1
	s_and_saveexec_b32 s11, s6
	s_cbranch_execz .LBB707_6
; %bb.5:
	s_mov_b32 s3, 0
	s_lshl_b64 s[12:13], s[2:3], 2
	v_add_co_u32 v6, s1, v7, s12
	v_add_co_ci_u32_e64 v7, null, s13, v8, s1
	global_load_dword v6, v[6:7], off
.LBB707_6:
	s_or_b32 exec_lo, exec_lo, s11
	s_load_dwordx2 s[4:5], s[4:5], 0x20
	v_mov_b32_e32 v7, 0xff800000
	s_waitcnt lgkmcnt(0)
	v_add_co_u32 v3, s1, s4, v3
	v_add_co_ci_u32_e64 v4, null, s5, v4, s1
	s_and_saveexec_b32 s3, s10
	s_cbranch_execz .LBB707_8
; %bb.7:
	global_load_ubyte v0, v[3:4], off
	s_waitcnt vmcnt(0)
	v_and_b32_e32 v0, 1, v0
	v_cmp_eq_u32_e64 s1, 1, v0
	v_cndmask_b32_e64 v7, v5, 0xff800000, s1
.LBB707_8:
	s_or_b32 exec_lo, exec_lo, s3
	s_xor_b32 s3, s10, -1
	s_mov_b32 s5, 0
	s_and_saveexec_b32 s4, s6
	s_cbranch_execz .LBB707_12
; %bb.9:
	s_and_b32 s1, s7, exec_lo
	s_cselect_b32 s1, 0, s2
	s_cselect_b32 s5, 0, 0
	v_add_co_u32 v8, s1, v3, s1
	v_add_co_ci_u32_e64 v9, null, s5, v4, s1
	s_mov_b32 s5, 0
	global_load_ubyte v0, v[8:9], off
	s_waitcnt vmcnt(0)
	v_and_b32_e32 v0, 1, v0
	v_cmp_eq_u32_e64 s1, 1, v0
	s_xor_b32 s10, s1, -1
	s_and_saveexec_b32 s1, s10
; %bb.10:
	s_mov_b32 s5, exec_lo
; %bb.11:
	s_or_b32 exec_lo, exec_lo, s1
	s_and_b32 s5, s5, exec_lo
.LBB707_12:
	s_or_b32 exec_lo, exec_lo, s4
	v_mbcnt_lo_u32_b32 v8, -1, 0
	s_waitcnt vmcnt(0)
	v_cndmask_b32_e64 v9, 0xff800000, v6, s5
	v_xor_b32_e32 v0, 16, v8
	v_xor_b32_e32 v12, 8, v8
	v_cmp_gt_i32_e64 s1, 32, v0
	v_cndmask_b32_e64 v0, v8, v0, s1
	v_cmp_gt_i32_e64 s1, 32, v12
	v_lshlrev_b32_e32 v0, 2, v0
	v_cndmask_b32_e64 v12, v8, v12, s1
	ds_bpermute_b32 v10, v0, v7
	ds_bpermute_b32 v13, v0, v9
	v_lshlrev_b32_e32 v12, 2, v12
	s_waitcnt lgkmcnt(1)
	v_cmp_lt_f32_e64 s1, v7, v10
	v_cndmask_b32_e64 v7, v7, v10, s1
	s_waitcnt lgkmcnt(0)
	v_cmp_lt_f32_e64 s1, v9, v13
	ds_bpermute_b32 v10, v12, v7
	v_cndmask_b32_e64 v9, v9, v13, s1
	v_xor_b32_e32 v13, 4, v8
	ds_bpermute_b32 v14, v12, v9
	v_cmp_gt_i32_e64 s1, 32, v13
	v_cndmask_b32_e64 v13, v8, v13, s1
	v_lshlrev_b32_e32 v13, 2, v13
	s_waitcnt lgkmcnt(1)
	v_cmp_lt_f32_e64 s1, v7, v10
	v_cndmask_b32_e64 v7, v7, v10, s1
	s_waitcnt lgkmcnt(0)
	v_cmp_lt_f32_e64 s1, v9, v14
	ds_bpermute_b32 v10, v13, v7
	v_cndmask_b32_e64 v9, v9, v14, s1
	v_xor_b32_e32 v14, 2, v8
	ds_bpermute_b32 v15, v13, v9
	v_cmp_gt_i32_e64 s1, 32, v14
	v_cndmask_b32_e64 v14, v8, v14, s1
	;; [unrolled: 12-line block ×3, first 2 shown]
	v_lshlrev_b32_e32 v15, 2, v8
	s_waitcnt lgkmcnt(1)
	v_cmp_lt_f32_e64 s1, v7, v10
	v_cndmask_b32_e64 v18, v7, v10, s1
	s_waitcnt lgkmcnt(0)
	v_cmp_lt_f32_e64 s1, v9, v16
	ds_bpermute_b32 v19, v15, v18
	v_cndmask_b32_e64 v16, v9, v16, s1
                                        ; implicit-def: $vgpr9_vgpr10
	ds_bpermute_b32 v17, v15, v16
	s_and_saveexec_b32 s1, s3
	s_xor_b32 s1, exec_lo, s1
; %bb.13:
	v_mov_b32_e32 v5, 0
	v_mov_b32_e32 v10, v6
                                        ; implicit-def: $vgpr18
                                        ; implicit-def: $vgpr19
	v_mov_b32_e32 v9, v5
                                        ; implicit-def: $vgpr6
                                        ; implicit-def: $vgpr5
; %bb.14:
	s_or_saveexec_b32 s3, s1
	v_mov_b32_e32 v7, 0
	s_xor_b32 s4, s6, -1
	v_mov_b32_e32 v8, v7
	s_xor_b32 exec_lo, exec_lo, s3
	s_cbranch_execz .LBB707_20
; %bb.15:
	global_load_ubyte v8, v[3:4], off
	s_waitcnt vmcnt(0)
	v_and_b32_e32 v9, 1, v8
	v_mov_b32_e32 v8, v6
	v_cmp_eq_u32_e64 s1, 1, v9
	v_mov_b32_e32 v10, v8
	v_mov_b32_e32 v9, v7
	s_xor_b32 s1, s1, -1
	s_and_saveexec_b32 s5, s1
	s_xor_b32 s5, exec_lo, s5
	s_cbranch_execz .LBB707_17
; %bb.16:
	s_waitcnt lgkmcnt(1)
	v_cmp_lt_f32_e64 s1, v18, v19
	v_cndmask_b32_e64 v8, v18, v19, s1
	v_mov_b32_e32 v19, v7
	v_sub_f32_e32 v5, v5, v8
	v_mul_f32_e32 v8, 0x3fb8aa3b, v5
	v_cmp_ngt_f32_e64 s1, 0xc2ce8ed0, v5
	v_fma_f32 v9, 0x3fb8aa3b, v5, -v8
	v_rndne_f32_e32 v10, v8
	v_fmamk_f32 v9, v5, 0x32a5705f, v9
	v_sub_f32_e32 v8, v8, v10
	v_add_f32_e32 v8, v8, v9
	v_cvt_i32_f32_e32 v9, v10
	v_exp_f32_e32 v8, v8
	v_ldexp_f32 v8, v8, v9
	v_cndmask_b32_e64 v8, 0, v8, s1
	v_cmp_nlt_f32_e64 s1, 0x42b17218, v5
	v_cndmask_b32_e64 v5, 0x7f800000, v8, s1
	v_mov_b32_e32 v10, v6
	v_mov_b32_e32 v18, v5
	;; [unrolled: 1-line block ×5, first 2 shown]
.LBB707_17:
	s_andn2_saveexec_b32 s1, s5
; %bb.18:
	v_mov_b32_e32 v7, 0
	v_mov_b32_e32 v8, v7
; %bb.19:
	s_or_b32 exec_lo, exec_lo, s1
.LBB707_20:
	s_or_b32 exec_lo, exec_lo, s3
                                        ; implicit-def: $vgpr5_vgpr6
	s_and_saveexec_b32 s1, s4
	s_xor_b32 s1, exec_lo, s1
	s_cbranch_execz .LBB707_22
; %bb.21:
	v_mov_b32_e32 v10, 0
	v_mov_b32_e32 v5, v9
                                        ; implicit-def: $vgpr3
                                        ; implicit-def: $vgpr16
                                        ; implicit-def: $vgpr17
	v_mov_b32_e32 v6, v10
                                        ; implicit-def: $vgpr9_vgpr10
	s_andn2_saveexec_b32 s3, s1
	s_cbranch_execz .LBB707_26
	s_branch .LBB707_23
.LBB707_22:
	s_andn2_saveexec_b32 s3, s1
	s_cbranch_execz .LBB707_26
.LBB707_23:
	s_and_b32 s1, s7, exec_lo
	s_cselect_b32 s1, 0, s2
	s_cselect_b32 s4, 0, 0
	v_add_co_u32 v3, s1, v3, s1
	v_add_co_ci_u32_e64 v4, null, s4, v4, s1
	v_mov_b32_e32 v6, 0
	v_mov_b32_e32 v5, v9
	global_load_ubyte v3, v[3:4], off
	s_waitcnt vmcnt(0)
	v_and_b32_e32 v3, 1, v3
	v_cmp_eq_u32_e64 s1, 1, v3
	s_xor_b32 s1, s1, -1
	s_and_saveexec_b32 s4, s1
	s_xor_b32 s4, exec_lo, s4
	s_cbranch_execz .LBB707_25
; %bb.24:
	s_waitcnt lgkmcnt(0)
	v_cmp_lt_f32_e64 s1, v16, v17
	v_cndmask_b32_e64 v3, v16, v17, s1
	v_sub_f32_e32 v3, v10, v3
	v_mul_f32_e32 v4, 0x3fb8aa3b, v3
	v_cmp_ngt_f32_e64 s1, 0xc2ce8ed0, v3
	v_fma_f32 v5, 0x3fb8aa3b, v3, -v4
	v_rndne_f32_e32 v6, v4
	v_fmamk_f32 v5, v3, 0x32a5705f, v5
	v_sub_f32_e32 v4, v4, v6
	v_add_f32_e32 v4, v4, v5
	v_cvt_i32_f32_e32 v5, v6
	v_exp_f32_e32 v4, v4
	v_ldexp_f32 v4, v4, v5
	v_cndmask_b32_e64 v4, 0, v4, s1
	v_cmp_nlt_f32_e64 s1, 0x42b17218, v3
	v_cndmask_b32_e64 v10, 0x7f800000, v4, s1
	v_mov_b32_e32 v5, v9
	v_add_f32_e32 v8, v8, v10
	v_mov_b32_e32 v6, v10
.LBB707_25:
	s_andn2_saveexec_b32 s1, s4
	s_or_b32 exec_lo, exec_lo, s1
.LBB707_26:
	s_or_b32 exec_lo, exec_lo, s3
	ds_bpermute_b32 v3, v0, v7
	ds_bpermute_b32 v0, v0, v8
	s_waitcnt lgkmcnt(1)
	v_add_f32_e32 v3, v7, v3
	s_waitcnt lgkmcnt(0)
	v_add_f32_e32 v0, v8, v0
	ds_bpermute_b32 v4, v12, v3
	ds_bpermute_b32 v7, v12, v0
	s_waitcnt lgkmcnt(1)
	v_add_f32_e32 v3, v3, v4
	s_waitcnt lgkmcnt(0)
	v_add_f32_e32 v0, v0, v7
	;; [unrolled: 6-line block ×4, first 2 shown]
	ds_bpermute_b32 v8, v15, v7
	ds_bpermute_b32 v4, v15, v3
	s_and_saveexec_b32 s1, vcc_lo
	s_cbranch_execz .LBB707_35
; %bb.27:
	v_add_co_u32 v0, vcc_lo, s8, v1
	v_add_co_ci_u32_e64 v1, null, s9, v2, vcc_lo
	s_and_saveexec_b32 s1, s0
	s_cbranch_execz .LBB707_31
; %bb.28:
	s_waitcnt lgkmcnt(1)
	v_add_f32_e32 v2, v7, v8
	v_mov_b32_e32 v7, 0x7fc00000
	s_mov_b32 s3, exec_lo
	v_cmpx_neq_f32_e32 0, v2
	s_cbranch_execz .LBB707_30
; %bb.29:
	v_div_scale_f32 v7, null, v2, v2, v5
	v_rcp_f32_e32 v8, v7
	v_fma_f32 v9, -v7, v8, 1.0
	v_fmac_f32_e32 v8, v9, v8
	v_div_scale_f32 v9, vcc_lo, v5, v2, v5
	v_mul_f32_e32 v10, v9, v8
	v_fma_f32 v12, -v7, v10, v9
	v_fmac_f32_e32 v10, v12, v8
	v_fma_f32 v7, -v7, v10, v9
	v_div_fmas_f32 v7, v7, v8, v10
	v_div_fixup_f32 v7, v7, v2, v5
.LBB707_30:
	s_or_b32 exec_lo, exec_lo, s3
	global_store_dword v[0:1], v7, off
.LBB707_31:
	s_or_b32 exec_lo, exec_lo, s1
	v_cmp_ne_u32_e32 vcc_lo, 1, v11
	s_and_b32 s0, vcc_lo, s0
	s_and_b32 exec_lo, exec_lo, s0
	s_cbranch_execz .LBB707_35
; %bb.32:
	s_waitcnt lgkmcnt(0)
	v_add_f32_e32 v2, v3, v4
	v_mov_b32_e32 v3, 0x7fc00000
	s_mov_b32 s3, 0
	s_mov_b32 s0, exec_lo
	v_cmpx_neq_f32_e32 0, v2
	s_cbranch_execz .LBB707_34
; %bb.33:
	v_div_scale_f32 v3, null, v2, v2, v6
	v_rcp_f32_e32 v4, v3
	v_fma_f32 v5, -v3, v4, 1.0
	v_fmac_f32_e32 v4, v5, v4
	v_div_scale_f32 v5, vcc_lo, v6, v2, v6
	v_mul_f32_e32 v7, v5, v4
	v_fma_f32 v8, -v3, v7, v5
	v_fmac_f32_e32 v7, v8, v4
	v_fma_f32 v3, -v3, v7, v5
	v_div_fmas_f32 v3, v3, v4, v7
	v_div_fixup_f32 v3, v3, v2, v6
.LBB707_34:
	s_or_b32 exec_lo, exec_lo, s0
	s_lshl_b64 s[0:1], s[2:3], 2
	v_add_co_u32 v0, vcc_lo, v0, s0
	v_add_co_ci_u32_e64 v1, null, s1, v1, vcc_lo
	global_store_dword v[0:1], v3, off
.LBB707_35:
	s_endpgm
	.section	.rodata,"a",@progbits
	.p2align	6, 0x0
	.amdhsa_kernel _ZN12_GLOBAL__N_120softmax_warp_forwardIfffLi5ELb0ELb1ELi32EEEvPT0_PKT_iiiPKbib
		.amdhsa_group_segment_fixed_size 0
		.amdhsa_private_segment_fixed_size 0
		.amdhsa_kernarg_size 304
		.amdhsa_user_sgpr_count 6
		.amdhsa_user_sgpr_private_segment_buffer 1
		.amdhsa_user_sgpr_dispatch_ptr 0
		.amdhsa_user_sgpr_queue_ptr 0
		.amdhsa_user_sgpr_kernarg_segment_ptr 1
		.amdhsa_user_sgpr_dispatch_id 0
		.amdhsa_user_sgpr_flat_scratch_init 0
		.amdhsa_user_sgpr_private_segment_size 0
		.amdhsa_wavefront_size32 1
		.amdhsa_uses_dynamic_stack 0
		.amdhsa_system_sgpr_private_segment_wavefront_offset 0
		.amdhsa_system_sgpr_workgroup_id_x 1
		.amdhsa_system_sgpr_workgroup_id_y 0
		.amdhsa_system_sgpr_workgroup_id_z 0
		.amdhsa_system_sgpr_workgroup_info 0
		.amdhsa_system_vgpr_workitem_id 1
		.amdhsa_next_free_vgpr 20
		.amdhsa_next_free_sgpr 14
		.amdhsa_reserve_vcc 1
		.amdhsa_reserve_flat_scratch 0
		.amdhsa_float_round_mode_32 0
		.amdhsa_float_round_mode_16_64 0
		.amdhsa_float_denorm_mode_32 3
		.amdhsa_float_denorm_mode_16_64 3
		.amdhsa_dx10_clamp 1
		.amdhsa_ieee_mode 1
		.amdhsa_fp16_overflow 0
		.amdhsa_workgroup_processor_mode 1
		.amdhsa_memory_ordered 1
		.amdhsa_forward_progress 1
		.amdhsa_shared_vgpr_count 0
		.amdhsa_exception_fp_ieee_invalid_op 0
		.amdhsa_exception_fp_denorm_src 0
		.amdhsa_exception_fp_ieee_div_zero 0
		.amdhsa_exception_fp_ieee_overflow 0
		.amdhsa_exception_fp_ieee_underflow 0
		.amdhsa_exception_fp_ieee_inexact 0
		.amdhsa_exception_int_div_zero 0
	.end_amdhsa_kernel
	.section	.text._ZN12_GLOBAL__N_120softmax_warp_forwardIfffLi5ELb0ELb1ELi32EEEvPT0_PKT_iiiPKbib,"axG",@progbits,_ZN12_GLOBAL__N_120softmax_warp_forwardIfffLi5ELb0ELb1ELi32EEEvPT0_PKT_iiiPKbib,comdat
.Lfunc_end707:
	.size	_ZN12_GLOBAL__N_120softmax_warp_forwardIfffLi5ELb0ELb1ELi32EEEvPT0_PKT_iiiPKbib, .Lfunc_end707-_ZN12_GLOBAL__N_120softmax_warp_forwardIfffLi5ELb0ELb1ELi32EEEvPT0_PKT_iiiPKbib
                                        ; -- End function
	.set _ZN12_GLOBAL__N_120softmax_warp_forwardIfffLi5ELb0ELb1ELi32EEEvPT0_PKT_iiiPKbib.num_vgpr, 20
	.set _ZN12_GLOBAL__N_120softmax_warp_forwardIfffLi5ELb0ELb1ELi32EEEvPT0_PKT_iiiPKbib.num_agpr, 0
	.set _ZN12_GLOBAL__N_120softmax_warp_forwardIfffLi5ELb0ELb1ELi32EEEvPT0_PKT_iiiPKbib.numbered_sgpr, 14
	.set _ZN12_GLOBAL__N_120softmax_warp_forwardIfffLi5ELb0ELb1ELi32EEEvPT0_PKT_iiiPKbib.num_named_barrier, 0
	.set _ZN12_GLOBAL__N_120softmax_warp_forwardIfffLi5ELb0ELb1ELi32EEEvPT0_PKT_iiiPKbib.private_seg_size, 0
	.set _ZN12_GLOBAL__N_120softmax_warp_forwardIfffLi5ELb0ELb1ELi32EEEvPT0_PKT_iiiPKbib.uses_vcc, 1
	.set _ZN12_GLOBAL__N_120softmax_warp_forwardIfffLi5ELb0ELb1ELi32EEEvPT0_PKT_iiiPKbib.uses_flat_scratch, 0
	.set _ZN12_GLOBAL__N_120softmax_warp_forwardIfffLi5ELb0ELb1ELi32EEEvPT0_PKT_iiiPKbib.has_dyn_sized_stack, 0
	.set _ZN12_GLOBAL__N_120softmax_warp_forwardIfffLi5ELb0ELb1ELi32EEEvPT0_PKT_iiiPKbib.has_recursion, 0
	.set _ZN12_GLOBAL__N_120softmax_warp_forwardIfffLi5ELb0ELb1ELi32EEEvPT0_PKT_iiiPKbib.has_indirect_call, 0
	.section	.AMDGPU.csdata,"",@progbits
; Kernel info:
; codeLenInByte = 1924
; TotalNumSgprs: 16
; NumVgprs: 20
; ScratchSize: 0
; MemoryBound: 0
; FloatMode: 240
; IeeeMode: 1
; LDSByteSize: 0 bytes/workgroup (compile time only)
; SGPRBlocks: 0
; VGPRBlocks: 2
; NumSGPRsForWavesPerEU: 16
; NumVGPRsForWavesPerEU: 20
; Occupancy: 16
; WaveLimiterHint : 0
; COMPUTE_PGM_RSRC2:SCRATCH_EN: 0
; COMPUTE_PGM_RSRC2:USER_SGPR: 6
; COMPUTE_PGM_RSRC2:TRAP_HANDLER: 0
; COMPUTE_PGM_RSRC2:TGID_X_EN: 1
; COMPUTE_PGM_RSRC2:TGID_Y_EN: 0
; COMPUTE_PGM_RSRC2:TGID_Z_EN: 0
; COMPUTE_PGM_RSRC2:TIDIG_COMP_CNT: 1
	.section	.text._ZN12_GLOBAL__N_120softmax_warp_forwardIfffLi6ELb0ELb1ELi64EEEvPT0_PKT_iiiPKbib,"axG",@progbits,_ZN12_GLOBAL__N_120softmax_warp_forwardIfffLi6ELb0ELb1ELi64EEEvPT0_PKT_iiiPKbib,comdat
	.globl	_ZN12_GLOBAL__N_120softmax_warp_forwardIfffLi6ELb0ELb1ELi64EEEvPT0_PKT_iiiPKbib ; -- Begin function _ZN12_GLOBAL__N_120softmax_warp_forwardIfffLi6ELb0ELb1ELi64EEEvPT0_PKT_iiiPKbib
	.p2align	8
	.type	_ZN12_GLOBAL__N_120softmax_warp_forwardIfffLi6ELb0ELb1ELi64EEEvPT0_PKT_iiiPKbib,@function
_ZN12_GLOBAL__N_120softmax_warp_forwardIfffLi6ELb0ELb1ELi64EEEvPT0_PKT_iiiPKbib: ; @_ZN12_GLOBAL__N_120softmax_warp_forwardIfffLi6ELb0ELb1ELi64EEEvPT0_PKT_iiiPKbib
; %bb.0:
	s_clause 0x2
	s_load_dwordx2 s[8:9], s[4:5], 0x28
	s_load_dword s10, s[4:5], 0x3c
	s_load_dwordx4 s[0:3], s[4:5], 0x10
	s_waitcnt lgkmcnt(0)
	s_bitcmp1_b32 s9, 0
	s_cselect_b32 s7, -1, 0
	s_lshr_b32 s3, s10, 16
	s_and_b32 s3, s3, 0xffff
	s_bitcmp0_b32 s9, 0
	s_mul_i32 s6, s6, s3
	v_add_lshl_u32 v5, s6, v1, 1
	v_mul_lo_u32 v6, v5, s1
	v_add_nc_u32_e32 v1, v6, v0
	v_ashrrev_i32_e32 v2, 31, v1
	v_mov_b32_e32 v4, v2
	v_mov_b32_e32 v3, v1
	s_cbranch_scc1 .LBB708_2
; %bb.1:
	s_abs_i32 s3, s8
	v_sub_nc_u32_e32 v7, 0, v6
	v_cvt_f32_u32_e32 v3, s3
	s_sub_i32 s6, 0, s3
	v_max_i32_e32 v7, v6, v7
	v_rcp_iflag_f32_e32 v3, v3
	v_xor_b32_e32 v6, s8, v6
	v_ashrrev_i32_e32 v6, 31, v6
	v_mul_f32_e32 v3, 0x4f7ffffe, v3
	v_cvt_u32_f32_e32 v3, v3
	v_mul_lo_u32 v4, s6, v3
	v_mul_hi_u32 v4, v3, v4
	v_add_nc_u32_e32 v3, v3, v4
	v_mul_hi_u32 v3, v7, v3
	v_mul_lo_u32 v4, v3, s3
	v_sub_nc_u32_e32 v4, v7, v4
	v_add_nc_u32_e32 v7, 1, v3
	v_subrev_nc_u32_e32 v8, s3, v4
	v_cmp_le_u32_e32 vcc_lo, s3, v4
	v_cndmask_b32_e32 v3, v3, v7, vcc_lo
	v_cndmask_b32_e32 v4, v4, v8, vcc_lo
	v_add_nc_u32_e32 v7, 1, v3
	v_cmp_le_u32_e32 vcc_lo, s3, v4
	v_cndmask_b32_e32 v3, v3, v7, vcc_lo
	v_xor_b32_e32 v3, v3, v6
	v_sub_nc_u32_e32 v3, v3, v6
	v_mad_u64_u32 v[3:4], null, v3, s1, v[0:1]
	v_ashrrev_i32_e32 v4, 31, v3
.LBB708_2:
	s_load_dwordx4 s[8:11], s[4:5], 0x0
	v_lshlrev_b64 v[1:2], 2, v[1:2]
	v_sub_nc_u32_e32 v11, s0, v5
	v_cmp_gt_i32_e64 s0, s2, v0
	v_mov_b32_e32 v6, 0xff800000
	v_mov_b32_e32 v5, 0xff800000
	v_cmp_lt_i32_e32 vcc_lo, 0, v11
	s_waitcnt lgkmcnt(0)
	v_add_co_u32 v7, s1, s10, v1
	v_add_co_ci_u32_e64 v8, null, s11, v2, s1
	s_and_b32 s10, s0, vcc_lo
	s_and_saveexec_b32 s1, s10
	s_cbranch_execz .LBB708_4
; %bb.3:
	global_load_dword v5, v[7:8], off
.LBB708_4:
	s_or_b32 exec_lo, exec_lo, s1
	v_cmp_lt_i32_e64 s1, 1, v11
	s_and_b32 s6, s0, s1
	s_and_saveexec_b32 s11, s6
	s_cbranch_execz .LBB708_6
; %bb.5:
	s_mov_b32 s3, 0
	s_lshl_b64 s[12:13], s[2:3], 2
	v_add_co_u32 v6, s1, v7, s12
	v_add_co_ci_u32_e64 v7, null, s13, v8, s1
	global_load_dword v6, v[6:7], off
.LBB708_6:
	s_or_b32 exec_lo, exec_lo, s11
	s_load_dwordx2 s[4:5], s[4:5], 0x20
	v_mov_b32_e32 v7, 0xff800000
	s_waitcnt lgkmcnt(0)
	v_add_co_u32 v3, s1, s4, v3
	v_add_co_ci_u32_e64 v4, null, s5, v4, s1
	s_and_saveexec_b32 s3, s10
	s_cbranch_execz .LBB708_8
; %bb.7:
	global_load_ubyte v0, v[3:4], off
	s_waitcnt vmcnt(0)
	v_and_b32_e32 v0, 1, v0
	v_cmp_eq_u32_e64 s1, 1, v0
	v_cndmask_b32_e64 v7, v5, 0xff800000, s1
.LBB708_8:
	s_or_b32 exec_lo, exec_lo, s3
	s_xor_b32 s3, s10, -1
	s_mov_b32 s5, 0
	s_and_saveexec_b32 s4, s6
	s_cbranch_execz .LBB708_12
; %bb.9:
	s_and_b32 s1, s7, exec_lo
	s_cselect_b32 s1, 0, s2
	s_cselect_b32 s5, 0, 0
	v_add_co_u32 v8, s1, v3, s1
	v_add_co_ci_u32_e64 v9, null, s5, v4, s1
	s_mov_b32 s5, 0
	global_load_ubyte v0, v[8:9], off
	s_waitcnt vmcnt(0)
	v_and_b32_e32 v0, 1, v0
	v_cmp_eq_u32_e64 s1, 1, v0
	s_xor_b32 s10, s1, -1
	s_and_saveexec_b32 s1, s10
; %bb.10:
	s_mov_b32 s5, exec_lo
; %bb.11:
	s_or_b32 exec_lo, exec_lo, s1
	s_and_b32 s5, s5, exec_lo
.LBB708_12:
	s_or_b32 exec_lo, exec_lo, s4
	v_mbcnt_lo_u32_b32 v8, -1, 0
	s_waitcnt vmcnt(0)
	v_cndmask_b32_e64 v9, 0xff800000, v6, s5
	v_or_b32_e32 v0, 32, v8
	v_xor_b32_e32 v12, 16, v8
	v_cmp_gt_i32_e64 s1, 64, v0
	v_cndmask_b32_e64 v0, v8, v0, s1
	v_cmp_gt_i32_e64 s1, 64, v12
	v_lshlrev_b32_e32 v0, 2, v0
	v_cndmask_b32_e64 v12, v8, v12, s1
	ds_bpermute_b32 v10, v0, v7
	ds_bpermute_b32 v13, v0, v9
	v_lshlrev_b32_e32 v12, 2, v12
	s_waitcnt lgkmcnt(1)
	v_cmp_lt_f32_e64 s1, v7, v10
	v_cndmask_b32_e64 v7, v7, v10, s1
	s_waitcnt lgkmcnt(0)
	v_cmp_lt_f32_e64 s1, v9, v13
	ds_bpermute_b32 v10, v12, v7
	v_cndmask_b32_e64 v9, v9, v13, s1
	v_xor_b32_e32 v13, 8, v8
	ds_bpermute_b32 v14, v12, v9
	v_cmp_gt_i32_e64 s1, 64, v13
	v_cndmask_b32_e64 v13, v8, v13, s1
	v_lshlrev_b32_e32 v13, 2, v13
	s_waitcnt lgkmcnt(1)
	v_cmp_lt_f32_e64 s1, v7, v10
	v_cndmask_b32_e64 v7, v7, v10, s1
	s_waitcnt lgkmcnt(0)
	v_cmp_lt_f32_e64 s1, v9, v14
	ds_bpermute_b32 v10, v13, v7
	v_cndmask_b32_e64 v9, v9, v14, s1
	v_xor_b32_e32 v14, 4, v8
	ds_bpermute_b32 v15, v13, v9
	v_cmp_gt_i32_e64 s1, 64, v14
	v_cndmask_b32_e64 v14, v8, v14, s1
	;; [unrolled: 12-line block ×4, first 2 shown]
	v_lshlrev_b32_e32 v16, 2, v8
	s_waitcnt lgkmcnt(1)
	v_cmp_lt_f32_e64 s1, v7, v10
	v_cndmask_b32_e64 v19, v7, v10, s1
	s_waitcnt lgkmcnt(0)
	v_cmp_lt_f32_e64 s1, v9, v17
	ds_bpermute_b32 v20, v16, v19
	v_cndmask_b32_e64 v17, v9, v17, s1
                                        ; implicit-def: $vgpr9_vgpr10
	ds_bpermute_b32 v18, v16, v17
	s_and_saveexec_b32 s1, s3
	s_xor_b32 s1, exec_lo, s1
; %bb.13:
	v_mov_b32_e32 v5, 0
	v_mov_b32_e32 v10, v6
                                        ; implicit-def: $vgpr19
                                        ; implicit-def: $vgpr20
	v_mov_b32_e32 v9, v5
                                        ; implicit-def: $vgpr6
                                        ; implicit-def: $vgpr5
; %bb.14:
	s_or_saveexec_b32 s3, s1
	v_mov_b32_e32 v7, 0
	s_xor_b32 s4, s6, -1
	v_mov_b32_e32 v8, v7
	s_xor_b32 exec_lo, exec_lo, s3
	s_cbranch_execz .LBB708_20
; %bb.15:
	global_load_ubyte v8, v[3:4], off
	s_waitcnt vmcnt(0)
	v_and_b32_e32 v9, 1, v8
	v_mov_b32_e32 v8, v6
	v_cmp_eq_u32_e64 s1, 1, v9
	v_mov_b32_e32 v10, v8
	v_mov_b32_e32 v9, v7
	s_xor_b32 s1, s1, -1
	s_and_saveexec_b32 s5, s1
	s_xor_b32 s5, exec_lo, s5
	s_cbranch_execz .LBB708_17
; %bb.16:
	s_waitcnt lgkmcnt(1)
	v_cmp_lt_f32_e64 s1, v19, v20
	v_cndmask_b32_e64 v8, v19, v20, s1
	v_mov_b32_e32 v20, v7
	v_sub_f32_e32 v5, v5, v8
	v_mul_f32_e32 v8, 0x3fb8aa3b, v5
	v_cmp_ngt_f32_e64 s1, 0xc2ce8ed0, v5
	v_fma_f32 v9, 0x3fb8aa3b, v5, -v8
	v_rndne_f32_e32 v10, v8
	v_fmamk_f32 v9, v5, 0x32a5705f, v9
	v_sub_f32_e32 v8, v8, v10
	v_add_f32_e32 v8, v8, v9
	v_cvt_i32_f32_e32 v9, v10
	v_exp_f32_e32 v8, v8
	v_ldexp_f32 v8, v8, v9
	v_cndmask_b32_e64 v8, 0, v8, s1
	v_cmp_nlt_f32_e64 s1, 0x42b17218, v5
	v_cndmask_b32_e64 v5, 0x7f800000, v8, s1
	v_mov_b32_e32 v10, v6
	v_mov_b32_e32 v19, v5
	;; [unrolled: 1-line block ×5, first 2 shown]
.LBB708_17:
	s_andn2_saveexec_b32 s1, s5
; %bb.18:
	v_mov_b32_e32 v7, 0
	v_mov_b32_e32 v8, v7
; %bb.19:
	s_or_b32 exec_lo, exec_lo, s1
.LBB708_20:
	s_or_b32 exec_lo, exec_lo, s3
                                        ; implicit-def: $vgpr5_vgpr6
	s_and_saveexec_b32 s1, s4
	s_xor_b32 s1, exec_lo, s1
	s_cbranch_execz .LBB708_22
; %bb.21:
	v_mov_b32_e32 v10, 0
	v_mov_b32_e32 v5, v9
                                        ; implicit-def: $vgpr3
                                        ; implicit-def: $vgpr17
                                        ; implicit-def: $vgpr18
	v_mov_b32_e32 v6, v10
                                        ; implicit-def: $vgpr9_vgpr10
	s_andn2_saveexec_b32 s3, s1
	s_cbranch_execz .LBB708_26
	s_branch .LBB708_23
.LBB708_22:
	s_andn2_saveexec_b32 s3, s1
	s_cbranch_execz .LBB708_26
.LBB708_23:
	s_and_b32 s1, s7, exec_lo
	s_cselect_b32 s1, 0, s2
	s_cselect_b32 s4, 0, 0
	v_add_co_u32 v3, s1, v3, s1
	v_add_co_ci_u32_e64 v4, null, s4, v4, s1
	v_mov_b32_e32 v6, 0
	v_mov_b32_e32 v5, v9
	global_load_ubyte v3, v[3:4], off
	s_waitcnt vmcnt(0)
	v_and_b32_e32 v3, 1, v3
	v_cmp_eq_u32_e64 s1, 1, v3
	s_xor_b32 s1, s1, -1
	s_and_saveexec_b32 s4, s1
	s_xor_b32 s4, exec_lo, s4
	s_cbranch_execz .LBB708_25
; %bb.24:
	s_waitcnt lgkmcnt(0)
	v_cmp_lt_f32_e64 s1, v17, v18
	v_cndmask_b32_e64 v3, v17, v18, s1
	v_sub_f32_e32 v3, v10, v3
	v_mul_f32_e32 v4, 0x3fb8aa3b, v3
	v_cmp_ngt_f32_e64 s1, 0xc2ce8ed0, v3
	v_fma_f32 v5, 0x3fb8aa3b, v3, -v4
	v_rndne_f32_e32 v6, v4
	v_fmamk_f32 v5, v3, 0x32a5705f, v5
	v_sub_f32_e32 v4, v4, v6
	v_add_f32_e32 v4, v4, v5
	v_cvt_i32_f32_e32 v5, v6
	v_exp_f32_e32 v4, v4
	v_ldexp_f32 v4, v4, v5
	v_cndmask_b32_e64 v4, 0, v4, s1
	v_cmp_nlt_f32_e64 s1, 0x42b17218, v3
	v_cndmask_b32_e64 v10, 0x7f800000, v4, s1
	v_mov_b32_e32 v5, v9
	v_add_f32_e32 v8, v8, v10
	v_mov_b32_e32 v6, v10
.LBB708_25:
	s_andn2_saveexec_b32 s1, s4
	s_or_b32 exec_lo, exec_lo, s1
.LBB708_26:
	s_or_b32 exec_lo, exec_lo, s3
	ds_bpermute_b32 v3, v0, v7
	ds_bpermute_b32 v0, v0, v8
	s_waitcnt lgkmcnt(1)
	v_add_f32_e32 v3, v7, v3
	s_waitcnt lgkmcnt(0)
	v_add_f32_e32 v0, v8, v0
	ds_bpermute_b32 v4, v12, v3
	ds_bpermute_b32 v7, v12, v0
	s_waitcnt lgkmcnt(1)
	v_add_f32_e32 v3, v3, v4
	s_waitcnt lgkmcnt(0)
	v_add_f32_e32 v0, v0, v7
	;; [unrolled: 6-line block ×5, first 2 shown]
	ds_bpermute_b32 v8, v16, v7
	ds_bpermute_b32 v4, v16, v3
	s_and_saveexec_b32 s1, vcc_lo
	s_cbranch_execz .LBB708_35
; %bb.27:
	v_add_co_u32 v0, vcc_lo, s8, v1
	v_add_co_ci_u32_e64 v1, null, s9, v2, vcc_lo
	s_and_saveexec_b32 s1, s0
	s_cbranch_execz .LBB708_31
; %bb.28:
	s_waitcnt lgkmcnt(1)
	v_add_f32_e32 v2, v7, v8
	v_mov_b32_e32 v7, 0x7fc00000
	s_mov_b32 s3, exec_lo
	v_cmpx_neq_f32_e32 0, v2
	s_cbranch_execz .LBB708_30
; %bb.29:
	v_div_scale_f32 v7, null, v2, v2, v5
	v_rcp_f32_e32 v8, v7
	v_fma_f32 v9, -v7, v8, 1.0
	v_fmac_f32_e32 v8, v9, v8
	v_div_scale_f32 v9, vcc_lo, v5, v2, v5
	v_mul_f32_e32 v10, v9, v8
	v_fma_f32 v12, -v7, v10, v9
	v_fmac_f32_e32 v10, v12, v8
	v_fma_f32 v7, -v7, v10, v9
	v_div_fmas_f32 v7, v7, v8, v10
	v_div_fixup_f32 v7, v7, v2, v5
.LBB708_30:
	s_or_b32 exec_lo, exec_lo, s3
	global_store_dword v[0:1], v7, off
.LBB708_31:
	s_or_b32 exec_lo, exec_lo, s1
	v_cmp_ne_u32_e32 vcc_lo, 1, v11
	s_and_b32 s0, vcc_lo, s0
	s_and_b32 exec_lo, exec_lo, s0
	s_cbranch_execz .LBB708_35
; %bb.32:
	s_waitcnt lgkmcnt(0)
	v_add_f32_e32 v2, v3, v4
	v_mov_b32_e32 v3, 0x7fc00000
	s_mov_b32 s3, 0
	s_mov_b32 s0, exec_lo
	v_cmpx_neq_f32_e32 0, v2
	s_cbranch_execz .LBB708_34
; %bb.33:
	v_div_scale_f32 v3, null, v2, v2, v6
	v_rcp_f32_e32 v4, v3
	v_fma_f32 v5, -v3, v4, 1.0
	v_fmac_f32_e32 v4, v5, v4
	v_div_scale_f32 v5, vcc_lo, v6, v2, v6
	v_mul_f32_e32 v7, v5, v4
	v_fma_f32 v8, -v3, v7, v5
	v_fmac_f32_e32 v7, v8, v4
	v_fma_f32 v3, -v3, v7, v5
	v_div_fmas_f32 v3, v3, v4, v7
	v_div_fixup_f32 v3, v3, v2, v6
.LBB708_34:
	s_or_b32 exec_lo, exec_lo, s0
	s_lshl_b64 s[0:1], s[2:3], 2
	v_add_co_u32 v0, vcc_lo, v0, s0
	v_add_co_ci_u32_e64 v1, null, s1, v1, vcc_lo
	global_store_dword v[0:1], v3, off
.LBB708_35:
	s_endpgm
	.section	.rodata,"a",@progbits
	.p2align	6, 0x0
	.amdhsa_kernel _ZN12_GLOBAL__N_120softmax_warp_forwardIfffLi6ELb0ELb1ELi64EEEvPT0_PKT_iiiPKbib
		.amdhsa_group_segment_fixed_size 0
		.amdhsa_private_segment_fixed_size 0
		.amdhsa_kernarg_size 304
		.amdhsa_user_sgpr_count 6
		.amdhsa_user_sgpr_private_segment_buffer 1
		.amdhsa_user_sgpr_dispatch_ptr 0
		.amdhsa_user_sgpr_queue_ptr 0
		.amdhsa_user_sgpr_kernarg_segment_ptr 1
		.amdhsa_user_sgpr_dispatch_id 0
		.amdhsa_user_sgpr_flat_scratch_init 0
		.amdhsa_user_sgpr_private_segment_size 0
		.amdhsa_wavefront_size32 1
		.amdhsa_uses_dynamic_stack 0
		.amdhsa_system_sgpr_private_segment_wavefront_offset 0
		.amdhsa_system_sgpr_workgroup_id_x 1
		.amdhsa_system_sgpr_workgroup_id_y 0
		.amdhsa_system_sgpr_workgroup_id_z 0
		.amdhsa_system_sgpr_workgroup_info 0
		.amdhsa_system_vgpr_workitem_id 1
		.amdhsa_next_free_vgpr 21
		.amdhsa_next_free_sgpr 14
		.amdhsa_reserve_vcc 1
		.amdhsa_reserve_flat_scratch 0
		.amdhsa_float_round_mode_32 0
		.amdhsa_float_round_mode_16_64 0
		.amdhsa_float_denorm_mode_32 3
		.amdhsa_float_denorm_mode_16_64 3
		.amdhsa_dx10_clamp 1
		.amdhsa_ieee_mode 1
		.amdhsa_fp16_overflow 0
		.amdhsa_workgroup_processor_mode 1
		.amdhsa_memory_ordered 1
		.amdhsa_forward_progress 1
		.amdhsa_shared_vgpr_count 0
		.amdhsa_exception_fp_ieee_invalid_op 0
		.amdhsa_exception_fp_denorm_src 0
		.amdhsa_exception_fp_ieee_div_zero 0
		.amdhsa_exception_fp_ieee_overflow 0
		.amdhsa_exception_fp_ieee_underflow 0
		.amdhsa_exception_fp_ieee_inexact 0
		.amdhsa_exception_int_div_zero 0
	.end_amdhsa_kernel
	.section	.text._ZN12_GLOBAL__N_120softmax_warp_forwardIfffLi6ELb0ELb1ELi64EEEvPT0_PKT_iiiPKbib,"axG",@progbits,_ZN12_GLOBAL__N_120softmax_warp_forwardIfffLi6ELb0ELb1ELi64EEEvPT0_PKT_iiiPKbib,comdat
.Lfunc_end708:
	.size	_ZN12_GLOBAL__N_120softmax_warp_forwardIfffLi6ELb0ELb1ELi64EEEvPT0_PKT_iiiPKbib, .Lfunc_end708-_ZN12_GLOBAL__N_120softmax_warp_forwardIfffLi6ELb0ELb1ELi64EEEvPT0_PKT_iiiPKbib
                                        ; -- End function
	.set _ZN12_GLOBAL__N_120softmax_warp_forwardIfffLi6ELb0ELb1ELi64EEEvPT0_PKT_iiiPKbib.num_vgpr, 21
	.set _ZN12_GLOBAL__N_120softmax_warp_forwardIfffLi6ELb0ELb1ELi64EEEvPT0_PKT_iiiPKbib.num_agpr, 0
	.set _ZN12_GLOBAL__N_120softmax_warp_forwardIfffLi6ELb0ELb1ELi64EEEvPT0_PKT_iiiPKbib.numbered_sgpr, 14
	.set _ZN12_GLOBAL__N_120softmax_warp_forwardIfffLi6ELb0ELb1ELi64EEEvPT0_PKT_iiiPKbib.num_named_barrier, 0
	.set _ZN12_GLOBAL__N_120softmax_warp_forwardIfffLi6ELb0ELb1ELi64EEEvPT0_PKT_iiiPKbib.private_seg_size, 0
	.set _ZN12_GLOBAL__N_120softmax_warp_forwardIfffLi6ELb0ELb1ELi64EEEvPT0_PKT_iiiPKbib.uses_vcc, 1
	.set _ZN12_GLOBAL__N_120softmax_warp_forwardIfffLi6ELb0ELb1ELi64EEEvPT0_PKT_iiiPKbib.uses_flat_scratch, 0
	.set _ZN12_GLOBAL__N_120softmax_warp_forwardIfffLi6ELb0ELb1ELi64EEEvPT0_PKT_iiiPKbib.has_dyn_sized_stack, 0
	.set _ZN12_GLOBAL__N_120softmax_warp_forwardIfffLi6ELb0ELb1ELi64EEEvPT0_PKT_iiiPKbib.has_recursion, 0
	.set _ZN12_GLOBAL__N_120softmax_warp_forwardIfffLi6ELb0ELb1ELi64EEEvPT0_PKT_iiiPKbib.has_indirect_call, 0
	.section	.AMDGPU.csdata,"",@progbits
; Kernel info:
; codeLenInByte = 2036
; TotalNumSgprs: 16
; NumVgprs: 21
; ScratchSize: 0
; MemoryBound: 0
; FloatMode: 240
; IeeeMode: 1
; LDSByteSize: 0 bytes/workgroup (compile time only)
; SGPRBlocks: 0
; VGPRBlocks: 2
; NumSGPRsForWavesPerEU: 16
; NumVGPRsForWavesPerEU: 21
; Occupancy: 16
; WaveLimiterHint : 0
; COMPUTE_PGM_RSRC2:SCRATCH_EN: 0
; COMPUTE_PGM_RSRC2:USER_SGPR: 6
; COMPUTE_PGM_RSRC2:TRAP_HANDLER: 0
; COMPUTE_PGM_RSRC2:TGID_X_EN: 1
; COMPUTE_PGM_RSRC2:TGID_Y_EN: 0
; COMPUTE_PGM_RSRC2:TGID_Z_EN: 0
; COMPUTE_PGM_RSRC2:TIDIG_COMP_CNT: 1
	.section	.text._ZN12_GLOBAL__N_120softmax_warp_forwardIfffLi6ELb0ELb1ELi32EEEvPT0_PKT_iiiPKbib,"axG",@progbits,_ZN12_GLOBAL__N_120softmax_warp_forwardIfffLi6ELb0ELb1ELi32EEEvPT0_PKT_iiiPKbib,comdat
	.globl	_ZN12_GLOBAL__N_120softmax_warp_forwardIfffLi6ELb0ELb1ELi32EEEvPT0_PKT_iiiPKbib ; -- Begin function _ZN12_GLOBAL__N_120softmax_warp_forwardIfffLi6ELb0ELb1ELi32EEEvPT0_PKT_iiiPKbib
	.p2align	8
	.type	_ZN12_GLOBAL__N_120softmax_warp_forwardIfffLi6ELb0ELb1ELi32EEEvPT0_PKT_iiiPKbib,@function
_ZN12_GLOBAL__N_120softmax_warp_forwardIfffLi6ELb0ELb1ELi32EEEvPT0_PKT_iiiPKbib: ; @_ZN12_GLOBAL__N_120softmax_warp_forwardIfffLi6ELb0ELb1ELi32EEEvPT0_PKT_iiiPKbib
; %bb.0:
	s_clause 0x2
	s_load_dwordx2 s[0:1], s[4:5], 0x28
	s_load_dword s2, s[4:5], 0x3c
	s_load_dwordx4 s[8:11], s[4:5], 0x10
	s_waitcnt lgkmcnt(0)
	s_bitcmp1_b32 s1, 0
	s_cselect_b32 s16, -1, 0
	s_lshr_b32 s2, s2, 16
	s_and_b32 s2, s2, 0xffff
	s_bitcmp0_b32 s1, 0
	s_mul_i32 s6, s6, s2
	v_add_lshl_u32 v5, s6, v1, 1
	v_mul_lo_u32 v6, v5, s9
	v_add_nc_u32_e32 v1, v6, v0
	v_ashrrev_i32_e32 v2, 31, v1
	v_mov_b32_e32 v4, v2
	v_mov_b32_e32 v3, v1
	s_cbranch_scc1 .LBB709_2
; %bb.1:
	s_abs_i32 s1, s0
	v_sub_nc_u32_e32 v7, 0, v6
	v_cvt_f32_u32_e32 v3, s1
	s_sub_i32 s2, 0, s1
	v_max_i32_e32 v7, v6, v7
	v_rcp_iflag_f32_e32 v3, v3
	v_xor_b32_e32 v6, s0, v6
	v_ashrrev_i32_e32 v6, 31, v6
	v_mul_f32_e32 v3, 0x4f7ffffe, v3
	v_cvt_u32_f32_e32 v3, v3
	v_mul_lo_u32 v4, s2, v3
	v_mul_hi_u32 v4, v3, v4
	v_add_nc_u32_e32 v3, v3, v4
	v_mul_hi_u32 v3, v7, v3
	v_mul_lo_u32 v4, v3, s1
	v_sub_nc_u32_e32 v4, v7, v4
	v_add_nc_u32_e32 v7, 1, v3
	v_subrev_nc_u32_e32 v8, s1, v4
	v_cmp_le_u32_e32 vcc_lo, s1, v4
	v_cndmask_b32_e32 v3, v3, v7, vcc_lo
	v_cndmask_b32_e32 v4, v4, v8, vcc_lo
	v_add_nc_u32_e32 v7, 1, v3
	v_cmp_le_u32_e32 vcc_lo, s1, v4
	v_cndmask_b32_e32 v3, v3, v7, vcc_lo
	v_xor_b32_e32 v3, v3, v6
	v_sub_nc_u32_e32 v3, v3, v6
	v_mad_u64_u32 v[3:4], null, v3, s9, v[0:1]
	v_ashrrev_i32_e32 v4, 31, v3
.LBB709_2:
	s_load_dwordx4 s[12:15], s[4:5], 0x0
	v_lshlrev_b64 v[1:2], 2, v[1:2]
	v_sub_nc_u32_e32 v11, s8, v5
	v_cmp_gt_i32_e64 s1, s10, v0
	v_mov_b32_e32 v12, 0xff800000
	v_mov_b32_e32 v7, 0xff800000
	v_cmp_lt_i32_e32 vcc_lo, 0, v11
	s_and_b32 s8, vcc_lo, s1
	s_waitcnt lgkmcnt(0)
	v_add_co_u32 v8, s0, s14, v1
	v_add_co_ci_u32_e64 v9, null, s15, v2, s0
	s_and_saveexec_b32 s0, s8
	s_cbranch_execz .LBB709_4
; %bb.3:
	global_load_dword v7, v[8:9], off
.LBB709_4:
	s_or_b32 exec_lo, exec_lo, s0
	v_add_nc_u32_e32 v0, 32, v0
	v_cmp_gt_i32_e64 s0, s10, v0
	s_and_b32 s7, vcc_lo, s0
	s_and_saveexec_b32 s2, s7
	s_cbranch_execz .LBB709_6
; %bb.5:
	global_load_dword v12, v[8:9], off offset:128
.LBB709_6:
	s_or_b32 exec_lo, exec_lo, s2
	v_cmp_lt_i32_e64 s2, 1, v11
	v_mov_b32_e32 v0, 0xff800000
	v_mov_b32_e32 v6, 0xff800000
	s_and_b32 s6, s2, s1
	s_and_saveexec_b32 s9, s6
	s_cbranch_execz .LBB709_8
; %bb.7:
	s_mov_b32 s11, 0
	s_lshl_b64 s[14:15], s[10:11], 2
	v_add_co_u32 v5, s3, v8, s14
	v_add_co_ci_u32_e64 v6, null, s15, v9, s3
	global_load_dword v6, v[5:6], off
.LBB709_8:
	s_or_b32 exec_lo, exec_lo, s9
	s_and_b32 s3, s2, s0
	s_and_saveexec_b32 s9, s3
	s_cbranch_execz .LBB709_10
; %bb.9:
	s_mov_b32 s11, 0
	s_lshl_b64 s[14:15], s[10:11], 2
	v_add_co_u32 v8, s2, v8, s14
	v_add_co_ci_u32_e64 v9, null, s15, v9, s2
	global_load_dword v0, v[8:9], off offset:128
.LBB709_10:
	s_or_b32 exec_lo, exec_lo, s9
	s_load_dwordx2 s[4:5], s[4:5], 0x20
	s_waitcnt vmcnt(0)
	v_mov_b32_e32 v9, v8
	v_mov_b32_e32 v8, v7
	s_waitcnt lgkmcnt(0)
	v_add_co_u32 v3, s2, s4, v3
	v_add_co_ci_u32_e64 v4, null, s5, v4, s2
	s_mov_b32 s4, 0
	s_and_saveexec_b32 s5, s8
	s_cbranch_execz .LBB709_14
; %bb.11:
	global_load_ubyte v5, v[3:4], off
	v_mov_b32_e32 v9, v8
	v_mov_b32_e32 v8, v7
	s_waitcnt vmcnt(0)
	v_and_b32_e32 v5, 1, v5
	v_cmp_eq_u32_e64 s2, 1, v5
	s_xor_b32 s9, s2, -1
	s_and_saveexec_b32 s2, s9
; %bb.12:
	v_mov_b32_e32 v9, v8
	v_mov_b32_e32 v8, v7
	s_mov_b32 s4, exec_lo
; %bb.13:
	s_or_b32 exec_lo, exec_lo, s2
	s_and_b32 s4, s4, exec_lo
.LBB709_14:
	s_or_b32 exec_lo, exec_lo, s5
	s_and_saveexec_b32 s5, s7
	s_cbranch_execz .LBB709_18
; %bb.15:
	global_load_ubyte v5, v[3:4], off offset:32
	s_waitcnt vmcnt(0)
	v_and_b32_e32 v5, 1, v5
	v_cmp_eq_u32_e64 s2, 1, v5
	s_xor_b32 s11, s2, -1
	s_mov_b32 s2, s4
	s_and_saveexec_b32 s9, s11
; %bb.16:
	v_cmp_gt_f32_e64 s2, v8, v12
	s_and_b32 s2, s4, s2
	v_cndmask_b32_e64 v8, v12, v8, s2
	s_or_b32 s2, s4, exec_lo
; %bb.17:
	s_or_b32 exec_lo, exec_lo, s9
	s_andn2_b32 s4, s4, exec_lo
	s_and_b32 s2, s2, exec_lo
	s_or_b32 s4, s4, s2
.LBB709_18:
	s_or_b32 exec_lo, exec_lo, s5
	v_cndmask_b32_e64 v5, 0xff800000, v8, s4
	v_mov_b32_e32 v9, v6
	s_and_b32 s2, s16, exec_lo
	s_mov_b32 s5, 0
	s_cselect_b32 s4, 0, s10
	v_mov_b32_e32 v8, v5
	s_and_saveexec_b32 s9, s6
	s_cbranch_execz .LBB709_22
; %bb.19:
	s_ashr_i32 s5, s4, 31
	v_add_co_u32 v8, s2, v3, s4
	v_add_co_ci_u32_e64 v9, null, s5, v4, s2
	s_mov_b32 s5, 0
	global_load_ubyte v8, v[8:9], off
	s_waitcnt vmcnt(0)
	v_and_b32_e32 v8, 1, v8
	v_cmp_eq_u32_e64 s2, 1, v8
	v_mov_b32_e32 v9, v6
	v_mov_b32_e32 v8, v5
	s_xor_b32 s11, s2, -1
	s_and_saveexec_b32 s2, s11
; %bb.20:
	v_mov_b32_e32 v9, v6
	v_mov_b32_e32 v8, v5
	s_mov_b32 s5, exec_lo
; %bb.21:
	s_or_b32 exec_lo, exec_lo, s2
	s_and_b32 s5, s5, exec_lo
.LBB709_22:
	s_or_b32 exec_lo, exec_lo, s9
	s_and_saveexec_b32 s9, s3
	s_cbranch_execz .LBB709_26
; %bb.23:
	s_ashr_i32 s11, s4, 31
	v_add_co_u32 v13, s2, v3, s4
	v_add_co_ci_u32_e64 v14, null, s11, v4, s2
	global_load_ubyte v5, v[13:14], off offset:32
	s_waitcnt vmcnt(0)
	v_and_b32_e32 v5, 1, v5
	v_cmp_eq_u32_e64 s2, 1, v5
	s_xor_b32 s14, s2, -1
	s_mov_b32 s2, s5
	s_and_saveexec_b32 s11, s14
; %bb.24:
	v_cmp_gt_f32_e64 s2, v9, v0
	s_and_b32 s2, s5, s2
	v_cndmask_b32_e64 v9, v0, v9, s2
	s_or_b32 s2, s5, exec_lo
; %bb.25:
	s_or_b32 exec_lo, exec_lo, s11
	s_andn2_b32 s5, s5, exec_lo
	s_and_b32 s2, s2, exec_lo
	s_or_b32 s5, s5, s2
.LBB709_26:
	s_or_b32 exec_lo, exec_lo, s9
	v_mbcnt_lo_u32_b32 v10, -1, 0
	v_cndmask_b32_e64 v9, 0xff800000, v9, s5
	v_xor_b32_e32 v5, 16, v10
	v_xor_b32_e32 v13, 8, v10
	v_cmp_gt_i32_e64 s2, 32, v5
	v_cndmask_b32_e64 v5, v10, v5, s2
	v_cmp_gt_i32_e64 s2, 32, v13
	v_lshlrev_b32_e32 v5, 2, v5
	v_cndmask_b32_e64 v13, v10, v13, s2
	ds_bpermute_b32 v14, v5, v8
	ds_bpermute_b32 v15, v5, v9
	v_lshlrev_b32_e32 v13, 2, v13
	s_waitcnt lgkmcnt(1)
	v_cmp_lt_f32_e64 s2, v8, v14
	v_cndmask_b32_e64 v8, v8, v14, s2
	s_waitcnt lgkmcnt(0)
	v_cmp_lt_f32_e64 s2, v9, v15
	v_xor_b32_e32 v14, 4, v10
	ds_bpermute_b32 v16, v13, v8
	v_cndmask_b32_e64 v9, v9, v15, s2
	v_cmp_gt_i32_e64 s2, 32, v14
	ds_bpermute_b32 v15, v13, v9
	v_cndmask_b32_e64 v14, v10, v14, s2
	v_lshlrev_b32_e32 v14, 2, v14
	s_waitcnt lgkmcnt(1)
	v_cmp_lt_f32_e64 s2, v8, v16
	v_cndmask_b32_e64 v8, v8, v16, s2
	s_waitcnt lgkmcnt(0)
	v_cmp_lt_f32_e64 s2, v9, v15
	ds_bpermute_b32 v16, v14, v8
	v_cndmask_b32_e64 v9, v9, v15, s2
	v_xor_b32_e32 v15, 2, v10
	ds_bpermute_b32 v17, v14, v9
	v_cmp_gt_i32_e64 s2, 32, v15
	v_cndmask_b32_e64 v15, v10, v15, s2
	v_lshlrev_b32_e32 v15, 2, v15
	s_waitcnt lgkmcnt(1)
	v_cmp_lt_f32_e64 s2, v8, v16
	v_cndmask_b32_e64 v8, v8, v16, s2
	s_waitcnt lgkmcnt(0)
	v_cmp_lt_f32_e64 s2, v9, v17
	v_xor_b32_e32 v16, 1, v10
	ds_bpermute_b32 v18, v15, v8
	v_cndmask_b32_e64 v9, v9, v17, s2
	v_cmp_gt_i32_e64 s2, 32, v16
	ds_bpermute_b32 v17, v15, v9
	v_cndmask_b32_e64 v10, v10, v16, s2
	v_lshlrev_b32_e32 v16, 2, v10
	s_waitcnt lgkmcnt(1)
	v_cmp_lt_f32_e64 s2, v8, v18
	v_cndmask_b32_e64 v10, v8, v18, s2
	s_waitcnt lgkmcnt(0)
	v_cmp_lt_f32_e64 s2, v9, v17
	v_mov_b32_e32 v8, 0
	ds_bpermute_b32 v20, v16, v10
	v_cndmask_b32_e64 v18, v9, v17, s2
	v_mov_b32_e32 v9, v8
	v_mov_b32_e32 v17, 0
	ds_bpermute_b32 v19, v16, v18
	s_waitcnt lgkmcnt(1)
	v_cmp_lt_f32_e64 s2, v10, v20
	v_cndmask_b32_e64 v20, v10, v20, s2
	v_mov_b32_e32 v10, v9
	v_mov_b32_e32 v9, v8
	s_and_saveexec_b32 s5, s8
	s_cbranch_execz .LBB709_30
; %bb.27:
	global_load_ubyte v9, v[3:4], off
	s_waitcnt vmcnt(0)
	v_and_b32_e32 v10, 1, v9
	v_mov_b32_e32 v9, 0
	v_cmp_eq_u32_e64 s2, 1, v10
	v_mov_b32_e32 v10, v9
	v_mov_b32_e32 v17, v9
	s_xor_b32 s2, s2, -1
	s_and_saveexec_b32 s8, s2
	s_cbranch_execz .LBB709_29
; %bb.28:
	v_sub_f32_e32 v7, v7, v20
	v_mul_f32_e32 v9, 0x3fb8aa3b, v7
	v_cmp_ngt_f32_e64 s2, 0xc2ce8ed0, v7
	v_fma_f32 v10, 0x3fb8aa3b, v7, -v9
	v_rndne_f32_e32 v17, v9
	v_fmamk_f32 v10, v7, 0x32a5705f, v10
	v_sub_f32_e32 v9, v9, v17
	v_add_f32_e32 v9, v9, v10
	v_cvt_i32_f32_e32 v10, v17
	v_exp_f32_e32 v9, v9
	v_ldexp_f32 v9, v9, v10
	v_mov_b32_e32 v10, 0
	v_cndmask_b32_e64 v9, 0, v9, s2
	v_cmp_nlt_f32_e64 s2, 0x42b17218, v7
	v_cndmask_b32_e64 v9, 0x7f800000, v9, s2
	v_mov_b32_e32 v17, v9
.LBB709_29:
	s_or_b32 exec_lo, exec_lo, s8
.LBB709_30:
	s_or_b32 exec_lo, exec_lo, s5
	v_mov_b32_e32 v7, 0
	s_and_saveexec_b32 s5, s7
	s_cbranch_execz .LBB709_34
; %bb.31:
	global_load_ubyte v7, v[3:4], off offset:32
	s_waitcnt vmcnt(0)
	v_and_b32_e32 v7, 1, v7
	v_cmp_eq_u32_e64 s2, 1, v7
	v_mov_b32_e32 v7, 0
	s_xor_b32 s2, s2, -1
	s_and_saveexec_b32 s7, s2
	s_cbranch_execz .LBB709_33
; %bb.32:
	v_sub_f32_e32 v7, v12, v20
	v_mul_f32_e32 v12, 0x3fb8aa3b, v7
	v_cmp_ngt_f32_e64 s2, 0xc2ce8ed0, v7
	v_fma_f32 v20, 0x3fb8aa3b, v7, -v12
	v_rndne_f32_e32 v21, v12
	v_fmamk_f32 v20, v7, 0x32a5705f, v20
	v_sub_f32_e32 v12, v12, v21
	v_add_f32_e32 v12, v12, v20
	v_cvt_i32_f32_e32 v20, v21
	v_exp_f32_e32 v12, v12
	v_ldexp_f32 v12, v12, v20
	v_cndmask_b32_e64 v12, 0, v12, s2
	v_cmp_nlt_f32_e64 s2, 0x42b17218, v7
	v_cndmask_b32_e64 v7, 0x7f800000, v12, s2
	v_add_f32_e32 v9, v9, v7
.LBB709_33:
	s_or_b32 exec_lo, exec_lo, s7
.LBB709_34:
	s_or_b32 exec_lo, exec_lo, s5
	s_waitcnt lgkmcnt(0)
	v_cmp_lt_f32_e64 s2, v18, v19
	v_cndmask_b32_e64 v12, v18, v19, s2
	s_and_saveexec_b32 s5, s6
	s_cbranch_execz .LBB709_38
; %bb.35:
	s_ashr_i32 s6, s4, 31
	v_add_co_u32 v18, s2, v3, s4
	v_add_co_ci_u32_e64 v19, null, s6, v4, s2
	global_load_ubyte v8, v[18:19], off
	s_waitcnt vmcnt(0)
	v_and_b32_e32 v8, 1, v8
	v_cmp_eq_u32_e64 s2, 1, v8
	v_mov_b32_e32 v8, 0
	s_xor_b32 s2, s2, -1
	s_and_saveexec_b32 s6, s2
	s_cbranch_execz .LBB709_37
; %bb.36:
	v_sub_f32_e32 v6, v6, v12
	v_mul_f32_e32 v8, 0x3fb8aa3b, v6
	v_cmp_ngt_f32_e64 s2, 0xc2ce8ed0, v6
	v_fma_f32 v18, 0x3fb8aa3b, v6, -v8
	v_rndne_f32_e32 v19, v8
	v_fmamk_f32 v18, v6, 0x32a5705f, v18
	v_sub_f32_e32 v8, v8, v19
	v_add_f32_e32 v8, v8, v18
	v_cvt_i32_f32_e32 v18, v19
	v_exp_f32_e32 v8, v8
	v_ldexp_f32 v8, v8, v18
	v_cndmask_b32_e64 v8, 0, v8, s2
	v_cmp_nlt_f32_e64 s2, 0x42b17218, v6
	v_cndmask_b32_e64 v8, 0x7f800000, v8, s2
	v_add_f32_e32 v10, v10, v8
.LBB709_37:
	s_or_b32 exec_lo, exec_lo, s6
.LBB709_38:
	s_or_b32 exec_lo, exec_lo, s5
	v_mov_b32_e32 v6, 0
	s_and_saveexec_b32 s5, s3
	s_cbranch_execz .LBB709_42
; %bb.39:
	s_ashr_i32 s3, s4, 31
	v_add_co_u32 v3, s2, v3, s4
	v_add_co_ci_u32_e64 v4, null, s3, v4, s2
	v_mov_b32_e32 v6, 0
	global_load_ubyte v3, v[3:4], off offset:32
	s_waitcnt vmcnt(0)
	v_and_b32_e32 v3, 1, v3
	v_cmp_eq_u32_e64 s2, 1, v3
	s_xor_b32 s2, s2, -1
	s_and_saveexec_b32 s3, s2
	s_cbranch_execz .LBB709_41
; %bb.40:
	v_sub_f32_e32 v0, v0, v12
	v_mul_f32_e32 v3, 0x3fb8aa3b, v0
	v_cmp_ngt_f32_e64 s2, 0xc2ce8ed0, v0
	v_fma_f32 v4, 0x3fb8aa3b, v0, -v3
	v_rndne_f32_e32 v6, v3
	v_fmamk_f32 v4, v0, 0x32a5705f, v4
	v_sub_f32_e32 v3, v3, v6
	v_add_f32_e32 v3, v3, v4
	v_cvt_i32_f32_e32 v4, v6
	v_exp_f32_e32 v3, v3
	v_ldexp_f32 v3, v3, v4
	v_cndmask_b32_e64 v3, 0, v3, s2
	v_cmp_nlt_f32_e64 s2, 0x42b17218, v0
	v_cndmask_b32_e64 v6, 0x7f800000, v3, s2
	v_add_f32_e32 v10, v10, v6
.LBB709_41:
	s_or_b32 exec_lo, exec_lo, s3
.LBB709_42:
	s_or_b32 exec_lo, exec_lo, s5
	ds_bpermute_b32 v0, v5, v9
	ds_bpermute_b32 v3, v5, v10
	s_waitcnt lgkmcnt(1)
	v_add_f32_e32 v0, v9, v0
	s_waitcnt lgkmcnt(0)
	v_add_f32_e32 v3, v10, v3
	ds_bpermute_b32 v4, v13, v0
	ds_bpermute_b32 v5, v13, v3
	s_waitcnt lgkmcnt(1)
	v_add_f32_e32 v0, v0, v4
	s_waitcnt lgkmcnt(0)
	v_add_f32_e32 v3, v3, v5
	;; [unrolled: 6-line block ×4, first 2 shown]
	ds_bpermute_b32 v9, v16, v5
	ds_bpermute_b32 v4, v16, v3
	s_and_saveexec_b32 s2, vcc_lo
	s_cbranch_execz .LBB709_50
; %bb.43:
	v_add_co_u32 v0, vcc_lo, s12, v1
	v_add_co_ci_u32_e64 v1, null, s13, v2, vcc_lo
	s_and_saveexec_b32 s3, s1
	s_cbranch_execz .LBB709_46
; %bb.44:
	s_waitcnt lgkmcnt(1)
	v_add_f32_e32 v2, v5, v9
	v_div_scale_f32 v5, null, v2, v2, v17
	v_cmp_eq_f32_e64 s2, 0, v2
	v_rcp_f32_e32 v9, v5
	v_fma_f32 v10, -v5, v9, 1.0
	v_fmac_f32_e32 v9, v10, v9
	v_div_scale_f32 v10, vcc_lo, v17, v2, v17
	v_mul_f32_e32 v12, v10, v9
	v_fma_f32 v13, -v5, v12, v10
	v_fmac_f32_e32 v12, v13, v9
	v_fma_f32 v5, -v5, v12, v10
	v_div_fmas_f32 v5, v5, v9, v12
	v_div_fixup_f32 v5, v5, v2, v17
	v_cndmask_b32_e64 v5, v5, 0x7fc00000, s2
	global_store_dword v[0:1], v5, off
	s_and_b32 exec_lo, exec_lo, s0
	s_cbranch_execz .LBB709_46
; %bb.45:
	v_div_scale_f32 v5, null, v2, v2, v7
	v_rcp_f32_e32 v9, v5
	v_fma_f32 v10, -v5, v9, 1.0
	v_fmac_f32_e32 v9, v10, v9
	v_div_scale_f32 v10, vcc_lo, v7, v2, v7
	v_mul_f32_e32 v12, v10, v9
	v_fma_f32 v13, -v5, v12, v10
	v_fmac_f32_e32 v12, v13, v9
	v_fma_f32 v5, -v5, v12, v10
	v_div_fmas_f32 v5, v5, v9, v12
	v_div_fixup_f32 v2, v5, v2, v7
	v_cndmask_b32_e64 v2, v2, 0x7fc00000, s2
	global_store_dword v[0:1], v2, off offset:128
.LBB709_46:
	s_or_b32 exec_lo, exec_lo, s3
	v_cmp_ne_u32_e32 vcc_lo, 1, v11
	s_and_b32 exec_lo, exec_lo, vcc_lo
	s_cbranch_execz .LBB709_50
; %bb.47:
	s_and_b32 exec_lo, exec_lo, s1
	s_cbranch_execz .LBB709_50
; %bb.48:
	s_waitcnt lgkmcnt(0)
	v_add_f32_e32 v2, v3, v4
	s_mov_b32 s11, 0
	s_lshl_b64 s[2:3], s[10:11], 2
	v_div_scale_f32 v3, null, v2, v2, v8
	v_div_scale_f32 v7, vcc_lo, v8, v2, v8
	v_cmp_eq_f32_e64 s1, 0, v2
	v_rcp_f32_e32 v4, v3
	v_fma_f32 v5, -v3, v4, 1.0
	v_fmac_f32_e32 v4, v5, v4
	v_mul_f32_e32 v5, v7, v4
	v_fma_f32 v9, -v3, v5, v7
	v_fmac_f32_e32 v5, v9, v4
	v_fma_f32 v3, -v3, v5, v7
	v_div_fmas_f32 v3, v3, v4, v5
	v_add_co_u32 v0, vcc_lo, v0, s2
	v_add_co_ci_u32_e64 v1, null, s3, v1, vcc_lo
	v_div_fixup_f32 v3, v3, v2, v8
	v_cndmask_b32_e64 v3, v3, 0x7fc00000, s1
	global_store_dword v[0:1], v3, off
	s_and_b32 exec_lo, exec_lo, s0
	s_cbranch_execz .LBB709_50
; %bb.49:
	v_div_scale_f32 v3, null, v2, v2, v6
	v_rcp_f32_e32 v4, v3
	v_fma_f32 v5, -v3, v4, 1.0
	v_fmac_f32_e32 v4, v5, v4
	v_div_scale_f32 v5, vcc_lo, v6, v2, v6
	v_mul_f32_e32 v7, v5, v4
	v_fma_f32 v8, -v3, v7, v5
	v_fmac_f32_e32 v7, v8, v4
	v_fma_f32 v3, -v3, v7, v5
	v_div_fmas_f32 v3, v3, v4, v7
	v_div_fixup_f32 v2, v3, v2, v6
	v_cndmask_b32_e64 v2, v2, 0x7fc00000, s1
	global_store_dword v[0:1], v2, off offset:128
.LBB709_50:
	s_endpgm
	.section	.rodata,"a",@progbits
	.p2align	6, 0x0
	.amdhsa_kernel _ZN12_GLOBAL__N_120softmax_warp_forwardIfffLi6ELb0ELb1ELi32EEEvPT0_PKT_iiiPKbib
		.amdhsa_group_segment_fixed_size 0
		.amdhsa_private_segment_fixed_size 0
		.amdhsa_kernarg_size 304
		.amdhsa_user_sgpr_count 6
		.amdhsa_user_sgpr_private_segment_buffer 1
		.amdhsa_user_sgpr_dispatch_ptr 0
		.amdhsa_user_sgpr_queue_ptr 0
		.amdhsa_user_sgpr_kernarg_segment_ptr 1
		.amdhsa_user_sgpr_dispatch_id 0
		.amdhsa_user_sgpr_flat_scratch_init 0
		.amdhsa_user_sgpr_private_segment_size 0
		.amdhsa_wavefront_size32 1
		.amdhsa_uses_dynamic_stack 0
		.amdhsa_system_sgpr_private_segment_wavefront_offset 0
		.amdhsa_system_sgpr_workgroup_id_x 1
		.amdhsa_system_sgpr_workgroup_id_y 0
		.amdhsa_system_sgpr_workgroup_id_z 0
		.amdhsa_system_sgpr_workgroup_info 0
		.amdhsa_system_vgpr_workitem_id 1
		.amdhsa_next_free_vgpr 22
		.amdhsa_next_free_sgpr 17
		.amdhsa_reserve_vcc 1
		.amdhsa_reserve_flat_scratch 0
		.amdhsa_float_round_mode_32 0
		.amdhsa_float_round_mode_16_64 0
		.amdhsa_float_denorm_mode_32 3
		.amdhsa_float_denorm_mode_16_64 3
		.amdhsa_dx10_clamp 1
		.amdhsa_ieee_mode 1
		.amdhsa_fp16_overflow 0
		.amdhsa_workgroup_processor_mode 1
		.amdhsa_memory_ordered 1
		.amdhsa_forward_progress 1
		.amdhsa_shared_vgpr_count 0
		.amdhsa_exception_fp_ieee_invalid_op 0
		.amdhsa_exception_fp_denorm_src 0
		.amdhsa_exception_fp_ieee_div_zero 0
		.amdhsa_exception_fp_ieee_overflow 0
		.amdhsa_exception_fp_ieee_underflow 0
		.amdhsa_exception_fp_ieee_inexact 0
		.amdhsa_exception_int_div_zero 0
	.end_amdhsa_kernel
	.section	.text._ZN12_GLOBAL__N_120softmax_warp_forwardIfffLi6ELb0ELb1ELi32EEEvPT0_PKT_iiiPKbib,"axG",@progbits,_ZN12_GLOBAL__N_120softmax_warp_forwardIfffLi6ELb0ELb1ELi32EEEvPT0_PKT_iiiPKbib,comdat
.Lfunc_end709:
	.size	_ZN12_GLOBAL__N_120softmax_warp_forwardIfffLi6ELb0ELb1ELi32EEEvPT0_PKT_iiiPKbib, .Lfunc_end709-_ZN12_GLOBAL__N_120softmax_warp_forwardIfffLi6ELb0ELb1ELi32EEEvPT0_PKT_iiiPKbib
                                        ; -- End function
	.set _ZN12_GLOBAL__N_120softmax_warp_forwardIfffLi6ELb0ELb1ELi32EEEvPT0_PKT_iiiPKbib.num_vgpr, 22
	.set _ZN12_GLOBAL__N_120softmax_warp_forwardIfffLi6ELb0ELb1ELi32EEEvPT0_PKT_iiiPKbib.num_agpr, 0
	.set _ZN12_GLOBAL__N_120softmax_warp_forwardIfffLi6ELb0ELb1ELi32EEEvPT0_PKT_iiiPKbib.numbered_sgpr, 17
	.set _ZN12_GLOBAL__N_120softmax_warp_forwardIfffLi6ELb0ELb1ELi32EEEvPT0_PKT_iiiPKbib.num_named_barrier, 0
	.set _ZN12_GLOBAL__N_120softmax_warp_forwardIfffLi6ELb0ELb1ELi32EEEvPT0_PKT_iiiPKbib.private_seg_size, 0
	.set _ZN12_GLOBAL__N_120softmax_warp_forwardIfffLi6ELb0ELb1ELi32EEEvPT0_PKT_iiiPKbib.uses_vcc, 1
	.set _ZN12_GLOBAL__N_120softmax_warp_forwardIfffLi6ELb0ELb1ELi32EEEvPT0_PKT_iiiPKbib.uses_flat_scratch, 0
	.set _ZN12_GLOBAL__N_120softmax_warp_forwardIfffLi6ELb0ELb1ELi32EEEvPT0_PKT_iiiPKbib.has_dyn_sized_stack, 0
	.set _ZN12_GLOBAL__N_120softmax_warp_forwardIfffLi6ELb0ELb1ELi32EEEvPT0_PKT_iiiPKbib.has_recursion, 0
	.set _ZN12_GLOBAL__N_120softmax_warp_forwardIfffLi6ELb0ELb1ELi32EEEvPT0_PKT_iiiPKbib.has_indirect_call, 0
	.section	.AMDGPU.csdata,"",@progbits
; Kernel info:
; codeLenInByte = 2720
; TotalNumSgprs: 19
; NumVgprs: 22
; ScratchSize: 0
; MemoryBound: 0
; FloatMode: 240
; IeeeMode: 1
; LDSByteSize: 0 bytes/workgroup (compile time only)
; SGPRBlocks: 0
; VGPRBlocks: 2
; NumSGPRsForWavesPerEU: 19
; NumVGPRsForWavesPerEU: 22
; Occupancy: 16
; WaveLimiterHint : 0
; COMPUTE_PGM_RSRC2:SCRATCH_EN: 0
; COMPUTE_PGM_RSRC2:USER_SGPR: 6
; COMPUTE_PGM_RSRC2:TRAP_HANDLER: 0
; COMPUTE_PGM_RSRC2:TGID_X_EN: 1
; COMPUTE_PGM_RSRC2:TGID_Y_EN: 0
; COMPUTE_PGM_RSRC2:TGID_Z_EN: 0
; COMPUTE_PGM_RSRC2:TIDIG_COMP_CNT: 1
	.section	.text._ZN12_GLOBAL__N_120softmax_warp_forwardIfffLi7ELb0ELb1ELi64EEEvPT0_PKT_iiiPKbib,"axG",@progbits,_ZN12_GLOBAL__N_120softmax_warp_forwardIfffLi7ELb0ELb1ELi64EEEvPT0_PKT_iiiPKbib,comdat
	.globl	_ZN12_GLOBAL__N_120softmax_warp_forwardIfffLi7ELb0ELb1ELi64EEEvPT0_PKT_iiiPKbib ; -- Begin function _ZN12_GLOBAL__N_120softmax_warp_forwardIfffLi7ELb0ELb1ELi64EEEvPT0_PKT_iiiPKbib
	.p2align	8
	.type	_ZN12_GLOBAL__N_120softmax_warp_forwardIfffLi7ELb0ELb1ELi64EEEvPT0_PKT_iiiPKbib,@function
_ZN12_GLOBAL__N_120softmax_warp_forwardIfffLi7ELb0ELb1ELi64EEEvPT0_PKT_iiiPKbib: ; @_ZN12_GLOBAL__N_120softmax_warp_forwardIfffLi7ELb0ELb1ELi64EEEvPT0_PKT_iiiPKbib
; %bb.0:
	s_clause 0x2
	s_load_dwordx2 s[0:1], s[4:5], 0x28
	s_load_dword s2, s[4:5], 0x3c
	s_load_dwordx4 s[8:11], s[4:5], 0x10
	s_waitcnt lgkmcnt(0)
	s_bitcmp1_b32 s1, 0
	s_cselect_b32 s16, -1, 0
	s_lshr_b32 s2, s2, 16
	s_and_b32 s2, s2, 0xffff
	s_bitcmp0_b32 s1, 0
	s_mul_i32 s6, s6, s2
	v_add_lshl_u32 v5, s6, v1, 1
	v_mul_lo_u32 v6, v5, s9
	v_add_nc_u32_e32 v1, v6, v0
	v_ashrrev_i32_e32 v2, 31, v1
	v_mov_b32_e32 v4, v2
	v_mov_b32_e32 v3, v1
	s_cbranch_scc1 .LBB710_2
; %bb.1:
	s_abs_i32 s1, s0
	v_sub_nc_u32_e32 v7, 0, v6
	v_cvt_f32_u32_e32 v3, s1
	s_sub_i32 s2, 0, s1
	v_max_i32_e32 v7, v6, v7
	v_rcp_iflag_f32_e32 v3, v3
	v_xor_b32_e32 v6, s0, v6
	v_ashrrev_i32_e32 v6, 31, v6
	v_mul_f32_e32 v3, 0x4f7ffffe, v3
	v_cvt_u32_f32_e32 v3, v3
	v_mul_lo_u32 v4, s2, v3
	v_mul_hi_u32 v4, v3, v4
	v_add_nc_u32_e32 v3, v3, v4
	v_mul_hi_u32 v3, v7, v3
	v_mul_lo_u32 v4, v3, s1
	v_sub_nc_u32_e32 v4, v7, v4
	v_add_nc_u32_e32 v7, 1, v3
	v_subrev_nc_u32_e32 v8, s1, v4
	v_cmp_le_u32_e32 vcc_lo, s1, v4
	v_cndmask_b32_e32 v3, v3, v7, vcc_lo
	v_cndmask_b32_e32 v4, v4, v8, vcc_lo
	v_add_nc_u32_e32 v7, 1, v3
	v_cmp_le_u32_e32 vcc_lo, s1, v4
	v_cndmask_b32_e32 v3, v3, v7, vcc_lo
	v_xor_b32_e32 v3, v3, v6
	v_sub_nc_u32_e32 v3, v3, v6
	v_mad_u64_u32 v[3:4], null, v3, s9, v[0:1]
	v_ashrrev_i32_e32 v4, 31, v3
.LBB710_2:
	s_load_dwordx4 s[12:15], s[4:5], 0x0
	v_lshlrev_b64 v[1:2], 2, v[1:2]
	v_sub_nc_u32_e32 v11, s8, v5
	v_cmp_gt_i32_e64 s1, s10, v0
	v_mov_b32_e32 v12, 0xff800000
	v_mov_b32_e32 v7, 0xff800000
	v_cmp_lt_i32_e32 vcc_lo, 0, v11
	s_and_b32 s8, vcc_lo, s1
	s_waitcnt lgkmcnt(0)
	v_add_co_u32 v8, s0, s14, v1
	v_add_co_ci_u32_e64 v9, null, s15, v2, s0
	s_and_saveexec_b32 s0, s8
	s_cbranch_execz .LBB710_4
; %bb.3:
	global_load_dword v7, v[8:9], off
.LBB710_4:
	s_or_b32 exec_lo, exec_lo, s0
	v_add_nc_u32_e32 v0, 64, v0
	v_cmp_gt_i32_e64 s0, s10, v0
	s_and_b32 s7, vcc_lo, s0
	s_and_saveexec_b32 s2, s7
	s_cbranch_execz .LBB710_6
; %bb.5:
	global_load_dword v12, v[8:9], off offset:256
.LBB710_6:
	s_or_b32 exec_lo, exec_lo, s2
	v_cmp_lt_i32_e64 s2, 1, v11
	v_mov_b32_e32 v0, 0xff800000
	v_mov_b32_e32 v6, 0xff800000
	s_and_b32 s6, s2, s1
	s_and_saveexec_b32 s9, s6
	s_cbranch_execz .LBB710_8
; %bb.7:
	s_mov_b32 s11, 0
	s_lshl_b64 s[14:15], s[10:11], 2
	v_add_co_u32 v5, s3, v8, s14
	v_add_co_ci_u32_e64 v6, null, s15, v9, s3
	global_load_dword v6, v[5:6], off
.LBB710_8:
	s_or_b32 exec_lo, exec_lo, s9
	s_and_b32 s3, s2, s0
	s_and_saveexec_b32 s9, s3
	s_cbranch_execz .LBB710_10
; %bb.9:
	s_mov_b32 s11, 0
	s_lshl_b64 s[14:15], s[10:11], 2
	v_add_co_u32 v8, s2, v8, s14
	v_add_co_ci_u32_e64 v9, null, s15, v9, s2
	global_load_dword v0, v[8:9], off offset:256
.LBB710_10:
	s_or_b32 exec_lo, exec_lo, s9
	s_load_dwordx2 s[4:5], s[4:5], 0x20
	s_waitcnt vmcnt(0)
	v_mov_b32_e32 v9, v8
	v_mov_b32_e32 v8, v7
	s_waitcnt lgkmcnt(0)
	v_add_co_u32 v3, s2, s4, v3
	v_add_co_ci_u32_e64 v4, null, s5, v4, s2
	s_mov_b32 s4, 0
	s_and_saveexec_b32 s5, s8
	s_cbranch_execz .LBB710_14
; %bb.11:
	global_load_ubyte v5, v[3:4], off
	v_mov_b32_e32 v9, v8
	v_mov_b32_e32 v8, v7
	s_waitcnt vmcnt(0)
	v_and_b32_e32 v5, 1, v5
	v_cmp_eq_u32_e64 s2, 1, v5
	s_xor_b32 s9, s2, -1
	s_and_saveexec_b32 s2, s9
; %bb.12:
	v_mov_b32_e32 v9, v8
	v_mov_b32_e32 v8, v7
	s_mov_b32 s4, exec_lo
; %bb.13:
	s_or_b32 exec_lo, exec_lo, s2
	s_and_b32 s4, s4, exec_lo
.LBB710_14:
	s_or_b32 exec_lo, exec_lo, s5
	s_and_saveexec_b32 s5, s7
	s_cbranch_execz .LBB710_18
; %bb.15:
	global_load_ubyte v5, v[3:4], off offset:64
	s_waitcnt vmcnt(0)
	v_and_b32_e32 v5, 1, v5
	v_cmp_eq_u32_e64 s2, 1, v5
	s_xor_b32 s11, s2, -1
	s_mov_b32 s2, s4
	s_and_saveexec_b32 s9, s11
; %bb.16:
	v_cmp_gt_f32_e64 s2, v8, v12
	s_and_b32 s2, s4, s2
	v_cndmask_b32_e64 v8, v12, v8, s2
	s_or_b32 s2, s4, exec_lo
; %bb.17:
	s_or_b32 exec_lo, exec_lo, s9
	s_andn2_b32 s4, s4, exec_lo
	s_and_b32 s2, s2, exec_lo
	s_or_b32 s4, s4, s2
.LBB710_18:
	s_or_b32 exec_lo, exec_lo, s5
	v_cndmask_b32_e64 v5, 0xff800000, v8, s4
	v_mov_b32_e32 v9, v6
	s_and_b32 s2, s16, exec_lo
	s_mov_b32 s5, 0
	s_cselect_b32 s4, 0, s10
	v_mov_b32_e32 v8, v5
	s_and_saveexec_b32 s9, s6
	s_cbranch_execz .LBB710_22
; %bb.19:
	s_ashr_i32 s5, s4, 31
	v_add_co_u32 v8, s2, v3, s4
	v_add_co_ci_u32_e64 v9, null, s5, v4, s2
	s_mov_b32 s5, 0
	global_load_ubyte v8, v[8:9], off
	s_waitcnt vmcnt(0)
	v_and_b32_e32 v8, 1, v8
	v_cmp_eq_u32_e64 s2, 1, v8
	v_mov_b32_e32 v9, v6
	v_mov_b32_e32 v8, v5
	s_xor_b32 s11, s2, -1
	s_and_saveexec_b32 s2, s11
; %bb.20:
	v_mov_b32_e32 v9, v6
	v_mov_b32_e32 v8, v5
	s_mov_b32 s5, exec_lo
; %bb.21:
	s_or_b32 exec_lo, exec_lo, s2
	s_and_b32 s5, s5, exec_lo
.LBB710_22:
	s_or_b32 exec_lo, exec_lo, s9
	s_and_saveexec_b32 s9, s3
	s_cbranch_execz .LBB710_26
; %bb.23:
	s_ashr_i32 s11, s4, 31
	v_add_co_u32 v13, s2, v3, s4
	v_add_co_ci_u32_e64 v14, null, s11, v4, s2
	global_load_ubyte v5, v[13:14], off offset:64
	s_waitcnt vmcnt(0)
	v_and_b32_e32 v5, 1, v5
	v_cmp_eq_u32_e64 s2, 1, v5
	s_xor_b32 s14, s2, -1
	s_mov_b32 s2, s5
	s_and_saveexec_b32 s11, s14
; %bb.24:
	v_cmp_gt_f32_e64 s2, v9, v0
	s_and_b32 s2, s5, s2
	v_cndmask_b32_e64 v9, v0, v9, s2
	s_or_b32 s2, s5, exec_lo
; %bb.25:
	s_or_b32 exec_lo, exec_lo, s11
	s_andn2_b32 s5, s5, exec_lo
	s_and_b32 s2, s2, exec_lo
	s_or_b32 s5, s5, s2
.LBB710_26:
	s_or_b32 exec_lo, exec_lo, s9
	v_mbcnt_lo_u32_b32 v10, -1, 0
	v_cndmask_b32_e64 v9, 0xff800000, v9, s5
	v_or_b32_e32 v5, 32, v10
	v_xor_b32_e32 v13, 16, v10
	v_cmp_gt_i32_e64 s2, 64, v5
	v_cndmask_b32_e64 v5, v10, v5, s2
	v_cmp_gt_i32_e64 s2, 64, v13
	v_lshlrev_b32_e32 v5, 2, v5
	v_cndmask_b32_e64 v13, v10, v13, s2
	ds_bpermute_b32 v14, v5, v8
	ds_bpermute_b32 v15, v5, v9
	v_lshlrev_b32_e32 v13, 2, v13
	s_waitcnt lgkmcnt(1)
	v_cmp_lt_f32_e64 s2, v8, v14
	v_cndmask_b32_e64 v8, v8, v14, s2
	s_waitcnt lgkmcnt(0)
	v_cmp_lt_f32_e64 s2, v9, v15
	v_xor_b32_e32 v14, 8, v10
	ds_bpermute_b32 v16, v13, v8
	v_cndmask_b32_e64 v9, v9, v15, s2
	v_cmp_gt_i32_e64 s2, 64, v14
	ds_bpermute_b32 v15, v13, v9
	v_cndmask_b32_e64 v14, v10, v14, s2
	v_lshlrev_b32_e32 v14, 2, v14
	s_waitcnt lgkmcnt(1)
	v_cmp_lt_f32_e64 s2, v8, v16
	v_cndmask_b32_e64 v8, v8, v16, s2
	s_waitcnt lgkmcnt(0)
	v_cmp_lt_f32_e64 s2, v9, v15
	ds_bpermute_b32 v16, v14, v8
	v_cndmask_b32_e64 v9, v9, v15, s2
	v_xor_b32_e32 v15, 4, v10
	ds_bpermute_b32 v17, v14, v9
	v_cmp_gt_i32_e64 s2, 64, v15
	v_cndmask_b32_e64 v15, v10, v15, s2
	v_lshlrev_b32_e32 v15, 2, v15
	s_waitcnt lgkmcnt(1)
	v_cmp_lt_f32_e64 s2, v8, v16
	v_cndmask_b32_e64 v8, v8, v16, s2
	s_waitcnt lgkmcnt(0)
	v_cmp_lt_f32_e64 s2, v9, v17
	v_xor_b32_e32 v16, 2, v10
	ds_bpermute_b32 v18, v15, v8
	v_cndmask_b32_e64 v9, v9, v17, s2
	v_cmp_gt_i32_e64 s2, 64, v16
	ds_bpermute_b32 v17, v15, v9
	v_cndmask_b32_e64 v16, v10, v16, s2
	v_lshlrev_b32_e32 v16, 2, v16
	s_waitcnt lgkmcnt(1)
	v_cmp_lt_f32_e64 s2, v8, v18
	v_cndmask_b32_e64 v8, v8, v18, s2
	s_waitcnt lgkmcnt(0)
	v_cmp_lt_f32_e64 s2, v9, v17
	ds_bpermute_b32 v18, v16, v8
	v_cndmask_b32_e64 v9, v9, v17, s2
	v_xor_b32_e32 v17, 1, v10
	ds_bpermute_b32 v19, v16, v9
	v_cmp_gt_i32_e64 s2, 64, v17
	v_cndmask_b32_e64 v10, v10, v17, s2
	v_lshlrev_b32_e32 v17, 2, v10
	s_waitcnt lgkmcnt(1)
	v_cmp_lt_f32_e64 s2, v8, v18
	v_cndmask_b32_e64 v10, v8, v18, s2
	s_waitcnt lgkmcnt(0)
	v_cmp_lt_f32_e64 s2, v9, v19
	v_mov_b32_e32 v8, 0
	v_mov_b32_e32 v18, 0
	ds_bpermute_b32 v21, v17, v10
	v_cndmask_b32_e64 v19, v9, v19, s2
	v_mov_b32_e32 v9, v8
	ds_bpermute_b32 v20, v17, v19
	s_waitcnt lgkmcnt(1)
	v_cmp_lt_f32_e64 s2, v10, v21
	v_cndmask_b32_e64 v21, v10, v21, s2
	v_mov_b32_e32 v10, v9
	v_mov_b32_e32 v9, v8
	s_and_saveexec_b32 s5, s8
	s_cbranch_execz .LBB710_30
; %bb.27:
	global_load_ubyte v9, v[3:4], off
	s_waitcnt vmcnt(0)
	v_and_b32_e32 v10, 1, v9
	v_mov_b32_e32 v9, 0
	v_cmp_eq_u32_e64 s2, 1, v10
	v_mov_b32_e32 v10, v9
	v_mov_b32_e32 v18, v9
	s_xor_b32 s2, s2, -1
	s_and_saveexec_b32 s8, s2
	s_cbranch_execz .LBB710_29
; %bb.28:
	v_sub_f32_e32 v7, v7, v21
	v_mul_f32_e32 v9, 0x3fb8aa3b, v7
	v_cmp_ngt_f32_e64 s2, 0xc2ce8ed0, v7
	v_fma_f32 v10, 0x3fb8aa3b, v7, -v9
	v_rndne_f32_e32 v18, v9
	v_fmamk_f32 v10, v7, 0x32a5705f, v10
	v_sub_f32_e32 v9, v9, v18
	v_add_f32_e32 v9, v9, v10
	v_cvt_i32_f32_e32 v10, v18
	v_exp_f32_e32 v9, v9
	v_ldexp_f32 v9, v9, v10
	v_mov_b32_e32 v10, 0
	v_cndmask_b32_e64 v9, 0, v9, s2
	v_cmp_nlt_f32_e64 s2, 0x42b17218, v7
	v_cndmask_b32_e64 v9, 0x7f800000, v9, s2
	v_mov_b32_e32 v18, v9
.LBB710_29:
	s_or_b32 exec_lo, exec_lo, s8
.LBB710_30:
	s_or_b32 exec_lo, exec_lo, s5
	v_mov_b32_e32 v7, 0
	s_and_saveexec_b32 s5, s7
	s_cbranch_execz .LBB710_34
; %bb.31:
	global_load_ubyte v7, v[3:4], off offset:64
	s_waitcnt vmcnt(0)
	v_and_b32_e32 v7, 1, v7
	v_cmp_eq_u32_e64 s2, 1, v7
	v_mov_b32_e32 v7, 0
	s_xor_b32 s2, s2, -1
	s_and_saveexec_b32 s7, s2
	s_cbranch_execz .LBB710_33
; %bb.32:
	v_sub_f32_e32 v7, v12, v21
	v_mul_f32_e32 v12, 0x3fb8aa3b, v7
	v_cmp_ngt_f32_e64 s2, 0xc2ce8ed0, v7
	v_fma_f32 v21, 0x3fb8aa3b, v7, -v12
	v_rndne_f32_e32 v22, v12
	v_fmamk_f32 v21, v7, 0x32a5705f, v21
	v_sub_f32_e32 v12, v12, v22
	v_add_f32_e32 v12, v12, v21
	v_cvt_i32_f32_e32 v21, v22
	v_exp_f32_e32 v12, v12
	v_ldexp_f32 v12, v12, v21
	v_cndmask_b32_e64 v12, 0, v12, s2
	v_cmp_nlt_f32_e64 s2, 0x42b17218, v7
	v_cndmask_b32_e64 v7, 0x7f800000, v12, s2
	v_add_f32_e32 v9, v9, v7
.LBB710_33:
	s_or_b32 exec_lo, exec_lo, s7
.LBB710_34:
	s_or_b32 exec_lo, exec_lo, s5
	s_waitcnt lgkmcnt(0)
	v_cmp_lt_f32_e64 s2, v19, v20
	v_cndmask_b32_e64 v12, v19, v20, s2
	s_and_saveexec_b32 s5, s6
	s_cbranch_execz .LBB710_38
; %bb.35:
	s_ashr_i32 s6, s4, 31
	v_add_co_u32 v19, s2, v3, s4
	v_add_co_ci_u32_e64 v20, null, s6, v4, s2
	global_load_ubyte v8, v[19:20], off
	s_waitcnt vmcnt(0)
	v_and_b32_e32 v8, 1, v8
	v_cmp_eq_u32_e64 s2, 1, v8
	v_mov_b32_e32 v8, 0
	s_xor_b32 s2, s2, -1
	s_and_saveexec_b32 s6, s2
	s_cbranch_execz .LBB710_37
; %bb.36:
	v_sub_f32_e32 v6, v6, v12
	v_mul_f32_e32 v8, 0x3fb8aa3b, v6
	v_cmp_ngt_f32_e64 s2, 0xc2ce8ed0, v6
	v_fma_f32 v19, 0x3fb8aa3b, v6, -v8
	v_rndne_f32_e32 v20, v8
	v_fmamk_f32 v19, v6, 0x32a5705f, v19
	v_sub_f32_e32 v8, v8, v20
	v_add_f32_e32 v8, v8, v19
	v_cvt_i32_f32_e32 v19, v20
	v_exp_f32_e32 v8, v8
	v_ldexp_f32 v8, v8, v19
	v_cndmask_b32_e64 v8, 0, v8, s2
	v_cmp_nlt_f32_e64 s2, 0x42b17218, v6
	v_cndmask_b32_e64 v8, 0x7f800000, v8, s2
	v_add_f32_e32 v10, v10, v8
.LBB710_37:
	s_or_b32 exec_lo, exec_lo, s6
.LBB710_38:
	s_or_b32 exec_lo, exec_lo, s5
	v_mov_b32_e32 v6, 0
	s_and_saveexec_b32 s5, s3
	s_cbranch_execz .LBB710_42
; %bb.39:
	s_ashr_i32 s3, s4, 31
	v_add_co_u32 v3, s2, v3, s4
	v_add_co_ci_u32_e64 v4, null, s3, v4, s2
	v_mov_b32_e32 v6, 0
	global_load_ubyte v3, v[3:4], off offset:64
	s_waitcnt vmcnt(0)
	v_and_b32_e32 v3, 1, v3
	v_cmp_eq_u32_e64 s2, 1, v3
	s_xor_b32 s2, s2, -1
	s_and_saveexec_b32 s3, s2
	s_cbranch_execz .LBB710_41
; %bb.40:
	v_sub_f32_e32 v0, v0, v12
	v_mul_f32_e32 v3, 0x3fb8aa3b, v0
	v_cmp_ngt_f32_e64 s2, 0xc2ce8ed0, v0
	v_fma_f32 v4, 0x3fb8aa3b, v0, -v3
	v_rndne_f32_e32 v6, v3
	v_fmamk_f32 v4, v0, 0x32a5705f, v4
	v_sub_f32_e32 v3, v3, v6
	v_add_f32_e32 v3, v3, v4
	v_cvt_i32_f32_e32 v4, v6
	v_exp_f32_e32 v3, v3
	v_ldexp_f32 v3, v3, v4
	v_cndmask_b32_e64 v3, 0, v3, s2
	v_cmp_nlt_f32_e64 s2, 0x42b17218, v0
	v_cndmask_b32_e64 v6, 0x7f800000, v3, s2
	v_add_f32_e32 v10, v10, v6
.LBB710_41:
	s_or_b32 exec_lo, exec_lo, s3
.LBB710_42:
	s_or_b32 exec_lo, exec_lo, s5
	ds_bpermute_b32 v0, v5, v9
	ds_bpermute_b32 v3, v5, v10
	s_waitcnt lgkmcnt(1)
	v_add_f32_e32 v0, v9, v0
	s_waitcnt lgkmcnt(0)
	v_add_f32_e32 v3, v10, v3
	ds_bpermute_b32 v4, v13, v0
	ds_bpermute_b32 v5, v13, v3
	s_waitcnt lgkmcnt(1)
	v_add_f32_e32 v0, v0, v4
	s_waitcnt lgkmcnt(0)
	v_add_f32_e32 v3, v3, v5
	;; [unrolled: 6-line block ×5, first 2 shown]
	ds_bpermute_b32 v9, v17, v5
	ds_bpermute_b32 v4, v17, v3
	s_and_saveexec_b32 s2, vcc_lo
	s_cbranch_execz .LBB710_50
; %bb.43:
	v_add_co_u32 v0, vcc_lo, s12, v1
	v_add_co_ci_u32_e64 v1, null, s13, v2, vcc_lo
	s_and_saveexec_b32 s3, s1
	s_cbranch_execz .LBB710_46
; %bb.44:
	s_waitcnt lgkmcnt(1)
	v_add_f32_e32 v2, v5, v9
	v_div_scale_f32 v5, null, v2, v2, v18
	v_cmp_eq_f32_e64 s2, 0, v2
	v_rcp_f32_e32 v9, v5
	v_fma_f32 v10, -v5, v9, 1.0
	v_fmac_f32_e32 v9, v10, v9
	v_div_scale_f32 v10, vcc_lo, v18, v2, v18
	v_mul_f32_e32 v12, v10, v9
	v_fma_f32 v13, -v5, v12, v10
	v_fmac_f32_e32 v12, v13, v9
	v_fma_f32 v5, -v5, v12, v10
	v_div_fmas_f32 v5, v5, v9, v12
	v_div_fixup_f32 v5, v5, v2, v18
	v_cndmask_b32_e64 v5, v5, 0x7fc00000, s2
	global_store_dword v[0:1], v5, off
	s_and_b32 exec_lo, exec_lo, s0
	s_cbranch_execz .LBB710_46
; %bb.45:
	v_div_scale_f32 v5, null, v2, v2, v7
	v_rcp_f32_e32 v9, v5
	v_fma_f32 v10, -v5, v9, 1.0
	v_fmac_f32_e32 v9, v10, v9
	v_div_scale_f32 v10, vcc_lo, v7, v2, v7
	v_mul_f32_e32 v12, v10, v9
	v_fma_f32 v13, -v5, v12, v10
	v_fmac_f32_e32 v12, v13, v9
	v_fma_f32 v5, -v5, v12, v10
	v_div_fmas_f32 v5, v5, v9, v12
	v_div_fixup_f32 v2, v5, v2, v7
	v_cndmask_b32_e64 v2, v2, 0x7fc00000, s2
	global_store_dword v[0:1], v2, off offset:256
.LBB710_46:
	s_or_b32 exec_lo, exec_lo, s3
	v_cmp_ne_u32_e32 vcc_lo, 1, v11
	s_and_b32 exec_lo, exec_lo, vcc_lo
	s_cbranch_execz .LBB710_50
; %bb.47:
	s_and_b32 exec_lo, exec_lo, s1
	s_cbranch_execz .LBB710_50
; %bb.48:
	s_waitcnt lgkmcnt(0)
	v_add_f32_e32 v2, v3, v4
	s_mov_b32 s11, 0
	s_lshl_b64 s[2:3], s[10:11], 2
	v_div_scale_f32 v3, null, v2, v2, v8
	v_div_scale_f32 v7, vcc_lo, v8, v2, v8
	v_cmp_eq_f32_e64 s1, 0, v2
	v_rcp_f32_e32 v4, v3
	v_fma_f32 v5, -v3, v4, 1.0
	v_fmac_f32_e32 v4, v5, v4
	v_mul_f32_e32 v5, v7, v4
	v_fma_f32 v9, -v3, v5, v7
	v_fmac_f32_e32 v5, v9, v4
	v_fma_f32 v3, -v3, v5, v7
	v_div_fmas_f32 v3, v3, v4, v5
	v_add_co_u32 v0, vcc_lo, v0, s2
	v_add_co_ci_u32_e64 v1, null, s3, v1, vcc_lo
	v_div_fixup_f32 v3, v3, v2, v8
	v_cndmask_b32_e64 v3, v3, 0x7fc00000, s1
	global_store_dword v[0:1], v3, off
	s_and_b32 exec_lo, exec_lo, s0
	s_cbranch_execz .LBB710_50
; %bb.49:
	v_div_scale_f32 v3, null, v2, v2, v6
	v_rcp_f32_e32 v4, v3
	v_fma_f32 v5, -v3, v4, 1.0
	v_fmac_f32_e32 v4, v5, v4
	v_div_scale_f32 v5, vcc_lo, v6, v2, v6
	v_mul_f32_e32 v7, v5, v4
	v_fma_f32 v8, -v3, v7, v5
	v_fmac_f32_e32 v7, v8, v4
	v_fma_f32 v3, -v3, v7, v5
	v_div_fmas_f32 v3, v3, v4, v7
	v_div_fixup_f32 v2, v3, v2, v6
	v_cndmask_b32_e64 v2, v2, 0x7fc00000, s1
	global_store_dword v[0:1], v2, off offset:256
.LBB710_50:
	s_endpgm
	.section	.rodata,"a",@progbits
	.p2align	6, 0x0
	.amdhsa_kernel _ZN12_GLOBAL__N_120softmax_warp_forwardIfffLi7ELb0ELb1ELi64EEEvPT0_PKT_iiiPKbib
		.amdhsa_group_segment_fixed_size 0
		.amdhsa_private_segment_fixed_size 0
		.amdhsa_kernarg_size 304
		.amdhsa_user_sgpr_count 6
		.amdhsa_user_sgpr_private_segment_buffer 1
		.amdhsa_user_sgpr_dispatch_ptr 0
		.amdhsa_user_sgpr_queue_ptr 0
		.amdhsa_user_sgpr_kernarg_segment_ptr 1
		.amdhsa_user_sgpr_dispatch_id 0
		.amdhsa_user_sgpr_flat_scratch_init 0
		.amdhsa_user_sgpr_private_segment_size 0
		.amdhsa_wavefront_size32 1
		.amdhsa_uses_dynamic_stack 0
		.amdhsa_system_sgpr_private_segment_wavefront_offset 0
		.amdhsa_system_sgpr_workgroup_id_x 1
		.amdhsa_system_sgpr_workgroup_id_y 0
		.amdhsa_system_sgpr_workgroup_id_z 0
		.amdhsa_system_sgpr_workgroup_info 0
		.amdhsa_system_vgpr_workitem_id 1
		.amdhsa_next_free_vgpr 23
		.amdhsa_next_free_sgpr 17
		.amdhsa_reserve_vcc 1
		.amdhsa_reserve_flat_scratch 0
		.amdhsa_float_round_mode_32 0
		.amdhsa_float_round_mode_16_64 0
		.amdhsa_float_denorm_mode_32 3
		.amdhsa_float_denorm_mode_16_64 3
		.amdhsa_dx10_clamp 1
		.amdhsa_ieee_mode 1
		.amdhsa_fp16_overflow 0
		.amdhsa_workgroup_processor_mode 1
		.amdhsa_memory_ordered 1
		.amdhsa_forward_progress 1
		.amdhsa_shared_vgpr_count 0
		.amdhsa_exception_fp_ieee_invalid_op 0
		.amdhsa_exception_fp_denorm_src 0
		.amdhsa_exception_fp_ieee_div_zero 0
		.amdhsa_exception_fp_ieee_overflow 0
		.amdhsa_exception_fp_ieee_underflow 0
		.amdhsa_exception_fp_ieee_inexact 0
		.amdhsa_exception_int_div_zero 0
	.end_amdhsa_kernel
	.section	.text._ZN12_GLOBAL__N_120softmax_warp_forwardIfffLi7ELb0ELb1ELi64EEEvPT0_PKT_iiiPKbib,"axG",@progbits,_ZN12_GLOBAL__N_120softmax_warp_forwardIfffLi7ELb0ELb1ELi64EEEvPT0_PKT_iiiPKbib,comdat
.Lfunc_end710:
	.size	_ZN12_GLOBAL__N_120softmax_warp_forwardIfffLi7ELb0ELb1ELi64EEEvPT0_PKT_iiiPKbib, .Lfunc_end710-_ZN12_GLOBAL__N_120softmax_warp_forwardIfffLi7ELb0ELb1ELi64EEEvPT0_PKT_iiiPKbib
                                        ; -- End function
	.set _ZN12_GLOBAL__N_120softmax_warp_forwardIfffLi7ELb0ELb1ELi64EEEvPT0_PKT_iiiPKbib.num_vgpr, 23
	.set _ZN12_GLOBAL__N_120softmax_warp_forwardIfffLi7ELb0ELb1ELi64EEEvPT0_PKT_iiiPKbib.num_agpr, 0
	.set _ZN12_GLOBAL__N_120softmax_warp_forwardIfffLi7ELb0ELb1ELi64EEEvPT0_PKT_iiiPKbib.numbered_sgpr, 17
	.set _ZN12_GLOBAL__N_120softmax_warp_forwardIfffLi7ELb0ELb1ELi64EEEvPT0_PKT_iiiPKbib.num_named_barrier, 0
	.set _ZN12_GLOBAL__N_120softmax_warp_forwardIfffLi7ELb0ELb1ELi64EEEvPT0_PKT_iiiPKbib.private_seg_size, 0
	.set _ZN12_GLOBAL__N_120softmax_warp_forwardIfffLi7ELb0ELb1ELi64EEEvPT0_PKT_iiiPKbib.uses_vcc, 1
	.set _ZN12_GLOBAL__N_120softmax_warp_forwardIfffLi7ELb0ELb1ELi64EEEvPT0_PKT_iiiPKbib.uses_flat_scratch, 0
	.set _ZN12_GLOBAL__N_120softmax_warp_forwardIfffLi7ELb0ELb1ELi64EEEvPT0_PKT_iiiPKbib.has_dyn_sized_stack, 0
	.set _ZN12_GLOBAL__N_120softmax_warp_forwardIfffLi7ELb0ELb1ELi64EEEvPT0_PKT_iiiPKbib.has_recursion, 0
	.set _ZN12_GLOBAL__N_120softmax_warp_forwardIfffLi7ELb0ELb1ELi64EEEvPT0_PKT_iiiPKbib.has_indirect_call, 0
	.section	.AMDGPU.csdata,"",@progbits
; Kernel info:
; codeLenInByte = 2832
; TotalNumSgprs: 19
; NumVgprs: 23
; ScratchSize: 0
; MemoryBound: 0
; FloatMode: 240
; IeeeMode: 1
; LDSByteSize: 0 bytes/workgroup (compile time only)
; SGPRBlocks: 0
; VGPRBlocks: 2
; NumSGPRsForWavesPerEU: 19
; NumVGPRsForWavesPerEU: 23
; Occupancy: 16
; WaveLimiterHint : 0
; COMPUTE_PGM_RSRC2:SCRATCH_EN: 0
; COMPUTE_PGM_RSRC2:USER_SGPR: 6
; COMPUTE_PGM_RSRC2:TRAP_HANDLER: 0
; COMPUTE_PGM_RSRC2:TGID_X_EN: 1
; COMPUTE_PGM_RSRC2:TGID_Y_EN: 0
; COMPUTE_PGM_RSRC2:TGID_Z_EN: 0
; COMPUTE_PGM_RSRC2:TIDIG_COMP_CNT: 1
	.section	.text._ZN12_GLOBAL__N_120softmax_warp_forwardIfffLi7ELb0ELb1ELi32EEEvPT0_PKT_iiiPKbib,"axG",@progbits,_ZN12_GLOBAL__N_120softmax_warp_forwardIfffLi7ELb0ELb1ELi32EEEvPT0_PKT_iiiPKbib,comdat
	.globl	_ZN12_GLOBAL__N_120softmax_warp_forwardIfffLi7ELb0ELb1ELi32EEEvPT0_PKT_iiiPKbib ; -- Begin function _ZN12_GLOBAL__N_120softmax_warp_forwardIfffLi7ELb0ELb1ELi32EEEvPT0_PKT_iiiPKbib
	.p2align	8
	.type	_ZN12_GLOBAL__N_120softmax_warp_forwardIfffLi7ELb0ELb1ELi32EEEvPT0_PKT_iiiPKbib,@function
_ZN12_GLOBAL__N_120softmax_warp_forwardIfffLi7ELb0ELb1ELi32EEEvPT0_PKT_iiiPKbib: ; @_ZN12_GLOBAL__N_120softmax_warp_forwardIfffLi7ELb0ELb1ELi32EEEvPT0_PKT_iiiPKbib
; %bb.0:
	s_clause 0x2
	s_load_dwordx2 s[0:1], s[4:5], 0x28
	s_load_dword s2, s[4:5], 0x3c
	s_load_dwordx4 s[8:11], s[4:5], 0x10
	s_waitcnt lgkmcnt(0)
	s_bitcmp1_b32 s1, 0
	s_cselect_b32 s19, -1, 0
	s_lshr_b32 s2, s2, 16
	s_and_b32 s2, s2, 0xffff
	s_bitcmp0_b32 s1, 0
	s_mul_i32 s6, s6, s2
	v_add_lshl_u32 v5, s6, v1, 1
	v_mul_lo_u32 v6, v5, s9
	v_add_nc_u32_e32 v1, v6, v0
	v_ashrrev_i32_e32 v2, 31, v1
	v_mov_b32_e32 v4, v2
	v_mov_b32_e32 v3, v1
	s_cbranch_scc1 .LBB711_2
; %bb.1:
	s_abs_i32 s1, s0
	v_sub_nc_u32_e32 v7, 0, v6
	v_cvt_f32_u32_e32 v3, s1
	s_sub_i32 s2, 0, s1
	v_max_i32_e32 v7, v6, v7
	v_rcp_iflag_f32_e32 v3, v3
	v_xor_b32_e32 v6, s0, v6
	v_ashrrev_i32_e32 v6, 31, v6
	v_mul_f32_e32 v3, 0x4f7ffffe, v3
	v_cvt_u32_f32_e32 v3, v3
	v_mul_lo_u32 v4, s2, v3
	v_mul_hi_u32 v4, v3, v4
	v_add_nc_u32_e32 v3, v3, v4
	v_mul_hi_u32 v3, v7, v3
	v_mul_lo_u32 v4, v3, s1
	v_sub_nc_u32_e32 v4, v7, v4
	v_add_nc_u32_e32 v7, 1, v3
	v_subrev_nc_u32_e32 v8, s1, v4
	v_cmp_le_u32_e32 vcc_lo, s1, v4
	v_cndmask_b32_e32 v3, v3, v7, vcc_lo
	v_cndmask_b32_e32 v4, v4, v8, vcc_lo
	v_add_nc_u32_e32 v7, 1, v3
	v_cmp_le_u32_e32 vcc_lo, s1, v4
	v_cndmask_b32_e32 v3, v3, v7, vcc_lo
	v_xor_b32_e32 v3, v3, v6
	v_sub_nc_u32_e32 v3, v3, v6
	v_mad_u64_u32 v[3:4], null, v3, s9, v[0:1]
	v_ashrrev_i32_e32 v4, 31, v3
.LBB711_2:
	s_load_dwordx4 s[12:15], s[4:5], 0x0
	v_lshlrev_b64 v[1:2], 2, v[1:2]
	v_sub_nc_u32_e32 v11, s8, v5
	v_cmp_gt_i32_e64 s3, s10, v0
	v_mov_b32_e32 v16, 0xff800000
	v_mov_b32_e32 v7, 0xff800000
	v_cmp_lt_i32_e32 vcc_lo, 0, v11
	s_and_b32 s18, vcc_lo, s3
	s_waitcnt lgkmcnt(0)
	v_add_co_u32 v8, s0, s14, v1
	v_add_co_ci_u32_e64 v9, null, s15, v2, s0
	s_and_saveexec_b32 s0, s18
	s_cbranch_execz .LBB711_4
; %bb.3:
	global_load_dword v7, v[8:9], off
.LBB711_4:
	s_or_b32 exec_lo, exec_lo, s0
	v_add_nc_u32_e32 v5, 32, v0
	v_cmp_gt_i32_e64 s2, s10, v5
	s_and_b32 s17, vcc_lo, s2
	s_and_saveexec_b32 s0, s17
	s_cbranch_execz .LBB711_6
; %bb.5:
	global_load_dword v16, v[8:9], off offset:128
.LBB711_6:
	s_or_b32 exec_lo, exec_lo, s0
	v_add_nc_u32_e32 v5, 64, v0
	v_mov_b32_e32 v14, 0xff800000
	v_mov_b32_e32 v15, 0xff800000
	v_cmp_gt_i32_e64 s1, s10, v5
	s_and_b32 s16, vcc_lo, s1
	s_and_saveexec_b32 s0, s16
	s_cbranch_execz .LBB711_8
; %bb.7:
	global_load_dword v15, v[8:9], off offset:256
.LBB711_8:
	s_or_b32 exec_lo, exec_lo, s0
	v_add_nc_u32_e32 v0, 0x60, v0
	v_cmp_gt_i32_e64 s0, s10, v0
	s_and_b32 s15, vcc_lo, s0
	s_and_saveexec_b32 s6, s15
	s_cbranch_execz .LBB711_10
; %bb.9:
	global_load_dword v14, v[8:9], off offset:384
.LBB711_10:
	s_or_b32 exec_lo, exec_lo, s6
	v_cmp_lt_i32_e64 s6, 1, v11
	v_mov_b32_e32 v13, 0xff800000
	v_mov_b32_e32 v6, 0xff800000
	s_and_b32 s14, s6, s3
	s_and_saveexec_b32 s8, s14
	s_cbranch_execz .LBB711_12
; %bb.11:
	s_mov_b32 s11, 0
	s_lshl_b64 s[20:21], s[10:11], 2
	v_add_co_u32 v5, s7, v8, s20
	v_add_co_ci_u32_e64 v6, null, s21, v9, s7
	global_load_dword v6, v[5:6], off
.LBB711_12:
	s_or_b32 exec_lo, exec_lo, s8
	s_and_b32 s9, s6, s2
	s_and_saveexec_b32 s8, s9
	s_cbranch_execz .LBB711_14
; %bb.13:
	s_mov_b32 s11, 0
	s_lshl_b64 s[20:21], s[10:11], 2
	v_add_co_u32 v12, s7, v8, s20
	v_add_co_ci_u32_e64 v13, null, s21, v9, s7
	global_load_dword v13, v[12:13], off offset:128
.LBB711_14:
	s_or_b32 exec_lo, exec_lo, s8
	v_mov_b32_e32 v0, 0xff800000
	v_mov_b32_e32 v12, 0xff800000
	s_and_b32 s8, s6, s1
	s_and_saveexec_b32 s20, s8
	s_cbranch_execz .LBB711_16
; %bb.15:
	s_mov_b32 s11, 0
	s_lshl_b64 s[22:23], s[10:11], 2
	v_add_co_u32 v17, s7, v8, s22
	v_add_co_ci_u32_e64 v18, null, s23, v9, s7
	global_load_dword v12, v[17:18], off offset:256
.LBB711_16:
	s_or_b32 exec_lo, exec_lo, s20
	s_and_b32 s7, s6, s0
	s_and_saveexec_b32 s20, s7
	s_cbranch_execz .LBB711_18
; %bb.17:
	s_mov_b32 s11, 0
	s_lshl_b64 s[22:23], s[10:11], 2
	v_add_co_u32 v8, s6, v8, s22
	v_add_co_ci_u32_e64 v9, null, s23, v9, s6
	global_load_dword v0, v[8:9], off offset:384
.LBB711_18:
	s_or_b32 exec_lo, exec_lo, s20
	s_load_dwordx2 s[4:5], s[4:5], 0x20
	s_waitcnt vmcnt(0)
	v_mov_b32_e32 v9, v8
	v_mov_b32_e32 v8, v7
	s_waitcnt lgkmcnt(0)
	v_add_co_u32 v3, s4, s4, v3
	v_add_co_ci_u32_e64 v4, null, s5, v4, s4
	s_mov_b32 s5, 0
	s_and_saveexec_b32 s6, s18
	s_cbranch_execnz .LBB711_22
; %bb.19:
	s_or_b32 exec_lo, exec_lo, s6
	s_and_saveexec_b32 s6, s17
	s_cbranch_execnz .LBB711_25
.LBB711_20:
	s_or_b32 exec_lo, exec_lo, s6
	s_and_saveexec_b32 s6, s16
	s_cbranch_execnz .LBB711_28
.LBB711_21:
	s_or_b32 exec_lo, exec_lo, s6
	s_and_saveexec_b32 s6, s15
	s_cbranch_execnz .LBB711_31
	s_branch .LBB711_34
.LBB711_22:
	global_load_ubyte v5, v[3:4], off
	v_mov_b32_e32 v9, v8
	v_mov_b32_e32 v8, v7
	s_waitcnt vmcnt(0)
	v_and_b32_e32 v5, 1, v5
	v_cmp_eq_u32_e64 s4, 1, v5
	s_xor_b32 s11, s4, -1
	s_and_saveexec_b32 s4, s11
; %bb.23:
	v_mov_b32_e32 v9, v8
	v_mov_b32_e32 v8, v7
	s_mov_b32 s5, exec_lo
; %bb.24:
	s_or_b32 exec_lo, exec_lo, s4
	s_and_b32 s5, s5, exec_lo
	s_or_b32 exec_lo, exec_lo, s6
	s_and_saveexec_b32 s6, s17
	s_cbranch_execz .LBB711_20
.LBB711_25:
	global_load_ubyte v5, v[3:4], off offset:32
	s_waitcnt vmcnt(0)
	v_and_b32_e32 v5, 1, v5
	v_cmp_eq_u32_e64 s4, 1, v5
	s_xor_b32 s20, s4, -1
	s_mov_b32 s4, s5
	s_and_saveexec_b32 s11, s20
; %bb.26:
	v_cmp_gt_f32_e64 s4, v8, v16
	s_and_b32 s4, s5, s4
	v_cndmask_b32_e64 v8, v16, v8, s4
	s_or_b32 s4, s5, exec_lo
; %bb.27:
	s_or_b32 exec_lo, exec_lo, s11
	s_andn2_b32 s5, s5, exec_lo
	s_and_b32 s4, s4, exec_lo
	s_or_b32 s5, s5, s4
	s_or_b32 exec_lo, exec_lo, s6
	s_and_saveexec_b32 s6, s16
	s_cbranch_execz .LBB711_21
.LBB711_28:
	global_load_ubyte v5, v[3:4], off offset:64
	s_waitcnt vmcnt(0)
	v_and_b32_e32 v5, 1, v5
	v_cmp_eq_u32_e64 s4, 1, v5
	s_xor_b32 s20, s4, -1
	s_mov_b32 s4, s5
	s_and_saveexec_b32 s11, s20
; %bb.29:
	v_cmp_gt_f32_e64 s4, v8, v15
	s_and_b32 s4, s5, s4
	v_cndmask_b32_e64 v8, v15, v8, s4
	s_or_b32 s4, s5, exec_lo
; %bb.30:
	s_or_b32 exec_lo, exec_lo, s11
	s_andn2_b32 s5, s5, exec_lo
	s_and_b32 s4, s4, exec_lo
	s_or_b32 s5, s5, s4
	s_or_b32 exec_lo, exec_lo, s6
	s_and_saveexec_b32 s6, s15
	s_cbranch_execz .LBB711_34
.LBB711_31:
	global_load_ubyte v5, v[3:4], off offset:96
	s_waitcnt vmcnt(0)
	v_and_b32_e32 v5, 1, v5
	v_cmp_eq_u32_e64 s4, 1, v5
	s_xor_b32 s20, s4, -1
	s_mov_b32 s4, s5
	s_and_saveexec_b32 s11, s20
; %bb.32:
	v_cmp_gt_f32_e64 s4, v8, v14
	s_and_b32 s4, s5, s4
	v_cndmask_b32_e64 v8, v14, v8, s4
	s_or_b32 s4, s5, exec_lo
; %bb.33:
	s_or_b32 exec_lo, exec_lo, s11
	s_andn2_b32 s5, s5, exec_lo
	s_and_b32 s4, s4, exec_lo
	s_or_b32 s5, s5, s4
.LBB711_34:
	s_or_b32 exec_lo, exec_lo, s6
	v_cndmask_b32_e64 v5, 0xff800000, v8, s5
	v_mov_b32_e32 v9, v6
	s_and_b32 s4, s19, exec_lo
	s_mov_b32 s6, 0
	s_cselect_b32 s5, 0, s10
	v_mov_b32_e32 v8, v5
	s_and_saveexec_b32 s11, s14
	s_cbranch_execnz .LBB711_38
; %bb.35:
	s_or_b32 exec_lo, exec_lo, s11
	s_and_saveexec_b32 s11, s9
	s_cbranch_execnz .LBB711_41
.LBB711_36:
	s_or_b32 exec_lo, exec_lo, s11
	s_and_saveexec_b32 s11, s8
	s_cbranch_execnz .LBB711_44
.LBB711_37:
	s_or_b32 exec_lo, exec_lo, s11
	s_and_saveexec_b32 s11, s7
	s_cbranch_execnz .LBB711_47
	s_branch .LBB711_50
.LBB711_38:
	s_ashr_i32 s6, s5, 31
	v_add_co_u32 v8, s4, v3, s5
	v_add_co_ci_u32_e64 v9, null, s6, v4, s4
	s_mov_b32 s6, 0
	global_load_ubyte v8, v[8:9], off
	s_waitcnt vmcnt(0)
	v_and_b32_e32 v8, 1, v8
	v_cmp_eq_u32_e64 s4, 1, v8
	v_mov_b32_e32 v9, v6
	v_mov_b32_e32 v8, v5
	s_xor_b32 s19, s4, -1
	s_and_saveexec_b32 s4, s19
; %bb.39:
	v_mov_b32_e32 v9, v6
	v_mov_b32_e32 v8, v5
	s_mov_b32 s6, exec_lo
; %bb.40:
	s_or_b32 exec_lo, exec_lo, s4
	s_and_b32 s6, s6, exec_lo
	s_or_b32 exec_lo, exec_lo, s11
	s_and_saveexec_b32 s11, s9
	s_cbranch_execz .LBB711_36
.LBB711_41:
	s_ashr_i32 s19, s5, 31
	v_add_co_u32 v17, s4, v3, s5
	v_add_co_ci_u32_e64 v18, null, s19, v4, s4
	global_load_ubyte v5, v[17:18], off offset:32
	s_waitcnt vmcnt(0)
	v_and_b32_e32 v5, 1, v5
	v_cmp_eq_u32_e64 s4, 1, v5
	s_xor_b32 s20, s4, -1
	s_mov_b32 s4, s6
	s_and_saveexec_b32 s19, s20
; %bb.42:
	v_cmp_gt_f32_e64 s4, v9, v13
	s_and_b32 s4, s6, s4
	v_cndmask_b32_e64 v9, v13, v9, s4
	s_or_b32 s4, s6, exec_lo
; %bb.43:
	s_or_b32 exec_lo, exec_lo, s19
	s_andn2_b32 s6, s6, exec_lo
	s_and_b32 s4, s4, exec_lo
	s_or_b32 s6, s6, s4
	s_or_b32 exec_lo, exec_lo, s11
	s_and_saveexec_b32 s11, s8
	s_cbranch_execz .LBB711_37
.LBB711_44:
	s_ashr_i32 s19, s5, 31
	v_add_co_u32 v17, s4, v3, s5
	v_add_co_ci_u32_e64 v18, null, s19, v4, s4
	global_load_ubyte v5, v[17:18], off offset:64
	s_waitcnt vmcnt(0)
	v_and_b32_e32 v5, 1, v5
	v_cmp_eq_u32_e64 s4, 1, v5
	s_xor_b32 s20, s4, -1
	s_mov_b32 s4, s6
	s_and_saveexec_b32 s19, s20
; %bb.45:
	v_cmp_gt_f32_e64 s4, v9, v12
	s_and_b32 s4, s6, s4
	v_cndmask_b32_e64 v9, v12, v9, s4
	s_or_b32 s4, s6, exec_lo
; %bb.46:
	s_or_b32 exec_lo, exec_lo, s19
	s_andn2_b32 s6, s6, exec_lo
	s_and_b32 s4, s4, exec_lo
	s_or_b32 s6, s6, s4
	s_or_b32 exec_lo, exec_lo, s11
	s_and_saveexec_b32 s11, s7
	s_cbranch_execz .LBB711_50
.LBB711_47:
	s_ashr_i32 s19, s5, 31
	v_add_co_u32 v17, s4, v3, s5
	v_add_co_ci_u32_e64 v18, null, s19, v4, s4
	global_load_ubyte v5, v[17:18], off offset:96
	s_waitcnt vmcnt(0)
	v_and_b32_e32 v5, 1, v5
	v_cmp_eq_u32_e64 s4, 1, v5
	s_xor_b32 s20, s4, -1
	s_mov_b32 s4, s6
	s_and_saveexec_b32 s19, s20
; %bb.48:
	v_cmp_gt_f32_e64 s4, v9, v0
	s_and_b32 s4, s6, s4
	v_cndmask_b32_e64 v9, v0, v9, s4
	s_or_b32 s4, s6, exec_lo
; %bb.49:
	s_or_b32 exec_lo, exec_lo, s19
	s_andn2_b32 s6, s6, exec_lo
	s_and_b32 s4, s4, exec_lo
	s_or_b32 s6, s6, s4
.LBB711_50:
	s_or_b32 exec_lo, exec_lo, s11
	v_mbcnt_lo_u32_b32 v10, -1, 0
	v_cndmask_b32_e64 v9, 0xff800000, v9, s6
	v_xor_b32_e32 v5, 16, v10
	v_xor_b32_e32 v17, 8, v10
	v_cmp_gt_i32_e64 s4, 32, v5
	v_cndmask_b32_e64 v5, v10, v5, s4
	v_cmp_gt_i32_e64 s4, 32, v17
	v_lshlrev_b32_e32 v5, 2, v5
	v_cndmask_b32_e64 v17, v10, v17, s4
	ds_bpermute_b32 v18, v5, v8
	ds_bpermute_b32 v19, v5, v9
	v_lshlrev_b32_e32 v17, 2, v17
	s_waitcnt lgkmcnt(1)
	v_cmp_lt_f32_e64 s4, v8, v18
	v_cndmask_b32_e64 v8, v8, v18, s4
	s_waitcnt lgkmcnt(0)
	v_cmp_lt_f32_e64 s4, v9, v19
	v_xor_b32_e32 v18, 4, v10
	ds_bpermute_b32 v20, v17, v8
	v_cndmask_b32_e64 v9, v9, v19, s4
	v_cmp_gt_i32_e64 s4, 32, v18
	ds_bpermute_b32 v19, v17, v9
	v_cndmask_b32_e64 v18, v10, v18, s4
	v_lshlrev_b32_e32 v18, 2, v18
	s_waitcnt lgkmcnt(1)
	v_cmp_lt_f32_e64 s4, v8, v20
	v_cndmask_b32_e64 v8, v8, v20, s4
	s_waitcnt lgkmcnt(0)
	v_cmp_lt_f32_e64 s4, v9, v19
	ds_bpermute_b32 v20, v18, v8
	v_cndmask_b32_e64 v9, v9, v19, s4
	v_xor_b32_e32 v19, 2, v10
	ds_bpermute_b32 v21, v18, v9
	v_cmp_gt_i32_e64 s4, 32, v19
	v_cndmask_b32_e64 v19, v10, v19, s4
	v_lshlrev_b32_e32 v19, 2, v19
	s_waitcnt lgkmcnt(1)
	v_cmp_lt_f32_e64 s4, v8, v20
	v_cndmask_b32_e64 v8, v8, v20, s4
	s_waitcnt lgkmcnt(0)
	v_cmp_lt_f32_e64 s4, v9, v21
	v_xor_b32_e32 v20, 1, v10
	ds_bpermute_b32 v22, v19, v8
	v_cndmask_b32_e64 v9, v9, v21, s4
	v_cmp_gt_i32_e64 s4, 32, v20
	ds_bpermute_b32 v21, v19, v9
	v_cndmask_b32_e64 v10, v10, v20, s4
	v_lshlrev_b32_e32 v20, 2, v10
	s_waitcnt lgkmcnt(1)
	v_cmp_lt_f32_e64 s4, v8, v22
	v_cndmask_b32_e64 v10, v8, v22, s4
	s_waitcnt lgkmcnt(0)
	v_cmp_lt_f32_e64 s4, v9, v21
	v_mov_b32_e32 v8, 0
	ds_bpermute_b32 v24, v20, v10
	v_cndmask_b32_e64 v22, v9, v21, s4
	v_mov_b32_e32 v9, v8
	v_mov_b32_e32 v21, 0
	ds_bpermute_b32 v23, v20, v22
	s_waitcnt lgkmcnt(1)
	v_cmp_lt_f32_e64 s4, v10, v24
	v_cndmask_b32_e64 v24, v10, v24, s4
	v_mov_b32_e32 v10, v9
	v_mov_b32_e32 v9, v8
	s_and_saveexec_b32 s6, s18
	s_cbranch_execnz .LBB711_53
; %bb.51:
	s_or_b32 exec_lo, exec_lo, s6
	v_mov_b32_e32 v7, 0
	s_and_saveexec_b32 s6, s17
	s_cbranch_execnz .LBB711_56
.LBB711_52:
	s_or_b32 exec_lo, exec_lo, s6
	s_and_saveexec_b32 s6, s16
	s_cbranch_execnz .LBB711_59
	s_branch .LBB711_62
.LBB711_53:
	global_load_ubyte v9, v[3:4], off
	s_waitcnt vmcnt(0)
	v_and_b32_e32 v10, 1, v9
	v_mov_b32_e32 v9, 0
	v_cmp_eq_u32_e64 s4, 1, v10
	v_mov_b32_e32 v10, v9
	v_mov_b32_e32 v21, v9
	s_xor_b32 s4, s4, -1
	s_and_saveexec_b32 s11, s4
	s_cbranch_execz .LBB711_55
; %bb.54:
	v_sub_f32_e32 v7, v7, v24
	v_mul_f32_e32 v9, 0x3fb8aa3b, v7
	v_cmp_ngt_f32_e64 s4, 0xc2ce8ed0, v7
	v_fma_f32 v10, 0x3fb8aa3b, v7, -v9
	v_rndne_f32_e32 v21, v9
	v_fmamk_f32 v10, v7, 0x32a5705f, v10
	v_sub_f32_e32 v9, v9, v21
	v_add_f32_e32 v9, v9, v10
	v_cvt_i32_f32_e32 v10, v21
	v_exp_f32_e32 v9, v9
	v_ldexp_f32 v9, v9, v10
	v_mov_b32_e32 v10, 0
	v_cndmask_b32_e64 v9, 0, v9, s4
	v_cmp_nlt_f32_e64 s4, 0x42b17218, v7
	v_cndmask_b32_e64 v9, 0x7f800000, v9, s4
	v_mov_b32_e32 v21, v9
.LBB711_55:
	s_or_b32 exec_lo, exec_lo, s11
	s_or_b32 exec_lo, exec_lo, s6
	v_mov_b32_e32 v7, 0
	s_and_saveexec_b32 s6, s17
	s_cbranch_execz .LBB711_52
.LBB711_56:
	global_load_ubyte v7, v[3:4], off offset:32
	s_waitcnt vmcnt(0)
	v_and_b32_e32 v7, 1, v7
	v_cmp_eq_u32_e64 s4, 1, v7
	v_mov_b32_e32 v7, 0
	s_xor_b32 s4, s4, -1
	s_and_saveexec_b32 s11, s4
	s_cbranch_execz .LBB711_58
; %bb.57:
	v_sub_f32_e32 v7, v16, v24
	v_mul_f32_e32 v16, 0x3fb8aa3b, v7
	v_cmp_ngt_f32_e64 s4, 0xc2ce8ed0, v7
	v_fma_f32 v25, 0x3fb8aa3b, v7, -v16
	v_rndne_f32_e32 v26, v16
	v_fmamk_f32 v25, v7, 0x32a5705f, v25
	v_sub_f32_e32 v16, v16, v26
	v_add_f32_e32 v16, v16, v25
	v_cvt_i32_f32_e32 v25, v26
	v_exp_f32_e32 v16, v16
	v_ldexp_f32 v16, v16, v25
	v_cndmask_b32_e64 v16, 0, v16, s4
	v_cmp_nlt_f32_e64 s4, 0x42b17218, v7
	v_cndmask_b32_e64 v7, 0x7f800000, v16, s4
	v_add_f32_e32 v9, v9, v7
.LBB711_58:
	s_or_b32 exec_lo, exec_lo, s11
	s_or_b32 exec_lo, exec_lo, s6
	s_and_saveexec_b32 s6, s16
	s_cbranch_execz .LBB711_62
.LBB711_59:
	global_load_ubyte v8, v[3:4], off offset:64
	s_waitcnt vmcnt(0)
	v_and_b32_e32 v8, 1, v8
	v_cmp_eq_u32_e64 s4, 1, v8
	v_mov_b32_e32 v8, 0
	s_xor_b32 s4, s4, -1
	s_and_saveexec_b32 s11, s4
	s_cbranch_execz .LBB711_61
; %bb.60:
	v_sub_f32_e32 v8, v15, v24
	v_mul_f32_e32 v15, 0x3fb8aa3b, v8
	v_cmp_ngt_f32_e64 s4, 0xc2ce8ed0, v8
	v_fma_f32 v16, 0x3fb8aa3b, v8, -v15
	v_rndne_f32_e32 v25, v15
	v_fmamk_f32 v16, v8, 0x32a5705f, v16
	v_sub_f32_e32 v15, v15, v25
	v_add_f32_e32 v15, v15, v16
	v_cvt_i32_f32_e32 v16, v25
	v_exp_f32_e32 v15, v15
	v_ldexp_f32 v15, v15, v16
	v_cndmask_b32_e64 v15, 0, v15, s4
	v_cmp_nlt_f32_e64 s4, 0x42b17218, v8
	v_cndmask_b32_e64 v8, 0x7f800000, v15, s4
	v_add_f32_e32 v9, v9, v8
.LBB711_61:
	s_or_b32 exec_lo, exec_lo, s11
.LBB711_62:
	s_or_b32 exec_lo, exec_lo, s6
	v_mov_b32_e32 v15, 0
	v_mov_b32_e32 v16, 0
	s_and_saveexec_b32 s6, s15
	s_cbranch_execz .LBB711_66
; %bb.63:
	global_load_ubyte v16, v[3:4], off offset:96
	s_waitcnt vmcnt(0)
	v_and_b32_e32 v16, 1, v16
	v_cmp_eq_u32_e64 s4, 1, v16
	v_mov_b32_e32 v16, 0
	s_xor_b32 s4, s4, -1
	s_and_saveexec_b32 s11, s4
	s_cbranch_execz .LBB711_65
; %bb.64:
	v_sub_f32_e32 v14, v14, v24
	v_mul_f32_e32 v16, 0x3fb8aa3b, v14
	v_cmp_ngt_f32_e64 s4, 0xc2ce8ed0, v14
	v_fma_f32 v24, 0x3fb8aa3b, v14, -v16
	v_rndne_f32_e32 v25, v16
	v_fmamk_f32 v24, v14, 0x32a5705f, v24
	v_sub_f32_e32 v16, v16, v25
	v_add_f32_e32 v16, v16, v24
	v_cvt_i32_f32_e32 v24, v25
	v_exp_f32_e32 v16, v16
	v_ldexp_f32 v16, v16, v24
	v_cndmask_b32_e64 v16, 0, v16, s4
	v_cmp_nlt_f32_e64 s4, 0x42b17218, v14
	v_cndmask_b32_e64 v16, 0x7f800000, v16, s4
	v_add_f32_e32 v9, v9, v16
.LBB711_65:
	s_or_b32 exec_lo, exec_lo, s11
.LBB711_66:
	s_or_b32 exec_lo, exec_lo, s6
	s_waitcnt lgkmcnt(0)
	v_cmp_lt_f32_e64 s4, v22, v23
	v_cndmask_b32_e64 v22, v22, v23, s4
	s_and_saveexec_b32 s6, s14
	s_cbranch_execz .LBB711_70
; %bb.67:
	s_ashr_i32 s11, s5, 31
	v_add_co_u32 v14, s4, v3, s5
	v_add_co_ci_u32_e64 v15, null, s11, v4, s4
	global_load_ubyte v14, v[14:15], off
	v_mov_b32_e32 v15, 0
	s_waitcnt vmcnt(0)
	v_and_b32_e32 v14, 1, v14
	v_cmp_eq_u32_e64 s4, 1, v14
	s_xor_b32 s4, s4, -1
	s_and_saveexec_b32 s11, s4
	s_cbranch_execz .LBB711_69
; %bb.68:
	v_sub_f32_e32 v6, v6, v22
	v_mul_f32_e32 v14, 0x3fb8aa3b, v6
	v_cmp_ngt_f32_e64 s4, 0xc2ce8ed0, v6
	v_fma_f32 v15, 0x3fb8aa3b, v6, -v14
	v_rndne_f32_e32 v23, v14
	v_fmamk_f32 v15, v6, 0x32a5705f, v15
	v_sub_f32_e32 v14, v14, v23
	v_add_f32_e32 v14, v14, v15
	v_cvt_i32_f32_e32 v15, v23
	v_exp_f32_e32 v14, v14
	v_ldexp_f32 v14, v14, v15
	v_cndmask_b32_e64 v14, 0, v14, s4
	v_cmp_nlt_f32_e64 s4, 0x42b17218, v6
	v_cndmask_b32_e64 v15, 0x7f800000, v14, s4
	v_add_f32_e32 v10, v10, v15
.LBB711_69:
	s_or_b32 exec_lo, exec_lo, s11
.LBB711_70:
	s_or_b32 exec_lo, exec_lo, s6
	v_mov_b32_e32 v6, 0
	v_mov_b32_e32 v14, 0
	s_and_saveexec_b32 s6, s9
	s_cbranch_execnz .LBB711_73
; %bb.71:
	s_or_b32 exec_lo, exec_lo, s6
	s_and_saveexec_b32 s6, s8
	s_cbranch_execnz .LBB711_76
.LBB711_72:
	s_or_b32 exec_lo, exec_lo, s6
	v_mov_b32_e32 v12, 0
	s_and_saveexec_b32 s6, s7
	s_cbranch_execnz .LBB711_79
	s_branch .LBB711_82
.LBB711_73:
	s_ashr_i32 s9, s5, 31
	v_add_co_u32 v23, s4, v3, s5
	v_add_co_ci_u32_e64 v24, null, s9, v4, s4
	global_load_ubyte v14, v[23:24], off offset:32
	s_waitcnt vmcnt(0)
	v_and_b32_e32 v14, 1, v14
	v_cmp_eq_u32_e64 s4, 1, v14
	v_mov_b32_e32 v14, 0
	s_xor_b32 s4, s4, -1
	s_and_saveexec_b32 s9, s4
	s_cbranch_execz .LBB711_75
; %bb.74:
	v_sub_f32_e32 v13, v13, v22
	v_mul_f32_e32 v14, 0x3fb8aa3b, v13
	v_cmp_ngt_f32_e64 s4, 0xc2ce8ed0, v13
	v_fma_f32 v23, 0x3fb8aa3b, v13, -v14
	v_rndne_f32_e32 v24, v14
	v_fmamk_f32 v23, v13, 0x32a5705f, v23
	v_sub_f32_e32 v14, v14, v24
	v_add_f32_e32 v14, v14, v23
	v_cvt_i32_f32_e32 v23, v24
	v_exp_f32_e32 v14, v14
	v_ldexp_f32 v14, v14, v23
	v_cndmask_b32_e64 v14, 0, v14, s4
	v_cmp_nlt_f32_e64 s4, 0x42b17218, v13
	v_cndmask_b32_e64 v14, 0x7f800000, v14, s4
	v_add_f32_e32 v10, v10, v14
.LBB711_75:
	s_or_b32 exec_lo, exec_lo, s9
	s_or_b32 exec_lo, exec_lo, s6
	s_and_saveexec_b32 s6, s8
	s_cbranch_execz .LBB711_72
.LBB711_76:
	s_ashr_i32 s8, s5, 31
	v_add_co_u32 v23, s4, v3, s5
	v_add_co_ci_u32_e64 v24, null, s8, v4, s4
	global_load_ubyte v6, v[23:24], off offset:64
	s_waitcnt vmcnt(0)
	v_and_b32_e32 v6, 1, v6
	v_cmp_eq_u32_e64 s4, 1, v6
	v_mov_b32_e32 v6, 0
	s_xor_b32 s4, s4, -1
	s_and_saveexec_b32 s8, s4
	s_cbranch_execz .LBB711_78
; %bb.77:
	v_sub_f32_e32 v6, v12, v22
	v_mul_f32_e32 v12, 0x3fb8aa3b, v6
	v_cmp_ngt_f32_e64 s4, 0xc2ce8ed0, v6
	v_fma_f32 v13, 0x3fb8aa3b, v6, -v12
	v_rndne_f32_e32 v23, v12
	v_fmamk_f32 v13, v6, 0x32a5705f, v13
	v_sub_f32_e32 v12, v12, v23
	v_add_f32_e32 v12, v12, v13
	v_cvt_i32_f32_e32 v13, v23
	v_exp_f32_e32 v12, v12
	v_ldexp_f32 v12, v12, v13
	v_cndmask_b32_e64 v12, 0, v12, s4
	v_cmp_nlt_f32_e64 s4, 0x42b17218, v6
	v_cndmask_b32_e64 v6, 0x7f800000, v12, s4
	v_add_f32_e32 v10, v10, v6
.LBB711_78:
	s_or_b32 exec_lo, exec_lo, s8
	s_or_b32 exec_lo, exec_lo, s6
	v_mov_b32_e32 v12, 0
	s_and_saveexec_b32 s6, s7
	s_cbranch_execz .LBB711_82
.LBB711_79:
	s_ashr_i32 s7, s5, 31
	v_add_co_u32 v3, s4, v3, s5
	v_add_co_ci_u32_e64 v4, null, s7, v4, s4
	v_mov_b32_e32 v12, 0
	global_load_ubyte v3, v[3:4], off offset:96
	s_waitcnt vmcnt(0)
	v_and_b32_e32 v3, 1, v3
	v_cmp_eq_u32_e64 s4, 1, v3
	s_xor_b32 s4, s4, -1
	s_and_saveexec_b32 s5, s4
	s_cbranch_execz .LBB711_81
; %bb.80:
	v_sub_f32_e32 v0, v0, v22
	v_mul_f32_e32 v3, 0x3fb8aa3b, v0
	v_cmp_ngt_f32_e64 s4, 0xc2ce8ed0, v0
	v_fma_f32 v4, 0x3fb8aa3b, v0, -v3
	v_rndne_f32_e32 v12, v3
	v_fmamk_f32 v4, v0, 0x32a5705f, v4
	v_sub_f32_e32 v3, v3, v12
	v_add_f32_e32 v3, v3, v4
	v_cvt_i32_f32_e32 v4, v12
	v_exp_f32_e32 v3, v3
	v_ldexp_f32 v3, v3, v4
	v_cndmask_b32_e64 v3, 0, v3, s4
	v_cmp_nlt_f32_e64 s4, 0x42b17218, v0
	v_cndmask_b32_e64 v12, 0x7f800000, v3, s4
	v_add_f32_e32 v10, v10, v12
.LBB711_81:
	s_or_b32 exec_lo, exec_lo, s5
.LBB711_82:
	s_or_b32 exec_lo, exec_lo, s6
	ds_bpermute_b32 v0, v5, v9
	ds_bpermute_b32 v3, v5, v10
	s_waitcnt lgkmcnt(1)
	v_add_f32_e32 v0, v9, v0
	s_waitcnt lgkmcnt(0)
	v_add_f32_e32 v3, v10, v3
	ds_bpermute_b32 v4, v17, v0
	ds_bpermute_b32 v5, v17, v3
	s_waitcnt lgkmcnt(1)
	v_add_f32_e32 v0, v0, v4
	s_waitcnt lgkmcnt(0)
	v_add_f32_e32 v3, v3, v5
	;; [unrolled: 6-line block ×4, first 2 shown]
	ds_bpermute_b32 v9, v20, v5
	ds_bpermute_b32 v4, v20, v3
	s_and_saveexec_b32 s4, vcc_lo
	s_cbranch_execz .LBB711_94
; %bb.83:
	v_add_co_u32 v0, vcc_lo, s12, v1
	v_add_co_ci_u32_e64 v1, null, s13, v2, vcc_lo
	s_and_saveexec_b32 s5, s3
	s_cbranch_execz .LBB711_88
; %bb.84:
	s_waitcnt lgkmcnt(1)
	v_add_f32_e32 v2, v5, v9
	v_div_scale_f32 v5, null, v2, v2, v21
	v_cmp_eq_f32_e64 s4, 0, v2
	v_rcp_f32_e32 v9, v5
	v_fma_f32 v10, -v5, v9, 1.0
	v_fmac_f32_e32 v9, v10, v9
	v_div_scale_f32 v10, vcc_lo, v21, v2, v21
	v_mul_f32_e32 v13, v10, v9
	v_fma_f32 v17, -v5, v13, v10
	v_fmac_f32_e32 v13, v17, v9
	v_fma_f32 v5, -v5, v13, v10
	v_div_fmas_f32 v5, v5, v9, v13
	v_div_fixup_f32 v5, v5, v2, v21
	v_cndmask_b32_e64 v5, v5, 0x7fc00000, s4
	global_store_dword v[0:1], v5, off
	s_and_b32 exec_lo, exec_lo, s2
	s_cbranch_execz .LBB711_88
; %bb.85:
	v_div_scale_f32 v5, null, v2, v2, v7
	v_rcp_f32_e32 v9, v5
	v_fma_f32 v10, -v5, v9, 1.0
	v_fmac_f32_e32 v9, v10, v9
	v_div_scale_f32 v10, vcc_lo, v7, v2, v7
	v_mul_f32_e32 v13, v10, v9
	v_fma_f32 v17, -v5, v13, v10
	v_fmac_f32_e32 v13, v17, v9
	v_fma_f32 v5, -v5, v13, v10
	v_div_fmas_f32 v5, v5, v9, v13
	v_div_fixup_f32 v5, v5, v2, v7
	v_cndmask_b32_e64 v5, v5, 0x7fc00000, s4
	global_store_dword v[0:1], v5, off offset:128
	s_and_b32 exec_lo, exec_lo, s1
	s_cbranch_execz .LBB711_88
; %bb.86:
	v_div_scale_f32 v5, null, v2, v2, v8
	v_rcp_f32_e32 v7, v5
	v_fma_f32 v9, -v5, v7, 1.0
	v_fmac_f32_e32 v7, v9, v7
	v_div_scale_f32 v9, vcc_lo, v8, v2, v8
	v_mul_f32_e32 v10, v9, v7
	v_fma_f32 v13, -v5, v10, v9
	v_fmac_f32_e32 v10, v13, v7
	v_fma_f32 v5, -v5, v10, v9
	v_div_fmas_f32 v5, v5, v7, v10
	v_div_fixup_f32 v5, v5, v2, v8
	v_cndmask_b32_e64 v5, v5, 0x7fc00000, s4
	global_store_dword v[0:1], v5, off offset:256
	;; [unrolled: 16-line block ×3, first 2 shown]
.LBB711_88:
	s_or_b32 exec_lo, exec_lo, s5
	v_cmp_ne_u32_e32 vcc_lo, 1, v11
	s_and_b32 exec_lo, exec_lo, vcc_lo
	s_cbranch_execz .LBB711_94
; %bb.89:
	s_and_b32 exec_lo, exec_lo, s3
	s_cbranch_execz .LBB711_94
; %bb.90:
	s_waitcnt lgkmcnt(0)
	v_add_f32_e32 v2, v3, v4
	s_mov_b32 s11, 0
	s_lshl_b64 s[4:5], s[10:11], 2
	v_div_scale_f32 v3, null, v2, v2, v15
	v_div_scale_f32 v7, vcc_lo, v15, v2, v15
	v_cmp_eq_f32_e64 s3, 0, v2
	v_rcp_f32_e32 v4, v3
	v_fma_f32 v5, -v3, v4, 1.0
	v_fmac_f32_e32 v4, v5, v4
	v_mul_f32_e32 v5, v7, v4
	v_fma_f32 v8, -v3, v5, v7
	v_fmac_f32_e32 v5, v8, v4
	v_fma_f32 v3, -v3, v5, v7
	v_div_fmas_f32 v3, v3, v4, v5
	v_add_co_u32 v0, vcc_lo, v0, s4
	v_add_co_ci_u32_e64 v1, null, s5, v1, vcc_lo
	v_div_fixup_f32 v3, v3, v2, v15
	v_cndmask_b32_e64 v3, v3, 0x7fc00000, s3
	global_store_dword v[0:1], v3, off
	s_and_b32 exec_lo, exec_lo, s2
	s_cbranch_execz .LBB711_94
; %bb.91:
	v_div_scale_f32 v3, null, v2, v2, v14
	v_rcp_f32_e32 v4, v3
	v_fma_f32 v5, -v3, v4, 1.0
	v_fmac_f32_e32 v4, v5, v4
	v_div_scale_f32 v5, vcc_lo, v14, v2, v14
	v_mul_f32_e32 v7, v5, v4
	v_fma_f32 v8, -v3, v7, v5
	v_fmac_f32_e32 v7, v8, v4
	v_fma_f32 v3, -v3, v7, v5
	v_div_fmas_f32 v3, v3, v4, v7
	v_div_fixup_f32 v3, v3, v2, v14
	v_cndmask_b32_e64 v3, v3, 0x7fc00000, s3
	global_store_dword v[0:1], v3, off offset:128
	s_and_b32 exec_lo, exec_lo, s1
	s_cbranch_execz .LBB711_94
; %bb.92:
	v_div_scale_f32 v3, null, v2, v2, v6
	v_rcp_f32_e32 v4, v3
	v_fma_f32 v5, -v3, v4, 1.0
	v_fmac_f32_e32 v4, v5, v4
	v_div_scale_f32 v5, vcc_lo, v6, v2, v6
	v_mul_f32_e32 v7, v5, v4
	v_fma_f32 v8, -v3, v7, v5
	v_fmac_f32_e32 v7, v8, v4
	v_fma_f32 v3, -v3, v7, v5
	v_div_fmas_f32 v3, v3, v4, v7
	v_div_fixup_f32 v3, v3, v2, v6
	v_cndmask_b32_e64 v3, v3, 0x7fc00000, s3
	global_store_dword v[0:1], v3, off offset:256
	;; [unrolled: 16-line block ×3, first 2 shown]
.LBB711_94:
	s_endpgm
	.section	.rodata,"a",@progbits
	.p2align	6, 0x0
	.amdhsa_kernel _ZN12_GLOBAL__N_120softmax_warp_forwardIfffLi7ELb0ELb1ELi32EEEvPT0_PKT_iiiPKbib
		.amdhsa_group_segment_fixed_size 0
		.amdhsa_private_segment_fixed_size 0
		.amdhsa_kernarg_size 304
		.amdhsa_user_sgpr_count 6
		.amdhsa_user_sgpr_private_segment_buffer 1
		.amdhsa_user_sgpr_dispatch_ptr 0
		.amdhsa_user_sgpr_queue_ptr 0
		.amdhsa_user_sgpr_kernarg_segment_ptr 1
		.amdhsa_user_sgpr_dispatch_id 0
		.amdhsa_user_sgpr_flat_scratch_init 0
		.amdhsa_user_sgpr_private_segment_size 0
		.amdhsa_wavefront_size32 1
		.amdhsa_uses_dynamic_stack 0
		.amdhsa_system_sgpr_private_segment_wavefront_offset 0
		.amdhsa_system_sgpr_workgroup_id_x 1
		.amdhsa_system_sgpr_workgroup_id_y 0
		.amdhsa_system_sgpr_workgroup_id_z 0
		.amdhsa_system_sgpr_workgroup_info 0
		.amdhsa_system_vgpr_workitem_id 1
		.amdhsa_next_free_vgpr 27
		.amdhsa_next_free_sgpr 24
		.amdhsa_reserve_vcc 1
		.amdhsa_reserve_flat_scratch 0
		.amdhsa_float_round_mode_32 0
		.amdhsa_float_round_mode_16_64 0
		.amdhsa_float_denorm_mode_32 3
		.amdhsa_float_denorm_mode_16_64 3
		.amdhsa_dx10_clamp 1
		.amdhsa_ieee_mode 1
		.amdhsa_fp16_overflow 0
		.amdhsa_workgroup_processor_mode 1
		.amdhsa_memory_ordered 1
		.amdhsa_forward_progress 1
		.amdhsa_shared_vgpr_count 0
		.amdhsa_exception_fp_ieee_invalid_op 0
		.amdhsa_exception_fp_denorm_src 0
		.amdhsa_exception_fp_ieee_div_zero 0
		.amdhsa_exception_fp_ieee_overflow 0
		.amdhsa_exception_fp_ieee_underflow 0
		.amdhsa_exception_fp_ieee_inexact 0
		.amdhsa_exception_int_div_zero 0
	.end_amdhsa_kernel
	.section	.text._ZN12_GLOBAL__N_120softmax_warp_forwardIfffLi7ELb0ELb1ELi32EEEvPT0_PKT_iiiPKbib,"axG",@progbits,_ZN12_GLOBAL__N_120softmax_warp_forwardIfffLi7ELb0ELb1ELi32EEEvPT0_PKT_iiiPKbib,comdat
.Lfunc_end711:
	.size	_ZN12_GLOBAL__N_120softmax_warp_forwardIfffLi7ELb0ELb1ELi32EEEvPT0_PKT_iiiPKbib, .Lfunc_end711-_ZN12_GLOBAL__N_120softmax_warp_forwardIfffLi7ELb0ELb1ELi32EEEvPT0_PKT_iiiPKbib
                                        ; -- End function
	.set _ZN12_GLOBAL__N_120softmax_warp_forwardIfffLi7ELb0ELb1ELi32EEEvPT0_PKT_iiiPKbib.num_vgpr, 27
	.set _ZN12_GLOBAL__N_120softmax_warp_forwardIfffLi7ELb0ELb1ELi32EEEvPT0_PKT_iiiPKbib.num_agpr, 0
	.set _ZN12_GLOBAL__N_120softmax_warp_forwardIfffLi7ELb0ELb1ELi32EEEvPT0_PKT_iiiPKbib.numbered_sgpr, 24
	.set _ZN12_GLOBAL__N_120softmax_warp_forwardIfffLi7ELb0ELb1ELi32EEEvPT0_PKT_iiiPKbib.num_named_barrier, 0
	.set _ZN12_GLOBAL__N_120softmax_warp_forwardIfffLi7ELb0ELb1ELi32EEEvPT0_PKT_iiiPKbib.private_seg_size, 0
	.set _ZN12_GLOBAL__N_120softmax_warp_forwardIfffLi7ELb0ELb1ELi32EEEvPT0_PKT_iiiPKbib.uses_vcc, 1
	.set _ZN12_GLOBAL__N_120softmax_warp_forwardIfffLi7ELb0ELb1ELi32EEEvPT0_PKT_iiiPKbib.uses_flat_scratch, 0
	.set _ZN12_GLOBAL__N_120softmax_warp_forwardIfffLi7ELb0ELb1ELi32EEEvPT0_PKT_iiiPKbib.has_dyn_sized_stack, 0
	.set _ZN12_GLOBAL__N_120softmax_warp_forwardIfffLi7ELb0ELb1ELi32EEEvPT0_PKT_iiiPKbib.has_recursion, 0
	.set _ZN12_GLOBAL__N_120softmax_warp_forwardIfffLi7ELb0ELb1ELi32EEEvPT0_PKT_iiiPKbib.has_indirect_call, 0
	.section	.AMDGPU.csdata,"",@progbits
; Kernel info:
; codeLenInByte = 4572
; TotalNumSgprs: 26
; NumVgprs: 27
; ScratchSize: 0
; MemoryBound: 0
; FloatMode: 240
; IeeeMode: 1
; LDSByteSize: 0 bytes/workgroup (compile time only)
; SGPRBlocks: 0
; VGPRBlocks: 3
; NumSGPRsForWavesPerEU: 26
; NumVGPRsForWavesPerEU: 27
; Occupancy: 16
; WaveLimiterHint : 0
; COMPUTE_PGM_RSRC2:SCRATCH_EN: 0
; COMPUTE_PGM_RSRC2:USER_SGPR: 6
; COMPUTE_PGM_RSRC2:TRAP_HANDLER: 0
; COMPUTE_PGM_RSRC2:TGID_X_EN: 1
; COMPUTE_PGM_RSRC2:TGID_Y_EN: 0
; COMPUTE_PGM_RSRC2:TGID_Z_EN: 0
; COMPUTE_PGM_RSRC2:TIDIG_COMP_CNT: 1
	.section	.text._ZN12_GLOBAL__N_120softmax_warp_forwardIfffLi8ELb0ELb1ELi64EEEvPT0_PKT_iiiPKbib,"axG",@progbits,_ZN12_GLOBAL__N_120softmax_warp_forwardIfffLi8ELb0ELb1ELi64EEEvPT0_PKT_iiiPKbib,comdat
	.globl	_ZN12_GLOBAL__N_120softmax_warp_forwardIfffLi8ELb0ELb1ELi64EEEvPT0_PKT_iiiPKbib ; -- Begin function _ZN12_GLOBAL__N_120softmax_warp_forwardIfffLi8ELb0ELb1ELi64EEEvPT0_PKT_iiiPKbib
	.p2align	8
	.type	_ZN12_GLOBAL__N_120softmax_warp_forwardIfffLi8ELb0ELb1ELi64EEEvPT0_PKT_iiiPKbib,@function
_ZN12_GLOBAL__N_120softmax_warp_forwardIfffLi8ELb0ELb1ELi64EEEvPT0_PKT_iiiPKbib: ; @_ZN12_GLOBAL__N_120softmax_warp_forwardIfffLi8ELb0ELb1ELi64EEEvPT0_PKT_iiiPKbib
; %bb.0:
	s_clause 0x1
	s_load_dword s0, s[4:5], 0x3c
	s_load_dwordx4 s[12:15], s[4:5], 0x10
	s_waitcnt lgkmcnt(0)
	s_lshr_b32 s0, s0, 16
	v_mad_u64_u32 v[1:2], null, s6, s0, v[1:2]
	s_load_dwordx2 s[0:1], s[4:5], 0x28
	v_mul_lo_u32 v6, v1, s13
	v_add_nc_u32_e32 v2, v6, v0
	v_ashrrev_i32_e32 v3, 31, v2
	s_waitcnt lgkmcnt(0)
	s_bitcmp0_b32 s1, 0
	v_mov_b32_e32 v5, v3
	v_mov_b32_e32 v4, v2
	s_cbranch_scc1 .LBB712_2
; %bb.1:
	s_abs_i32 s1, s0
	v_sub_nc_u32_e32 v7, 0, v6
	v_cvt_f32_u32_e32 v4, s1
	s_sub_i32 s2, 0, s1
	v_max_i32_e32 v7, v6, v7
	v_rcp_iflag_f32_e32 v4, v4
	v_xor_b32_e32 v6, s0, v6
	v_ashrrev_i32_e32 v6, 31, v6
	v_mul_f32_e32 v4, 0x4f7ffffe, v4
	v_cvt_u32_f32_e32 v4, v4
	v_mul_lo_u32 v5, s2, v4
	v_mul_hi_u32 v5, v4, v5
	v_add_nc_u32_e32 v4, v4, v5
	v_mul_hi_u32 v4, v7, v4
	v_mul_lo_u32 v5, v4, s1
	v_sub_nc_u32_e32 v5, v7, v5
	v_add_nc_u32_e32 v7, 1, v4
	v_subrev_nc_u32_e32 v8, s1, v5
	v_cmp_le_u32_e32 vcc_lo, s1, v5
	v_cndmask_b32_e32 v4, v4, v7, vcc_lo
	v_cndmask_b32_e32 v5, v5, v8, vcc_lo
	v_add_nc_u32_e32 v7, 1, v4
	v_cmp_le_u32_e32 vcc_lo, s1, v5
	v_cndmask_b32_e32 v4, v4, v7, vcc_lo
	v_xor_b32_e32 v4, v4, v6
	v_sub_nc_u32_e32 v4, v4, v6
	v_mad_u64_u32 v[4:5], null, v4, s13, v[0:1]
	v_ashrrev_i32_e32 v5, 31, v4
.LBB712_2:
	s_load_dwordx4 s[8:11], s[4:5], 0x0
	v_lshlrev_b64 v[13:14], 2, v[2:3]
	v_sub_nc_u32_e32 v17, s12, v1
	v_cmp_gt_i32_e32 vcc_lo, s14, v0
	v_mov_b32_e32 v8, 0xff800000
	v_mov_b32_e32 v1, 0xff800000
	v_cmp_lt_i32_e64 s3, 0, v17
	s_waitcnt lgkmcnt(0)
	v_add_co_u32 v6, s0, s10, v13
	v_add_co_ci_u32_e64 v7, null, s11, v14, s0
	s_and_b32 s10, s3, vcc_lo
	s_and_saveexec_b32 s0, s10
	s_cbranch_execz .LBB712_4
; %bb.3:
	global_load_dword v1, v[6:7], off
.LBB712_4:
	s_or_b32 exec_lo, exec_lo, s0
	v_add_nc_u32_e32 v2, 64, v0
	v_cmp_gt_i32_e64 s2, s14, v2
	s_and_b32 s11, s3, s2
	s_and_saveexec_b32 s0, s11
	s_cbranch_execz .LBB712_6
; %bb.5:
	global_load_dword v8, v[6:7], off offset:256
.LBB712_6:
	s_or_b32 exec_lo, exec_lo, s0
	v_add_nc_u32_e32 v2, 0x80, v0
	v_mov_b32_e32 v3, 0xff800000
	v_cmp_gt_i32_e64 s1, s14, v2
	v_mov_b32_e32 v2, 0xff800000
	s_and_b32 s7, s3, s1
	s_and_saveexec_b32 s0, s7
	s_cbranch_execz .LBB712_8
; %bb.7:
	global_load_dword v2, v[6:7], off offset:512
.LBB712_8:
	s_or_b32 exec_lo, exec_lo, s0
	v_add_nc_u32_e32 v0, 0xc0, v0
	v_cmp_gt_i32_e64 s0, s14, v0
	s_and_b32 s6, s3, s0
	s_and_saveexec_b32 s3, s6
	s_cbranch_execz .LBB712_10
; %bb.9:
	global_load_dword v3, v[6:7], off offset:768
.LBB712_10:
	s_or_b32 exec_lo, exec_lo, s3
	s_load_dwordx2 s[4:5], s[4:5], 0x20
	s_waitcnt lgkmcnt(0)
	v_add_co_u32 v15, s3, s4, v4
	v_add_co_ci_u32_e64 v16, null, s5, v5, s3
	s_mov_b32 s4, 0
	s_and_saveexec_b32 s5, s10
	s_cbranch_execz .LBB712_16
; %bb.11:
	global_load_ubyte v0, v[15:16], off
	s_waitcnt vmcnt(0)
	v_and_b32_e32 v0, 1, v0
	v_cmp_eq_u32_e64 s3, 1, v0
	s_xor_b32 s3, s3, -1
	s_and_b32 s4, s3, exec_lo
	s_or_b32 exec_lo, exec_lo, s5
	v_mov_b32_e32 v0, v1
	s_and_saveexec_b32 s5, s11
	s_cbranch_execnz .LBB712_17
.LBB712_12:
	s_or_b32 exec_lo, exec_lo, s5
	s_and_saveexec_b32 s5, s7
	s_cbranch_execz .LBB712_20
.LBB712_13:
	global_load_ubyte v4, v[15:16], off offset:128
	s_waitcnt vmcnt(0)
	v_and_b32_e32 v4, 1, v4
	v_cmp_eq_u32_e64 s3, 1, v4
	s_xor_b32 s13, s3, -1
	s_mov_b32 s3, s4
	s_and_saveexec_b32 s12, s13
; %bb.14:
	v_cmp_gt_f32_e64 s3, v0, v2
	s_and_b32 s3, s4, s3
	v_cndmask_b32_e64 v0, v2, v0, s3
	s_or_b32 s3, s4, exec_lo
; %bb.15:
	s_or_b32 exec_lo, exec_lo, s12
	s_andn2_b32 s4, s4, exec_lo
	s_and_b32 s3, s3, exec_lo
	s_or_b32 s4, s4, s3
	s_or_b32 exec_lo, exec_lo, s5
	s_and_saveexec_b32 s5, s6
	s_cbranch_execz .LBB712_24
	s_branch .LBB712_21
.LBB712_16:
	s_or_b32 exec_lo, exec_lo, s5
	s_waitcnt vmcnt(0)
	v_mov_b32_e32 v0, v1
	s_and_saveexec_b32 s5, s11
	s_cbranch_execz .LBB712_12
.LBB712_17:
	global_load_ubyte v0, v[15:16], off offset:64
	s_waitcnt vmcnt(0)
	v_and_b32_e32 v0, 1, v0
	v_cmp_eq_u32_e64 s3, 1, v0
	v_mov_b32_e32 v0, v1
	s_xor_b32 s13, s3, -1
	s_mov_b32 s3, s4
	s_and_saveexec_b32 s12, s13
; %bb.18:
	v_cmp_gt_f32_e64 s3, v1, v8
	s_and_b32 s3, s4, s3
	v_cndmask_b32_e64 v0, v8, v1, s3
	s_or_b32 s3, s4, exec_lo
; %bb.19:
	s_or_b32 exec_lo, exec_lo, s12
	s_andn2_b32 s4, s4, exec_lo
	s_and_b32 s3, s3, exec_lo
	s_or_b32 s4, s4, s3
	s_or_b32 exec_lo, exec_lo, s5
	s_and_saveexec_b32 s5, s7
	s_cbranch_execnz .LBB712_13
.LBB712_20:
	s_or_b32 exec_lo, exec_lo, s5
	s_and_saveexec_b32 s5, s6
	s_cbranch_execz .LBB712_24
.LBB712_21:
	global_load_ubyte v4, v[15:16], off offset:192
	s_waitcnt vmcnt(0)
	v_and_b32_e32 v4, 1, v4
	v_cmp_eq_u32_e64 s3, 1, v4
	s_xor_b32 s13, s3, -1
	s_mov_b32 s3, s4
	s_and_saveexec_b32 s12, s13
; %bb.22:
	v_cmp_gt_f32_e64 s3, v0, v3
	s_and_b32 s3, s4, s3
	v_cndmask_b32_e64 v0, v3, v0, s3
	s_or_b32 s3, s4, exec_lo
; %bb.23:
	s_or_b32 exec_lo, exec_lo, s12
	s_andn2_b32 s4, s4, exec_lo
	s_and_b32 s3, s3, exec_lo
	s_or_b32 s4, s4, s3
.LBB712_24:
	s_or_b32 exec_lo, exec_lo, s5
	v_mbcnt_lo_u32_b32 v4, -1, 0
	v_cndmask_b32_e64 v0, 0xff800000, v0, s4
	s_xor_b32 s4, s11, -1
	v_or_b32_e32 v5, 32, v4
	v_xor_b32_e32 v6, 16, v4
	v_cmp_gt_i32_e64 s3, 64, v5
	v_cndmask_b32_e64 v5, v4, v5, s3
	v_cmp_gt_i32_e64 s3, 64, v6
	v_lshlrev_b32_e32 v18, 2, v5
	v_cndmask_b32_e64 v6, v4, v6, s3
	ds_bpermute_b32 v5, v18, v0
	v_lshlrev_b32_e32 v19, 2, v6
	v_xor_b32_e32 v6, 8, v4
	s_waitcnt lgkmcnt(0)
	v_cmp_lt_f32_e64 s3, v0, v5
	v_cndmask_b32_e64 v0, v0, v5, s3
	v_cmp_gt_i32_e64 s3, 64, v6
	ds_bpermute_b32 v5, v19, v0
	v_cndmask_b32_e64 v6, v4, v6, s3
	v_lshlrev_b32_e32 v20, 2, v6
	v_xor_b32_e32 v6, 4, v4
	s_waitcnt lgkmcnt(0)
	v_cmp_lt_f32_e64 s3, v0, v5
	v_cndmask_b32_e64 v0, v0, v5, s3
	v_cmp_gt_i32_e64 s3, 64, v6
	ds_bpermute_b32 v5, v20, v0
	v_cndmask_b32_e64 v6, v4, v6, s3
	;; [unrolled: 8-line block ×4, first 2 shown]
	v_lshlrev_b32_e32 v23, 2, v4
	s_waitcnt lgkmcnt(0)
	v_cmp_lt_f32_e64 s3, v0, v5
	v_cndmask_b32_e64 v0, v0, v5, s3
	ds_bpermute_b32 v4, v23, v0
	s_waitcnt lgkmcnt(0)
	v_cmp_lt_f32_e64 s3, v0, v4
	v_cndmask_b32_e64 v24, v0, v4, s3
	v_mov_b32_e32 v0, 0
	s_and_saveexec_b32 s5, s10
	s_cbranch_execz .LBB712_28
; %bb.25:
	global_load_ubyte v0, v[15:16], off
	s_waitcnt vmcnt(0)
	v_and_b32_e32 v0, 1, v0
	v_cmp_eq_u32_e64 s3, 1, v0
	v_mov_b32_e32 v0, 0
	s_xor_b32 s3, s3, -1
	s_and_saveexec_b32 s10, s3
	s_cbranch_execz .LBB712_27
; %bb.26:
	v_sub_f32_e32 v0, v1, v24
	v_mul_f32_e32 v1, 0x3fb8aa3b, v0
	v_cmp_ngt_f32_e64 s3, 0xc2ce8ed0, v0
	v_fma_f32 v4, 0x3fb8aa3b, v0, -v1
	v_rndne_f32_e32 v5, v1
	v_fmamk_f32 v4, v0, 0x32a5705f, v4
	v_sub_f32_e32 v1, v1, v5
	v_add_f32_e32 v1, v1, v4
	v_cvt_i32_f32_e32 v4, v5
	v_exp_f32_e32 v1, v1
	v_ldexp_f32 v1, v1, v4
	v_cndmask_b32_e64 v1, 0, v1, s3
	v_cmp_nlt_f32_e64 s3, 0x42b17218, v0
	v_cndmask_b32_e64 v0, 0x7f800000, v1, s3
.LBB712_27:
	s_or_b32 exec_lo, exec_lo, s10
.LBB712_28:
	s_or_b32 exec_lo, exec_lo, s5
                                        ; implicit-def: $vgpr9_vgpr10_vgpr11_vgpr12
	s_and_saveexec_b32 s3, s4
	s_xor_b32 s3, exec_lo, s3
	s_cbranch_execz .LBB712_34
; %bb.29:
	s_mov_b32 s4, 0
                                        ; implicit-def: $vgpr8
	v_mov_b32_e32 v1, s4
	v_mov_b32_e32 v12, v3
	;; [unrolled: 1-line block ×5, first 2 shown]
	s_or_saveexec_b32 s5, s3
	s_xor_b32 s4, s7, -1
	s_xor_b32 exec_lo, exec_lo, s5
	s_cbranch_execnz .LBB712_35
.LBB712_30:
	s_or_b32 exec_lo, exec_lo, s5
                                        ; implicit-def: $vgpr5_vgpr6_vgpr7_vgpr8
	s_and_saveexec_b32 s3, s4
	s_xor_b32 s3, exec_lo, s3
	s_cbranch_execz .LBB712_38
.LBB712_31:
	s_mov_b32 s4, 0
	v_mov_b32_e32 v11, s4
	v_mov_b32_e32 v5, v9
	;; [unrolled: 1-line block ×5, first 2 shown]
                                        ; implicit-def: $vgpr9_vgpr10_vgpr11_vgpr12
	s_or_saveexec_b32 s5, s3
	s_xor_b32 s4, s6, -1
	s_xor_b32 exec_lo, exec_lo, s5
	s_cbranch_execnz .LBB712_39
.LBB712_32:
	s_or_b32 exec_lo, exec_lo, s5
                                        ; implicit-def: $vgpr1_vgpr2_vgpr3_vgpr4
	s_and_saveexec_b32 s3, s4
	s_xor_b32 s3, exec_lo, s3
	s_cbranch_execz .LBB712_42
.LBB712_33:
	s_mov_b32 s4, 0
                                        ; implicit-def: $vgpr15_vgpr16
                                        ; implicit-def: $vgpr24
	v_mov_b32_e32 v8, s4
	v_mov_b32_e32 v1, v5
	;; [unrolled: 1-line block ×5, first 2 shown]
                                        ; implicit-def: $vgpr5_vgpr6_vgpr7_vgpr8
	s_andn2_saveexec_b32 s4, s3
	s_cbranch_execz .LBB712_46
	s_branch .LBB712_43
.LBB712_34:
	s_or_saveexec_b32 s5, s3
	s_xor_b32 s4, s7, -1
	s_xor_b32 exec_lo, exec_lo, s5
	s_cbranch_execz .LBB712_30
.LBB712_35:
	global_load_ubyte v4, v[15:16], off offset:64
	s_mov_b32 s7, 0
	v_mov_b32_e32 v12, v3
	v_mov_b32_e32 v10, v1
	;; [unrolled: 1-line block ×5, first 2 shown]
	s_waitcnt vmcnt(0)
	v_and_b32_e32 v4, 1, v4
	v_cmp_eq_u32_e64 s3, 1, v4
	s_xor_b32 s3, s3, -1
	s_and_saveexec_b32 s7, s3
	s_xor_b32 s7, exec_lo, s7
	s_cbranch_execz .LBB712_37
; %bb.36:
	v_sub_f32_e32 v1, v8, v24
	v_mul_f32_e32 v4, 0x3fb8aa3b, v1
	v_cmp_ngt_f32_e64 s3, 0xc2ce8ed0, v1
	v_fma_f32 v5, 0x3fb8aa3b, v1, -v4
	v_rndne_f32_e32 v6, v4
	v_fmamk_f32 v5, v1, 0x32a5705f, v5
	v_sub_f32_e32 v4, v4, v6
	v_add_f32_e32 v4, v4, v5
	v_cvt_i32_f32_e32 v5, v6
	v_exp_f32_e32 v4, v4
	v_ldexp_f32 v4, v4, v5
	v_cndmask_b32_e64 v4, 0, v4, s3
	v_cmp_nlt_f32_e64 s3, 0x42b17218, v1
	v_cndmask_b32_e64 v1, 0x7f800000, v4, s3
	v_mov_b32_e32 v12, v3
	v_mov_b32_e32 v11, v2
	;; [unrolled: 1-line block ×3, first 2 shown]
	v_add_f32_e32 v4, v0, v1
	v_mov_b32_e32 v10, v1
	v_mov_b32_e32 v0, v4
.LBB712_37:
	s_andn2_saveexec_b32 s3, s7
	s_or_b32 exec_lo, exec_lo, s3
	s_or_b32 exec_lo, exec_lo, s5
                                        ; implicit-def: $vgpr5_vgpr6_vgpr7_vgpr8
	s_and_saveexec_b32 s3, s4
	s_xor_b32 s3, exec_lo, s3
	s_cbranch_execnz .LBB712_31
.LBB712_38:
	s_or_saveexec_b32 s5, s3
	s_xor_b32 s4, s6, -1
	s_xor_b32 exec_lo, exec_lo, s5
	s_cbranch_execz .LBB712_32
.LBB712_39:
	global_load_ubyte v1, v[15:16], off offset:128
	s_mov_b32 s6, 0
	v_mov_b32_e32 v5, v9
	v_mov_b32_e32 v7, v11
	;; [unrolled: 1-line block ×5, first 2 shown]
	s_waitcnt vmcnt(0)
	v_and_b32_e32 v1, 1, v1
	v_cmp_eq_u32_e64 s3, 1, v1
	s_xor_b32 s3, s3, -1
	s_and_saveexec_b32 s6, s3
	s_xor_b32 s6, exec_lo, s6
	s_cbranch_execz .LBB712_41
; %bb.40:
	v_sub_f32_e32 v1, v11, v24
	v_mul_f32_e32 v2, 0x3fb8aa3b, v1
	v_cmp_ngt_f32_e64 s3, 0xc2ce8ed0, v1
	v_fma_f32 v3, 0x3fb8aa3b, v1, -v2
	v_rndne_f32_e32 v4, v2
	v_fmamk_f32 v3, v1, 0x32a5705f, v3
	v_sub_f32_e32 v2, v2, v4
	v_add_f32_e32 v2, v2, v3
	v_cvt_i32_f32_e32 v3, v4
	v_exp_f32_e32 v2, v2
	v_ldexp_f32 v2, v2, v3
	v_cndmask_b32_e64 v2, 0, v2, s3
	v_cmp_nlt_f32_e64 s3, 0x42b17218, v1
	v_cndmask_b32_e64 v11, 0x7f800000, v2, s3
	v_mov_b32_e32 v5, v9
	v_mov_b32_e32 v6, v10
	v_mov_b32_e32 v8, v12
	v_add_f32_e32 v0, v0, v11
	v_mov_b32_e32 v7, v11
.LBB712_41:
	s_andn2_saveexec_b32 s3, s6
	s_or_b32 exec_lo, exec_lo, s3
	s_or_b32 exec_lo, exec_lo, s5
                                        ; implicit-def: $vgpr1_vgpr2_vgpr3_vgpr4
	s_and_saveexec_b32 s3, s4
	s_xor_b32 s3, exec_lo, s3
	s_cbranch_execnz .LBB712_33
.LBB712_42:
	s_andn2_saveexec_b32 s4, s3
	s_cbranch_execz .LBB712_46
.LBB712_43:
	global_load_ubyte v1, v[15:16], off offset:192
	s_mov_b32 s5, 0
	s_waitcnt vmcnt(0)
	v_and_b32_e32 v1, 1, v1
	v_cmp_eq_u32_e64 s3, 1, v1
	v_mov_b32_e32 v1, v5
	v_mov_b32_e32 v4, v8
	;; [unrolled: 1-line block ×5, first 2 shown]
	s_xor_b32 s3, s3, -1
	s_and_saveexec_b32 s5, s3
	s_xor_b32 s5, exec_lo, s5
	s_cbranch_execz .LBB712_45
; %bb.44:
	v_sub_f32_e32 v1, v8, v24
	v_mul_f32_e32 v2, 0x3fb8aa3b, v1
	v_cmp_ngt_f32_e64 s3, 0xc2ce8ed0, v1
	v_fma_f32 v3, 0x3fb8aa3b, v1, -v2
	v_rndne_f32_e32 v4, v2
	v_fmamk_f32 v3, v1, 0x32a5705f, v3
	v_sub_f32_e32 v2, v2, v4
	v_add_f32_e32 v2, v2, v3
	v_cvt_i32_f32_e32 v3, v4
	v_exp_f32_e32 v2, v2
	v_ldexp_f32 v2, v2, v3
	v_cndmask_b32_e64 v2, 0, v2, s3
	v_cmp_nlt_f32_e64 s3, 0x42b17218, v1
	v_cndmask_b32_e64 v8, 0x7f800000, v2, s3
	v_mov_b32_e32 v1, v5
	v_mov_b32_e32 v2, v6
	;; [unrolled: 1-line block ×3, first 2 shown]
	v_add_f32_e32 v0, v0, v8
	v_mov_b32_e32 v4, v8
.LBB712_45:
	s_andn2_saveexec_b32 s3, s5
	s_or_b32 exec_lo, exec_lo, s3
.LBB712_46:
	s_or_b32 exec_lo, exec_lo, s4
	ds_bpermute_b32 v5, v18, v0
	s_mov_b32 s4, exec_lo
	s_waitcnt lgkmcnt(0)
	v_add_f32_e32 v0, v0, v5
	ds_bpermute_b32 v5, v19, v0
	s_waitcnt lgkmcnt(0)
	v_add_f32_e32 v0, v0, v5
	ds_bpermute_b32 v5, v20, v0
	;; [unrolled: 3-line block ×5, first 2 shown]
	v_cmpx_lt_i32_e32 0, v17
	s_cbranch_execz .LBB712_60
; %bb.47:
	s_and_b32 exec_lo, exec_lo, vcc_lo
	s_cbranch_execz .LBB712_60
; %bb.48:
	s_waitcnt lgkmcnt(0)
	v_add_f32_e32 v5, v0, v5
	v_mov_b32_e32 v6, 0x7fc00000
	v_cmp_neq_f32_e64 s3, 0, v5
	s_and_saveexec_b32 s4, s3
	s_cbranch_execz .LBB712_50
; %bb.49:
	v_div_scale_f32 v0, null, v5, v5, v1
	v_rcp_f32_e32 v6, v0
	v_fma_f32 v7, -v0, v6, 1.0
	v_fmac_f32_e32 v6, v7, v6
	v_div_scale_f32 v7, vcc_lo, v1, v5, v1
	v_mul_f32_e32 v8, v7, v6
	v_fma_f32 v9, -v0, v8, v7
	v_fmac_f32_e32 v8, v9, v6
	v_fma_f32 v0, -v0, v8, v7
	v_div_fmas_f32 v0, v0, v6, v8
	v_div_fixup_f32 v6, v0, v5, v1
.LBB712_50:
	s_or_b32 exec_lo, exec_lo, s4
	v_add_co_u32 v0, vcc_lo, s8, v13
	v_add_co_ci_u32_e64 v1, null, s9, v14, vcc_lo
	global_store_dword v[0:1], v6, off
	s_and_b32 exec_lo, exec_lo, s2
	s_cbranch_execz .LBB712_60
; %bb.51:
	v_mov_b32_e32 v6, 0x7fc00000
	s_and_saveexec_b32 s2, s3
	s_cbranch_execz .LBB712_53
; %bb.52:
	v_div_scale_f32 v6, null, v5, v5, v2
	v_rcp_f32_e32 v7, v6
	v_fma_f32 v8, -v6, v7, 1.0
	v_fmac_f32_e32 v7, v8, v7
	v_div_scale_f32 v8, vcc_lo, v2, v5, v2
	v_mul_f32_e32 v9, v8, v7
	v_fma_f32 v10, -v6, v9, v8
	v_fmac_f32_e32 v9, v10, v7
	v_fma_f32 v6, -v6, v9, v8
	v_div_fmas_f32 v6, v6, v7, v9
	v_div_fixup_f32 v6, v6, v5, v2
.LBB712_53:
	s_or_b32 exec_lo, exec_lo, s2
	global_store_dword v[0:1], v6, off offset:256
	s_and_b32 exec_lo, exec_lo, s1
	s_cbranch_execz .LBB712_60
; %bb.54:
	v_mov_b32_e32 v2, 0x7fc00000
	s_and_saveexec_b32 s1, s3
	s_cbranch_execz .LBB712_56
; %bb.55:
	v_div_scale_f32 v2, null, v5, v5, v3
	v_rcp_f32_e32 v6, v2
	v_fma_f32 v7, -v2, v6, 1.0
	v_fmac_f32_e32 v6, v7, v6
	v_div_scale_f32 v7, vcc_lo, v3, v5, v3
	v_mul_f32_e32 v8, v7, v6
	v_fma_f32 v9, -v2, v8, v7
	v_fmac_f32_e32 v8, v9, v6
	v_fma_f32 v2, -v2, v8, v7
	v_div_fmas_f32 v2, v2, v6, v8
	v_div_fixup_f32 v2, v2, v5, v3
.LBB712_56:
	s_or_b32 exec_lo, exec_lo, s1
	global_store_dword v[0:1], v2, off offset:512
	;; [unrolled: 21-line block ×3, first 2 shown]
.LBB712_60:
	s_endpgm
	.section	.rodata,"a",@progbits
	.p2align	6, 0x0
	.amdhsa_kernel _ZN12_GLOBAL__N_120softmax_warp_forwardIfffLi8ELb0ELb1ELi64EEEvPT0_PKT_iiiPKbib
		.amdhsa_group_segment_fixed_size 0
		.amdhsa_private_segment_fixed_size 0
		.amdhsa_kernarg_size 304
		.amdhsa_user_sgpr_count 6
		.amdhsa_user_sgpr_private_segment_buffer 1
		.amdhsa_user_sgpr_dispatch_ptr 0
		.amdhsa_user_sgpr_queue_ptr 0
		.amdhsa_user_sgpr_kernarg_segment_ptr 1
		.amdhsa_user_sgpr_dispatch_id 0
		.amdhsa_user_sgpr_flat_scratch_init 0
		.amdhsa_user_sgpr_private_segment_size 0
		.amdhsa_wavefront_size32 1
		.amdhsa_uses_dynamic_stack 0
		.amdhsa_system_sgpr_private_segment_wavefront_offset 0
		.amdhsa_system_sgpr_workgroup_id_x 1
		.amdhsa_system_sgpr_workgroup_id_y 0
		.amdhsa_system_sgpr_workgroup_id_z 0
		.amdhsa_system_sgpr_workgroup_info 0
		.amdhsa_system_vgpr_workitem_id 1
		.amdhsa_next_free_vgpr 25
		.amdhsa_next_free_sgpr 16
		.amdhsa_reserve_vcc 1
		.amdhsa_reserve_flat_scratch 0
		.amdhsa_float_round_mode_32 0
		.amdhsa_float_round_mode_16_64 0
		.amdhsa_float_denorm_mode_32 3
		.amdhsa_float_denorm_mode_16_64 3
		.amdhsa_dx10_clamp 1
		.amdhsa_ieee_mode 1
		.amdhsa_fp16_overflow 0
		.amdhsa_workgroup_processor_mode 1
		.amdhsa_memory_ordered 1
		.amdhsa_forward_progress 1
		.amdhsa_shared_vgpr_count 0
		.amdhsa_exception_fp_ieee_invalid_op 0
		.amdhsa_exception_fp_denorm_src 0
		.amdhsa_exception_fp_ieee_div_zero 0
		.amdhsa_exception_fp_ieee_overflow 0
		.amdhsa_exception_fp_ieee_underflow 0
		.amdhsa_exception_fp_ieee_inexact 0
		.amdhsa_exception_int_div_zero 0
	.end_amdhsa_kernel
	.section	.text._ZN12_GLOBAL__N_120softmax_warp_forwardIfffLi8ELb0ELb1ELi64EEEvPT0_PKT_iiiPKbib,"axG",@progbits,_ZN12_GLOBAL__N_120softmax_warp_forwardIfffLi8ELb0ELb1ELi64EEEvPT0_PKT_iiiPKbib,comdat
.Lfunc_end712:
	.size	_ZN12_GLOBAL__N_120softmax_warp_forwardIfffLi8ELb0ELb1ELi64EEEvPT0_PKT_iiiPKbib, .Lfunc_end712-_ZN12_GLOBAL__N_120softmax_warp_forwardIfffLi8ELb0ELb1ELi64EEEvPT0_PKT_iiiPKbib
                                        ; -- End function
	.set _ZN12_GLOBAL__N_120softmax_warp_forwardIfffLi8ELb0ELb1ELi64EEEvPT0_PKT_iiiPKbib.num_vgpr, 25
	.set _ZN12_GLOBAL__N_120softmax_warp_forwardIfffLi8ELb0ELb1ELi64EEEvPT0_PKT_iiiPKbib.num_agpr, 0
	.set _ZN12_GLOBAL__N_120softmax_warp_forwardIfffLi8ELb0ELb1ELi64EEEvPT0_PKT_iiiPKbib.numbered_sgpr, 16
	.set _ZN12_GLOBAL__N_120softmax_warp_forwardIfffLi8ELb0ELb1ELi64EEEvPT0_PKT_iiiPKbib.num_named_barrier, 0
	.set _ZN12_GLOBAL__N_120softmax_warp_forwardIfffLi8ELb0ELb1ELi64EEEvPT0_PKT_iiiPKbib.private_seg_size, 0
	.set _ZN12_GLOBAL__N_120softmax_warp_forwardIfffLi8ELb0ELb1ELi64EEEvPT0_PKT_iiiPKbib.uses_vcc, 1
	.set _ZN12_GLOBAL__N_120softmax_warp_forwardIfffLi8ELb0ELb1ELi64EEEvPT0_PKT_iiiPKbib.uses_flat_scratch, 0
	.set _ZN12_GLOBAL__N_120softmax_warp_forwardIfffLi8ELb0ELb1ELi64EEEvPT0_PKT_iiiPKbib.has_dyn_sized_stack, 0
	.set _ZN12_GLOBAL__N_120softmax_warp_forwardIfffLi8ELb0ELb1ELi64EEEvPT0_PKT_iiiPKbib.has_recursion, 0
	.set _ZN12_GLOBAL__N_120softmax_warp_forwardIfffLi8ELb0ELb1ELi64EEEvPT0_PKT_iiiPKbib.has_indirect_call, 0
	.section	.AMDGPU.csdata,"",@progbits
; Kernel info:
; codeLenInByte = 2732
; TotalNumSgprs: 18
; NumVgprs: 25
; ScratchSize: 0
; MemoryBound: 0
; FloatMode: 240
; IeeeMode: 1
; LDSByteSize: 0 bytes/workgroup (compile time only)
; SGPRBlocks: 0
; VGPRBlocks: 3
; NumSGPRsForWavesPerEU: 18
; NumVGPRsForWavesPerEU: 25
; Occupancy: 16
; WaveLimiterHint : 0
; COMPUTE_PGM_RSRC2:SCRATCH_EN: 0
; COMPUTE_PGM_RSRC2:USER_SGPR: 6
; COMPUTE_PGM_RSRC2:TRAP_HANDLER: 0
; COMPUTE_PGM_RSRC2:TGID_X_EN: 1
; COMPUTE_PGM_RSRC2:TGID_Y_EN: 0
; COMPUTE_PGM_RSRC2:TGID_Z_EN: 0
; COMPUTE_PGM_RSRC2:TIDIG_COMP_CNT: 1
	.section	.text._ZN12_GLOBAL__N_120softmax_warp_forwardIfffLi8ELb0ELb1ELi32EEEvPT0_PKT_iiiPKbib,"axG",@progbits,_ZN12_GLOBAL__N_120softmax_warp_forwardIfffLi8ELb0ELb1ELi32EEEvPT0_PKT_iiiPKbib,comdat
	.globl	_ZN12_GLOBAL__N_120softmax_warp_forwardIfffLi8ELb0ELb1ELi32EEEvPT0_PKT_iiiPKbib ; -- Begin function _ZN12_GLOBAL__N_120softmax_warp_forwardIfffLi8ELb0ELb1ELi32EEEvPT0_PKT_iiiPKbib
	.p2align	8
	.type	_ZN12_GLOBAL__N_120softmax_warp_forwardIfffLi8ELb0ELb1ELi32EEEvPT0_PKT_iiiPKbib,@function
_ZN12_GLOBAL__N_120softmax_warp_forwardIfffLi8ELb0ELb1ELi32EEEvPT0_PKT_iiiPKbib: ; @_ZN12_GLOBAL__N_120softmax_warp_forwardIfffLi8ELb0ELb1ELi32EEEvPT0_PKT_iiiPKbib
; %bb.0:
	s_clause 0x1
	s_load_dword s0, s[4:5], 0x3c
	s_load_dwordx4 s[8:11], s[4:5], 0x10
	s_waitcnt lgkmcnt(0)
	s_lshr_b32 s0, s0, 16
	v_mad_u64_u32 v[1:2], null, s6, s0, v[1:2]
	s_load_dwordx2 s[0:1], s[4:5], 0x28
	v_mul_lo_u32 v4, v1, s9
	v_add_nc_u32_e32 v2, v4, v0
	v_ashrrev_i32_e32 v3, 31, v2
	s_waitcnt lgkmcnt(0)
	s_bitcmp0_b32 s1, 0
	v_mov_b32_e32 v9, v3
	v_mov_b32_e32 v8, v2
	s_cbranch_scc1 .LBB713_2
; %bb.1:
	s_abs_i32 s1, s0
	v_sub_nc_u32_e32 v7, 0, v4
	v_cvt_f32_u32_e32 v5, s1
	s_sub_i32 s2, 0, s1
	v_max_i32_e32 v7, v4, v7
	v_rcp_iflag_f32_e32 v5, v5
	v_xor_b32_e32 v4, s0, v4
	v_ashrrev_i32_e32 v4, 31, v4
	v_mul_f32_e32 v5, 0x4f7ffffe, v5
	v_cvt_u32_f32_e32 v5, v5
	v_mul_lo_u32 v6, s2, v5
	v_mul_hi_u32 v6, v5, v6
	v_add_nc_u32_e32 v5, v5, v6
	v_mul_hi_u32 v5, v7, v5
	v_mul_lo_u32 v6, v5, s1
	v_sub_nc_u32_e32 v6, v7, v6
	v_add_nc_u32_e32 v7, 1, v5
	v_subrev_nc_u32_e32 v8, s1, v6
	v_cmp_le_u32_e32 vcc_lo, s1, v6
	v_cndmask_b32_e32 v5, v5, v7, vcc_lo
	v_cndmask_b32_e32 v6, v6, v8, vcc_lo
	v_add_nc_u32_e32 v7, 1, v5
	v_cmp_le_u32_e32 vcc_lo, s1, v6
	v_cndmask_b32_e32 v5, v5, v7, vcc_lo
	v_xor_b32_e32 v5, v5, v4
	v_sub_nc_u32_e32 v4, v5, v4
	v_mad_u64_u32 v[8:9], null, v4, s9, v[0:1]
	v_ashrrev_i32_e32 v9, 31, v8
.LBB713_2:
	s_load_dwordx4 s[12:15], s[4:5], 0x0
	v_lshlrev_b64 v[24:25], 2, v[2:3]
	v_sub_nc_u32_e32 v28, s8, v1
	v_cmp_gt_i32_e32 vcc_lo, s10, v0
	v_mov_b32_e32 v16, 0xff800000
	v_mov_b32_e32 v1, 0xff800000
	v_cmp_lt_i32_e64 s9, 0, v28
	s_and_b32 s18, s9, vcc_lo
	s_waitcnt lgkmcnt(0)
	v_add_co_u32 v10, s0, s14, v24
	v_add_co_ci_u32_e64 v11, null, s15, v25, s0
	s_and_saveexec_b32 s0, s18
	s_cbranch_execz .LBB713_4
; %bb.3:
	global_load_dword v1, v[10:11], off
.LBB713_4:
	s_or_b32 exec_lo, exec_lo, s0
	v_add_nc_u32_e32 v2, 32, v0
	v_cmp_gt_i32_e64 s8, s10, v2
	s_and_b32 s19, s9, s8
	s_and_saveexec_b32 s0, s19
	s_cbranch_execz .LBB713_6
; %bb.5:
	global_load_dword v16, v[10:11], off offset:128
.LBB713_6:
	s_or_b32 exec_lo, exec_lo, s0
	v_add_nc_u32_e32 v2, 64, v0
	v_mov_b32_e32 v3, 0xff800000
	v_cmp_gt_i32_e64 s7, s10, v2
	v_mov_b32_e32 v2, 0xff800000
	s_and_b32 s17, s9, s7
	s_and_saveexec_b32 s0, s17
	s_cbranch_execz .LBB713_8
; %bb.7:
	global_load_dword v2, v[10:11], off offset:256
.LBB713_8:
	s_or_b32 exec_lo, exec_lo, s0
	v_add_nc_u32_e32 v4, 0x60, v0
	v_cmp_gt_i32_e64 s6, s10, v4
	s_and_b32 s16, s9, s6
	s_and_saveexec_b32 s0, s16
	s_cbranch_execz .LBB713_10
; %bb.9:
	global_load_dword v3, v[10:11], off offset:384
.LBB713_10:
	s_or_b32 exec_lo, exec_lo, s0
	v_add_nc_u32_e32 v4, 0x80, v0
	v_mov_b32_e32 v5, 0xff800000
	v_cmp_gt_i32_e64 s3, s10, v4
	v_mov_b32_e32 v4, 0xff800000
	s_and_b32 s15, s9, s3
	s_and_saveexec_b32 s0, s15
	s_cbranch_execz .LBB713_12
; %bb.11:
	global_load_dword v4, v[10:11], off offset:512
.LBB713_12:
	;; [unrolled: 20-line block ×3, first 2 shown]
	s_or_b32 exec_lo, exec_lo, s0
	v_add_nc_u32_e32 v0, 0xe0, v0
	v_cmp_gt_i32_e64 s0, s10, v0
	s_and_b32 s9, s9, s0
	s_and_saveexec_b32 s10, s9
	s_cbranch_execz .LBB713_18
; %bb.17:
	global_load_dword v7, v[10:11], off offset:896
.LBB713_18:
	s_or_b32 exec_lo, exec_lo, s10
	s_load_dwordx2 s[4:5], s[4:5], 0x20
	s_waitcnt lgkmcnt(0)
	v_add_co_u32 v26, s4, s4, v8
	v_add_co_ci_u32_e64 v27, null, s5, v9, s4
	s_mov_b32 s5, 0
	s_and_saveexec_b32 s10, s18
	s_cbranch_execz .LBB713_32
; %bb.19:
	global_load_ubyte v0, v[26:27], off
	s_waitcnt vmcnt(0)
	v_and_b32_e32 v0, 1, v0
	v_cmp_eq_u32_e64 s4, 1, v0
	s_xor_b32 s4, s4, -1
	s_and_b32 s5, s4, exec_lo
	s_or_b32 exec_lo, exec_lo, s10
	v_mov_b32_e32 v0, v1
	s_and_saveexec_b32 s10, s19
	s_cbranch_execnz .LBB713_33
.LBB713_20:
	s_or_b32 exec_lo, exec_lo, s10
	s_and_saveexec_b32 s10, s17
	s_cbranch_execz .LBB713_36
.LBB713_21:
	global_load_ubyte v8, v[26:27], off offset:64
	s_waitcnt vmcnt(0)
	v_and_b32_e32 v8, 1, v8
	v_cmp_eq_u32_e64 s4, 1, v8
	s_xor_b32 s21, s4, -1
	s_mov_b32 s4, s5
	s_and_saveexec_b32 s20, s21
; %bb.22:
	v_cmp_gt_f32_e64 s4, v0, v2
	s_and_b32 s4, s5, s4
	v_cndmask_b32_e64 v0, v2, v0, s4
	s_or_b32 s4, s5, exec_lo
; %bb.23:
	s_or_b32 exec_lo, exec_lo, s20
	s_andn2_b32 s5, s5, exec_lo
	s_and_b32 s4, s4, exec_lo
	s_or_b32 s5, s5, s4
	s_or_b32 exec_lo, exec_lo, s10
	s_and_saveexec_b32 s10, s16
	s_cbranch_execnz .LBB713_37
.LBB713_24:
	s_or_b32 exec_lo, exec_lo, s10
	s_and_saveexec_b32 s10, s15
	s_cbranch_execz .LBB713_40
.LBB713_25:
	global_load_ubyte v8, v[26:27], off offset:128
	s_waitcnt vmcnt(0)
	v_and_b32_e32 v8, 1, v8
	v_cmp_eq_u32_e64 s4, 1, v8
	s_xor_b32 s21, s4, -1
	s_mov_b32 s4, s5
	s_and_saveexec_b32 s20, s21
; %bb.26:
	v_cmp_gt_f32_e64 s4, v0, v4
	s_and_b32 s4, s5, s4
	v_cndmask_b32_e64 v0, v4, v0, s4
	s_or_b32 s4, s5, exec_lo
; %bb.27:
	s_or_b32 exec_lo, exec_lo, s20
	s_andn2_b32 s5, s5, exec_lo
	s_and_b32 s4, s4, exec_lo
	s_or_b32 s5, s5, s4
	s_or_b32 exec_lo, exec_lo, s10
	s_and_saveexec_b32 s10, s14
	s_cbranch_execnz .LBB713_41
.LBB713_28:
	s_or_b32 exec_lo, exec_lo, s10
	s_and_saveexec_b32 s10, s11
	s_cbranch_execz .LBB713_44
.LBB713_29:
	global_load_ubyte v8, v[26:27], off offset:192
	s_waitcnt vmcnt(0)
	v_and_b32_e32 v8, 1, v8
	v_cmp_eq_u32_e64 s4, 1, v8
	s_xor_b32 s21, s4, -1
	s_mov_b32 s4, s5
	s_and_saveexec_b32 s20, s21
; %bb.30:
	v_cmp_gt_f32_e64 s4, v0, v6
	s_and_b32 s4, s5, s4
	v_cndmask_b32_e64 v0, v6, v0, s4
	s_or_b32 s4, s5, exec_lo
; %bb.31:
	s_or_b32 exec_lo, exec_lo, s20
	s_andn2_b32 s5, s5, exec_lo
	s_and_b32 s4, s4, exec_lo
	s_or_b32 s5, s5, s4
	s_or_b32 exec_lo, exec_lo, s10
	s_and_saveexec_b32 s10, s9
	s_cbranch_execz .LBB713_48
	s_branch .LBB713_45
.LBB713_32:
	s_or_b32 exec_lo, exec_lo, s10
	s_waitcnt vmcnt(0)
	v_mov_b32_e32 v0, v1
	s_and_saveexec_b32 s10, s19
	s_cbranch_execz .LBB713_20
.LBB713_33:
	global_load_ubyte v0, v[26:27], off offset:32
	s_waitcnt vmcnt(0)
	v_and_b32_e32 v0, 1, v0
	v_cmp_eq_u32_e64 s4, 1, v0
	v_mov_b32_e32 v0, v1
	s_xor_b32 s21, s4, -1
	s_mov_b32 s4, s5
	s_and_saveexec_b32 s20, s21
; %bb.34:
	v_cmp_gt_f32_e64 s4, v1, v16
	s_and_b32 s4, s5, s4
	v_cndmask_b32_e64 v0, v16, v1, s4
	s_or_b32 s4, s5, exec_lo
; %bb.35:
	s_or_b32 exec_lo, exec_lo, s20
	s_andn2_b32 s5, s5, exec_lo
	s_and_b32 s4, s4, exec_lo
	s_or_b32 s5, s5, s4
	s_or_b32 exec_lo, exec_lo, s10
	s_and_saveexec_b32 s10, s17
	s_cbranch_execnz .LBB713_21
.LBB713_36:
	s_or_b32 exec_lo, exec_lo, s10
	s_and_saveexec_b32 s10, s16
	s_cbranch_execz .LBB713_24
.LBB713_37:
	global_load_ubyte v8, v[26:27], off offset:96
	s_waitcnt vmcnt(0)
	v_and_b32_e32 v8, 1, v8
	v_cmp_eq_u32_e64 s4, 1, v8
	s_xor_b32 s21, s4, -1
	s_mov_b32 s4, s5
	s_and_saveexec_b32 s20, s21
; %bb.38:
	v_cmp_gt_f32_e64 s4, v0, v3
	s_and_b32 s4, s5, s4
	v_cndmask_b32_e64 v0, v3, v0, s4
	s_or_b32 s4, s5, exec_lo
; %bb.39:
	s_or_b32 exec_lo, exec_lo, s20
	s_andn2_b32 s5, s5, exec_lo
	s_and_b32 s4, s4, exec_lo
	s_or_b32 s5, s5, s4
	s_or_b32 exec_lo, exec_lo, s10
	s_and_saveexec_b32 s10, s15
	s_cbranch_execnz .LBB713_25
.LBB713_40:
	s_or_b32 exec_lo, exec_lo, s10
	s_and_saveexec_b32 s10, s14
	s_cbranch_execz .LBB713_28
.LBB713_41:
	global_load_ubyte v8, v[26:27], off offset:160
	s_waitcnt vmcnt(0)
	v_and_b32_e32 v8, 1, v8
	v_cmp_eq_u32_e64 s4, 1, v8
	s_xor_b32 s21, s4, -1
	s_mov_b32 s4, s5
	s_and_saveexec_b32 s20, s21
; %bb.42:
	v_cmp_gt_f32_e64 s4, v0, v5
	s_and_b32 s4, s5, s4
	v_cndmask_b32_e64 v0, v5, v0, s4
	s_or_b32 s4, s5, exec_lo
; %bb.43:
	s_or_b32 exec_lo, exec_lo, s20
	s_andn2_b32 s5, s5, exec_lo
	s_and_b32 s4, s4, exec_lo
	s_or_b32 s5, s5, s4
	s_or_b32 exec_lo, exec_lo, s10
	s_and_saveexec_b32 s10, s11
	s_cbranch_execnz .LBB713_29
.LBB713_44:
	s_or_b32 exec_lo, exec_lo, s10
	s_and_saveexec_b32 s10, s9
	s_cbranch_execz .LBB713_48
.LBB713_45:
	global_load_ubyte v8, v[26:27], off offset:224
	s_waitcnt vmcnt(0)
	v_and_b32_e32 v8, 1, v8
	v_cmp_eq_u32_e64 s4, 1, v8
	s_xor_b32 s21, s4, -1
	s_mov_b32 s4, s5
	s_and_saveexec_b32 s20, s21
; %bb.46:
	v_cmp_gt_f32_e64 s4, v0, v7
	s_and_b32 s4, s5, s4
	v_cndmask_b32_e64 v0, v7, v0, s4
	s_or_b32 s4, s5, exec_lo
; %bb.47:
	s_or_b32 exec_lo, exec_lo, s20
	s_andn2_b32 s5, s5, exec_lo
	s_and_b32 s4, s4, exec_lo
	s_or_b32 s5, s5, s4
.LBB713_48:
	s_or_b32 exec_lo, exec_lo, s10
	v_mbcnt_lo_u32_b32 v8, -1, 0
	v_cndmask_b32_e64 v0, 0xff800000, v0, s5
	s_xor_b32 s5, s19, -1
	v_xor_b32_e32 v9, 16, v8
	v_xor_b32_e32 v10, 8, v8
	v_cmp_gt_i32_e64 s4, 32, v9
	v_cndmask_b32_e64 v9, v8, v9, s4
	v_cmp_gt_i32_e64 s4, 32, v10
	v_lshlrev_b32_e32 v29, 2, v9
	v_cndmask_b32_e64 v10, v8, v10, s4
	ds_bpermute_b32 v9, v29, v0
	v_lshlrev_b32_e32 v30, 2, v10
	v_xor_b32_e32 v10, 4, v8
	s_waitcnt lgkmcnt(0)
	v_cmp_lt_f32_e64 s4, v0, v9
	v_cndmask_b32_e64 v0, v0, v9, s4
	v_cmp_gt_i32_e64 s4, 32, v10
	ds_bpermute_b32 v9, v30, v0
	v_cndmask_b32_e64 v10, v8, v10, s4
	v_lshlrev_b32_e32 v31, 2, v10
	v_xor_b32_e32 v10, 2, v8
	s_waitcnt lgkmcnt(0)
	v_cmp_lt_f32_e64 s4, v0, v9
	v_cndmask_b32_e64 v0, v0, v9, s4
	v_cmp_gt_i32_e64 s4, 32, v10
	ds_bpermute_b32 v9, v31, v0
	v_cndmask_b32_e64 v10, v8, v10, s4
	;; [unrolled: 8-line block ×3, first 2 shown]
	v_lshlrev_b32_e32 v33, 2, v8
	s_waitcnt lgkmcnt(0)
	v_cmp_lt_f32_e64 s4, v0, v9
	v_cndmask_b32_e64 v0, v0, v9, s4
	ds_bpermute_b32 v8, v33, v0
	s_waitcnt lgkmcnt(0)
	v_cmp_lt_f32_e64 s4, v0, v8
	v_cndmask_b32_e64 v34, v0, v8, s4
	v_mov_b32_e32 v0, 0
	s_and_saveexec_b32 s10, s18
	s_cbranch_execz .LBB713_52
; %bb.49:
	global_load_ubyte v0, v[26:27], off
	s_waitcnt vmcnt(0)
	v_and_b32_e32 v0, 1, v0
	v_cmp_eq_u32_e64 s4, 1, v0
	v_mov_b32_e32 v0, 0
	s_xor_b32 s4, s4, -1
	s_and_saveexec_b32 s18, s4
	s_cbranch_execz .LBB713_51
; %bb.50:
	v_sub_f32_e32 v0, v1, v34
	v_mul_f32_e32 v1, 0x3fb8aa3b, v0
	v_cmp_ngt_f32_e64 s4, 0xc2ce8ed0, v0
	v_fma_f32 v8, 0x3fb8aa3b, v0, -v1
	v_rndne_f32_e32 v9, v1
	v_fmamk_f32 v8, v0, 0x32a5705f, v8
	v_sub_f32_e32 v1, v1, v9
	v_add_f32_e32 v1, v1, v8
	v_cvt_i32_f32_e32 v8, v9
	v_exp_f32_e32 v1, v1
	v_ldexp_f32 v1, v1, v8
	v_cndmask_b32_e64 v1, 0, v1, s4
	v_cmp_nlt_f32_e64 s4, 0x42b17218, v0
	v_cndmask_b32_e64 v0, 0x7f800000, v1, s4
.LBB713_51:
	s_or_b32 exec_lo, exec_lo, s18
.LBB713_52:
	s_or_b32 exec_lo, exec_lo, s10
                                        ; implicit-def: $vgpr8_vgpr9_vgpr10_vgpr11_vgpr12_vgpr13_vgpr14_vgpr15
	s_and_saveexec_b32 s4, s5
	s_xor_b32 s4, exec_lo, s4
	s_cbranch_execz .LBB713_66
; %bb.53:
	s_mov_b32 s5, 0
                                        ; implicit-def: $vgpr16
	v_mov_b32_e32 v1, s5
	v_mov_b32_e32 v15, v7
	;; [unrolled: 1-line block ×9, first 2 shown]
	s_or_saveexec_b32 s10, s4
	s_xor_b32 s5, s17, -1
	s_xor_b32 exec_lo, exec_lo, s10
	s_cbranch_execnz .LBB713_67
.LBB713_54:
	s_or_b32 exec_lo, exec_lo, s10
                                        ; implicit-def: $vgpr16_vgpr17_vgpr18_vgpr19_vgpr20_vgpr21_vgpr22_vgpr23
	s_and_saveexec_b32 s4, s5
	s_xor_b32 s4, exec_lo, s4
	s_cbranch_execz .LBB713_70
.LBB713_55:
	s_mov_b32 s5, 0
	v_mov_b32_e32 v10, s5
	v_mov_b32_e32 v23, v15
	v_mov_b32_e32 v22, v14
	v_mov_b32_e32 v21, v13
	v_mov_b32_e32 v20, v12
	v_mov_b32_e32 v19, v11
	v_mov_b32_e32 v18, v10
	v_mov_b32_e32 v17, v9
	v_mov_b32_e32 v16, v8
                                        ; implicit-def: $vgpr8_vgpr9_vgpr10_vgpr11_vgpr12_vgpr13_vgpr14_vgpr15
	s_or_saveexec_b32 s10, s4
	s_xor_b32 s5, s16, -1
	s_xor_b32 exec_lo, exec_lo, s10
	s_cbranch_execnz .LBB713_71
.LBB713_56:
	s_or_b32 exec_lo, exec_lo, s10
                                        ; implicit-def: $vgpr1_vgpr2_vgpr3_vgpr4_vgpr5_vgpr6_vgpr7_vgpr8
	s_and_saveexec_b32 s4, s5
	s_xor_b32 s4, exec_lo, s4
	s_cbranch_execz .LBB713_74
.LBB713_57:
	s_mov_b32 s5, 0
	v_mov_b32_e32 v19, s5
	v_mov_b32_e32 v1, v16
	;; [unrolled: 1-line block ×9, first 2 shown]
                                        ; implicit-def: $vgpr16_vgpr17_vgpr18_vgpr19_vgpr20_vgpr21_vgpr22_vgpr23
	s_or_saveexec_b32 s10, s4
	s_xor_b32 s5, s15, -1
	s_xor_b32 exec_lo, exec_lo, s10
	s_cbranch_execnz .LBB713_75
.LBB713_58:
	s_or_b32 exec_lo, exec_lo, s10
                                        ; implicit-def: $vgpr9_vgpr10_vgpr11_vgpr12_vgpr13_vgpr14_vgpr15_vgpr16
	s_and_saveexec_b32 s4, s5
	s_xor_b32 s4, exec_lo, s4
	s_cbranch_execz .LBB713_78
.LBB713_59:
	s_mov_b32 s5, 0
	v_mov_b32_e32 v5, s5
	v_mov_b32_e32 v16, v8
	;; [unrolled: 1-line block ×9, first 2 shown]
                                        ; implicit-def: $vgpr1_vgpr2_vgpr3_vgpr4_vgpr5_vgpr6_vgpr7_vgpr8
	s_or_saveexec_b32 s10, s4
	s_xor_b32 s5, s14, -1
	s_xor_b32 exec_lo, exec_lo, s10
	s_cbranch_execnz .LBB713_79
.LBB713_60:
	s_or_b32 exec_lo, exec_lo, s10
                                        ; implicit-def: $vgpr1_vgpr2_vgpr3_vgpr4_vgpr5_vgpr6_vgpr7_vgpr8
	s_and_saveexec_b32 s4, s5
	s_xor_b32 s4, exec_lo, s4
	s_cbranch_execz .LBB713_82
.LBB713_61:
	s_mov_b32 s5, 0
	v_mov_b32_e32 v14, s5
	v_mov_b32_e32 v1, v9
	v_mov_b32_e32 v2, v10
	v_mov_b32_e32 v3, v11
	v_mov_b32_e32 v4, v12
	v_mov_b32_e32 v5, v13
	v_mov_b32_e32 v6, v14
	v_mov_b32_e32 v7, v15
	v_mov_b32_e32 v8, v16
                                        ; implicit-def: $vgpr9_vgpr10_vgpr11_vgpr12_vgpr13_vgpr14_vgpr15_vgpr16
	s_or_saveexec_b32 s10, s4
	s_xor_b32 s5, s11, -1
	s_xor_b32 exec_lo, exec_lo, s10
	s_cbranch_execnz .LBB713_83
.LBB713_62:
	s_or_b32 exec_lo, exec_lo, s10
                                        ; implicit-def: $vgpr9_vgpr10_vgpr11_vgpr12_vgpr13_vgpr14_vgpr15_vgpr16
	s_and_saveexec_b32 s4, s5
	s_xor_b32 s4, exec_lo, s4
	s_cbranch_execz .LBB713_86
.LBB713_63:
	s_mov_b32 s5, 0
	v_mov_b32_e32 v7, s5
	v_mov_b32_e32 v16, v8
	;; [unrolled: 1-line block ×9, first 2 shown]
                                        ; implicit-def: $vgpr1_vgpr2_vgpr3_vgpr4_vgpr5_vgpr6_vgpr7_vgpr8
	s_or_saveexec_b32 s10, s4
	s_xor_b32 s5, s9, -1
	s_xor_b32 exec_lo, exec_lo, s10
	s_cbranch_execnz .LBB713_87
.LBB713_64:
	s_or_b32 exec_lo, exec_lo, s10
                                        ; implicit-def: $vgpr1_vgpr2_vgpr3_vgpr4_vgpr5_vgpr6_vgpr7_vgpr8
	s_and_saveexec_b32 s4, s5
	s_xor_b32 s4, exec_lo, s4
	s_cbranch_execz .LBB713_90
.LBB713_65:
	s_mov_b32 s5, 0
                                        ; implicit-def: $vgpr26_vgpr27
                                        ; implicit-def: $vgpr34
	v_mov_b32_e32 v16, s5
	v_mov_b32_e32 v1, v9
	;; [unrolled: 1-line block ×9, first 2 shown]
                                        ; implicit-def: $vgpr9_vgpr10_vgpr11_vgpr12_vgpr13_vgpr14_vgpr15_vgpr16
	s_andn2_saveexec_b32 s5, s4
	s_cbranch_execz .LBB713_94
	s_branch .LBB713_91
.LBB713_66:
	s_or_saveexec_b32 s10, s4
	s_xor_b32 s5, s17, -1
	s_xor_b32 exec_lo, exec_lo, s10
	s_cbranch_execz .LBB713_54
.LBB713_67:
	global_load_ubyte v8, v[26:27], off offset:32
	s_mov_b32 s17, 0
	s_waitcnt vmcnt(0)
	v_and_b32_e32 v8, 1, v8
	v_cmp_eq_u32_e64 s4, 1, v8
	v_mov_b32_e32 v15, v7
	v_mov_b32_e32 v9, v1
	;; [unrolled: 1-line block ×9, first 2 shown]
	s_xor_b32 s4, s4, -1
	s_and_saveexec_b32 s17, s4
	s_xor_b32 s17, exec_lo, s17
	s_cbranch_execz .LBB713_69
; %bb.68:
	v_sub_f32_e32 v1, v16, v34
	v_mul_f32_e32 v8, 0x3fb8aa3b, v1
	v_cmp_ngt_f32_e64 s4, 0xc2ce8ed0, v1
	v_fma_f32 v9, 0x3fb8aa3b, v1, -v8
	v_rndne_f32_e32 v10, v8
	v_fmamk_f32 v9, v1, 0x32a5705f, v9
	v_sub_f32_e32 v8, v8, v10
	v_add_f32_e32 v8, v8, v9
	v_cvt_i32_f32_e32 v9, v10
	v_exp_f32_e32 v8, v8
	v_ldexp_f32 v8, v8, v9
	v_cndmask_b32_e64 v8, 0, v8, s4
	v_cmp_nlt_f32_e64 s4, 0x42b17218, v1
	v_cndmask_b32_e64 v1, 0x7f800000, v8, s4
	v_mov_b32_e32 v15, v7
	v_mov_b32_e32 v14, v6
	;; [unrolled: 1-line block ×4, first 2 shown]
	v_add_f32_e32 v16, v0, v1
	v_mov_b32_e32 v11, v3
	v_mov_b32_e32 v10, v2
	;; [unrolled: 1-line block ×5, first 2 shown]
.LBB713_69:
	s_andn2_saveexec_b32 s4, s17
	s_or_b32 exec_lo, exec_lo, s4
	s_or_b32 exec_lo, exec_lo, s10
                                        ; implicit-def: $vgpr16_vgpr17_vgpr18_vgpr19_vgpr20_vgpr21_vgpr22_vgpr23
	s_and_saveexec_b32 s4, s5
	s_xor_b32 s4, exec_lo, s4
	s_cbranch_execnz .LBB713_55
.LBB713_70:
	s_or_saveexec_b32 s10, s4
	s_xor_b32 s5, s16, -1
	s_xor_b32 exec_lo, exec_lo, s10
	s_cbranch_execz .LBB713_56
.LBB713_71:
	global_load_ubyte v1, v[26:27], off offset:64
	s_mov_b32 s16, 0
	v_mov_b32_e32 v23, v15
	v_mov_b32_e32 v18, v10
	;; [unrolled: 1-line block ×9, first 2 shown]
	s_waitcnt vmcnt(0)
	v_and_b32_e32 v1, 1, v1
	v_cmp_eq_u32_e64 s4, 1, v1
	s_xor_b32 s4, s4, -1
	s_and_saveexec_b32 s16, s4
	s_xor_b32 s16, exec_lo, s16
	s_cbranch_execz .LBB713_73
; %bb.72:
	v_sub_f32_e32 v1, v10, v34
	v_mul_f32_e32 v2, 0x3fb8aa3b, v1
	v_cmp_ngt_f32_e64 s4, 0xc2ce8ed0, v1
	v_fma_f32 v3, 0x3fb8aa3b, v1, -v2
	v_rndne_f32_e32 v4, v2
	v_fmamk_f32 v3, v1, 0x32a5705f, v3
	v_sub_f32_e32 v2, v2, v4
	v_add_f32_e32 v2, v2, v3
	v_cvt_i32_f32_e32 v3, v4
	v_exp_f32_e32 v2, v2
	v_ldexp_f32 v2, v2, v3
	v_cndmask_b32_e64 v2, 0, v2, s4
	v_cmp_nlt_f32_e64 s4, 0x42b17218, v1
	v_cndmask_b32_e64 v10, 0x7f800000, v2, s4
	v_mov_b32_e32 v23, v15
	v_mov_b32_e32 v22, v14
	;; [unrolled: 1-line block ×4, first 2 shown]
	v_add_f32_e32 v0, v0, v10
	v_mov_b32_e32 v19, v11
	v_mov_b32_e32 v18, v10
	v_mov_b32_e32 v17, v9
	v_mov_b32_e32 v16, v8
.LBB713_73:
	s_andn2_saveexec_b32 s4, s16
	s_or_b32 exec_lo, exec_lo, s4
	s_or_b32 exec_lo, exec_lo, s10
                                        ; implicit-def: $vgpr1_vgpr2_vgpr3_vgpr4_vgpr5_vgpr6_vgpr7_vgpr8
	s_and_saveexec_b32 s4, s5
	s_xor_b32 s4, exec_lo, s4
	s_cbranch_execnz .LBB713_57
.LBB713_74:
	s_or_saveexec_b32 s10, s4
	s_xor_b32 s5, s15, -1
	s_xor_b32 exec_lo, exec_lo, s10
	s_cbranch_execz .LBB713_58
.LBB713_75:
	global_load_ubyte v1, v[26:27], off offset:96
	s_mov_b32 s15, 0
	s_waitcnt vmcnt(0)
	v_and_b32_e32 v1, 1, v1
	v_cmp_eq_u32_e64 s4, 1, v1
	v_mov_b32_e32 v1, v16
	v_mov_b32_e32 v4, v19
	;; [unrolled: 1-line block ×9, first 2 shown]
	s_xor_b32 s4, s4, -1
	s_and_saveexec_b32 s15, s4
	s_xor_b32 s15, exec_lo, s15
	s_cbranch_execz .LBB713_77
; %bb.76:
	v_sub_f32_e32 v1, v19, v34
	v_mul_f32_e32 v2, 0x3fb8aa3b, v1
	v_cmp_ngt_f32_e64 s4, 0xc2ce8ed0, v1
	v_fma_f32 v3, 0x3fb8aa3b, v1, -v2
	v_rndne_f32_e32 v4, v2
	v_fmamk_f32 v3, v1, 0x32a5705f, v3
	v_sub_f32_e32 v2, v2, v4
	v_add_f32_e32 v2, v2, v3
	v_cvt_i32_f32_e32 v3, v4
	v_exp_f32_e32 v2, v2
	v_ldexp_f32 v2, v2, v3
	v_cndmask_b32_e64 v2, 0, v2, s4
	v_cmp_nlt_f32_e64 s4, 0x42b17218, v1
	v_cndmask_b32_e64 v19, 0x7f800000, v2, s4
	v_mov_b32_e32 v1, v16
	v_mov_b32_e32 v2, v17
	;; [unrolled: 1-line block ×4, first 2 shown]
	v_add_f32_e32 v0, v0, v19
	v_mov_b32_e32 v4, v19
	v_mov_b32_e32 v6, v21
	v_mov_b32_e32 v7, v22
	v_mov_b32_e32 v8, v23
.LBB713_77:
	s_andn2_saveexec_b32 s4, s15
	s_or_b32 exec_lo, exec_lo, s4
	s_or_b32 exec_lo, exec_lo, s10
                                        ; implicit-def: $vgpr9_vgpr10_vgpr11_vgpr12_vgpr13_vgpr14_vgpr15_vgpr16
	s_and_saveexec_b32 s4, s5
	s_xor_b32 s4, exec_lo, s4
	s_cbranch_execnz .LBB713_59
.LBB713_78:
	s_or_saveexec_b32 s10, s4
	s_xor_b32 s5, s14, -1
	s_xor_b32 exec_lo, exec_lo, s10
	s_cbranch_execz .LBB713_60
.LBB713_79:
	global_load_ubyte v9, v[26:27], off offset:128
	s_mov_b32 s14, 0
	s_waitcnt vmcnt(0)
	v_and_b32_e32 v9, 1, v9
	v_cmp_eq_u32_e64 s4, 1, v9
	v_mov_b32_e32 v16, v8
	v_mov_b32_e32 v13, v5
	;; [unrolled: 1-line block ×9, first 2 shown]
	s_xor_b32 s4, s4, -1
	s_and_saveexec_b32 s14, s4
	s_xor_b32 s14, exec_lo, s14
	s_cbranch_execz .LBB713_81
; %bb.80:
	v_sub_f32_e32 v5, v5, v34
	v_mul_f32_e32 v9, 0x3fb8aa3b, v5
	v_cmp_ngt_f32_e64 s4, 0xc2ce8ed0, v5
	v_fma_f32 v10, 0x3fb8aa3b, v5, -v9
	v_rndne_f32_e32 v11, v9
	v_fmamk_f32 v10, v5, 0x32a5705f, v10
	v_sub_f32_e32 v9, v9, v11
	v_add_f32_e32 v9, v9, v10
	v_cvt_i32_f32_e32 v10, v11
	v_exp_f32_e32 v9, v9
	v_ldexp_f32 v9, v9, v10
	v_cndmask_b32_e64 v9, 0, v9, s4
	v_cmp_nlt_f32_e64 s4, 0x42b17218, v5
	v_cndmask_b32_e64 v5, 0x7f800000, v9, s4
	v_mov_b32_e32 v16, v8
	v_mov_b32_e32 v15, v7
	;; [unrolled: 1-line block ×4, first 2 shown]
	v_add_f32_e32 v0, v0, v5
	v_mov_b32_e32 v13, v5
	v_mov_b32_e32 v11, v3
	;; [unrolled: 1-line block ×4, first 2 shown]
.LBB713_81:
	s_andn2_saveexec_b32 s4, s14
	s_or_b32 exec_lo, exec_lo, s4
	s_or_b32 exec_lo, exec_lo, s10
                                        ; implicit-def: $vgpr1_vgpr2_vgpr3_vgpr4_vgpr5_vgpr6_vgpr7_vgpr8
	s_and_saveexec_b32 s4, s5
	s_xor_b32 s4, exec_lo, s4
	s_cbranch_execnz .LBB713_61
.LBB713_82:
	s_or_saveexec_b32 s10, s4
	s_xor_b32 s5, s11, -1
	s_xor_b32 exec_lo, exec_lo, s10
	s_cbranch_execz .LBB713_62
.LBB713_83:
	global_load_ubyte v1, v[26:27], off offset:160
	s_mov_b32 s11, 0
	s_waitcnt vmcnt(0)
	v_and_b32_e32 v1, 1, v1
	v_cmp_eq_u32_e64 s4, 1, v1
	v_mov_b32_e32 v1, v9
	v_mov_b32_e32 v6, v14
	;; [unrolled: 1-line block ×9, first 2 shown]
	s_xor_b32 s4, s4, -1
	s_and_saveexec_b32 s11, s4
	s_xor_b32 s11, exec_lo, s11
	s_cbranch_execz .LBB713_85
; %bb.84:
	v_sub_f32_e32 v1, v14, v34
	v_mul_f32_e32 v2, 0x3fb8aa3b, v1
	v_cmp_ngt_f32_e64 s4, 0xc2ce8ed0, v1
	v_fma_f32 v3, 0x3fb8aa3b, v1, -v2
	v_rndne_f32_e32 v4, v2
	v_fmamk_f32 v3, v1, 0x32a5705f, v3
	v_sub_f32_e32 v2, v2, v4
	v_add_f32_e32 v2, v2, v3
	v_cvt_i32_f32_e32 v3, v4
	v_exp_f32_e32 v2, v2
	v_ldexp_f32 v2, v2, v3
	v_cndmask_b32_e64 v2, 0, v2, s4
	v_cmp_nlt_f32_e64 s4, 0x42b17218, v1
	v_cndmask_b32_e64 v14, 0x7f800000, v2, s4
	v_mov_b32_e32 v1, v9
	v_mov_b32_e32 v2, v10
	;; [unrolled: 1-line block ×4, first 2 shown]
	v_add_f32_e32 v0, v0, v14
	v_mov_b32_e32 v5, v13
	v_mov_b32_e32 v6, v14
	v_mov_b32_e32 v7, v15
	v_mov_b32_e32 v8, v16
.LBB713_85:
	s_andn2_saveexec_b32 s4, s11
	s_or_b32 exec_lo, exec_lo, s4
	s_or_b32 exec_lo, exec_lo, s10
                                        ; implicit-def: $vgpr9_vgpr10_vgpr11_vgpr12_vgpr13_vgpr14_vgpr15_vgpr16
	s_and_saveexec_b32 s4, s5
	s_xor_b32 s4, exec_lo, s4
	s_cbranch_execnz .LBB713_63
.LBB713_86:
	s_or_saveexec_b32 s10, s4
	s_xor_b32 s5, s9, -1
	s_xor_b32 exec_lo, exec_lo, s10
	s_cbranch_execz .LBB713_64
.LBB713_87:
	global_load_ubyte v9, v[26:27], off offset:192
	s_mov_b32 s9, 0
	s_waitcnt vmcnt(0)
	v_and_b32_e32 v9, 1, v9
	v_cmp_eq_u32_e64 s4, 1, v9
	v_mov_b32_e32 v16, v8
	v_mov_b32_e32 v15, v7
	;; [unrolled: 1-line block ×9, first 2 shown]
	s_xor_b32 s4, s4, -1
	s_and_saveexec_b32 s9, s4
	s_xor_b32 s9, exec_lo, s9
	s_cbranch_execz .LBB713_89
; %bb.88:
	v_sub_f32_e32 v7, v7, v34
	v_mul_f32_e32 v9, 0x3fb8aa3b, v7
	v_cmp_ngt_f32_e64 s4, 0xc2ce8ed0, v7
	v_fma_f32 v10, 0x3fb8aa3b, v7, -v9
	v_rndne_f32_e32 v11, v9
	v_fmamk_f32 v10, v7, 0x32a5705f, v10
	v_sub_f32_e32 v9, v9, v11
	v_add_f32_e32 v9, v9, v10
	v_cvt_i32_f32_e32 v10, v11
	v_exp_f32_e32 v9, v9
	v_ldexp_f32 v9, v9, v10
	v_cndmask_b32_e64 v9, 0, v9, s4
	v_cmp_nlt_f32_e64 s4, 0x42b17218, v7
	v_cndmask_b32_e64 v7, 0x7f800000, v9, s4
	v_mov_b32_e32 v16, v8
	v_mov_b32_e32 v14, v6
	;; [unrolled: 1-line block ×4, first 2 shown]
	v_add_f32_e32 v0, v0, v7
	v_mov_b32_e32 v15, v7
	v_mov_b32_e32 v11, v3
	;; [unrolled: 1-line block ×4, first 2 shown]
.LBB713_89:
	s_andn2_saveexec_b32 s4, s9
	s_or_b32 exec_lo, exec_lo, s4
	s_or_b32 exec_lo, exec_lo, s10
                                        ; implicit-def: $vgpr1_vgpr2_vgpr3_vgpr4_vgpr5_vgpr6_vgpr7_vgpr8
	s_and_saveexec_b32 s4, s5
	s_xor_b32 s4, exec_lo, s4
	s_cbranch_execnz .LBB713_65
.LBB713_90:
	s_andn2_saveexec_b32 s5, s4
	s_cbranch_execz .LBB713_94
.LBB713_91:
	global_load_ubyte v1, v[26:27], off offset:224
	s_mov_b32 s9, 0
	s_waitcnt vmcnt(0)
	v_and_b32_e32 v1, 1, v1
	v_cmp_eq_u32_e64 s4, 1, v1
	v_mov_b32_e32 v1, v9
	v_mov_b32_e32 v8, v16
	;; [unrolled: 1-line block ×9, first 2 shown]
	s_xor_b32 s4, s4, -1
	s_and_saveexec_b32 s9, s4
	s_xor_b32 s9, exec_lo, s9
	s_cbranch_execz .LBB713_93
; %bb.92:
	v_sub_f32_e32 v1, v16, v34
	v_mul_f32_e32 v2, 0x3fb8aa3b, v1
	v_cmp_ngt_f32_e64 s4, 0xc2ce8ed0, v1
	v_fma_f32 v3, 0x3fb8aa3b, v1, -v2
	v_rndne_f32_e32 v4, v2
	v_fmamk_f32 v3, v1, 0x32a5705f, v3
	v_sub_f32_e32 v2, v2, v4
	v_add_f32_e32 v2, v2, v3
	v_cvt_i32_f32_e32 v3, v4
	v_exp_f32_e32 v2, v2
	v_ldexp_f32 v2, v2, v3
	v_cndmask_b32_e64 v2, 0, v2, s4
	v_cmp_nlt_f32_e64 s4, 0x42b17218, v1
	v_cndmask_b32_e64 v16, 0x7f800000, v2, s4
	v_mov_b32_e32 v1, v9
	v_mov_b32_e32 v2, v10
	;; [unrolled: 1-line block ×4, first 2 shown]
	v_add_f32_e32 v0, v0, v16
	v_mov_b32_e32 v5, v13
	v_mov_b32_e32 v6, v14
	;; [unrolled: 1-line block ×4, first 2 shown]
.LBB713_93:
	s_andn2_saveexec_b32 s4, s9
	s_or_b32 exec_lo, exec_lo, s4
.LBB713_94:
	s_or_b32 exec_lo, exec_lo, s5
	ds_bpermute_b32 v9, v29, v0
	s_mov_b32 s5, exec_lo
	s_waitcnt lgkmcnt(0)
	v_add_f32_e32 v0, v0, v9
	ds_bpermute_b32 v9, v30, v0
	s_waitcnt lgkmcnt(0)
	v_add_f32_e32 v0, v0, v9
	ds_bpermute_b32 v9, v31, v0
	;; [unrolled: 3-line block ×4, first 2 shown]
	v_cmpx_lt_i32_e32 0, v28
	s_cbranch_execz .LBB713_120
; %bb.95:
	s_and_b32 exec_lo, exec_lo, vcc_lo
	s_cbranch_execz .LBB713_120
; %bb.96:
	s_waitcnt lgkmcnt(0)
	v_add_f32_e32 v9, v0, v9
	v_mov_b32_e32 v10, 0x7fc00000
	v_cmp_neq_f32_e64 s4, 0, v9
	s_and_saveexec_b32 s5, s4
	s_cbranch_execz .LBB713_98
; %bb.97:
	v_div_scale_f32 v0, null, v9, v9, v1
	v_rcp_f32_e32 v10, v0
	v_fma_f32 v11, -v0, v10, 1.0
	v_fmac_f32_e32 v10, v11, v10
	v_div_scale_f32 v11, vcc_lo, v1, v9, v1
	v_mul_f32_e32 v12, v11, v10
	v_fma_f32 v13, -v0, v12, v11
	v_fmac_f32_e32 v12, v13, v10
	v_fma_f32 v0, -v0, v12, v11
	v_div_fmas_f32 v0, v0, v10, v12
	v_div_fixup_f32 v10, v0, v9, v1
.LBB713_98:
	s_or_b32 exec_lo, exec_lo, s5
	v_add_co_u32 v0, vcc_lo, s12, v24
	v_add_co_ci_u32_e64 v1, null, s13, v25, vcc_lo
	global_store_dword v[0:1], v10, off
	s_and_b32 exec_lo, exec_lo, s8
	s_cbranch_execz .LBB713_120
; %bb.99:
	v_mov_b32_e32 v10, 0x7fc00000
	s_and_saveexec_b32 s5, s4
	s_cbranch_execz .LBB713_101
; %bb.100:
	v_div_scale_f32 v10, null, v9, v9, v2
	v_rcp_f32_e32 v11, v10
	v_fma_f32 v12, -v10, v11, 1.0
	v_fmac_f32_e32 v11, v12, v11
	v_div_scale_f32 v12, vcc_lo, v2, v9, v2
	v_mul_f32_e32 v13, v12, v11
	v_fma_f32 v14, -v10, v13, v12
	v_fmac_f32_e32 v13, v14, v11
	v_fma_f32 v10, -v10, v13, v12
	v_div_fmas_f32 v10, v10, v11, v13
	v_div_fixup_f32 v10, v10, v9, v2
.LBB713_101:
	s_or_b32 exec_lo, exec_lo, s5
	global_store_dword v[0:1], v10, off offset:128
	s_and_b32 exec_lo, exec_lo, s7
	s_cbranch_execz .LBB713_120
; %bb.102:
	v_mov_b32_e32 v2, 0x7fc00000
	s_and_saveexec_b32 s5, s4
	s_cbranch_execz .LBB713_104
; %bb.103:
	v_div_scale_f32 v2, null, v9, v9, v3
	v_rcp_f32_e32 v10, v2
	v_fma_f32 v11, -v2, v10, 1.0
	v_fmac_f32_e32 v10, v11, v10
	v_div_scale_f32 v11, vcc_lo, v3, v9, v3
	v_mul_f32_e32 v12, v11, v10
	v_fma_f32 v13, -v2, v12, v11
	v_fmac_f32_e32 v12, v13, v10
	v_fma_f32 v2, -v2, v12, v11
	v_div_fmas_f32 v2, v2, v10, v12
	v_div_fixup_f32 v2, v2, v9, v3
.LBB713_104:
	s_or_b32 exec_lo, exec_lo, s5
	global_store_dword v[0:1], v2, off offset:256
	;; [unrolled: 21-line block ×7, first 2 shown]
.LBB713_120:
	s_endpgm
	.section	.rodata,"a",@progbits
	.p2align	6, 0x0
	.amdhsa_kernel _ZN12_GLOBAL__N_120softmax_warp_forwardIfffLi8ELb0ELb1ELi32EEEvPT0_PKT_iiiPKbib
		.amdhsa_group_segment_fixed_size 0
		.amdhsa_private_segment_fixed_size 0
		.amdhsa_kernarg_size 304
		.amdhsa_user_sgpr_count 6
		.amdhsa_user_sgpr_private_segment_buffer 1
		.amdhsa_user_sgpr_dispatch_ptr 0
		.amdhsa_user_sgpr_queue_ptr 0
		.amdhsa_user_sgpr_kernarg_segment_ptr 1
		.amdhsa_user_sgpr_dispatch_id 0
		.amdhsa_user_sgpr_flat_scratch_init 0
		.amdhsa_user_sgpr_private_segment_size 0
		.amdhsa_wavefront_size32 1
		.amdhsa_uses_dynamic_stack 0
		.amdhsa_system_sgpr_private_segment_wavefront_offset 0
		.amdhsa_system_sgpr_workgroup_id_x 1
		.amdhsa_system_sgpr_workgroup_id_y 0
		.amdhsa_system_sgpr_workgroup_id_z 0
		.amdhsa_system_sgpr_workgroup_info 0
		.amdhsa_system_vgpr_workitem_id 1
		.amdhsa_next_free_vgpr 35
		.amdhsa_next_free_sgpr 22
		.amdhsa_reserve_vcc 1
		.amdhsa_reserve_flat_scratch 0
		.amdhsa_float_round_mode_32 0
		.amdhsa_float_round_mode_16_64 0
		.amdhsa_float_denorm_mode_32 3
		.amdhsa_float_denorm_mode_16_64 3
		.amdhsa_dx10_clamp 1
		.amdhsa_ieee_mode 1
		.amdhsa_fp16_overflow 0
		.amdhsa_workgroup_processor_mode 1
		.amdhsa_memory_ordered 1
		.amdhsa_forward_progress 1
		.amdhsa_shared_vgpr_count 0
		.amdhsa_exception_fp_ieee_invalid_op 0
		.amdhsa_exception_fp_denorm_src 0
		.amdhsa_exception_fp_ieee_div_zero 0
		.amdhsa_exception_fp_ieee_overflow 0
		.amdhsa_exception_fp_ieee_underflow 0
		.amdhsa_exception_fp_ieee_inexact 0
		.amdhsa_exception_int_div_zero 0
	.end_amdhsa_kernel
	.section	.text._ZN12_GLOBAL__N_120softmax_warp_forwardIfffLi8ELb0ELb1ELi32EEEvPT0_PKT_iiiPKbib,"axG",@progbits,_ZN12_GLOBAL__N_120softmax_warp_forwardIfffLi8ELb0ELb1ELi32EEEvPT0_PKT_iiiPKbib,comdat
.Lfunc_end713:
	.size	_ZN12_GLOBAL__N_120softmax_warp_forwardIfffLi8ELb0ELb1ELi32EEEvPT0_PKT_iiiPKbib, .Lfunc_end713-_ZN12_GLOBAL__N_120softmax_warp_forwardIfffLi8ELb0ELb1ELi32EEEvPT0_PKT_iiiPKbib
                                        ; -- End function
	.set _ZN12_GLOBAL__N_120softmax_warp_forwardIfffLi8ELb0ELb1ELi32EEEvPT0_PKT_iiiPKbib.num_vgpr, 35
	.set _ZN12_GLOBAL__N_120softmax_warp_forwardIfffLi8ELb0ELb1ELi32EEEvPT0_PKT_iiiPKbib.num_agpr, 0
	.set _ZN12_GLOBAL__N_120softmax_warp_forwardIfffLi8ELb0ELb1ELi32EEEvPT0_PKT_iiiPKbib.numbered_sgpr, 22
	.set _ZN12_GLOBAL__N_120softmax_warp_forwardIfffLi8ELb0ELb1ELi32EEEvPT0_PKT_iiiPKbib.num_named_barrier, 0
	.set _ZN12_GLOBAL__N_120softmax_warp_forwardIfffLi8ELb0ELb1ELi32EEEvPT0_PKT_iiiPKbib.private_seg_size, 0
	.set _ZN12_GLOBAL__N_120softmax_warp_forwardIfffLi8ELb0ELb1ELi32EEEvPT0_PKT_iiiPKbib.uses_vcc, 1
	.set _ZN12_GLOBAL__N_120softmax_warp_forwardIfffLi8ELb0ELb1ELi32EEEvPT0_PKT_iiiPKbib.uses_flat_scratch, 0
	.set _ZN12_GLOBAL__N_120softmax_warp_forwardIfffLi8ELb0ELb1ELi32EEEvPT0_PKT_iiiPKbib.has_dyn_sized_stack, 0
	.set _ZN12_GLOBAL__N_120softmax_warp_forwardIfffLi8ELb0ELb1ELi32EEEvPT0_PKT_iiiPKbib.has_recursion, 0
	.set _ZN12_GLOBAL__N_120softmax_warp_forwardIfffLi8ELb0ELb1ELi32EEEvPT0_PKT_iiiPKbib.has_indirect_call, 0
	.section	.AMDGPU.csdata,"",@progbits
; Kernel info:
; codeLenInByte = 5156
; TotalNumSgprs: 24
; NumVgprs: 35
; ScratchSize: 0
; MemoryBound: 0
; FloatMode: 240
; IeeeMode: 1
; LDSByteSize: 0 bytes/workgroup (compile time only)
; SGPRBlocks: 0
; VGPRBlocks: 4
; NumSGPRsForWavesPerEU: 24
; NumVGPRsForWavesPerEU: 35
; Occupancy: 16
; WaveLimiterHint : 0
; COMPUTE_PGM_RSRC2:SCRATCH_EN: 0
; COMPUTE_PGM_RSRC2:USER_SGPR: 6
; COMPUTE_PGM_RSRC2:TRAP_HANDLER: 0
; COMPUTE_PGM_RSRC2:TGID_X_EN: 1
; COMPUTE_PGM_RSRC2:TGID_Y_EN: 0
; COMPUTE_PGM_RSRC2:TGID_Z_EN: 0
; COMPUTE_PGM_RSRC2:TIDIG_COMP_CNT: 1
	.section	.text._ZN12_GLOBAL__N_120softmax_warp_forwardIfffLi9ELb0ELb1ELi64EEEvPT0_PKT_iiiPKbib,"axG",@progbits,_ZN12_GLOBAL__N_120softmax_warp_forwardIfffLi9ELb0ELb1ELi64EEEvPT0_PKT_iiiPKbib,comdat
	.globl	_ZN12_GLOBAL__N_120softmax_warp_forwardIfffLi9ELb0ELb1ELi64EEEvPT0_PKT_iiiPKbib ; -- Begin function _ZN12_GLOBAL__N_120softmax_warp_forwardIfffLi9ELb0ELb1ELi64EEEvPT0_PKT_iiiPKbib
	.p2align	8
	.type	_ZN12_GLOBAL__N_120softmax_warp_forwardIfffLi9ELb0ELb1ELi64EEEvPT0_PKT_iiiPKbib,@function
_ZN12_GLOBAL__N_120softmax_warp_forwardIfffLi9ELb0ELb1ELi64EEEvPT0_PKT_iiiPKbib: ; @_ZN12_GLOBAL__N_120softmax_warp_forwardIfffLi9ELb0ELb1ELi64EEEvPT0_PKT_iiiPKbib
; %bb.0:
	s_clause 0x1
	s_load_dword s0, s[4:5], 0x3c
	s_load_dwordx4 s[8:11], s[4:5], 0x10
	s_waitcnt lgkmcnt(0)
	s_lshr_b32 s0, s0, 16
	v_mad_u64_u32 v[1:2], null, s6, s0, v[1:2]
	s_load_dwordx2 s[0:1], s[4:5], 0x28
	v_mul_lo_u32 v4, v1, s9
	v_add_nc_u32_e32 v2, v4, v0
	v_ashrrev_i32_e32 v3, 31, v2
	s_waitcnt lgkmcnt(0)
	s_bitcmp0_b32 s1, 0
	v_mov_b32_e32 v9, v3
	v_mov_b32_e32 v8, v2
	s_cbranch_scc1 .LBB714_2
; %bb.1:
	s_abs_i32 s1, s0
	v_sub_nc_u32_e32 v7, 0, v4
	v_cvt_f32_u32_e32 v5, s1
	s_sub_i32 s2, 0, s1
	v_max_i32_e32 v7, v4, v7
	v_rcp_iflag_f32_e32 v5, v5
	v_xor_b32_e32 v4, s0, v4
	v_ashrrev_i32_e32 v4, 31, v4
	v_mul_f32_e32 v5, 0x4f7ffffe, v5
	v_cvt_u32_f32_e32 v5, v5
	v_mul_lo_u32 v6, s2, v5
	v_mul_hi_u32 v6, v5, v6
	v_add_nc_u32_e32 v5, v5, v6
	v_mul_hi_u32 v5, v7, v5
	v_mul_lo_u32 v6, v5, s1
	v_sub_nc_u32_e32 v6, v7, v6
	v_add_nc_u32_e32 v7, 1, v5
	v_subrev_nc_u32_e32 v8, s1, v6
	v_cmp_le_u32_e32 vcc_lo, s1, v6
	v_cndmask_b32_e32 v5, v5, v7, vcc_lo
	v_cndmask_b32_e32 v6, v6, v8, vcc_lo
	v_add_nc_u32_e32 v7, 1, v5
	v_cmp_le_u32_e32 vcc_lo, s1, v6
	v_cndmask_b32_e32 v5, v5, v7, vcc_lo
	v_xor_b32_e32 v5, v5, v4
	v_sub_nc_u32_e32 v4, v5, v4
	v_mad_u64_u32 v[8:9], null, v4, s9, v[0:1]
	v_ashrrev_i32_e32 v9, 31, v8
.LBB714_2:
	s_load_dwordx4 s[12:15], s[4:5], 0x0
	v_lshlrev_b64 v[24:25], 2, v[2:3]
	v_sub_nc_u32_e32 v28, s8, v1
	v_cmp_gt_i32_e32 vcc_lo, s10, v0
	v_mov_b32_e32 v16, 0xff800000
	v_mov_b32_e32 v1, 0xff800000
	v_cmp_lt_i32_e64 s9, 0, v28
	s_and_b32 s18, s9, vcc_lo
	s_waitcnt lgkmcnt(0)
	v_add_co_u32 v10, s0, s14, v24
	v_add_co_ci_u32_e64 v11, null, s15, v25, s0
	s_and_saveexec_b32 s0, s18
	s_cbranch_execz .LBB714_4
; %bb.3:
	global_load_dword v1, v[10:11], off
.LBB714_4:
	s_or_b32 exec_lo, exec_lo, s0
	v_add_nc_u32_e32 v2, 64, v0
	v_cmp_gt_i32_e64 s8, s10, v2
	s_and_b32 s19, s9, s8
	s_and_saveexec_b32 s0, s19
	s_cbranch_execz .LBB714_6
; %bb.5:
	global_load_dword v16, v[10:11], off offset:256
.LBB714_6:
	s_or_b32 exec_lo, exec_lo, s0
	v_add_nc_u32_e32 v2, 0x80, v0
	v_mov_b32_e32 v3, 0xff800000
	v_cmp_gt_i32_e64 s7, s10, v2
	v_mov_b32_e32 v2, 0xff800000
	s_and_b32 s17, s9, s7
	s_and_saveexec_b32 s0, s17
	s_cbranch_execz .LBB714_8
; %bb.7:
	global_load_dword v2, v[10:11], off offset:512
.LBB714_8:
	s_or_b32 exec_lo, exec_lo, s0
	v_add_nc_u32_e32 v4, 0xc0, v0
	v_cmp_gt_i32_e64 s6, s10, v4
	s_and_b32 s16, s9, s6
	s_and_saveexec_b32 s0, s16
	s_cbranch_execz .LBB714_10
; %bb.9:
	global_load_dword v3, v[10:11], off offset:768
.LBB714_10:
	s_or_b32 exec_lo, exec_lo, s0
	v_add_nc_u32_e32 v4, 0x100, v0
	v_mov_b32_e32 v5, 0xff800000
	v_cmp_gt_i32_e64 s3, s10, v4
	v_mov_b32_e32 v4, 0xff800000
	s_and_b32 s15, s9, s3
	s_and_saveexec_b32 s0, s15
	s_cbranch_execz .LBB714_12
; %bb.11:
	global_load_dword v4, v[10:11], off offset:1024
.LBB714_12:
	;; [unrolled: 20-line block ×3, first 2 shown]
	s_or_b32 exec_lo, exec_lo, s0
	v_add_nc_u32_e32 v0, 0x1c0, v0
	v_cmp_gt_i32_e64 s0, s10, v0
	s_and_b32 s9, s9, s0
	s_and_saveexec_b32 s10, s9
	s_cbranch_execz .LBB714_18
; %bb.17:
	global_load_dword v7, v[10:11], off offset:1792
.LBB714_18:
	s_or_b32 exec_lo, exec_lo, s10
	s_load_dwordx2 s[4:5], s[4:5], 0x20
	s_waitcnt lgkmcnt(0)
	v_add_co_u32 v26, s4, s4, v8
	v_add_co_ci_u32_e64 v27, null, s5, v9, s4
	s_mov_b32 s5, 0
	s_and_saveexec_b32 s10, s18
	s_cbranch_execz .LBB714_32
; %bb.19:
	global_load_ubyte v0, v[26:27], off
	s_waitcnt vmcnt(0)
	v_and_b32_e32 v0, 1, v0
	v_cmp_eq_u32_e64 s4, 1, v0
	s_xor_b32 s4, s4, -1
	s_and_b32 s5, s4, exec_lo
	s_or_b32 exec_lo, exec_lo, s10
	v_mov_b32_e32 v0, v1
	s_and_saveexec_b32 s10, s19
	s_cbranch_execnz .LBB714_33
.LBB714_20:
	s_or_b32 exec_lo, exec_lo, s10
	s_and_saveexec_b32 s10, s17
	s_cbranch_execz .LBB714_36
.LBB714_21:
	global_load_ubyte v8, v[26:27], off offset:128
	s_waitcnt vmcnt(0)
	v_and_b32_e32 v8, 1, v8
	v_cmp_eq_u32_e64 s4, 1, v8
	s_xor_b32 s21, s4, -1
	s_mov_b32 s4, s5
	s_and_saveexec_b32 s20, s21
; %bb.22:
	v_cmp_gt_f32_e64 s4, v0, v2
	s_and_b32 s4, s5, s4
	v_cndmask_b32_e64 v0, v2, v0, s4
	s_or_b32 s4, s5, exec_lo
; %bb.23:
	s_or_b32 exec_lo, exec_lo, s20
	s_andn2_b32 s5, s5, exec_lo
	s_and_b32 s4, s4, exec_lo
	s_or_b32 s5, s5, s4
	s_or_b32 exec_lo, exec_lo, s10
	s_and_saveexec_b32 s10, s16
	s_cbranch_execnz .LBB714_37
.LBB714_24:
	s_or_b32 exec_lo, exec_lo, s10
	s_and_saveexec_b32 s10, s15
	s_cbranch_execz .LBB714_40
.LBB714_25:
	global_load_ubyte v8, v[26:27], off offset:256
	s_waitcnt vmcnt(0)
	v_and_b32_e32 v8, 1, v8
	v_cmp_eq_u32_e64 s4, 1, v8
	s_xor_b32 s21, s4, -1
	s_mov_b32 s4, s5
	s_and_saveexec_b32 s20, s21
; %bb.26:
	v_cmp_gt_f32_e64 s4, v0, v4
	s_and_b32 s4, s5, s4
	v_cndmask_b32_e64 v0, v4, v0, s4
	s_or_b32 s4, s5, exec_lo
; %bb.27:
	s_or_b32 exec_lo, exec_lo, s20
	s_andn2_b32 s5, s5, exec_lo
	s_and_b32 s4, s4, exec_lo
	s_or_b32 s5, s5, s4
	s_or_b32 exec_lo, exec_lo, s10
	s_and_saveexec_b32 s10, s14
	s_cbranch_execnz .LBB714_41
.LBB714_28:
	s_or_b32 exec_lo, exec_lo, s10
	s_and_saveexec_b32 s10, s11
	s_cbranch_execz .LBB714_44
.LBB714_29:
	global_load_ubyte v8, v[26:27], off offset:384
	s_waitcnt vmcnt(0)
	v_and_b32_e32 v8, 1, v8
	v_cmp_eq_u32_e64 s4, 1, v8
	s_xor_b32 s21, s4, -1
	s_mov_b32 s4, s5
	s_and_saveexec_b32 s20, s21
; %bb.30:
	v_cmp_gt_f32_e64 s4, v0, v6
	s_and_b32 s4, s5, s4
	v_cndmask_b32_e64 v0, v6, v0, s4
	s_or_b32 s4, s5, exec_lo
; %bb.31:
	s_or_b32 exec_lo, exec_lo, s20
	s_andn2_b32 s5, s5, exec_lo
	s_and_b32 s4, s4, exec_lo
	s_or_b32 s5, s5, s4
	s_or_b32 exec_lo, exec_lo, s10
	s_and_saveexec_b32 s10, s9
	s_cbranch_execz .LBB714_48
	s_branch .LBB714_45
.LBB714_32:
	s_or_b32 exec_lo, exec_lo, s10
	s_waitcnt vmcnt(0)
	v_mov_b32_e32 v0, v1
	s_and_saveexec_b32 s10, s19
	s_cbranch_execz .LBB714_20
.LBB714_33:
	global_load_ubyte v0, v[26:27], off offset:64
	s_waitcnt vmcnt(0)
	v_and_b32_e32 v0, 1, v0
	v_cmp_eq_u32_e64 s4, 1, v0
	v_mov_b32_e32 v0, v1
	s_xor_b32 s21, s4, -1
	s_mov_b32 s4, s5
	s_and_saveexec_b32 s20, s21
; %bb.34:
	v_cmp_gt_f32_e64 s4, v1, v16
	s_and_b32 s4, s5, s4
	v_cndmask_b32_e64 v0, v16, v1, s4
	s_or_b32 s4, s5, exec_lo
; %bb.35:
	s_or_b32 exec_lo, exec_lo, s20
	s_andn2_b32 s5, s5, exec_lo
	s_and_b32 s4, s4, exec_lo
	s_or_b32 s5, s5, s4
	s_or_b32 exec_lo, exec_lo, s10
	s_and_saveexec_b32 s10, s17
	s_cbranch_execnz .LBB714_21
.LBB714_36:
	s_or_b32 exec_lo, exec_lo, s10
	s_and_saveexec_b32 s10, s16
	s_cbranch_execz .LBB714_24
.LBB714_37:
	global_load_ubyte v8, v[26:27], off offset:192
	s_waitcnt vmcnt(0)
	v_and_b32_e32 v8, 1, v8
	v_cmp_eq_u32_e64 s4, 1, v8
	s_xor_b32 s21, s4, -1
	s_mov_b32 s4, s5
	s_and_saveexec_b32 s20, s21
; %bb.38:
	v_cmp_gt_f32_e64 s4, v0, v3
	s_and_b32 s4, s5, s4
	v_cndmask_b32_e64 v0, v3, v0, s4
	s_or_b32 s4, s5, exec_lo
; %bb.39:
	s_or_b32 exec_lo, exec_lo, s20
	s_andn2_b32 s5, s5, exec_lo
	s_and_b32 s4, s4, exec_lo
	s_or_b32 s5, s5, s4
	s_or_b32 exec_lo, exec_lo, s10
	s_and_saveexec_b32 s10, s15
	s_cbranch_execnz .LBB714_25
.LBB714_40:
	s_or_b32 exec_lo, exec_lo, s10
	s_and_saveexec_b32 s10, s14
	s_cbranch_execz .LBB714_28
.LBB714_41:
	global_load_ubyte v8, v[26:27], off offset:320
	s_waitcnt vmcnt(0)
	v_and_b32_e32 v8, 1, v8
	v_cmp_eq_u32_e64 s4, 1, v8
	s_xor_b32 s21, s4, -1
	s_mov_b32 s4, s5
	s_and_saveexec_b32 s20, s21
; %bb.42:
	v_cmp_gt_f32_e64 s4, v0, v5
	s_and_b32 s4, s5, s4
	v_cndmask_b32_e64 v0, v5, v0, s4
	s_or_b32 s4, s5, exec_lo
; %bb.43:
	s_or_b32 exec_lo, exec_lo, s20
	s_andn2_b32 s5, s5, exec_lo
	s_and_b32 s4, s4, exec_lo
	s_or_b32 s5, s5, s4
	s_or_b32 exec_lo, exec_lo, s10
	s_and_saveexec_b32 s10, s11
	s_cbranch_execnz .LBB714_29
.LBB714_44:
	s_or_b32 exec_lo, exec_lo, s10
	s_and_saveexec_b32 s10, s9
	s_cbranch_execz .LBB714_48
.LBB714_45:
	global_load_ubyte v8, v[26:27], off offset:448
	s_waitcnt vmcnt(0)
	v_and_b32_e32 v8, 1, v8
	v_cmp_eq_u32_e64 s4, 1, v8
	s_xor_b32 s21, s4, -1
	s_mov_b32 s4, s5
	s_and_saveexec_b32 s20, s21
; %bb.46:
	v_cmp_gt_f32_e64 s4, v0, v7
	s_and_b32 s4, s5, s4
	v_cndmask_b32_e64 v0, v7, v0, s4
	s_or_b32 s4, s5, exec_lo
; %bb.47:
	s_or_b32 exec_lo, exec_lo, s20
	s_andn2_b32 s5, s5, exec_lo
	s_and_b32 s4, s4, exec_lo
	s_or_b32 s5, s5, s4
.LBB714_48:
	s_or_b32 exec_lo, exec_lo, s10
	v_mbcnt_lo_u32_b32 v8, -1, 0
	v_cndmask_b32_e64 v0, 0xff800000, v0, s5
	s_xor_b32 s5, s19, -1
	v_or_b32_e32 v9, 32, v8
	v_xor_b32_e32 v10, 16, v8
	v_cmp_gt_i32_e64 s4, 64, v9
	v_cndmask_b32_e64 v9, v8, v9, s4
	v_cmp_gt_i32_e64 s4, 64, v10
	v_lshlrev_b32_e32 v29, 2, v9
	v_cndmask_b32_e64 v10, v8, v10, s4
	ds_bpermute_b32 v9, v29, v0
	v_lshlrev_b32_e32 v30, 2, v10
	v_xor_b32_e32 v10, 8, v8
	s_waitcnt lgkmcnt(0)
	v_cmp_lt_f32_e64 s4, v0, v9
	v_cndmask_b32_e64 v0, v0, v9, s4
	v_cmp_gt_i32_e64 s4, 64, v10
	ds_bpermute_b32 v9, v30, v0
	v_cndmask_b32_e64 v10, v8, v10, s4
	v_lshlrev_b32_e32 v31, 2, v10
	v_xor_b32_e32 v10, 4, v8
	s_waitcnt lgkmcnt(0)
	v_cmp_lt_f32_e64 s4, v0, v9
	v_cndmask_b32_e64 v0, v0, v9, s4
	v_cmp_gt_i32_e64 s4, 64, v10
	ds_bpermute_b32 v9, v31, v0
	v_cndmask_b32_e64 v10, v8, v10, s4
	v_lshlrev_b32_e32 v32, 2, v10
	v_xor_b32_e32 v10, 2, v8
	s_waitcnt lgkmcnt(0)
	v_cmp_lt_f32_e64 s4, v0, v9
	v_cndmask_b32_e64 v0, v0, v9, s4
	v_cmp_gt_i32_e64 s4, 64, v10
	ds_bpermute_b32 v9, v32, v0
	v_cndmask_b32_e64 v10, v8, v10, s4
	v_lshlrev_b32_e32 v33, 2, v10
	v_xor_b32_e32 v10, 1, v8
	s_waitcnt lgkmcnt(0)
	v_cmp_lt_f32_e64 s4, v0, v9
	v_cndmask_b32_e64 v0, v0, v9, s4
	v_cmp_gt_i32_e64 s4, 64, v10
	ds_bpermute_b32 v9, v33, v0
	v_cndmask_b32_e64 v8, v8, v10, s4
	v_lshlrev_b32_e32 v34, 2, v8
	s_waitcnt lgkmcnt(0)
	v_cmp_lt_f32_e64 s4, v0, v9
	v_cndmask_b32_e64 v0, v0, v9, s4
	ds_bpermute_b32 v8, v34, v0
	s_waitcnt lgkmcnt(0)
	v_cmp_lt_f32_e64 s4, v0, v8
	v_cndmask_b32_e64 v35, v0, v8, s4
	v_mov_b32_e32 v0, 0
	s_and_saveexec_b32 s10, s18
	s_cbranch_execz .LBB714_52
; %bb.49:
	global_load_ubyte v0, v[26:27], off
	s_waitcnt vmcnt(0)
	v_and_b32_e32 v0, 1, v0
	v_cmp_eq_u32_e64 s4, 1, v0
	v_mov_b32_e32 v0, 0
	s_xor_b32 s4, s4, -1
	s_and_saveexec_b32 s18, s4
	s_cbranch_execz .LBB714_51
; %bb.50:
	v_sub_f32_e32 v0, v1, v35
	v_mul_f32_e32 v1, 0x3fb8aa3b, v0
	v_cmp_ngt_f32_e64 s4, 0xc2ce8ed0, v0
	v_fma_f32 v8, 0x3fb8aa3b, v0, -v1
	v_rndne_f32_e32 v9, v1
	v_fmamk_f32 v8, v0, 0x32a5705f, v8
	v_sub_f32_e32 v1, v1, v9
	v_add_f32_e32 v1, v1, v8
	v_cvt_i32_f32_e32 v8, v9
	v_exp_f32_e32 v1, v1
	v_ldexp_f32 v1, v1, v8
	v_cndmask_b32_e64 v1, 0, v1, s4
	v_cmp_nlt_f32_e64 s4, 0x42b17218, v0
	v_cndmask_b32_e64 v0, 0x7f800000, v1, s4
.LBB714_51:
	s_or_b32 exec_lo, exec_lo, s18
.LBB714_52:
	s_or_b32 exec_lo, exec_lo, s10
                                        ; implicit-def: $vgpr8_vgpr9_vgpr10_vgpr11_vgpr12_vgpr13_vgpr14_vgpr15
	s_and_saveexec_b32 s4, s5
	s_xor_b32 s4, exec_lo, s4
	s_cbranch_execz .LBB714_66
; %bb.53:
	s_mov_b32 s5, 0
                                        ; implicit-def: $vgpr16
	v_mov_b32_e32 v1, s5
	v_mov_b32_e32 v15, v7
	;; [unrolled: 1-line block ×9, first 2 shown]
	s_or_saveexec_b32 s10, s4
	s_xor_b32 s5, s17, -1
	s_xor_b32 exec_lo, exec_lo, s10
	s_cbranch_execnz .LBB714_67
.LBB714_54:
	s_or_b32 exec_lo, exec_lo, s10
                                        ; implicit-def: $vgpr16_vgpr17_vgpr18_vgpr19_vgpr20_vgpr21_vgpr22_vgpr23
	s_and_saveexec_b32 s4, s5
	s_xor_b32 s4, exec_lo, s4
	s_cbranch_execz .LBB714_70
.LBB714_55:
	s_mov_b32 s5, 0
	v_mov_b32_e32 v10, s5
	v_mov_b32_e32 v23, v15
	;; [unrolled: 1-line block ×9, first 2 shown]
                                        ; implicit-def: $vgpr8_vgpr9_vgpr10_vgpr11_vgpr12_vgpr13_vgpr14_vgpr15
	s_or_saveexec_b32 s10, s4
	s_xor_b32 s5, s16, -1
	s_xor_b32 exec_lo, exec_lo, s10
	s_cbranch_execnz .LBB714_71
.LBB714_56:
	s_or_b32 exec_lo, exec_lo, s10
                                        ; implicit-def: $vgpr1_vgpr2_vgpr3_vgpr4_vgpr5_vgpr6_vgpr7_vgpr8
	s_and_saveexec_b32 s4, s5
	s_xor_b32 s4, exec_lo, s4
	s_cbranch_execz .LBB714_74
.LBB714_57:
	s_mov_b32 s5, 0
	v_mov_b32_e32 v19, s5
	v_mov_b32_e32 v1, v16
	;; [unrolled: 1-line block ×9, first 2 shown]
                                        ; implicit-def: $vgpr16_vgpr17_vgpr18_vgpr19_vgpr20_vgpr21_vgpr22_vgpr23
	s_or_saveexec_b32 s10, s4
	s_xor_b32 s5, s15, -1
	s_xor_b32 exec_lo, exec_lo, s10
	s_cbranch_execnz .LBB714_75
.LBB714_58:
	s_or_b32 exec_lo, exec_lo, s10
                                        ; implicit-def: $vgpr9_vgpr10_vgpr11_vgpr12_vgpr13_vgpr14_vgpr15_vgpr16
	s_and_saveexec_b32 s4, s5
	s_xor_b32 s4, exec_lo, s4
	s_cbranch_execz .LBB714_78
.LBB714_59:
	s_mov_b32 s5, 0
	v_mov_b32_e32 v5, s5
	v_mov_b32_e32 v16, v8
	;; [unrolled: 1-line block ×9, first 2 shown]
                                        ; implicit-def: $vgpr1_vgpr2_vgpr3_vgpr4_vgpr5_vgpr6_vgpr7_vgpr8
	s_or_saveexec_b32 s10, s4
	s_xor_b32 s5, s14, -1
	s_xor_b32 exec_lo, exec_lo, s10
	s_cbranch_execnz .LBB714_79
.LBB714_60:
	s_or_b32 exec_lo, exec_lo, s10
                                        ; implicit-def: $vgpr1_vgpr2_vgpr3_vgpr4_vgpr5_vgpr6_vgpr7_vgpr8
	s_and_saveexec_b32 s4, s5
	s_xor_b32 s4, exec_lo, s4
	s_cbranch_execz .LBB714_82
.LBB714_61:
	s_mov_b32 s5, 0
	v_mov_b32_e32 v14, s5
	v_mov_b32_e32 v1, v9
	;; [unrolled: 1-line block ×9, first 2 shown]
                                        ; implicit-def: $vgpr9_vgpr10_vgpr11_vgpr12_vgpr13_vgpr14_vgpr15_vgpr16
	s_or_saveexec_b32 s10, s4
	s_xor_b32 s5, s11, -1
	s_xor_b32 exec_lo, exec_lo, s10
	s_cbranch_execnz .LBB714_83
.LBB714_62:
	s_or_b32 exec_lo, exec_lo, s10
                                        ; implicit-def: $vgpr9_vgpr10_vgpr11_vgpr12_vgpr13_vgpr14_vgpr15_vgpr16
	s_and_saveexec_b32 s4, s5
	s_xor_b32 s4, exec_lo, s4
	s_cbranch_execz .LBB714_86
.LBB714_63:
	s_mov_b32 s5, 0
	v_mov_b32_e32 v7, s5
	v_mov_b32_e32 v16, v8
	;; [unrolled: 1-line block ×9, first 2 shown]
                                        ; implicit-def: $vgpr1_vgpr2_vgpr3_vgpr4_vgpr5_vgpr6_vgpr7_vgpr8
	s_or_saveexec_b32 s10, s4
	s_xor_b32 s5, s9, -1
	s_xor_b32 exec_lo, exec_lo, s10
	s_cbranch_execnz .LBB714_87
.LBB714_64:
	s_or_b32 exec_lo, exec_lo, s10
                                        ; implicit-def: $vgpr1_vgpr2_vgpr3_vgpr4_vgpr5_vgpr6_vgpr7_vgpr8
	s_and_saveexec_b32 s4, s5
	s_xor_b32 s4, exec_lo, s4
	s_cbranch_execz .LBB714_90
.LBB714_65:
	s_mov_b32 s5, 0
                                        ; implicit-def: $vgpr26_vgpr27
                                        ; implicit-def: $vgpr35
	v_mov_b32_e32 v16, s5
	v_mov_b32_e32 v1, v9
	;; [unrolled: 1-line block ×9, first 2 shown]
                                        ; implicit-def: $vgpr9_vgpr10_vgpr11_vgpr12_vgpr13_vgpr14_vgpr15_vgpr16
	s_andn2_saveexec_b32 s5, s4
	s_cbranch_execz .LBB714_94
	s_branch .LBB714_91
.LBB714_66:
	s_or_saveexec_b32 s10, s4
	s_xor_b32 s5, s17, -1
	s_xor_b32 exec_lo, exec_lo, s10
	s_cbranch_execz .LBB714_54
.LBB714_67:
	global_load_ubyte v8, v[26:27], off offset:64
	s_mov_b32 s17, 0
	s_waitcnt vmcnt(0)
	v_and_b32_e32 v8, 1, v8
	v_cmp_eq_u32_e64 s4, 1, v8
	v_mov_b32_e32 v15, v7
	v_mov_b32_e32 v9, v1
	;; [unrolled: 1-line block ×9, first 2 shown]
	s_xor_b32 s4, s4, -1
	s_and_saveexec_b32 s17, s4
	s_xor_b32 s17, exec_lo, s17
	s_cbranch_execz .LBB714_69
; %bb.68:
	v_sub_f32_e32 v1, v16, v35
	v_mul_f32_e32 v8, 0x3fb8aa3b, v1
	v_cmp_ngt_f32_e64 s4, 0xc2ce8ed0, v1
	v_fma_f32 v9, 0x3fb8aa3b, v1, -v8
	v_rndne_f32_e32 v10, v8
	v_fmamk_f32 v9, v1, 0x32a5705f, v9
	v_sub_f32_e32 v8, v8, v10
	v_add_f32_e32 v8, v8, v9
	v_cvt_i32_f32_e32 v9, v10
	v_exp_f32_e32 v8, v8
	v_ldexp_f32 v8, v8, v9
	v_cndmask_b32_e64 v8, 0, v8, s4
	v_cmp_nlt_f32_e64 s4, 0x42b17218, v1
	v_cndmask_b32_e64 v1, 0x7f800000, v8, s4
	v_mov_b32_e32 v15, v7
	v_mov_b32_e32 v14, v6
	;; [unrolled: 1-line block ×4, first 2 shown]
	v_add_f32_e32 v16, v0, v1
	v_mov_b32_e32 v11, v3
	v_mov_b32_e32 v10, v2
	;; [unrolled: 1-line block ×5, first 2 shown]
.LBB714_69:
	s_andn2_saveexec_b32 s4, s17
	s_or_b32 exec_lo, exec_lo, s4
	s_or_b32 exec_lo, exec_lo, s10
                                        ; implicit-def: $vgpr16_vgpr17_vgpr18_vgpr19_vgpr20_vgpr21_vgpr22_vgpr23
	s_and_saveexec_b32 s4, s5
	s_xor_b32 s4, exec_lo, s4
	s_cbranch_execnz .LBB714_55
.LBB714_70:
	s_or_saveexec_b32 s10, s4
	s_xor_b32 s5, s16, -1
	s_xor_b32 exec_lo, exec_lo, s10
	s_cbranch_execz .LBB714_56
.LBB714_71:
	global_load_ubyte v1, v[26:27], off offset:128
	s_mov_b32 s16, 0
	v_mov_b32_e32 v23, v15
	v_mov_b32_e32 v18, v10
	;; [unrolled: 1-line block ×9, first 2 shown]
	s_waitcnt vmcnt(0)
	v_and_b32_e32 v1, 1, v1
	v_cmp_eq_u32_e64 s4, 1, v1
	s_xor_b32 s4, s4, -1
	s_and_saveexec_b32 s16, s4
	s_xor_b32 s16, exec_lo, s16
	s_cbranch_execz .LBB714_73
; %bb.72:
	v_sub_f32_e32 v1, v10, v35
	v_mul_f32_e32 v2, 0x3fb8aa3b, v1
	v_cmp_ngt_f32_e64 s4, 0xc2ce8ed0, v1
	v_fma_f32 v3, 0x3fb8aa3b, v1, -v2
	v_rndne_f32_e32 v4, v2
	v_fmamk_f32 v3, v1, 0x32a5705f, v3
	v_sub_f32_e32 v2, v2, v4
	v_add_f32_e32 v2, v2, v3
	v_cvt_i32_f32_e32 v3, v4
	v_exp_f32_e32 v2, v2
	v_ldexp_f32 v2, v2, v3
	v_cndmask_b32_e64 v2, 0, v2, s4
	v_cmp_nlt_f32_e64 s4, 0x42b17218, v1
	v_cndmask_b32_e64 v10, 0x7f800000, v2, s4
	v_mov_b32_e32 v23, v15
	v_mov_b32_e32 v22, v14
	;; [unrolled: 1-line block ×4, first 2 shown]
	v_add_f32_e32 v0, v0, v10
	v_mov_b32_e32 v19, v11
	v_mov_b32_e32 v18, v10
	;; [unrolled: 1-line block ×4, first 2 shown]
.LBB714_73:
	s_andn2_saveexec_b32 s4, s16
	s_or_b32 exec_lo, exec_lo, s4
	s_or_b32 exec_lo, exec_lo, s10
                                        ; implicit-def: $vgpr1_vgpr2_vgpr3_vgpr4_vgpr5_vgpr6_vgpr7_vgpr8
	s_and_saveexec_b32 s4, s5
	s_xor_b32 s4, exec_lo, s4
	s_cbranch_execnz .LBB714_57
.LBB714_74:
	s_or_saveexec_b32 s10, s4
	s_xor_b32 s5, s15, -1
	s_xor_b32 exec_lo, exec_lo, s10
	s_cbranch_execz .LBB714_58
.LBB714_75:
	global_load_ubyte v1, v[26:27], off offset:192
	s_mov_b32 s15, 0
	s_waitcnt vmcnt(0)
	v_and_b32_e32 v1, 1, v1
	v_cmp_eq_u32_e64 s4, 1, v1
	v_mov_b32_e32 v1, v16
	v_mov_b32_e32 v4, v19
	;; [unrolled: 1-line block ×9, first 2 shown]
	s_xor_b32 s4, s4, -1
	s_and_saveexec_b32 s15, s4
	s_xor_b32 s15, exec_lo, s15
	s_cbranch_execz .LBB714_77
; %bb.76:
	v_sub_f32_e32 v1, v19, v35
	v_mul_f32_e32 v2, 0x3fb8aa3b, v1
	v_cmp_ngt_f32_e64 s4, 0xc2ce8ed0, v1
	v_fma_f32 v3, 0x3fb8aa3b, v1, -v2
	v_rndne_f32_e32 v4, v2
	v_fmamk_f32 v3, v1, 0x32a5705f, v3
	v_sub_f32_e32 v2, v2, v4
	v_add_f32_e32 v2, v2, v3
	v_cvt_i32_f32_e32 v3, v4
	v_exp_f32_e32 v2, v2
	v_ldexp_f32 v2, v2, v3
	v_cndmask_b32_e64 v2, 0, v2, s4
	v_cmp_nlt_f32_e64 s4, 0x42b17218, v1
	v_cndmask_b32_e64 v19, 0x7f800000, v2, s4
	v_mov_b32_e32 v1, v16
	v_mov_b32_e32 v2, v17
	;; [unrolled: 1-line block ×4, first 2 shown]
	v_add_f32_e32 v0, v0, v19
	v_mov_b32_e32 v4, v19
	v_mov_b32_e32 v6, v21
	;; [unrolled: 1-line block ×4, first 2 shown]
.LBB714_77:
	s_andn2_saveexec_b32 s4, s15
	s_or_b32 exec_lo, exec_lo, s4
	s_or_b32 exec_lo, exec_lo, s10
                                        ; implicit-def: $vgpr9_vgpr10_vgpr11_vgpr12_vgpr13_vgpr14_vgpr15_vgpr16
	s_and_saveexec_b32 s4, s5
	s_xor_b32 s4, exec_lo, s4
	s_cbranch_execnz .LBB714_59
.LBB714_78:
	s_or_saveexec_b32 s10, s4
	s_xor_b32 s5, s14, -1
	s_xor_b32 exec_lo, exec_lo, s10
	s_cbranch_execz .LBB714_60
.LBB714_79:
	global_load_ubyte v9, v[26:27], off offset:256
	s_mov_b32 s14, 0
	s_waitcnt vmcnt(0)
	v_and_b32_e32 v9, 1, v9
	v_cmp_eq_u32_e64 s4, 1, v9
	v_mov_b32_e32 v16, v8
	v_mov_b32_e32 v13, v5
	;; [unrolled: 1-line block ×9, first 2 shown]
	s_xor_b32 s4, s4, -1
	s_and_saveexec_b32 s14, s4
	s_xor_b32 s14, exec_lo, s14
	s_cbranch_execz .LBB714_81
; %bb.80:
	v_sub_f32_e32 v5, v5, v35
	v_mul_f32_e32 v9, 0x3fb8aa3b, v5
	v_cmp_ngt_f32_e64 s4, 0xc2ce8ed0, v5
	v_fma_f32 v10, 0x3fb8aa3b, v5, -v9
	v_rndne_f32_e32 v11, v9
	v_fmamk_f32 v10, v5, 0x32a5705f, v10
	v_sub_f32_e32 v9, v9, v11
	v_add_f32_e32 v9, v9, v10
	v_cvt_i32_f32_e32 v10, v11
	v_exp_f32_e32 v9, v9
	v_ldexp_f32 v9, v9, v10
	v_cndmask_b32_e64 v9, 0, v9, s4
	v_cmp_nlt_f32_e64 s4, 0x42b17218, v5
	v_cndmask_b32_e64 v5, 0x7f800000, v9, s4
	v_mov_b32_e32 v16, v8
	v_mov_b32_e32 v15, v7
	;; [unrolled: 1-line block ×4, first 2 shown]
	v_add_f32_e32 v0, v0, v5
	v_mov_b32_e32 v13, v5
	v_mov_b32_e32 v11, v3
	;; [unrolled: 1-line block ×4, first 2 shown]
.LBB714_81:
	s_andn2_saveexec_b32 s4, s14
	s_or_b32 exec_lo, exec_lo, s4
	s_or_b32 exec_lo, exec_lo, s10
                                        ; implicit-def: $vgpr1_vgpr2_vgpr3_vgpr4_vgpr5_vgpr6_vgpr7_vgpr8
	s_and_saveexec_b32 s4, s5
	s_xor_b32 s4, exec_lo, s4
	s_cbranch_execnz .LBB714_61
.LBB714_82:
	s_or_saveexec_b32 s10, s4
	s_xor_b32 s5, s11, -1
	s_xor_b32 exec_lo, exec_lo, s10
	s_cbranch_execz .LBB714_62
.LBB714_83:
	global_load_ubyte v1, v[26:27], off offset:320
	s_mov_b32 s11, 0
	s_waitcnt vmcnt(0)
	v_and_b32_e32 v1, 1, v1
	v_cmp_eq_u32_e64 s4, 1, v1
	v_mov_b32_e32 v1, v9
	v_mov_b32_e32 v6, v14
	v_mov_b32_e32 v2, v10
	v_mov_b32_e32 v3, v11
	v_mov_b32_e32 v4, v12
	v_mov_b32_e32 v5, v13
	v_mov_b32_e32 v7, v15
	v_mov_b32_e32 v8, v16
	v_mov_b32_e32 v6, s11
	s_xor_b32 s4, s4, -1
	s_and_saveexec_b32 s11, s4
	s_xor_b32 s11, exec_lo, s11
	s_cbranch_execz .LBB714_85
; %bb.84:
	v_sub_f32_e32 v1, v14, v35
	v_mul_f32_e32 v2, 0x3fb8aa3b, v1
	v_cmp_ngt_f32_e64 s4, 0xc2ce8ed0, v1
	v_fma_f32 v3, 0x3fb8aa3b, v1, -v2
	v_rndne_f32_e32 v4, v2
	v_fmamk_f32 v3, v1, 0x32a5705f, v3
	v_sub_f32_e32 v2, v2, v4
	v_add_f32_e32 v2, v2, v3
	v_cvt_i32_f32_e32 v3, v4
	v_exp_f32_e32 v2, v2
	v_ldexp_f32 v2, v2, v3
	v_cndmask_b32_e64 v2, 0, v2, s4
	v_cmp_nlt_f32_e64 s4, 0x42b17218, v1
	v_cndmask_b32_e64 v14, 0x7f800000, v2, s4
	v_mov_b32_e32 v1, v9
	v_mov_b32_e32 v2, v10
	;; [unrolled: 1-line block ×4, first 2 shown]
	v_add_f32_e32 v0, v0, v14
	v_mov_b32_e32 v5, v13
	v_mov_b32_e32 v6, v14
	;; [unrolled: 1-line block ×4, first 2 shown]
.LBB714_85:
	s_andn2_saveexec_b32 s4, s11
	s_or_b32 exec_lo, exec_lo, s4
	s_or_b32 exec_lo, exec_lo, s10
                                        ; implicit-def: $vgpr9_vgpr10_vgpr11_vgpr12_vgpr13_vgpr14_vgpr15_vgpr16
	s_and_saveexec_b32 s4, s5
	s_xor_b32 s4, exec_lo, s4
	s_cbranch_execnz .LBB714_63
.LBB714_86:
	s_or_saveexec_b32 s10, s4
	s_xor_b32 s5, s9, -1
	s_xor_b32 exec_lo, exec_lo, s10
	s_cbranch_execz .LBB714_64
.LBB714_87:
	global_load_ubyte v9, v[26:27], off offset:384
	s_mov_b32 s9, 0
	s_waitcnt vmcnt(0)
	v_and_b32_e32 v9, 1, v9
	v_cmp_eq_u32_e64 s4, 1, v9
	v_mov_b32_e32 v16, v8
	v_mov_b32_e32 v15, v7
	;; [unrolled: 1-line block ×9, first 2 shown]
	s_xor_b32 s4, s4, -1
	s_and_saveexec_b32 s9, s4
	s_xor_b32 s9, exec_lo, s9
	s_cbranch_execz .LBB714_89
; %bb.88:
	v_sub_f32_e32 v7, v7, v35
	v_mul_f32_e32 v9, 0x3fb8aa3b, v7
	v_cmp_ngt_f32_e64 s4, 0xc2ce8ed0, v7
	v_fma_f32 v10, 0x3fb8aa3b, v7, -v9
	v_rndne_f32_e32 v11, v9
	v_fmamk_f32 v10, v7, 0x32a5705f, v10
	v_sub_f32_e32 v9, v9, v11
	v_add_f32_e32 v9, v9, v10
	v_cvt_i32_f32_e32 v10, v11
	v_exp_f32_e32 v9, v9
	v_ldexp_f32 v9, v9, v10
	v_cndmask_b32_e64 v9, 0, v9, s4
	v_cmp_nlt_f32_e64 s4, 0x42b17218, v7
	v_cndmask_b32_e64 v7, 0x7f800000, v9, s4
	v_mov_b32_e32 v16, v8
	v_mov_b32_e32 v14, v6
	;; [unrolled: 1-line block ×4, first 2 shown]
	v_add_f32_e32 v0, v0, v7
	v_mov_b32_e32 v15, v7
	v_mov_b32_e32 v11, v3
	;; [unrolled: 1-line block ×4, first 2 shown]
.LBB714_89:
	s_andn2_saveexec_b32 s4, s9
	s_or_b32 exec_lo, exec_lo, s4
	s_or_b32 exec_lo, exec_lo, s10
                                        ; implicit-def: $vgpr1_vgpr2_vgpr3_vgpr4_vgpr5_vgpr6_vgpr7_vgpr8
	s_and_saveexec_b32 s4, s5
	s_xor_b32 s4, exec_lo, s4
	s_cbranch_execnz .LBB714_65
.LBB714_90:
	s_andn2_saveexec_b32 s5, s4
	s_cbranch_execz .LBB714_94
.LBB714_91:
	global_load_ubyte v1, v[26:27], off offset:448
	s_mov_b32 s9, 0
	s_waitcnt vmcnt(0)
	v_and_b32_e32 v1, 1, v1
	v_cmp_eq_u32_e64 s4, 1, v1
	v_mov_b32_e32 v1, v9
	v_mov_b32_e32 v8, v16
	;; [unrolled: 1-line block ×9, first 2 shown]
	s_xor_b32 s4, s4, -1
	s_and_saveexec_b32 s9, s4
	s_xor_b32 s9, exec_lo, s9
	s_cbranch_execz .LBB714_93
; %bb.92:
	v_sub_f32_e32 v1, v16, v35
	v_mul_f32_e32 v2, 0x3fb8aa3b, v1
	v_cmp_ngt_f32_e64 s4, 0xc2ce8ed0, v1
	v_fma_f32 v3, 0x3fb8aa3b, v1, -v2
	v_rndne_f32_e32 v4, v2
	v_fmamk_f32 v3, v1, 0x32a5705f, v3
	v_sub_f32_e32 v2, v2, v4
	v_add_f32_e32 v2, v2, v3
	v_cvt_i32_f32_e32 v3, v4
	v_exp_f32_e32 v2, v2
	v_ldexp_f32 v2, v2, v3
	v_cndmask_b32_e64 v2, 0, v2, s4
	v_cmp_nlt_f32_e64 s4, 0x42b17218, v1
	v_cndmask_b32_e64 v16, 0x7f800000, v2, s4
	v_mov_b32_e32 v1, v9
	v_mov_b32_e32 v2, v10
	;; [unrolled: 1-line block ×4, first 2 shown]
	v_add_f32_e32 v0, v0, v16
	v_mov_b32_e32 v5, v13
	v_mov_b32_e32 v6, v14
	;; [unrolled: 1-line block ×4, first 2 shown]
.LBB714_93:
	s_andn2_saveexec_b32 s4, s9
	s_or_b32 exec_lo, exec_lo, s4
.LBB714_94:
	s_or_b32 exec_lo, exec_lo, s5
	ds_bpermute_b32 v9, v29, v0
	s_mov_b32 s5, exec_lo
	s_waitcnt lgkmcnt(0)
	v_add_f32_e32 v0, v0, v9
	ds_bpermute_b32 v9, v30, v0
	s_waitcnt lgkmcnt(0)
	v_add_f32_e32 v0, v0, v9
	ds_bpermute_b32 v9, v31, v0
	;; [unrolled: 3-line block ×5, first 2 shown]
	v_cmpx_lt_i32_e32 0, v28
	s_cbranch_execz .LBB714_120
; %bb.95:
	s_and_b32 exec_lo, exec_lo, vcc_lo
	s_cbranch_execz .LBB714_120
; %bb.96:
	s_waitcnt lgkmcnt(0)
	v_add_f32_e32 v9, v0, v9
	v_mov_b32_e32 v10, 0x7fc00000
	v_cmp_neq_f32_e64 s4, 0, v9
	s_and_saveexec_b32 s5, s4
	s_cbranch_execz .LBB714_98
; %bb.97:
	v_div_scale_f32 v0, null, v9, v9, v1
	v_rcp_f32_e32 v10, v0
	v_fma_f32 v11, -v0, v10, 1.0
	v_fmac_f32_e32 v10, v11, v10
	v_div_scale_f32 v11, vcc_lo, v1, v9, v1
	v_mul_f32_e32 v12, v11, v10
	v_fma_f32 v13, -v0, v12, v11
	v_fmac_f32_e32 v12, v13, v10
	v_fma_f32 v0, -v0, v12, v11
	v_div_fmas_f32 v0, v0, v10, v12
	v_div_fixup_f32 v10, v0, v9, v1
.LBB714_98:
	s_or_b32 exec_lo, exec_lo, s5
	v_add_co_u32 v0, vcc_lo, s12, v24
	v_add_co_ci_u32_e64 v1, null, s13, v25, vcc_lo
	global_store_dword v[0:1], v10, off
	s_and_b32 exec_lo, exec_lo, s8
	s_cbranch_execz .LBB714_120
; %bb.99:
	v_mov_b32_e32 v10, 0x7fc00000
	s_and_saveexec_b32 s5, s4
	s_cbranch_execz .LBB714_101
; %bb.100:
	v_div_scale_f32 v10, null, v9, v9, v2
	v_rcp_f32_e32 v11, v10
	v_fma_f32 v12, -v10, v11, 1.0
	v_fmac_f32_e32 v11, v12, v11
	v_div_scale_f32 v12, vcc_lo, v2, v9, v2
	v_mul_f32_e32 v13, v12, v11
	v_fma_f32 v14, -v10, v13, v12
	v_fmac_f32_e32 v13, v14, v11
	v_fma_f32 v10, -v10, v13, v12
	v_div_fmas_f32 v10, v10, v11, v13
	v_div_fixup_f32 v10, v10, v9, v2
.LBB714_101:
	s_or_b32 exec_lo, exec_lo, s5
	global_store_dword v[0:1], v10, off offset:256
	s_and_b32 exec_lo, exec_lo, s7
	s_cbranch_execz .LBB714_120
; %bb.102:
	v_mov_b32_e32 v2, 0x7fc00000
	s_and_saveexec_b32 s5, s4
	s_cbranch_execz .LBB714_104
; %bb.103:
	v_div_scale_f32 v2, null, v9, v9, v3
	v_rcp_f32_e32 v10, v2
	v_fma_f32 v11, -v2, v10, 1.0
	v_fmac_f32_e32 v10, v11, v10
	v_div_scale_f32 v11, vcc_lo, v3, v9, v3
	v_mul_f32_e32 v12, v11, v10
	v_fma_f32 v13, -v2, v12, v11
	v_fmac_f32_e32 v12, v13, v10
	v_fma_f32 v2, -v2, v12, v11
	v_div_fmas_f32 v2, v2, v10, v12
	v_div_fixup_f32 v2, v2, v9, v3
.LBB714_104:
	s_or_b32 exec_lo, exec_lo, s5
	global_store_dword v[0:1], v2, off offset:512
	;; [unrolled: 21-line block ×7, first 2 shown]
.LBB714_120:
	s_endpgm
	.section	.rodata,"a",@progbits
	.p2align	6, 0x0
	.amdhsa_kernel _ZN12_GLOBAL__N_120softmax_warp_forwardIfffLi9ELb0ELb1ELi64EEEvPT0_PKT_iiiPKbib
		.amdhsa_group_segment_fixed_size 0
		.amdhsa_private_segment_fixed_size 0
		.amdhsa_kernarg_size 304
		.amdhsa_user_sgpr_count 6
		.amdhsa_user_sgpr_private_segment_buffer 1
		.amdhsa_user_sgpr_dispatch_ptr 0
		.amdhsa_user_sgpr_queue_ptr 0
		.amdhsa_user_sgpr_kernarg_segment_ptr 1
		.amdhsa_user_sgpr_dispatch_id 0
		.amdhsa_user_sgpr_flat_scratch_init 0
		.amdhsa_user_sgpr_private_segment_size 0
		.amdhsa_wavefront_size32 1
		.amdhsa_uses_dynamic_stack 0
		.amdhsa_system_sgpr_private_segment_wavefront_offset 0
		.amdhsa_system_sgpr_workgroup_id_x 1
		.amdhsa_system_sgpr_workgroup_id_y 0
		.amdhsa_system_sgpr_workgroup_id_z 0
		.amdhsa_system_sgpr_workgroup_info 0
		.amdhsa_system_vgpr_workitem_id 1
		.amdhsa_next_free_vgpr 36
		.amdhsa_next_free_sgpr 22
		.amdhsa_reserve_vcc 1
		.amdhsa_reserve_flat_scratch 0
		.amdhsa_float_round_mode_32 0
		.amdhsa_float_round_mode_16_64 0
		.amdhsa_float_denorm_mode_32 3
		.amdhsa_float_denorm_mode_16_64 3
		.amdhsa_dx10_clamp 1
		.amdhsa_ieee_mode 1
		.amdhsa_fp16_overflow 0
		.amdhsa_workgroup_processor_mode 1
		.amdhsa_memory_ordered 1
		.amdhsa_forward_progress 1
		.amdhsa_shared_vgpr_count 0
		.amdhsa_exception_fp_ieee_invalid_op 0
		.amdhsa_exception_fp_denorm_src 0
		.amdhsa_exception_fp_ieee_div_zero 0
		.amdhsa_exception_fp_ieee_overflow 0
		.amdhsa_exception_fp_ieee_underflow 0
		.amdhsa_exception_fp_ieee_inexact 0
		.amdhsa_exception_int_div_zero 0
	.end_amdhsa_kernel
	.section	.text._ZN12_GLOBAL__N_120softmax_warp_forwardIfffLi9ELb0ELb1ELi64EEEvPT0_PKT_iiiPKbib,"axG",@progbits,_ZN12_GLOBAL__N_120softmax_warp_forwardIfffLi9ELb0ELb1ELi64EEEvPT0_PKT_iiiPKbib,comdat
.Lfunc_end714:
	.size	_ZN12_GLOBAL__N_120softmax_warp_forwardIfffLi9ELb0ELb1ELi64EEEvPT0_PKT_iiiPKbib, .Lfunc_end714-_ZN12_GLOBAL__N_120softmax_warp_forwardIfffLi9ELb0ELb1ELi64EEEvPT0_PKT_iiiPKbib
                                        ; -- End function
	.set _ZN12_GLOBAL__N_120softmax_warp_forwardIfffLi9ELb0ELb1ELi64EEEvPT0_PKT_iiiPKbib.num_vgpr, 36
	.set _ZN12_GLOBAL__N_120softmax_warp_forwardIfffLi9ELb0ELb1ELi64EEEvPT0_PKT_iiiPKbib.num_agpr, 0
	.set _ZN12_GLOBAL__N_120softmax_warp_forwardIfffLi9ELb0ELb1ELi64EEEvPT0_PKT_iiiPKbib.numbered_sgpr, 22
	.set _ZN12_GLOBAL__N_120softmax_warp_forwardIfffLi9ELb0ELb1ELi64EEEvPT0_PKT_iiiPKbib.num_named_barrier, 0
	.set _ZN12_GLOBAL__N_120softmax_warp_forwardIfffLi9ELb0ELb1ELi64EEEvPT0_PKT_iiiPKbib.private_seg_size, 0
	.set _ZN12_GLOBAL__N_120softmax_warp_forwardIfffLi9ELb0ELb1ELi64EEEvPT0_PKT_iiiPKbib.uses_vcc, 1
	.set _ZN12_GLOBAL__N_120softmax_warp_forwardIfffLi9ELb0ELb1ELi64EEEvPT0_PKT_iiiPKbib.uses_flat_scratch, 0
	.set _ZN12_GLOBAL__N_120softmax_warp_forwardIfffLi9ELb0ELb1ELi64EEEvPT0_PKT_iiiPKbib.has_dyn_sized_stack, 0
	.set _ZN12_GLOBAL__N_120softmax_warp_forwardIfffLi9ELb0ELb1ELi64EEEvPT0_PKT_iiiPKbib.has_recursion, 0
	.set _ZN12_GLOBAL__N_120softmax_warp_forwardIfffLi9ELb0ELb1ELi64EEEvPT0_PKT_iiiPKbib.has_indirect_call, 0
	.section	.AMDGPU.csdata,"",@progbits
; Kernel info:
; codeLenInByte = 5228
; TotalNumSgprs: 24
; NumVgprs: 36
; ScratchSize: 0
; MemoryBound: 0
; FloatMode: 240
; IeeeMode: 1
; LDSByteSize: 0 bytes/workgroup (compile time only)
; SGPRBlocks: 0
; VGPRBlocks: 4
; NumSGPRsForWavesPerEU: 24
; NumVGPRsForWavesPerEU: 36
; Occupancy: 16
; WaveLimiterHint : 0
; COMPUTE_PGM_RSRC2:SCRATCH_EN: 0
; COMPUTE_PGM_RSRC2:USER_SGPR: 6
; COMPUTE_PGM_RSRC2:TRAP_HANDLER: 0
; COMPUTE_PGM_RSRC2:TGID_X_EN: 1
; COMPUTE_PGM_RSRC2:TGID_Y_EN: 0
; COMPUTE_PGM_RSRC2:TGID_Z_EN: 0
; COMPUTE_PGM_RSRC2:TIDIG_COMP_CNT: 1
	.section	.text._ZN12_GLOBAL__N_120softmax_warp_forwardIfffLi9ELb0ELb1ELi32EEEvPT0_PKT_iiiPKbib,"axG",@progbits,_ZN12_GLOBAL__N_120softmax_warp_forwardIfffLi9ELb0ELb1ELi32EEEvPT0_PKT_iiiPKbib,comdat
	.globl	_ZN12_GLOBAL__N_120softmax_warp_forwardIfffLi9ELb0ELb1ELi32EEEvPT0_PKT_iiiPKbib ; -- Begin function _ZN12_GLOBAL__N_120softmax_warp_forwardIfffLi9ELb0ELb1ELi32EEEvPT0_PKT_iiiPKbib
	.p2align	8
	.type	_ZN12_GLOBAL__N_120softmax_warp_forwardIfffLi9ELb0ELb1ELi32EEEvPT0_PKT_iiiPKbib,@function
_ZN12_GLOBAL__N_120softmax_warp_forwardIfffLi9ELb0ELb1ELi32EEEvPT0_PKT_iiiPKbib: ; @_ZN12_GLOBAL__N_120softmax_warp_forwardIfffLi9ELb0ELb1ELi32EEEvPT0_PKT_iiiPKbib
; %bb.0:
	s_clause 0x1
	s_load_dword s0, s[4:5], 0x3c
	s_load_dwordx4 s[16:19], s[4:5], 0x10
	s_waitcnt lgkmcnt(0)
	s_lshr_b32 s0, s0, 16
	v_mad_u64_u32 v[1:2], null, s6, s0, v[1:2]
	s_load_dwordx2 s[0:1], s[4:5], 0x28
	v_mul_lo_u32 v4, v1, s17
	v_add_nc_u32_e32 v2, v4, v0
	v_ashrrev_i32_e32 v3, 31, v2
	s_waitcnt lgkmcnt(0)
	s_bitcmp0_b32 s1, 0
	v_mov_b32_e32 v17, v3
	v_mov_b32_e32 v16, v2
	s_cbranch_scc1 .LBB715_2
; %bb.1:
	s_abs_i32 s1, s0
	v_sub_nc_u32_e32 v7, 0, v4
	v_cvt_f32_u32_e32 v5, s1
	s_sub_i32 s2, 0, s1
	v_max_i32_e32 v7, v4, v7
	v_rcp_iflag_f32_e32 v5, v5
	v_xor_b32_e32 v4, s0, v4
	v_ashrrev_i32_e32 v4, 31, v4
	v_mul_f32_e32 v5, 0x4f7ffffe, v5
	v_cvt_u32_f32_e32 v5, v5
	v_mul_lo_u32 v6, s2, v5
	v_mul_hi_u32 v6, v5, v6
	v_add_nc_u32_e32 v5, v5, v6
	v_mul_hi_u32 v5, v7, v5
	v_mul_lo_u32 v6, v5, s1
	v_sub_nc_u32_e32 v6, v7, v6
	v_add_nc_u32_e32 v7, 1, v5
	v_subrev_nc_u32_e32 v8, s1, v6
	v_cmp_le_u32_e32 vcc_lo, s1, v6
	v_cndmask_b32_e32 v5, v5, v7, vcc_lo
	v_cndmask_b32_e32 v6, v6, v8, vcc_lo
	v_add_nc_u32_e32 v7, 1, v5
	v_cmp_le_u32_e32 vcc_lo, s1, v6
	v_cndmask_b32_e32 v5, v5, v7, vcc_lo
	v_xor_b32_e32 v5, v5, v4
	v_sub_nc_u32_e32 v4, v5, v4
	v_mad_u64_u32 v[16:17], null, v4, s17, v[0:1]
	v_ashrrev_i32_e32 v17, 31, v16
.LBB715_2:
	s_load_dwordx4 s[20:23], s[4:5], 0x0
	v_lshlrev_b64 v[48:49], 2, v[2:3]
	v_sub_nc_u32_e32 v52, s16, v1
	v_cmp_gt_i32_e32 vcc_lo, s18, v0
	v_mov_b32_e32 v32, 0xff800000
	v_mov_b32_e32 v1, 0xff800000
	v_cmp_lt_i32_e64 s17, 0, v52
	s_and_b32 s35, s17, vcc_lo
	s_waitcnt lgkmcnt(0)
	v_add_co_u32 v18, s0, s22, v48
	v_add_co_ci_u32_e64 v19, null, s23, v49, s0
	s_and_saveexec_b32 s0, s35
	s_cbranch_execz .LBB715_4
; %bb.3:
	global_load_dword v1, v[18:19], off
.LBB715_4:
	s_or_b32 exec_lo, exec_lo, s0
	v_add_nc_u32_e32 v2, 32, v0
	v_cmp_gt_i32_e64 s16, s18, v2
	s_and_b32 s36, s17, s16
	s_and_saveexec_b32 s0, s36
	s_cbranch_execz .LBB715_6
; %bb.5:
	global_load_dword v32, v[18:19], off offset:128
.LBB715_6:
	s_or_b32 exec_lo, exec_lo, s0
	v_add_nc_u32_e32 v2, 64, v0
	v_mov_b32_e32 v3, 0xff800000
	v_cmp_gt_i32_e64 s15, s18, v2
	v_mov_b32_e32 v2, 0xff800000
	s_and_b32 s34, s17, s15
	s_and_saveexec_b32 s0, s34
	s_cbranch_execz .LBB715_8
; %bb.7:
	global_load_dword v2, v[18:19], off offset:256
.LBB715_8:
	s_or_b32 exec_lo, exec_lo, s0
	v_add_nc_u32_e32 v4, 0x60, v0
	v_cmp_gt_i32_e64 s14, s18, v4
	s_and_b32 s33, s17, s14
	s_and_saveexec_b32 s0, s33
	s_cbranch_execz .LBB715_10
; %bb.9:
	global_load_dword v3, v[18:19], off offset:384
.LBB715_10:
	s_or_b32 exec_lo, exec_lo, s0
	v_add_nc_u32_e32 v4, 0x80, v0
	v_mov_b32_e32 v5, 0xff800000
	v_cmp_gt_i32_e64 s13, s18, v4
	v_mov_b32_e32 v4, 0xff800000
	s_and_b32 s31, s17, s13
	s_and_saveexec_b32 s0, s31
	s_cbranch_execz .LBB715_12
; %bb.11:
	global_load_dword v4, v[18:19], off offset:512
.LBB715_12:
	s_or_b32 exec_lo, exec_lo, s0
	v_add_nc_u32_e32 v6, 0xa0, v0
	v_cmp_gt_i32_e64 s12, s18, v6
	s_and_b32 s30, s17, s12
	s_and_saveexec_b32 s0, s30
	s_cbranch_execz .LBB715_14
; %bb.13:
	global_load_dword v5, v[18:19], off offset:640
.LBB715_14:
	s_or_b32 exec_lo, exec_lo, s0
	v_add_nc_u32_e32 v6, 0xc0, v0
	v_mov_b32_e32 v7, 0xff800000
	v_cmp_gt_i32_e64 s11, s18, v6
	v_mov_b32_e32 v6, 0xff800000
	s_and_b32 s29, s17, s11
	s_and_saveexec_b32 s0, s29
	s_cbranch_execz .LBB715_16
; %bb.15:
	global_load_dword v6, v[18:19], off offset:768
.LBB715_16:
	s_or_b32 exec_lo, exec_lo, s0
	v_add_nc_u32_e32 v8, 0xe0, v0
	v_cmp_gt_i32_e64 s10, s18, v8
	s_and_b32 s28, s17, s10
	s_and_saveexec_b32 s0, s28
	s_cbranch_execz .LBB715_18
; %bb.17:
	global_load_dword v7, v[18:19], off offset:896
.LBB715_18:
	s_or_b32 exec_lo, exec_lo, s0
	v_add_nc_u32_e32 v8, 0x100, v0
	v_mov_b32_e32 v9, 0xff800000
	v_cmp_gt_i32_e64 s9, s18, v8
	v_mov_b32_e32 v8, 0xff800000
	s_and_b32 s27, s17, s9
	s_and_saveexec_b32 s0, s27
	s_cbranch_execz .LBB715_20
; %bb.19:
	global_load_dword v8, v[18:19], off offset:1024
.LBB715_20:
	s_or_b32 exec_lo, exec_lo, s0
	v_add_nc_u32_e32 v10, 0x120, v0
	v_cmp_gt_i32_e64 s8, s18, v10
	s_and_b32 s26, s17, s8
	s_and_saveexec_b32 s0, s26
	s_cbranch_execz .LBB715_22
; %bb.21:
	global_load_dword v9, v[18:19], off offset:1152
.LBB715_22:
	s_or_b32 exec_lo, exec_lo, s0
	v_add_nc_u32_e32 v10, 0x140, v0
	v_mov_b32_e32 v11, 0xff800000
	v_cmp_gt_i32_e64 s7, s18, v10
	v_mov_b32_e32 v10, 0xff800000
	s_and_b32 s25, s17, s7
	s_and_saveexec_b32 s0, s25
	s_cbranch_execz .LBB715_24
; %bb.23:
	global_load_dword v10, v[18:19], off offset:1280
.LBB715_24:
	s_or_b32 exec_lo, exec_lo, s0
	v_add_nc_u32_e32 v12, 0x160, v0
	v_cmp_gt_i32_e64 s6, s18, v12
	s_and_b32 s24, s17, s6
	s_and_saveexec_b32 s0, s24
	s_cbranch_execz .LBB715_26
; %bb.25:
	global_load_dword v11, v[18:19], off offset:1408
.LBB715_26:
	s_or_b32 exec_lo, exec_lo, s0
	v_add_nc_u32_e32 v12, 0x180, v0
	v_mov_b32_e32 v13, 0xff800000
	v_cmp_gt_i32_e64 s3, s18, v12
	v_mov_b32_e32 v12, 0xff800000
	s_and_b32 s23, s17, s3
	s_and_saveexec_b32 s0, s23
	s_cbranch_execz .LBB715_28
; %bb.27:
	global_load_dword v12, v[18:19], off offset:1536
.LBB715_28:
	s_or_b32 exec_lo, exec_lo, s0
	v_add_nc_u32_e32 v14, 0x1a0, v0
	v_cmp_gt_i32_e64 s2, s18, v14
	s_and_b32 s22, s17, s2
	s_and_saveexec_b32 s0, s22
	s_cbranch_execz .LBB715_30
; %bb.29:
	global_load_dword v13, v[18:19], off offset:1664
.LBB715_30:
	s_or_b32 exec_lo, exec_lo, s0
	v_add_nc_u32_e32 v14, 0x1c0, v0
	v_mov_b32_e32 v15, 0xff800000
	v_cmp_gt_i32_e64 s1, s18, v14
	v_mov_b32_e32 v14, 0xff800000
	s_and_b32 s19, s17, s1
	s_and_saveexec_b32 s0, s19
	s_cbranch_execz .LBB715_32
; %bb.31:
	global_load_dword v14, v[18:19], off offset:1792
.LBB715_32:
	s_or_b32 exec_lo, exec_lo, s0
	v_add_nc_u32_e32 v0, 0x1e0, v0
	v_cmp_gt_i32_e64 s0, s18, v0
	s_and_b32 s17, s17, s0
	s_and_saveexec_b32 s18, s17
	s_cbranch_execz .LBB715_34
; %bb.33:
	global_load_dword v15, v[18:19], off offset:1920
.LBB715_34:
	s_or_b32 exec_lo, exec_lo, s18
	s_load_dwordx2 s[4:5], s[4:5], 0x20
	s_waitcnt lgkmcnt(0)
	v_add_co_u32 v50, s4, s4, v16
	v_add_co_ci_u32_e64 v51, null, s5, v17, s4
	s_mov_b32 s5, 0
	s_and_saveexec_b32 s18, s35
	s_cbranch_execz .LBB715_64
; %bb.35:
	global_load_ubyte v0, v[50:51], off
	s_waitcnt vmcnt(0)
	v_and_b32_e32 v0, 1, v0
	v_cmp_eq_u32_e64 s4, 1, v0
	s_xor_b32 s4, s4, -1
	s_and_b32 s5, s4, exec_lo
	s_or_b32 exec_lo, exec_lo, s18
	v_mov_b32_e32 v0, v1
	s_and_saveexec_b32 s18, s36
	s_cbranch_execnz .LBB715_65
.LBB715_36:
	s_or_b32 exec_lo, exec_lo, s18
	s_and_saveexec_b32 s18, s34
	s_cbranch_execz .LBB715_68
.LBB715_37:
	global_load_ubyte v16, v[50:51], off offset:64
	s_waitcnt vmcnt(0)
	v_and_b32_e32 v16, 1, v16
	v_cmp_eq_u32_e64 s4, 1, v16
	s_xor_b32 s38, s4, -1
	s_mov_b32 s4, s5
	s_and_saveexec_b32 s37, s38
; %bb.38:
	v_cmp_gt_f32_e64 s4, v0, v2
	s_and_b32 s4, s5, s4
	v_cndmask_b32_e64 v0, v2, v0, s4
	s_or_b32 s4, s5, exec_lo
; %bb.39:
	s_or_b32 exec_lo, exec_lo, s37
	s_andn2_b32 s5, s5, exec_lo
	s_and_b32 s4, s4, exec_lo
	s_or_b32 s5, s5, s4
	s_or_b32 exec_lo, exec_lo, s18
	s_and_saveexec_b32 s18, s33
	s_cbranch_execnz .LBB715_69
.LBB715_40:
	s_or_b32 exec_lo, exec_lo, s18
	s_and_saveexec_b32 s18, s31
	s_cbranch_execz .LBB715_72
.LBB715_41:
	global_load_ubyte v16, v[50:51], off offset:128
	s_waitcnt vmcnt(0)
	v_and_b32_e32 v16, 1, v16
	v_cmp_eq_u32_e64 s4, 1, v16
	s_xor_b32 s38, s4, -1
	s_mov_b32 s4, s5
	s_and_saveexec_b32 s37, s38
; %bb.42:
	v_cmp_gt_f32_e64 s4, v0, v4
	s_and_b32 s4, s5, s4
	v_cndmask_b32_e64 v0, v4, v0, s4
	s_or_b32 s4, s5, exec_lo
; %bb.43:
	s_or_b32 exec_lo, exec_lo, s37
	s_andn2_b32 s5, s5, exec_lo
	s_and_b32 s4, s4, exec_lo
	s_or_b32 s5, s5, s4
	s_or_b32 exec_lo, exec_lo, s18
	s_and_saveexec_b32 s18, s30
	s_cbranch_execnz .LBB715_73
.LBB715_44:
	s_or_b32 exec_lo, exec_lo, s18
	s_and_saveexec_b32 s18, s29
	s_cbranch_execz .LBB715_76
.LBB715_45:
	global_load_ubyte v16, v[50:51], off offset:192
	s_waitcnt vmcnt(0)
	v_and_b32_e32 v16, 1, v16
	v_cmp_eq_u32_e64 s4, 1, v16
	s_xor_b32 s38, s4, -1
	s_mov_b32 s4, s5
	s_and_saveexec_b32 s37, s38
; %bb.46:
	v_cmp_gt_f32_e64 s4, v0, v6
	s_and_b32 s4, s5, s4
	v_cndmask_b32_e64 v0, v6, v0, s4
	s_or_b32 s4, s5, exec_lo
; %bb.47:
	s_or_b32 exec_lo, exec_lo, s37
	s_andn2_b32 s5, s5, exec_lo
	s_and_b32 s4, s4, exec_lo
	s_or_b32 s5, s5, s4
	s_or_b32 exec_lo, exec_lo, s18
	s_and_saveexec_b32 s18, s28
	s_cbranch_execnz .LBB715_77
.LBB715_48:
	s_or_b32 exec_lo, exec_lo, s18
	s_and_saveexec_b32 s18, s27
	s_cbranch_execz .LBB715_80
.LBB715_49:
	global_load_ubyte v16, v[50:51], off offset:256
	s_waitcnt vmcnt(0)
	v_and_b32_e32 v16, 1, v16
	v_cmp_eq_u32_e64 s4, 1, v16
	s_xor_b32 s38, s4, -1
	s_mov_b32 s4, s5
	s_and_saveexec_b32 s37, s38
; %bb.50:
	v_cmp_gt_f32_e64 s4, v0, v8
	s_and_b32 s4, s5, s4
	v_cndmask_b32_e64 v0, v8, v0, s4
	s_or_b32 s4, s5, exec_lo
; %bb.51:
	s_or_b32 exec_lo, exec_lo, s37
	s_andn2_b32 s5, s5, exec_lo
	s_and_b32 s4, s4, exec_lo
	s_or_b32 s5, s5, s4
	s_or_b32 exec_lo, exec_lo, s18
	s_and_saveexec_b32 s18, s26
	s_cbranch_execnz .LBB715_81
.LBB715_52:
	s_or_b32 exec_lo, exec_lo, s18
	s_and_saveexec_b32 s18, s25
	s_cbranch_execz .LBB715_84
.LBB715_53:
	global_load_ubyte v16, v[50:51], off offset:320
	s_waitcnt vmcnt(0)
	v_and_b32_e32 v16, 1, v16
	v_cmp_eq_u32_e64 s4, 1, v16
	s_xor_b32 s38, s4, -1
	s_mov_b32 s4, s5
	s_and_saveexec_b32 s37, s38
; %bb.54:
	v_cmp_gt_f32_e64 s4, v0, v10
	s_and_b32 s4, s5, s4
	v_cndmask_b32_e64 v0, v10, v0, s4
	s_or_b32 s4, s5, exec_lo
; %bb.55:
	s_or_b32 exec_lo, exec_lo, s37
	s_andn2_b32 s5, s5, exec_lo
	s_and_b32 s4, s4, exec_lo
	s_or_b32 s5, s5, s4
	s_or_b32 exec_lo, exec_lo, s18
	s_and_saveexec_b32 s18, s24
	s_cbranch_execnz .LBB715_85
.LBB715_56:
	s_or_b32 exec_lo, exec_lo, s18
	s_and_saveexec_b32 s18, s23
	s_cbranch_execz .LBB715_88
.LBB715_57:
	global_load_ubyte v16, v[50:51], off offset:384
	s_waitcnt vmcnt(0)
	v_and_b32_e32 v16, 1, v16
	v_cmp_eq_u32_e64 s4, 1, v16
	s_xor_b32 s38, s4, -1
	s_mov_b32 s4, s5
	s_and_saveexec_b32 s37, s38
; %bb.58:
	v_cmp_gt_f32_e64 s4, v0, v12
	s_and_b32 s4, s5, s4
	v_cndmask_b32_e64 v0, v12, v0, s4
	s_or_b32 s4, s5, exec_lo
; %bb.59:
	s_or_b32 exec_lo, exec_lo, s37
	s_andn2_b32 s5, s5, exec_lo
	s_and_b32 s4, s4, exec_lo
	s_or_b32 s5, s5, s4
	s_or_b32 exec_lo, exec_lo, s18
	s_and_saveexec_b32 s18, s22
	s_cbranch_execnz .LBB715_89
.LBB715_60:
	s_or_b32 exec_lo, exec_lo, s18
	s_and_saveexec_b32 s18, s19
	s_cbranch_execz .LBB715_92
.LBB715_61:
	global_load_ubyte v16, v[50:51], off offset:448
	s_waitcnt vmcnt(0)
	v_and_b32_e32 v16, 1, v16
	v_cmp_eq_u32_e64 s4, 1, v16
	s_xor_b32 s38, s4, -1
	s_mov_b32 s4, s5
	s_and_saveexec_b32 s37, s38
; %bb.62:
	v_cmp_gt_f32_e64 s4, v0, v14
	s_and_b32 s4, s5, s4
	v_cndmask_b32_e64 v0, v14, v0, s4
	s_or_b32 s4, s5, exec_lo
; %bb.63:
	s_or_b32 exec_lo, exec_lo, s37
	s_andn2_b32 s5, s5, exec_lo
	s_and_b32 s4, s4, exec_lo
	s_or_b32 s5, s5, s4
	s_or_b32 exec_lo, exec_lo, s18
	s_and_saveexec_b32 s18, s17
	s_cbranch_execz .LBB715_96
	s_branch .LBB715_93
.LBB715_64:
	s_or_b32 exec_lo, exec_lo, s18
	s_waitcnt vmcnt(0)
	v_mov_b32_e32 v0, v1
	s_and_saveexec_b32 s18, s36
	s_cbranch_execz .LBB715_36
.LBB715_65:
	global_load_ubyte v0, v[50:51], off offset:32
	s_waitcnt vmcnt(0)
	v_and_b32_e32 v0, 1, v0
	v_cmp_eq_u32_e64 s4, 1, v0
	v_mov_b32_e32 v0, v1
	s_xor_b32 s38, s4, -1
	s_mov_b32 s4, s5
	s_and_saveexec_b32 s37, s38
; %bb.66:
	v_cmp_gt_f32_e64 s4, v1, v32
	s_and_b32 s4, s5, s4
	v_cndmask_b32_e64 v0, v32, v1, s4
	s_or_b32 s4, s5, exec_lo
; %bb.67:
	s_or_b32 exec_lo, exec_lo, s37
	s_andn2_b32 s5, s5, exec_lo
	s_and_b32 s4, s4, exec_lo
	s_or_b32 s5, s5, s4
	s_or_b32 exec_lo, exec_lo, s18
	s_and_saveexec_b32 s18, s34
	s_cbranch_execnz .LBB715_37
.LBB715_68:
	s_or_b32 exec_lo, exec_lo, s18
	s_and_saveexec_b32 s18, s33
	s_cbranch_execz .LBB715_40
.LBB715_69:
	global_load_ubyte v16, v[50:51], off offset:96
	s_waitcnt vmcnt(0)
	v_and_b32_e32 v16, 1, v16
	v_cmp_eq_u32_e64 s4, 1, v16
	s_xor_b32 s38, s4, -1
	s_mov_b32 s4, s5
	s_and_saveexec_b32 s37, s38
; %bb.70:
	v_cmp_gt_f32_e64 s4, v0, v3
	s_and_b32 s4, s5, s4
	v_cndmask_b32_e64 v0, v3, v0, s4
	s_or_b32 s4, s5, exec_lo
; %bb.71:
	s_or_b32 exec_lo, exec_lo, s37
	s_andn2_b32 s5, s5, exec_lo
	s_and_b32 s4, s4, exec_lo
	s_or_b32 s5, s5, s4
	s_or_b32 exec_lo, exec_lo, s18
	s_and_saveexec_b32 s18, s31
	s_cbranch_execnz .LBB715_41
.LBB715_72:
	s_or_b32 exec_lo, exec_lo, s18
	s_and_saveexec_b32 s18, s30
	s_cbranch_execz .LBB715_44
.LBB715_73:
	global_load_ubyte v16, v[50:51], off offset:160
	s_waitcnt vmcnt(0)
	v_and_b32_e32 v16, 1, v16
	v_cmp_eq_u32_e64 s4, 1, v16
	s_xor_b32 s38, s4, -1
	s_mov_b32 s4, s5
	s_and_saveexec_b32 s37, s38
; %bb.74:
	v_cmp_gt_f32_e64 s4, v0, v5
	s_and_b32 s4, s5, s4
	v_cndmask_b32_e64 v0, v5, v0, s4
	s_or_b32 s4, s5, exec_lo
; %bb.75:
	s_or_b32 exec_lo, exec_lo, s37
	s_andn2_b32 s5, s5, exec_lo
	s_and_b32 s4, s4, exec_lo
	s_or_b32 s5, s5, s4
	s_or_b32 exec_lo, exec_lo, s18
	s_and_saveexec_b32 s18, s29
	s_cbranch_execnz .LBB715_45
.LBB715_76:
	s_or_b32 exec_lo, exec_lo, s18
	s_and_saveexec_b32 s18, s28
	s_cbranch_execz .LBB715_48
.LBB715_77:
	global_load_ubyte v16, v[50:51], off offset:224
	s_waitcnt vmcnt(0)
	v_and_b32_e32 v16, 1, v16
	v_cmp_eq_u32_e64 s4, 1, v16
	s_xor_b32 s38, s4, -1
	s_mov_b32 s4, s5
	s_and_saveexec_b32 s37, s38
; %bb.78:
	v_cmp_gt_f32_e64 s4, v0, v7
	s_and_b32 s4, s5, s4
	v_cndmask_b32_e64 v0, v7, v0, s4
	s_or_b32 s4, s5, exec_lo
; %bb.79:
	s_or_b32 exec_lo, exec_lo, s37
	s_andn2_b32 s5, s5, exec_lo
	s_and_b32 s4, s4, exec_lo
	s_or_b32 s5, s5, s4
	s_or_b32 exec_lo, exec_lo, s18
	s_and_saveexec_b32 s18, s27
	s_cbranch_execnz .LBB715_49
.LBB715_80:
	s_or_b32 exec_lo, exec_lo, s18
	s_and_saveexec_b32 s18, s26
	s_cbranch_execz .LBB715_52
.LBB715_81:
	global_load_ubyte v16, v[50:51], off offset:288
	s_waitcnt vmcnt(0)
	v_and_b32_e32 v16, 1, v16
	v_cmp_eq_u32_e64 s4, 1, v16
	s_xor_b32 s38, s4, -1
	s_mov_b32 s4, s5
	s_and_saveexec_b32 s37, s38
; %bb.82:
	v_cmp_gt_f32_e64 s4, v0, v9
	s_and_b32 s4, s5, s4
	v_cndmask_b32_e64 v0, v9, v0, s4
	s_or_b32 s4, s5, exec_lo
; %bb.83:
	s_or_b32 exec_lo, exec_lo, s37
	s_andn2_b32 s5, s5, exec_lo
	s_and_b32 s4, s4, exec_lo
	s_or_b32 s5, s5, s4
	s_or_b32 exec_lo, exec_lo, s18
	s_and_saveexec_b32 s18, s25
	s_cbranch_execnz .LBB715_53
.LBB715_84:
	s_or_b32 exec_lo, exec_lo, s18
	s_and_saveexec_b32 s18, s24
	s_cbranch_execz .LBB715_56
.LBB715_85:
	global_load_ubyte v16, v[50:51], off offset:352
	s_waitcnt vmcnt(0)
	v_and_b32_e32 v16, 1, v16
	v_cmp_eq_u32_e64 s4, 1, v16
	s_xor_b32 s38, s4, -1
	s_mov_b32 s4, s5
	s_and_saveexec_b32 s37, s38
; %bb.86:
	v_cmp_gt_f32_e64 s4, v0, v11
	s_and_b32 s4, s5, s4
	v_cndmask_b32_e64 v0, v11, v0, s4
	s_or_b32 s4, s5, exec_lo
; %bb.87:
	s_or_b32 exec_lo, exec_lo, s37
	s_andn2_b32 s5, s5, exec_lo
	s_and_b32 s4, s4, exec_lo
	s_or_b32 s5, s5, s4
	s_or_b32 exec_lo, exec_lo, s18
	s_and_saveexec_b32 s18, s23
	s_cbranch_execnz .LBB715_57
.LBB715_88:
	s_or_b32 exec_lo, exec_lo, s18
	s_and_saveexec_b32 s18, s22
	s_cbranch_execz .LBB715_60
.LBB715_89:
	global_load_ubyte v16, v[50:51], off offset:416
	s_waitcnt vmcnt(0)
	v_and_b32_e32 v16, 1, v16
	v_cmp_eq_u32_e64 s4, 1, v16
	s_xor_b32 s38, s4, -1
	s_mov_b32 s4, s5
	s_and_saveexec_b32 s37, s38
; %bb.90:
	v_cmp_gt_f32_e64 s4, v0, v13
	s_and_b32 s4, s5, s4
	v_cndmask_b32_e64 v0, v13, v0, s4
	s_or_b32 s4, s5, exec_lo
; %bb.91:
	s_or_b32 exec_lo, exec_lo, s37
	s_andn2_b32 s5, s5, exec_lo
	s_and_b32 s4, s4, exec_lo
	s_or_b32 s5, s5, s4
	s_or_b32 exec_lo, exec_lo, s18
	s_and_saveexec_b32 s18, s19
	s_cbranch_execnz .LBB715_61
.LBB715_92:
	s_or_b32 exec_lo, exec_lo, s18
	s_and_saveexec_b32 s18, s17
	s_cbranch_execz .LBB715_96
.LBB715_93:
	global_load_ubyte v16, v[50:51], off offset:480
	s_waitcnt vmcnt(0)
	v_and_b32_e32 v16, 1, v16
	v_cmp_eq_u32_e64 s4, 1, v16
	s_xor_b32 s38, s4, -1
	s_mov_b32 s4, s5
	s_and_saveexec_b32 s37, s38
; %bb.94:
	v_cmp_gt_f32_e64 s4, v0, v15
	s_and_b32 s4, s5, s4
	v_cndmask_b32_e64 v0, v15, v0, s4
	s_or_b32 s4, s5, exec_lo
; %bb.95:
	s_or_b32 exec_lo, exec_lo, s37
	s_andn2_b32 s5, s5, exec_lo
	s_and_b32 s4, s4, exec_lo
	s_or_b32 s5, s5, s4
.LBB715_96:
	s_or_b32 exec_lo, exec_lo, s18
	v_mbcnt_lo_u32_b32 v16, -1, 0
	v_cndmask_b32_e64 v0, 0xff800000, v0, s5
	s_xor_b32 s5, s36, -1
	v_xor_b32_e32 v17, 16, v16
	v_xor_b32_e32 v18, 8, v16
	v_cmp_gt_i32_e64 s4, 32, v17
	v_cndmask_b32_e64 v17, v16, v17, s4
	v_cmp_gt_i32_e64 s4, 32, v18
	v_lshlrev_b32_e32 v53, 2, v17
	v_cndmask_b32_e64 v18, v16, v18, s4
	ds_bpermute_b32 v17, v53, v0
	v_lshlrev_b32_e32 v54, 2, v18
	v_xor_b32_e32 v18, 4, v16
	s_waitcnt lgkmcnt(0)
	v_cmp_lt_f32_e64 s4, v0, v17
	v_cndmask_b32_e64 v0, v0, v17, s4
	v_cmp_gt_i32_e64 s4, 32, v18
	ds_bpermute_b32 v17, v54, v0
	v_cndmask_b32_e64 v18, v16, v18, s4
	v_lshlrev_b32_e32 v55, 2, v18
	v_xor_b32_e32 v18, 2, v16
	s_waitcnt lgkmcnt(0)
	v_cmp_lt_f32_e64 s4, v0, v17
	v_cndmask_b32_e64 v0, v0, v17, s4
	v_cmp_gt_i32_e64 s4, 32, v18
	ds_bpermute_b32 v17, v55, v0
	v_cndmask_b32_e64 v18, v16, v18, s4
	;; [unrolled: 8-line block ×3, first 2 shown]
	v_lshlrev_b32_e32 v57, 2, v16
	s_waitcnt lgkmcnt(0)
	v_cmp_lt_f32_e64 s4, v0, v17
	v_cndmask_b32_e64 v0, v0, v17, s4
	ds_bpermute_b32 v16, v57, v0
	s_waitcnt lgkmcnt(0)
	v_cmp_lt_f32_e64 s4, v0, v16
	v_cndmask_b32_e64 v58, v0, v16, s4
	v_mov_b32_e32 v0, 0
	s_and_saveexec_b32 s18, s35
	s_cbranch_execz .LBB715_100
; %bb.97:
	global_load_ubyte v0, v[50:51], off
	s_waitcnt vmcnt(0)
	v_and_b32_e32 v0, 1, v0
	v_cmp_eq_u32_e64 s4, 1, v0
	v_mov_b32_e32 v0, 0
	s_xor_b32 s4, s4, -1
	s_and_saveexec_b32 s35, s4
	s_cbranch_execz .LBB715_99
; %bb.98:
	v_sub_f32_e32 v0, v1, v58
	v_mul_f32_e32 v1, 0x3fb8aa3b, v0
	v_cmp_ngt_f32_e64 s4, 0xc2ce8ed0, v0
	v_fma_f32 v16, 0x3fb8aa3b, v0, -v1
	v_rndne_f32_e32 v17, v1
	v_fmamk_f32 v16, v0, 0x32a5705f, v16
	v_sub_f32_e32 v1, v1, v17
	v_add_f32_e32 v1, v1, v16
	v_cvt_i32_f32_e32 v16, v17
	v_exp_f32_e32 v1, v1
	v_ldexp_f32 v1, v1, v16
	v_cndmask_b32_e64 v1, 0, v1, s4
	v_cmp_nlt_f32_e64 s4, 0x42b17218, v0
	v_cndmask_b32_e64 v0, 0x7f800000, v1, s4
.LBB715_99:
	s_or_b32 exec_lo, exec_lo, s35
.LBB715_100:
	s_or_b32 exec_lo, exec_lo, s18
                                        ; implicit-def: $vgpr16_vgpr17_vgpr18_vgpr19_vgpr20_vgpr21_vgpr22_vgpr23_vgpr24_vgpr25_vgpr26_vgpr27_vgpr28_vgpr29_vgpr30_vgpr31
	s_and_saveexec_b32 s4, s5
	s_xor_b32 s4, exec_lo, s4
	s_cbranch_execz .LBB715_130
; %bb.101:
	s_mov_b32 s5, 0
                                        ; implicit-def: $vgpr32
	v_mov_b32_e32 v1, s5
	v_mov_b32_e32 v31, v15
	;; [unrolled: 1-line block ×17, first 2 shown]
	s_or_saveexec_b32 s18, s4
	s_xor_b32 s5, s34, -1
	s_xor_b32 exec_lo, exec_lo, s18
	s_cbranch_execnz .LBB715_131
.LBB715_102:
	s_or_b32 exec_lo, exec_lo, s18
                                        ; implicit-def: $vgpr32_vgpr33_vgpr34_vgpr35_vgpr36_vgpr37_vgpr38_vgpr39_vgpr40_vgpr41_vgpr42_vgpr43_vgpr44_vgpr45_vgpr46_vgpr47
	s_and_saveexec_b32 s4, s5
	s_xor_b32 s4, exec_lo, s4
	s_cbranch_execz .LBB715_134
.LBB715_103:
	s_mov_b32 s5, 0
	v_mov_b32_e32 v18, s5
	v_mov_b32_e32 v47, v31
	;; [unrolled: 1-line block ×17, first 2 shown]
                                        ; implicit-def: $vgpr16_vgpr17_vgpr18_vgpr19_vgpr20_vgpr21_vgpr22_vgpr23_vgpr24_vgpr25_vgpr26_vgpr27_vgpr28_vgpr29_vgpr30_vgpr31
	s_or_saveexec_b32 s18, s4
	s_xor_b32 s5, s33, -1
	s_xor_b32 exec_lo, exec_lo, s18
	s_cbranch_execnz .LBB715_135
.LBB715_104:
	s_or_b32 exec_lo, exec_lo, s18
                                        ; implicit-def: $vgpr1_vgpr2_vgpr3_vgpr4_vgpr5_vgpr6_vgpr7_vgpr8_vgpr9_vgpr10_vgpr11_vgpr12_vgpr13_vgpr14_vgpr15_vgpr16
	s_and_saveexec_b32 s4, s5
	s_xor_b32 s4, exec_lo, s4
	s_cbranch_execz .LBB715_138
.LBB715_105:
	s_mov_b32 s5, 0
	v_mov_b32_e32 v35, s5
	v_mov_b32_e32 v1, v32
	;; [unrolled: 1-line block ×17, first 2 shown]
                                        ; implicit-def: $vgpr32_vgpr33_vgpr34_vgpr35_vgpr36_vgpr37_vgpr38_vgpr39_vgpr40_vgpr41_vgpr42_vgpr43_vgpr44_vgpr45_vgpr46_vgpr47
	s_or_saveexec_b32 s18, s4
	s_xor_b32 s5, s31, -1
	s_xor_b32 exec_lo, exec_lo, s18
	s_cbranch_execnz .LBB715_139
.LBB715_106:
	s_or_b32 exec_lo, exec_lo, s18
                                        ; implicit-def: $vgpr17_vgpr18_vgpr19_vgpr20_vgpr21_vgpr22_vgpr23_vgpr24_vgpr25_vgpr26_vgpr27_vgpr28_vgpr29_vgpr30_vgpr31_vgpr32
	s_and_saveexec_b32 s4, s5
	s_xor_b32 s4, exec_lo, s4
	s_cbranch_execz .LBB715_142
.LBB715_107:
	s_mov_b32 s5, 0
	v_mov_b32_e32 v5, s5
	v_mov_b32_e32 v32, v16
	;; [unrolled: 1-line block ×17, first 2 shown]
                                        ; implicit-def: $vgpr1_vgpr2_vgpr3_vgpr4_vgpr5_vgpr6_vgpr7_vgpr8_vgpr9_vgpr10_vgpr11_vgpr12_vgpr13_vgpr14_vgpr15_vgpr16
	s_or_saveexec_b32 s18, s4
	s_xor_b32 s5, s30, -1
	s_xor_b32 exec_lo, exec_lo, s18
	s_cbranch_execnz .LBB715_143
.LBB715_108:
	s_or_b32 exec_lo, exec_lo, s18
                                        ; implicit-def: $vgpr1_vgpr2_vgpr3_vgpr4_vgpr5_vgpr6_vgpr7_vgpr8_vgpr9_vgpr10_vgpr11_vgpr12_vgpr13_vgpr14_vgpr15_vgpr16
	s_and_saveexec_b32 s4, s5
	s_xor_b32 s4, exec_lo, s4
	s_cbranch_execz .LBB715_146
.LBB715_109:
	s_mov_b32 s5, 0
	v_mov_b32_e32 v22, s5
	v_mov_b32_e32 v1, v17
	;; [unrolled: 1-line block ×17, first 2 shown]
                                        ; implicit-def: $vgpr17_vgpr18_vgpr19_vgpr20_vgpr21_vgpr22_vgpr23_vgpr24_vgpr25_vgpr26_vgpr27_vgpr28_vgpr29_vgpr30_vgpr31_vgpr32
	s_or_saveexec_b32 s18, s4
	s_xor_b32 s5, s29, -1
	s_xor_b32 exec_lo, exec_lo, s18
	s_cbranch_execnz .LBB715_147
.LBB715_110:
	s_or_b32 exec_lo, exec_lo, s18
                                        ; implicit-def: $vgpr17_vgpr18_vgpr19_vgpr20_vgpr21_vgpr22_vgpr23_vgpr24_vgpr25_vgpr26_vgpr27_vgpr28_vgpr29_vgpr30_vgpr31_vgpr32
	s_and_saveexec_b32 s4, s5
	s_xor_b32 s4, exec_lo, s4
	s_cbranch_execz .LBB715_150
.LBB715_111:
	s_mov_b32 s5, 0
	v_mov_b32_e32 v7, s5
	v_mov_b32_e32 v32, v16
	;; [unrolled: 1-line block ×17, first 2 shown]
                                        ; implicit-def: $vgpr1_vgpr2_vgpr3_vgpr4_vgpr5_vgpr6_vgpr7_vgpr8_vgpr9_vgpr10_vgpr11_vgpr12_vgpr13_vgpr14_vgpr15_vgpr16
	s_or_saveexec_b32 s18, s4
	s_xor_b32 s5, s28, -1
	s_xor_b32 exec_lo, exec_lo, s18
	s_cbranch_execnz .LBB715_151
.LBB715_112:
	s_or_b32 exec_lo, exec_lo, s18
                                        ; implicit-def: $vgpr1_vgpr2_vgpr3_vgpr4_vgpr5_vgpr6_vgpr7_vgpr8_vgpr9_vgpr10_vgpr11_vgpr12_vgpr13_vgpr14_vgpr15_vgpr16
	s_and_saveexec_b32 s4, s5
	s_xor_b32 s4, exec_lo, s4
	s_cbranch_execz .LBB715_154
.LBB715_113:
	s_mov_b32 s5, 0
	v_mov_b32_e32 v24, s5
	v_mov_b32_e32 v1, v17
	;; [unrolled: 1-line block ×17, first 2 shown]
                                        ; implicit-def: $vgpr17_vgpr18_vgpr19_vgpr20_vgpr21_vgpr22_vgpr23_vgpr24_vgpr25_vgpr26_vgpr27_vgpr28_vgpr29_vgpr30_vgpr31_vgpr32
	s_or_saveexec_b32 s18, s4
	s_xor_b32 s5, s27, -1
	s_xor_b32 exec_lo, exec_lo, s18
	s_cbranch_execnz .LBB715_155
.LBB715_114:
	s_or_b32 exec_lo, exec_lo, s18
                                        ; implicit-def: $vgpr17_vgpr18_vgpr19_vgpr20_vgpr21_vgpr22_vgpr23_vgpr24_vgpr25_vgpr26_vgpr27_vgpr28_vgpr29_vgpr30_vgpr31_vgpr32
	s_and_saveexec_b32 s4, s5
	s_xor_b32 s4, exec_lo, s4
	s_cbranch_execz .LBB715_158
.LBB715_115:
	s_mov_b32 s5, 0
	v_mov_b32_e32 v9, s5
	v_mov_b32_e32 v32, v16
	;; [unrolled: 1-line block ×17, first 2 shown]
                                        ; implicit-def: $vgpr1_vgpr2_vgpr3_vgpr4_vgpr5_vgpr6_vgpr7_vgpr8_vgpr9_vgpr10_vgpr11_vgpr12_vgpr13_vgpr14_vgpr15_vgpr16
	s_or_saveexec_b32 s18, s4
	s_xor_b32 s5, s26, -1
	s_xor_b32 exec_lo, exec_lo, s18
	s_cbranch_execnz .LBB715_159
.LBB715_116:
	s_or_b32 exec_lo, exec_lo, s18
                                        ; implicit-def: $vgpr1_vgpr2_vgpr3_vgpr4_vgpr5_vgpr6_vgpr7_vgpr8_vgpr9_vgpr10_vgpr11_vgpr12_vgpr13_vgpr14_vgpr15_vgpr16
	s_and_saveexec_b32 s4, s5
	s_xor_b32 s4, exec_lo, s4
	s_cbranch_execz .LBB715_162
.LBB715_117:
	s_mov_b32 s5, 0
	v_mov_b32_e32 v26, s5
	v_mov_b32_e32 v1, v17
	v_mov_b32_e32 v2, v18
	v_mov_b32_e32 v3, v19
	v_mov_b32_e32 v4, v20
	v_mov_b32_e32 v5, v21
	v_mov_b32_e32 v6, v22
	v_mov_b32_e32 v7, v23
	v_mov_b32_e32 v8, v24
	v_mov_b32_e32 v9, v25
	v_mov_b32_e32 v10, v26
	v_mov_b32_e32 v11, v27
	v_mov_b32_e32 v12, v28
	v_mov_b32_e32 v13, v29
	v_mov_b32_e32 v14, v30
	v_mov_b32_e32 v15, v31
	v_mov_b32_e32 v16, v32
                                        ; implicit-def: $vgpr17_vgpr18_vgpr19_vgpr20_vgpr21_vgpr22_vgpr23_vgpr24_vgpr25_vgpr26_vgpr27_vgpr28_vgpr29_vgpr30_vgpr31_vgpr32
	s_or_saveexec_b32 s18, s4
	s_xor_b32 s5, s25, -1
	s_xor_b32 exec_lo, exec_lo, s18
	s_cbranch_execnz .LBB715_163
.LBB715_118:
	s_or_b32 exec_lo, exec_lo, s18
                                        ; implicit-def: $vgpr17_vgpr18_vgpr19_vgpr20_vgpr21_vgpr22_vgpr23_vgpr24_vgpr25_vgpr26_vgpr27_vgpr28_vgpr29_vgpr30_vgpr31_vgpr32
	s_and_saveexec_b32 s4, s5
	s_xor_b32 s4, exec_lo, s4
	s_cbranch_execz .LBB715_166
.LBB715_119:
	s_mov_b32 s5, 0
	v_mov_b32_e32 v11, s5
	v_mov_b32_e32 v32, v16
	;; [unrolled: 1-line block ×17, first 2 shown]
                                        ; implicit-def: $vgpr1_vgpr2_vgpr3_vgpr4_vgpr5_vgpr6_vgpr7_vgpr8_vgpr9_vgpr10_vgpr11_vgpr12_vgpr13_vgpr14_vgpr15_vgpr16
	s_or_saveexec_b32 s18, s4
	s_xor_b32 s5, s24, -1
	s_xor_b32 exec_lo, exec_lo, s18
	s_cbranch_execnz .LBB715_167
.LBB715_120:
	s_or_b32 exec_lo, exec_lo, s18
                                        ; implicit-def: $vgpr1_vgpr2_vgpr3_vgpr4_vgpr5_vgpr6_vgpr7_vgpr8_vgpr9_vgpr10_vgpr11_vgpr12_vgpr13_vgpr14_vgpr15_vgpr16
	s_and_saveexec_b32 s4, s5
	s_xor_b32 s4, exec_lo, s4
	s_cbranch_execz .LBB715_170
.LBB715_121:
	s_mov_b32 s5, 0
	v_mov_b32_e32 v28, s5
	v_mov_b32_e32 v1, v17
	;; [unrolled: 1-line block ×17, first 2 shown]
                                        ; implicit-def: $vgpr17_vgpr18_vgpr19_vgpr20_vgpr21_vgpr22_vgpr23_vgpr24_vgpr25_vgpr26_vgpr27_vgpr28_vgpr29_vgpr30_vgpr31_vgpr32
	s_or_saveexec_b32 s18, s4
	s_xor_b32 s5, s23, -1
	s_xor_b32 exec_lo, exec_lo, s18
	s_cbranch_execnz .LBB715_171
.LBB715_122:
	s_or_b32 exec_lo, exec_lo, s18
                                        ; implicit-def: $vgpr17_vgpr18_vgpr19_vgpr20_vgpr21_vgpr22_vgpr23_vgpr24_vgpr25_vgpr26_vgpr27_vgpr28_vgpr29_vgpr30_vgpr31_vgpr32
	s_and_saveexec_b32 s4, s5
	s_xor_b32 s4, exec_lo, s4
	s_cbranch_execz .LBB715_174
.LBB715_123:
	s_mov_b32 s5, 0
	v_mov_b32_e32 v13, s5
	v_mov_b32_e32 v32, v16
	;; [unrolled: 1-line block ×17, first 2 shown]
                                        ; implicit-def: $vgpr1_vgpr2_vgpr3_vgpr4_vgpr5_vgpr6_vgpr7_vgpr8_vgpr9_vgpr10_vgpr11_vgpr12_vgpr13_vgpr14_vgpr15_vgpr16
	s_or_saveexec_b32 s18, s4
	s_xor_b32 s5, s22, -1
	s_xor_b32 exec_lo, exec_lo, s18
	s_cbranch_execnz .LBB715_175
.LBB715_124:
	s_or_b32 exec_lo, exec_lo, s18
                                        ; implicit-def: $vgpr1_vgpr2_vgpr3_vgpr4_vgpr5_vgpr6_vgpr7_vgpr8_vgpr9_vgpr10_vgpr11_vgpr12_vgpr13_vgpr14_vgpr15_vgpr16
	s_and_saveexec_b32 s4, s5
	s_xor_b32 s4, exec_lo, s4
	s_cbranch_execz .LBB715_178
.LBB715_125:
	s_mov_b32 s5, 0
	v_mov_b32_e32 v30, s5
	v_mov_b32_e32 v1, v17
	;; [unrolled: 1-line block ×17, first 2 shown]
                                        ; implicit-def: $vgpr17_vgpr18_vgpr19_vgpr20_vgpr21_vgpr22_vgpr23_vgpr24_vgpr25_vgpr26_vgpr27_vgpr28_vgpr29_vgpr30_vgpr31_vgpr32
	s_or_saveexec_b32 s18, s4
	s_xor_b32 s5, s19, -1
	s_xor_b32 exec_lo, exec_lo, s18
	s_cbranch_execnz .LBB715_179
.LBB715_126:
	s_or_b32 exec_lo, exec_lo, s18
                                        ; implicit-def: $vgpr17_vgpr18_vgpr19_vgpr20_vgpr21_vgpr22_vgpr23_vgpr24_vgpr25_vgpr26_vgpr27_vgpr28_vgpr29_vgpr30_vgpr31_vgpr32
	s_and_saveexec_b32 s4, s5
	s_xor_b32 s4, exec_lo, s4
	s_cbranch_execz .LBB715_182
.LBB715_127:
	s_mov_b32 s5, 0
	v_mov_b32_e32 v15, s5
	v_mov_b32_e32 v32, v16
	;; [unrolled: 1-line block ×17, first 2 shown]
                                        ; implicit-def: $vgpr1_vgpr2_vgpr3_vgpr4_vgpr5_vgpr6_vgpr7_vgpr8_vgpr9_vgpr10_vgpr11_vgpr12_vgpr13_vgpr14_vgpr15_vgpr16
	s_or_saveexec_b32 s18, s4
	s_xor_b32 s5, s17, -1
	s_xor_b32 exec_lo, exec_lo, s18
	s_cbranch_execnz .LBB715_183
.LBB715_128:
	s_or_b32 exec_lo, exec_lo, s18
                                        ; implicit-def: $vgpr1_vgpr2_vgpr3_vgpr4_vgpr5_vgpr6_vgpr7_vgpr8_vgpr9_vgpr10_vgpr11_vgpr12_vgpr13_vgpr14_vgpr15_vgpr16
	s_and_saveexec_b32 s4, s5
	s_xor_b32 s4, exec_lo, s4
	s_cbranch_execz .LBB715_186
.LBB715_129:
	s_mov_b32 s5, 0
                                        ; implicit-def: $vgpr50_vgpr51
                                        ; implicit-def: $vgpr58
	v_mov_b32_e32 v32, s5
	v_mov_b32_e32 v1, v17
	v_mov_b32_e32 v2, v18
	v_mov_b32_e32 v3, v19
	v_mov_b32_e32 v4, v20
	v_mov_b32_e32 v5, v21
	v_mov_b32_e32 v6, v22
	v_mov_b32_e32 v7, v23
	v_mov_b32_e32 v8, v24
	v_mov_b32_e32 v9, v25
	v_mov_b32_e32 v10, v26
	v_mov_b32_e32 v11, v27
	v_mov_b32_e32 v12, v28
	v_mov_b32_e32 v13, v29
	v_mov_b32_e32 v14, v30
	v_mov_b32_e32 v15, v31
	v_mov_b32_e32 v16, v32
                                        ; implicit-def: $vgpr17_vgpr18_vgpr19_vgpr20_vgpr21_vgpr22_vgpr23_vgpr24_vgpr25_vgpr26_vgpr27_vgpr28_vgpr29_vgpr30_vgpr31_vgpr32
	s_andn2_saveexec_b32 s5, s4
	s_cbranch_execz .LBB715_190
	s_branch .LBB715_187
.LBB715_130:
	s_or_saveexec_b32 s18, s4
	s_xor_b32 s5, s34, -1
	s_xor_b32 exec_lo, exec_lo, s18
	s_cbranch_execz .LBB715_102
.LBB715_131:
	global_load_ubyte v16, v[50:51], off offset:32
	s_mov_b32 s34, 0
	s_waitcnt vmcnt(0)
	v_and_b32_e32 v16, 1, v16
	v_cmp_eq_u32_e64 s4, 1, v16
	v_mov_b32_e32 v31, v15
	v_mov_b32_e32 v17, v1
	v_mov_b32_e32 v30, v14
	v_mov_b32_e32 v29, v13
	v_mov_b32_e32 v28, v12
	v_mov_b32_e32 v27, v11
	v_mov_b32_e32 v26, v10
	v_mov_b32_e32 v25, v9
	v_mov_b32_e32 v24, v8
	v_mov_b32_e32 v23, v7
	v_mov_b32_e32 v22, v6
	v_mov_b32_e32 v21, v5
	v_mov_b32_e32 v20, v4
	v_mov_b32_e32 v19, v3
	v_mov_b32_e32 v18, v2
	v_mov_b32_e32 v16, v0
	v_mov_b32_e32 v17, s34
	s_xor_b32 s4, s4, -1
	s_and_saveexec_b32 s34, s4
	s_xor_b32 s34, exec_lo, s34
	s_cbranch_execz .LBB715_133
; %bb.132:
	v_sub_f32_e32 v1, v32, v58
	v_mul_f32_e32 v16, 0x3fb8aa3b, v1
	v_cmp_ngt_f32_e64 s4, 0xc2ce8ed0, v1
	v_fma_f32 v17, 0x3fb8aa3b, v1, -v16
	v_rndne_f32_e32 v18, v16
	v_fmamk_f32 v17, v1, 0x32a5705f, v17
	v_sub_f32_e32 v16, v16, v18
	v_add_f32_e32 v16, v16, v17
	v_cvt_i32_f32_e32 v17, v18
	v_exp_f32_e32 v16, v16
	v_ldexp_f32 v16, v16, v17
	v_cndmask_b32_e64 v16, 0, v16, s4
	v_cmp_nlt_f32_e64 s4, 0x42b17218, v1
	v_cndmask_b32_e64 v1, 0x7f800000, v16, s4
	v_mov_b32_e32 v31, v15
	v_mov_b32_e32 v30, v14
	;; [unrolled: 1-line block ×4, first 2 shown]
	v_add_f32_e32 v32, v0, v1
	v_mov_b32_e32 v27, v11
	v_mov_b32_e32 v26, v10
	;; [unrolled: 1-line block ×13, first 2 shown]
.LBB715_133:
	s_andn2_saveexec_b32 s4, s34
	s_or_b32 exec_lo, exec_lo, s4
	s_or_b32 exec_lo, exec_lo, s18
                                        ; implicit-def: $vgpr32_vgpr33_vgpr34_vgpr35_vgpr36_vgpr37_vgpr38_vgpr39_vgpr40_vgpr41_vgpr42_vgpr43_vgpr44_vgpr45_vgpr46_vgpr47
	s_and_saveexec_b32 s4, s5
	s_xor_b32 s4, exec_lo, s4
	s_cbranch_execnz .LBB715_103
.LBB715_134:
	s_or_saveexec_b32 s18, s4
	s_xor_b32 s5, s33, -1
	s_xor_b32 exec_lo, exec_lo, s18
	s_cbranch_execz .LBB715_104
.LBB715_135:
	global_load_ubyte v1, v[50:51], off offset:64
	s_mov_b32 s33, 0
	v_mov_b32_e32 v47, v31
	v_mov_b32_e32 v34, v18
	;; [unrolled: 1-line block ×17, first 2 shown]
	s_waitcnt vmcnt(0)
	v_and_b32_e32 v1, 1, v1
	v_cmp_eq_u32_e64 s4, 1, v1
	s_xor_b32 s4, s4, -1
	s_and_saveexec_b32 s33, s4
	s_xor_b32 s33, exec_lo, s33
	s_cbranch_execz .LBB715_137
; %bb.136:
	v_sub_f32_e32 v1, v18, v58
	v_mul_f32_e32 v2, 0x3fb8aa3b, v1
	v_cmp_ngt_f32_e64 s4, 0xc2ce8ed0, v1
	v_fma_f32 v3, 0x3fb8aa3b, v1, -v2
	v_rndne_f32_e32 v4, v2
	v_fmamk_f32 v3, v1, 0x32a5705f, v3
	v_sub_f32_e32 v2, v2, v4
	v_add_f32_e32 v2, v2, v3
	v_cvt_i32_f32_e32 v3, v4
	v_exp_f32_e32 v2, v2
	v_ldexp_f32 v2, v2, v3
	v_cndmask_b32_e64 v2, 0, v2, s4
	v_cmp_nlt_f32_e64 s4, 0x42b17218, v1
	v_cndmask_b32_e64 v18, 0x7f800000, v2, s4
	v_mov_b32_e32 v47, v31
	v_mov_b32_e32 v46, v30
	;; [unrolled: 1-line block ×16, first 2 shown]
	v_add_f32_e32 v0, v0, v18
.LBB715_137:
	s_andn2_saveexec_b32 s4, s33
	s_or_b32 exec_lo, exec_lo, s4
	s_or_b32 exec_lo, exec_lo, s18
                                        ; implicit-def: $vgpr1_vgpr2_vgpr3_vgpr4_vgpr5_vgpr6_vgpr7_vgpr8_vgpr9_vgpr10_vgpr11_vgpr12_vgpr13_vgpr14_vgpr15_vgpr16
	s_and_saveexec_b32 s4, s5
	s_xor_b32 s4, exec_lo, s4
	s_cbranch_execnz .LBB715_105
.LBB715_138:
	s_or_saveexec_b32 s18, s4
	s_xor_b32 s5, s31, -1
	s_xor_b32 exec_lo, exec_lo, s18
	s_cbranch_execz .LBB715_106
.LBB715_139:
	global_load_ubyte v1, v[50:51], off offset:96
	s_mov_b32 s31, 0
	s_waitcnt vmcnt(0)
	v_and_b32_e32 v1, 1, v1
	v_cmp_eq_u32_e64 s4, 1, v1
	v_mov_b32_e32 v1, v32
	v_mov_b32_e32 v4, v35
	;; [unrolled: 1-line block ×17, first 2 shown]
	s_xor_b32 s4, s4, -1
	s_and_saveexec_b32 s31, s4
	s_xor_b32 s31, exec_lo, s31
	s_cbranch_execz .LBB715_141
; %bb.140:
	v_sub_f32_e32 v1, v35, v58
	v_mul_f32_e32 v2, 0x3fb8aa3b, v1
	v_cmp_ngt_f32_e64 s4, 0xc2ce8ed0, v1
	v_fma_f32 v3, 0x3fb8aa3b, v1, -v2
	v_rndne_f32_e32 v4, v2
	v_fmamk_f32 v3, v1, 0x32a5705f, v3
	v_sub_f32_e32 v2, v2, v4
	v_add_f32_e32 v2, v2, v3
	v_cvt_i32_f32_e32 v3, v4
	v_exp_f32_e32 v2, v2
	v_ldexp_f32 v2, v2, v3
	v_cndmask_b32_e64 v2, 0, v2, s4
	v_cmp_nlt_f32_e64 s4, 0x42b17218, v1
	v_cndmask_b32_e64 v35, 0x7f800000, v2, s4
	v_mov_b32_e32 v1, v32
	v_mov_b32_e32 v2, v33
	;; [unrolled: 1-line block ×16, first 2 shown]
	v_add_f32_e32 v0, v0, v35
.LBB715_141:
	s_andn2_saveexec_b32 s4, s31
	s_or_b32 exec_lo, exec_lo, s4
	s_or_b32 exec_lo, exec_lo, s18
                                        ; implicit-def: $vgpr17_vgpr18_vgpr19_vgpr20_vgpr21_vgpr22_vgpr23_vgpr24_vgpr25_vgpr26_vgpr27_vgpr28_vgpr29_vgpr30_vgpr31_vgpr32
	s_and_saveexec_b32 s4, s5
	s_xor_b32 s4, exec_lo, s4
	s_cbranch_execnz .LBB715_107
.LBB715_142:
	s_or_saveexec_b32 s18, s4
	s_xor_b32 s5, s30, -1
	s_xor_b32 exec_lo, exec_lo, s18
	s_cbranch_execz .LBB715_108
.LBB715_143:
	global_load_ubyte v17, v[50:51], off offset:128
	s_mov_b32 s30, 0
	s_waitcnt vmcnt(0)
	v_and_b32_e32 v17, 1, v17
	v_cmp_eq_u32_e64 s4, 1, v17
	v_mov_b32_e32 v32, v16
	v_mov_b32_e32 v21, v5
	;; [unrolled: 1-line block ×17, first 2 shown]
	s_xor_b32 s4, s4, -1
	s_and_saveexec_b32 s30, s4
	s_xor_b32 s30, exec_lo, s30
	s_cbranch_execz .LBB715_145
; %bb.144:
	v_sub_f32_e32 v5, v5, v58
	v_mul_f32_e32 v17, 0x3fb8aa3b, v5
	v_cmp_ngt_f32_e64 s4, 0xc2ce8ed0, v5
	v_fma_f32 v18, 0x3fb8aa3b, v5, -v17
	v_rndne_f32_e32 v19, v17
	v_fmamk_f32 v18, v5, 0x32a5705f, v18
	v_sub_f32_e32 v17, v17, v19
	v_add_f32_e32 v17, v17, v18
	v_cvt_i32_f32_e32 v18, v19
	v_exp_f32_e32 v17, v17
	v_ldexp_f32 v17, v17, v18
	v_cndmask_b32_e64 v17, 0, v17, s4
	v_cmp_nlt_f32_e64 s4, 0x42b17218, v5
	v_cndmask_b32_e64 v5, 0x7f800000, v17, s4
	v_mov_b32_e32 v32, v16
	v_mov_b32_e32 v31, v15
	;; [unrolled: 1-line block ×16, first 2 shown]
	v_add_f32_e32 v0, v0, v5
.LBB715_145:
	s_andn2_saveexec_b32 s4, s30
	s_or_b32 exec_lo, exec_lo, s4
	s_or_b32 exec_lo, exec_lo, s18
                                        ; implicit-def: $vgpr1_vgpr2_vgpr3_vgpr4_vgpr5_vgpr6_vgpr7_vgpr8_vgpr9_vgpr10_vgpr11_vgpr12_vgpr13_vgpr14_vgpr15_vgpr16
	s_and_saveexec_b32 s4, s5
	s_xor_b32 s4, exec_lo, s4
	s_cbranch_execnz .LBB715_109
.LBB715_146:
	s_or_saveexec_b32 s18, s4
	s_xor_b32 s5, s29, -1
	s_xor_b32 exec_lo, exec_lo, s18
	s_cbranch_execz .LBB715_110
.LBB715_147:
	global_load_ubyte v1, v[50:51], off offset:160
	s_mov_b32 s29, 0
	s_waitcnt vmcnt(0)
	v_and_b32_e32 v1, 1, v1
	v_cmp_eq_u32_e64 s4, 1, v1
	v_mov_b32_e32 v1, v17
	v_mov_b32_e32 v6, v22
	;; [unrolled: 1-line block ×17, first 2 shown]
	s_xor_b32 s4, s4, -1
	s_and_saveexec_b32 s29, s4
	s_xor_b32 s29, exec_lo, s29
	s_cbranch_execz .LBB715_149
; %bb.148:
	v_sub_f32_e32 v1, v22, v58
	v_mul_f32_e32 v2, 0x3fb8aa3b, v1
	v_cmp_ngt_f32_e64 s4, 0xc2ce8ed0, v1
	v_fma_f32 v3, 0x3fb8aa3b, v1, -v2
	v_rndne_f32_e32 v4, v2
	v_fmamk_f32 v3, v1, 0x32a5705f, v3
	v_sub_f32_e32 v2, v2, v4
	v_add_f32_e32 v2, v2, v3
	v_cvt_i32_f32_e32 v3, v4
	v_exp_f32_e32 v2, v2
	v_ldexp_f32 v2, v2, v3
	v_cndmask_b32_e64 v2, 0, v2, s4
	v_cmp_nlt_f32_e64 s4, 0x42b17218, v1
	v_cndmask_b32_e64 v22, 0x7f800000, v2, s4
	v_mov_b32_e32 v1, v17
	v_mov_b32_e32 v2, v18
	v_mov_b32_e32 v3, v19
	v_mov_b32_e32 v4, v20
	v_mov_b32_e32 v5, v21
	v_mov_b32_e32 v6, v22
	v_mov_b32_e32 v7, v23
	v_mov_b32_e32 v8, v24
	v_mov_b32_e32 v9, v25
	v_mov_b32_e32 v10, v26
	v_mov_b32_e32 v11, v27
	v_mov_b32_e32 v12, v28
	v_mov_b32_e32 v13, v29
	v_mov_b32_e32 v14, v30
	v_mov_b32_e32 v15, v31
	v_mov_b32_e32 v16, v32
	v_add_f32_e32 v0, v0, v22
.LBB715_149:
	s_andn2_saveexec_b32 s4, s29
	s_or_b32 exec_lo, exec_lo, s4
	s_or_b32 exec_lo, exec_lo, s18
                                        ; implicit-def: $vgpr17_vgpr18_vgpr19_vgpr20_vgpr21_vgpr22_vgpr23_vgpr24_vgpr25_vgpr26_vgpr27_vgpr28_vgpr29_vgpr30_vgpr31_vgpr32
	s_and_saveexec_b32 s4, s5
	s_xor_b32 s4, exec_lo, s4
	s_cbranch_execnz .LBB715_111
.LBB715_150:
	s_or_saveexec_b32 s18, s4
	s_xor_b32 s5, s28, -1
	s_xor_b32 exec_lo, exec_lo, s18
	s_cbranch_execz .LBB715_112
.LBB715_151:
	global_load_ubyte v17, v[50:51], off offset:192
	s_mov_b32 s28, 0
	s_waitcnt vmcnt(0)
	v_and_b32_e32 v17, 1, v17
	v_cmp_eq_u32_e64 s4, 1, v17
	v_mov_b32_e32 v32, v16
	v_mov_b32_e32 v23, v7
	;; [unrolled: 1-line block ×17, first 2 shown]
	s_xor_b32 s4, s4, -1
	s_and_saveexec_b32 s28, s4
	s_xor_b32 s28, exec_lo, s28
	s_cbranch_execz .LBB715_153
; %bb.152:
	v_sub_f32_e32 v7, v7, v58
	v_mul_f32_e32 v17, 0x3fb8aa3b, v7
	v_cmp_ngt_f32_e64 s4, 0xc2ce8ed0, v7
	v_fma_f32 v18, 0x3fb8aa3b, v7, -v17
	v_rndne_f32_e32 v19, v17
	v_fmamk_f32 v18, v7, 0x32a5705f, v18
	v_sub_f32_e32 v17, v17, v19
	v_add_f32_e32 v17, v17, v18
	v_cvt_i32_f32_e32 v18, v19
	v_exp_f32_e32 v17, v17
	v_ldexp_f32 v17, v17, v18
	v_cndmask_b32_e64 v17, 0, v17, s4
	v_cmp_nlt_f32_e64 s4, 0x42b17218, v7
	v_cndmask_b32_e64 v7, 0x7f800000, v17, s4
	v_mov_b32_e32 v32, v16
	v_mov_b32_e32 v31, v15
	;; [unrolled: 1-line block ×16, first 2 shown]
	v_add_f32_e32 v0, v0, v7
.LBB715_153:
	s_andn2_saveexec_b32 s4, s28
	s_or_b32 exec_lo, exec_lo, s4
	s_or_b32 exec_lo, exec_lo, s18
                                        ; implicit-def: $vgpr1_vgpr2_vgpr3_vgpr4_vgpr5_vgpr6_vgpr7_vgpr8_vgpr9_vgpr10_vgpr11_vgpr12_vgpr13_vgpr14_vgpr15_vgpr16
	s_and_saveexec_b32 s4, s5
	s_xor_b32 s4, exec_lo, s4
	s_cbranch_execnz .LBB715_113
.LBB715_154:
	s_or_saveexec_b32 s18, s4
	s_xor_b32 s5, s27, -1
	s_xor_b32 exec_lo, exec_lo, s18
	s_cbranch_execz .LBB715_114
.LBB715_155:
	global_load_ubyte v1, v[50:51], off offset:224
	s_mov_b32 s27, 0
	s_waitcnt vmcnt(0)
	v_and_b32_e32 v1, 1, v1
	v_cmp_eq_u32_e64 s4, 1, v1
	v_mov_b32_e32 v1, v17
	v_mov_b32_e32 v8, v24
	;; [unrolled: 1-line block ×17, first 2 shown]
	s_xor_b32 s4, s4, -1
	s_and_saveexec_b32 s27, s4
	s_xor_b32 s27, exec_lo, s27
	s_cbranch_execz .LBB715_157
; %bb.156:
	v_sub_f32_e32 v1, v24, v58
	v_mul_f32_e32 v2, 0x3fb8aa3b, v1
	v_cmp_ngt_f32_e64 s4, 0xc2ce8ed0, v1
	v_fma_f32 v3, 0x3fb8aa3b, v1, -v2
	v_rndne_f32_e32 v4, v2
	v_fmamk_f32 v3, v1, 0x32a5705f, v3
	v_sub_f32_e32 v2, v2, v4
	v_add_f32_e32 v2, v2, v3
	v_cvt_i32_f32_e32 v3, v4
	v_exp_f32_e32 v2, v2
	v_ldexp_f32 v2, v2, v3
	v_cndmask_b32_e64 v2, 0, v2, s4
	v_cmp_nlt_f32_e64 s4, 0x42b17218, v1
	v_cndmask_b32_e64 v24, 0x7f800000, v2, s4
	v_mov_b32_e32 v1, v17
	v_mov_b32_e32 v2, v18
	;; [unrolled: 1-line block ×16, first 2 shown]
	v_add_f32_e32 v0, v0, v24
.LBB715_157:
	s_andn2_saveexec_b32 s4, s27
	s_or_b32 exec_lo, exec_lo, s4
	s_or_b32 exec_lo, exec_lo, s18
                                        ; implicit-def: $vgpr17_vgpr18_vgpr19_vgpr20_vgpr21_vgpr22_vgpr23_vgpr24_vgpr25_vgpr26_vgpr27_vgpr28_vgpr29_vgpr30_vgpr31_vgpr32
	s_and_saveexec_b32 s4, s5
	s_xor_b32 s4, exec_lo, s4
	s_cbranch_execnz .LBB715_115
.LBB715_158:
	s_or_saveexec_b32 s18, s4
	s_xor_b32 s5, s26, -1
	s_xor_b32 exec_lo, exec_lo, s18
	s_cbranch_execz .LBB715_116
.LBB715_159:
	global_load_ubyte v17, v[50:51], off offset:256
	s_mov_b32 s26, 0
	s_waitcnt vmcnt(0)
	v_and_b32_e32 v17, 1, v17
	v_cmp_eq_u32_e64 s4, 1, v17
	v_mov_b32_e32 v32, v16
	v_mov_b32_e32 v25, v9
	;; [unrolled: 1-line block ×17, first 2 shown]
	s_xor_b32 s4, s4, -1
	s_and_saveexec_b32 s26, s4
	s_xor_b32 s26, exec_lo, s26
	s_cbranch_execz .LBB715_161
; %bb.160:
	v_sub_f32_e32 v9, v9, v58
	v_mul_f32_e32 v17, 0x3fb8aa3b, v9
	v_cmp_ngt_f32_e64 s4, 0xc2ce8ed0, v9
	v_fma_f32 v18, 0x3fb8aa3b, v9, -v17
	v_rndne_f32_e32 v19, v17
	v_fmamk_f32 v18, v9, 0x32a5705f, v18
	v_sub_f32_e32 v17, v17, v19
	v_add_f32_e32 v17, v17, v18
	v_cvt_i32_f32_e32 v18, v19
	v_exp_f32_e32 v17, v17
	v_ldexp_f32 v17, v17, v18
	v_cndmask_b32_e64 v17, 0, v17, s4
	v_cmp_nlt_f32_e64 s4, 0x42b17218, v9
	v_cndmask_b32_e64 v9, 0x7f800000, v17, s4
	v_mov_b32_e32 v32, v16
	v_mov_b32_e32 v31, v15
	;; [unrolled: 1-line block ×16, first 2 shown]
	v_add_f32_e32 v0, v0, v9
.LBB715_161:
	s_andn2_saveexec_b32 s4, s26
	s_or_b32 exec_lo, exec_lo, s4
	s_or_b32 exec_lo, exec_lo, s18
                                        ; implicit-def: $vgpr1_vgpr2_vgpr3_vgpr4_vgpr5_vgpr6_vgpr7_vgpr8_vgpr9_vgpr10_vgpr11_vgpr12_vgpr13_vgpr14_vgpr15_vgpr16
	s_and_saveexec_b32 s4, s5
	s_xor_b32 s4, exec_lo, s4
	s_cbranch_execnz .LBB715_117
.LBB715_162:
	s_or_saveexec_b32 s18, s4
	s_xor_b32 s5, s25, -1
	s_xor_b32 exec_lo, exec_lo, s18
	s_cbranch_execz .LBB715_118
.LBB715_163:
	global_load_ubyte v1, v[50:51], off offset:288
	s_mov_b32 s25, 0
	s_waitcnt vmcnt(0)
	v_and_b32_e32 v1, 1, v1
	v_cmp_eq_u32_e64 s4, 1, v1
	v_mov_b32_e32 v1, v17
	v_mov_b32_e32 v10, v26
	;; [unrolled: 1-line block ×17, first 2 shown]
	s_xor_b32 s4, s4, -1
	s_and_saveexec_b32 s25, s4
	s_xor_b32 s25, exec_lo, s25
	s_cbranch_execz .LBB715_165
; %bb.164:
	v_sub_f32_e32 v1, v26, v58
	v_mul_f32_e32 v2, 0x3fb8aa3b, v1
	v_cmp_ngt_f32_e64 s4, 0xc2ce8ed0, v1
	v_fma_f32 v3, 0x3fb8aa3b, v1, -v2
	v_rndne_f32_e32 v4, v2
	v_fmamk_f32 v3, v1, 0x32a5705f, v3
	v_sub_f32_e32 v2, v2, v4
	v_add_f32_e32 v2, v2, v3
	v_cvt_i32_f32_e32 v3, v4
	v_exp_f32_e32 v2, v2
	v_ldexp_f32 v2, v2, v3
	v_cndmask_b32_e64 v2, 0, v2, s4
	v_cmp_nlt_f32_e64 s4, 0x42b17218, v1
	v_cndmask_b32_e64 v26, 0x7f800000, v2, s4
	v_mov_b32_e32 v1, v17
	v_mov_b32_e32 v2, v18
	;; [unrolled: 1-line block ×16, first 2 shown]
	v_add_f32_e32 v0, v0, v26
.LBB715_165:
	s_andn2_saveexec_b32 s4, s25
	s_or_b32 exec_lo, exec_lo, s4
	s_or_b32 exec_lo, exec_lo, s18
                                        ; implicit-def: $vgpr17_vgpr18_vgpr19_vgpr20_vgpr21_vgpr22_vgpr23_vgpr24_vgpr25_vgpr26_vgpr27_vgpr28_vgpr29_vgpr30_vgpr31_vgpr32
	s_and_saveexec_b32 s4, s5
	s_xor_b32 s4, exec_lo, s4
	s_cbranch_execnz .LBB715_119
.LBB715_166:
	s_or_saveexec_b32 s18, s4
	s_xor_b32 s5, s24, -1
	s_xor_b32 exec_lo, exec_lo, s18
	s_cbranch_execz .LBB715_120
.LBB715_167:
	global_load_ubyte v17, v[50:51], off offset:320
	s_mov_b32 s24, 0
	s_waitcnt vmcnt(0)
	v_and_b32_e32 v17, 1, v17
	v_cmp_eq_u32_e64 s4, 1, v17
	v_mov_b32_e32 v32, v16
	v_mov_b32_e32 v27, v11
	;; [unrolled: 1-line block ×17, first 2 shown]
	s_xor_b32 s4, s4, -1
	s_and_saveexec_b32 s24, s4
	s_xor_b32 s24, exec_lo, s24
	s_cbranch_execz .LBB715_169
; %bb.168:
	v_sub_f32_e32 v11, v11, v58
	v_mul_f32_e32 v17, 0x3fb8aa3b, v11
	v_cmp_ngt_f32_e64 s4, 0xc2ce8ed0, v11
	v_fma_f32 v18, 0x3fb8aa3b, v11, -v17
	v_rndne_f32_e32 v19, v17
	v_fmamk_f32 v18, v11, 0x32a5705f, v18
	v_sub_f32_e32 v17, v17, v19
	v_add_f32_e32 v17, v17, v18
	v_cvt_i32_f32_e32 v18, v19
	v_exp_f32_e32 v17, v17
	v_ldexp_f32 v17, v17, v18
	v_cndmask_b32_e64 v17, 0, v17, s4
	v_cmp_nlt_f32_e64 s4, 0x42b17218, v11
	v_cndmask_b32_e64 v11, 0x7f800000, v17, s4
	v_mov_b32_e32 v32, v16
	v_mov_b32_e32 v31, v15
	;; [unrolled: 1-line block ×16, first 2 shown]
	v_add_f32_e32 v0, v0, v11
.LBB715_169:
	s_andn2_saveexec_b32 s4, s24
	s_or_b32 exec_lo, exec_lo, s4
	s_or_b32 exec_lo, exec_lo, s18
                                        ; implicit-def: $vgpr1_vgpr2_vgpr3_vgpr4_vgpr5_vgpr6_vgpr7_vgpr8_vgpr9_vgpr10_vgpr11_vgpr12_vgpr13_vgpr14_vgpr15_vgpr16
	s_and_saveexec_b32 s4, s5
	s_xor_b32 s4, exec_lo, s4
	s_cbranch_execnz .LBB715_121
.LBB715_170:
	s_or_saveexec_b32 s18, s4
	s_xor_b32 s5, s23, -1
	s_xor_b32 exec_lo, exec_lo, s18
	s_cbranch_execz .LBB715_122
.LBB715_171:
	global_load_ubyte v1, v[50:51], off offset:352
	s_mov_b32 s23, 0
	s_waitcnt vmcnt(0)
	v_and_b32_e32 v1, 1, v1
	v_cmp_eq_u32_e64 s4, 1, v1
	v_mov_b32_e32 v1, v17
	v_mov_b32_e32 v12, v28
	v_mov_b32_e32 v2, v18
	v_mov_b32_e32 v3, v19
	v_mov_b32_e32 v4, v20
	v_mov_b32_e32 v5, v21
	v_mov_b32_e32 v6, v22
	v_mov_b32_e32 v7, v23
	v_mov_b32_e32 v8, v24
	v_mov_b32_e32 v9, v25
	v_mov_b32_e32 v10, v26
	v_mov_b32_e32 v11, v27
	v_mov_b32_e32 v13, v29
	v_mov_b32_e32 v14, v30
	v_mov_b32_e32 v15, v31
	v_mov_b32_e32 v16, v32
	v_mov_b32_e32 v12, s23
	s_xor_b32 s4, s4, -1
	s_and_saveexec_b32 s23, s4
	s_xor_b32 s23, exec_lo, s23
	s_cbranch_execz .LBB715_173
; %bb.172:
	v_sub_f32_e32 v1, v28, v58
	v_mul_f32_e32 v2, 0x3fb8aa3b, v1
	v_cmp_ngt_f32_e64 s4, 0xc2ce8ed0, v1
	v_fma_f32 v3, 0x3fb8aa3b, v1, -v2
	v_rndne_f32_e32 v4, v2
	v_fmamk_f32 v3, v1, 0x32a5705f, v3
	v_sub_f32_e32 v2, v2, v4
	v_add_f32_e32 v2, v2, v3
	v_cvt_i32_f32_e32 v3, v4
	v_exp_f32_e32 v2, v2
	v_ldexp_f32 v2, v2, v3
	v_cndmask_b32_e64 v2, 0, v2, s4
	v_cmp_nlt_f32_e64 s4, 0x42b17218, v1
	v_cndmask_b32_e64 v28, 0x7f800000, v2, s4
	v_mov_b32_e32 v1, v17
	v_mov_b32_e32 v2, v18
	;; [unrolled: 1-line block ×16, first 2 shown]
	v_add_f32_e32 v0, v0, v28
.LBB715_173:
	s_andn2_saveexec_b32 s4, s23
	s_or_b32 exec_lo, exec_lo, s4
	s_or_b32 exec_lo, exec_lo, s18
                                        ; implicit-def: $vgpr17_vgpr18_vgpr19_vgpr20_vgpr21_vgpr22_vgpr23_vgpr24_vgpr25_vgpr26_vgpr27_vgpr28_vgpr29_vgpr30_vgpr31_vgpr32
	s_and_saveexec_b32 s4, s5
	s_xor_b32 s4, exec_lo, s4
	s_cbranch_execnz .LBB715_123
.LBB715_174:
	s_or_saveexec_b32 s18, s4
	s_xor_b32 s5, s22, -1
	s_xor_b32 exec_lo, exec_lo, s18
	s_cbranch_execz .LBB715_124
.LBB715_175:
	global_load_ubyte v17, v[50:51], off offset:384
	s_mov_b32 s22, 0
	s_waitcnt vmcnt(0)
	v_and_b32_e32 v17, 1, v17
	v_cmp_eq_u32_e64 s4, 1, v17
	v_mov_b32_e32 v32, v16
	v_mov_b32_e32 v29, v13
	;; [unrolled: 1-line block ×17, first 2 shown]
	s_xor_b32 s4, s4, -1
	s_and_saveexec_b32 s22, s4
	s_xor_b32 s22, exec_lo, s22
	s_cbranch_execz .LBB715_177
; %bb.176:
	v_sub_f32_e32 v13, v13, v58
	v_mul_f32_e32 v17, 0x3fb8aa3b, v13
	v_cmp_ngt_f32_e64 s4, 0xc2ce8ed0, v13
	v_fma_f32 v18, 0x3fb8aa3b, v13, -v17
	v_rndne_f32_e32 v19, v17
	v_fmamk_f32 v18, v13, 0x32a5705f, v18
	v_sub_f32_e32 v17, v17, v19
	v_add_f32_e32 v17, v17, v18
	v_cvt_i32_f32_e32 v18, v19
	v_exp_f32_e32 v17, v17
	v_ldexp_f32 v17, v17, v18
	v_cndmask_b32_e64 v17, 0, v17, s4
	v_cmp_nlt_f32_e64 s4, 0x42b17218, v13
	v_cndmask_b32_e64 v13, 0x7f800000, v17, s4
	v_mov_b32_e32 v32, v16
	v_mov_b32_e32 v31, v15
	;; [unrolled: 1-line block ×16, first 2 shown]
	v_add_f32_e32 v0, v0, v13
.LBB715_177:
	s_andn2_saveexec_b32 s4, s22
	s_or_b32 exec_lo, exec_lo, s4
	s_or_b32 exec_lo, exec_lo, s18
                                        ; implicit-def: $vgpr1_vgpr2_vgpr3_vgpr4_vgpr5_vgpr6_vgpr7_vgpr8_vgpr9_vgpr10_vgpr11_vgpr12_vgpr13_vgpr14_vgpr15_vgpr16
	s_and_saveexec_b32 s4, s5
	s_xor_b32 s4, exec_lo, s4
	s_cbranch_execnz .LBB715_125
.LBB715_178:
	s_or_saveexec_b32 s18, s4
	s_xor_b32 s5, s19, -1
	s_xor_b32 exec_lo, exec_lo, s18
	s_cbranch_execz .LBB715_126
.LBB715_179:
	global_load_ubyte v1, v[50:51], off offset:416
	s_mov_b32 s19, 0
	s_waitcnt vmcnt(0)
	v_and_b32_e32 v1, 1, v1
	v_cmp_eq_u32_e64 s4, 1, v1
	v_mov_b32_e32 v1, v17
	v_mov_b32_e32 v14, v30
	;; [unrolled: 1-line block ×17, first 2 shown]
	s_xor_b32 s4, s4, -1
	s_and_saveexec_b32 s19, s4
	s_xor_b32 s19, exec_lo, s19
	s_cbranch_execz .LBB715_181
; %bb.180:
	v_sub_f32_e32 v1, v30, v58
	v_mul_f32_e32 v2, 0x3fb8aa3b, v1
	v_cmp_ngt_f32_e64 s4, 0xc2ce8ed0, v1
	v_fma_f32 v3, 0x3fb8aa3b, v1, -v2
	v_rndne_f32_e32 v4, v2
	v_fmamk_f32 v3, v1, 0x32a5705f, v3
	v_sub_f32_e32 v2, v2, v4
	v_add_f32_e32 v2, v2, v3
	v_cvt_i32_f32_e32 v3, v4
	v_exp_f32_e32 v2, v2
	v_ldexp_f32 v2, v2, v3
	v_cndmask_b32_e64 v2, 0, v2, s4
	v_cmp_nlt_f32_e64 s4, 0x42b17218, v1
	v_cndmask_b32_e64 v30, 0x7f800000, v2, s4
	v_mov_b32_e32 v1, v17
	v_mov_b32_e32 v2, v18
	;; [unrolled: 1-line block ×16, first 2 shown]
	v_add_f32_e32 v0, v0, v30
.LBB715_181:
	s_andn2_saveexec_b32 s4, s19
	s_or_b32 exec_lo, exec_lo, s4
	s_or_b32 exec_lo, exec_lo, s18
                                        ; implicit-def: $vgpr17_vgpr18_vgpr19_vgpr20_vgpr21_vgpr22_vgpr23_vgpr24_vgpr25_vgpr26_vgpr27_vgpr28_vgpr29_vgpr30_vgpr31_vgpr32
	s_and_saveexec_b32 s4, s5
	s_xor_b32 s4, exec_lo, s4
	s_cbranch_execnz .LBB715_127
.LBB715_182:
	s_or_saveexec_b32 s18, s4
	s_xor_b32 s5, s17, -1
	s_xor_b32 exec_lo, exec_lo, s18
	s_cbranch_execz .LBB715_128
.LBB715_183:
	global_load_ubyte v17, v[50:51], off offset:448
	s_mov_b32 s17, 0
	s_waitcnt vmcnt(0)
	v_and_b32_e32 v17, 1, v17
	v_cmp_eq_u32_e64 s4, 1, v17
	v_mov_b32_e32 v32, v16
	v_mov_b32_e32 v31, v15
	;; [unrolled: 1-line block ×17, first 2 shown]
	s_xor_b32 s4, s4, -1
	s_and_saveexec_b32 s17, s4
	s_xor_b32 s17, exec_lo, s17
	s_cbranch_execz .LBB715_185
; %bb.184:
	v_sub_f32_e32 v15, v15, v58
	v_mul_f32_e32 v17, 0x3fb8aa3b, v15
	v_cmp_ngt_f32_e64 s4, 0xc2ce8ed0, v15
	v_fma_f32 v18, 0x3fb8aa3b, v15, -v17
	v_rndne_f32_e32 v19, v17
	v_fmamk_f32 v18, v15, 0x32a5705f, v18
	v_sub_f32_e32 v17, v17, v19
	v_add_f32_e32 v17, v17, v18
	v_cvt_i32_f32_e32 v18, v19
	v_exp_f32_e32 v17, v17
	v_ldexp_f32 v17, v17, v18
	v_cndmask_b32_e64 v17, 0, v17, s4
	v_cmp_nlt_f32_e64 s4, 0x42b17218, v15
	v_cndmask_b32_e64 v15, 0x7f800000, v17, s4
	v_mov_b32_e32 v32, v16
	v_mov_b32_e32 v30, v14
	;; [unrolled: 1-line block ×16, first 2 shown]
	v_add_f32_e32 v0, v0, v15
.LBB715_185:
	s_andn2_saveexec_b32 s4, s17
	s_or_b32 exec_lo, exec_lo, s4
	s_or_b32 exec_lo, exec_lo, s18
                                        ; implicit-def: $vgpr1_vgpr2_vgpr3_vgpr4_vgpr5_vgpr6_vgpr7_vgpr8_vgpr9_vgpr10_vgpr11_vgpr12_vgpr13_vgpr14_vgpr15_vgpr16
	s_and_saveexec_b32 s4, s5
	s_xor_b32 s4, exec_lo, s4
	s_cbranch_execnz .LBB715_129
.LBB715_186:
	s_andn2_saveexec_b32 s5, s4
	s_cbranch_execz .LBB715_190
.LBB715_187:
	global_load_ubyte v1, v[50:51], off offset:480
	s_mov_b32 s17, 0
	s_waitcnt vmcnt(0)
	v_and_b32_e32 v1, 1, v1
	v_cmp_eq_u32_e64 s4, 1, v1
	v_mov_b32_e32 v1, v17
	v_mov_b32_e32 v16, v32
	;; [unrolled: 1-line block ×17, first 2 shown]
	s_xor_b32 s4, s4, -1
	s_and_saveexec_b32 s17, s4
	s_xor_b32 s17, exec_lo, s17
	s_cbranch_execz .LBB715_189
; %bb.188:
	v_sub_f32_e32 v1, v32, v58
	v_mul_f32_e32 v2, 0x3fb8aa3b, v1
	v_cmp_ngt_f32_e64 s4, 0xc2ce8ed0, v1
	v_fma_f32 v3, 0x3fb8aa3b, v1, -v2
	v_rndne_f32_e32 v4, v2
	v_fmamk_f32 v3, v1, 0x32a5705f, v3
	v_sub_f32_e32 v2, v2, v4
	v_add_f32_e32 v2, v2, v3
	v_cvt_i32_f32_e32 v3, v4
	v_exp_f32_e32 v2, v2
	v_ldexp_f32 v2, v2, v3
	v_cndmask_b32_e64 v2, 0, v2, s4
	v_cmp_nlt_f32_e64 s4, 0x42b17218, v1
	v_cndmask_b32_e64 v32, 0x7f800000, v2, s4
	v_mov_b32_e32 v1, v17
	v_mov_b32_e32 v2, v18
	;; [unrolled: 1-line block ×16, first 2 shown]
	v_add_f32_e32 v0, v0, v32
.LBB715_189:
	s_andn2_saveexec_b32 s4, s17
	s_or_b32 exec_lo, exec_lo, s4
.LBB715_190:
	s_or_b32 exec_lo, exec_lo, s5
	ds_bpermute_b32 v17, v53, v0
	s_mov_b32 s5, exec_lo
	s_waitcnt lgkmcnt(0)
	v_add_f32_e32 v0, v0, v17
	ds_bpermute_b32 v17, v54, v0
	s_waitcnt lgkmcnt(0)
	v_add_f32_e32 v0, v0, v17
	ds_bpermute_b32 v17, v55, v0
	;; [unrolled: 3-line block ×4, first 2 shown]
	v_cmpx_lt_i32_e32 0, v52
	s_cbranch_execz .LBB715_240
; %bb.191:
	s_and_b32 exec_lo, exec_lo, vcc_lo
	s_cbranch_execz .LBB715_240
; %bb.192:
	s_waitcnt lgkmcnt(0)
	v_add_f32_e32 v17, v0, v17
	v_mov_b32_e32 v18, 0x7fc00000
	v_cmp_neq_f32_e64 s4, 0, v17
	s_and_saveexec_b32 s5, s4
	s_cbranch_execz .LBB715_194
; %bb.193:
	v_div_scale_f32 v0, null, v17, v17, v1
	v_rcp_f32_e32 v18, v0
	v_fma_f32 v19, -v0, v18, 1.0
	v_fmac_f32_e32 v18, v19, v18
	v_div_scale_f32 v19, vcc_lo, v1, v17, v1
	v_mul_f32_e32 v20, v19, v18
	v_fma_f32 v21, -v0, v20, v19
	v_fmac_f32_e32 v20, v21, v18
	v_fma_f32 v0, -v0, v20, v19
	v_div_fmas_f32 v0, v0, v18, v20
	v_div_fixup_f32 v18, v0, v17, v1
.LBB715_194:
	s_or_b32 exec_lo, exec_lo, s5
	v_add_co_u32 v0, vcc_lo, s20, v48
	v_add_co_ci_u32_e64 v1, null, s21, v49, vcc_lo
	global_store_dword v[0:1], v18, off
	s_and_b32 exec_lo, exec_lo, s16
	s_cbranch_execz .LBB715_240
; %bb.195:
	v_mov_b32_e32 v18, 0x7fc00000
	s_and_saveexec_b32 s5, s4
	s_cbranch_execz .LBB715_197
; %bb.196:
	v_div_scale_f32 v18, null, v17, v17, v2
	v_rcp_f32_e32 v19, v18
	v_fma_f32 v20, -v18, v19, 1.0
	v_fmac_f32_e32 v19, v20, v19
	v_div_scale_f32 v20, vcc_lo, v2, v17, v2
	v_mul_f32_e32 v21, v20, v19
	v_fma_f32 v22, -v18, v21, v20
	v_fmac_f32_e32 v21, v22, v19
	v_fma_f32 v18, -v18, v21, v20
	v_div_fmas_f32 v18, v18, v19, v21
	v_div_fixup_f32 v18, v18, v17, v2
.LBB715_197:
	s_or_b32 exec_lo, exec_lo, s5
	global_store_dword v[0:1], v18, off offset:128
	s_and_b32 exec_lo, exec_lo, s15
	s_cbranch_execz .LBB715_240
; %bb.198:
	v_mov_b32_e32 v2, 0x7fc00000
	s_and_saveexec_b32 s5, s4
	s_cbranch_execz .LBB715_200
; %bb.199:
	v_div_scale_f32 v2, null, v17, v17, v3
	v_rcp_f32_e32 v18, v2
	v_fma_f32 v19, -v2, v18, 1.0
	v_fmac_f32_e32 v18, v19, v18
	v_div_scale_f32 v19, vcc_lo, v3, v17, v3
	v_mul_f32_e32 v20, v19, v18
	v_fma_f32 v21, -v2, v20, v19
	v_fmac_f32_e32 v20, v21, v18
	v_fma_f32 v2, -v2, v20, v19
	v_div_fmas_f32 v2, v2, v18, v20
	v_div_fixup_f32 v2, v2, v17, v3
.LBB715_200:
	s_or_b32 exec_lo, exec_lo, s5
	global_store_dword v[0:1], v2, off offset:256
	s_and_b32 exec_lo, exec_lo, s14
	s_cbranch_execz .LBB715_240
; %bb.201:
	v_mov_b32_e32 v2, 0x7fc00000
	s_and_saveexec_b32 s5, s4
	s_cbranch_execz .LBB715_203
; %bb.202:
	v_div_scale_f32 v2, null, v17, v17, v4
	v_rcp_f32_e32 v3, v2
	v_fma_f32 v18, -v2, v3, 1.0
	v_fmac_f32_e32 v3, v18, v3
	v_div_scale_f32 v18, vcc_lo, v4, v17, v4
	v_mul_f32_e32 v19, v18, v3
	v_fma_f32 v20, -v2, v19, v18
	v_fmac_f32_e32 v19, v20, v3
	v_fma_f32 v2, -v2, v19, v18
	v_div_fmas_f32 v2, v2, v3, v19
	v_div_fixup_f32 v2, v2, v17, v4
.LBB715_203:
	s_or_b32 exec_lo, exec_lo, s5
	global_store_dword v[0:1], v2, off offset:384
	s_and_b32 exec_lo, exec_lo, s13
	s_cbranch_execz .LBB715_240
; %bb.204:
	v_mov_b32_e32 v2, 0x7fc00000
	s_and_saveexec_b32 s5, s4
	s_cbranch_execz .LBB715_206
; %bb.205:
	v_div_scale_f32 v2, null, v17, v17, v5
	v_rcp_f32_e32 v3, v2
	v_fma_f32 v4, -v2, v3, 1.0
	v_fmac_f32_e32 v3, v4, v3
	v_div_scale_f32 v4, vcc_lo, v5, v17, v5
	v_mul_f32_e32 v18, v4, v3
	v_fma_f32 v19, -v2, v18, v4
	v_fmac_f32_e32 v18, v19, v3
	v_fma_f32 v2, -v2, v18, v4
	v_div_fmas_f32 v2, v2, v3, v18
	v_div_fixup_f32 v2, v2, v17, v5
.LBB715_206:
	s_or_b32 exec_lo, exec_lo, s5
	global_store_dword v[0:1], v2, off offset:512
	s_and_b32 exec_lo, exec_lo, s12
	s_cbranch_execz .LBB715_240
; %bb.207:
	v_mov_b32_e32 v2, 0x7fc00000
	s_and_saveexec_b32 s5, s4
	s_cbranch_execz .LBB715_209
; %bb.208:
	v_div_scale_f32 v2, null, v17, v17, v6
	v_rcp_f32_e32 v3, v2
	v_fma_f32 v4, -v2, v3, 1.0
	v_fmac_f32_e32 v3, v4, v3
	v_div_scale_f32 v4, vcc_lo, v6, v17, v6
	v_mul_f32_e32 v5, v4, v3
	v_fma_f32 v18, -v2, v5, v4
	v_fmac_f32_e32 v5, v18, v3
	v_fma_f32 v2, -v2, v5, v4
	v_div_fmas_f32 v2, v2, v3, v5
	v_div_fixup_f32 v2, v2, v17, v6
.LBB715_209:
	s_or_b32 exec_lo, exec_lo, s5
	global_store_dword v[0:1], v2, off offset:640
	s_and_b32 exec_lo, exec_lo, s11
	s_cbranch_execz .LBB715_240
; %bb.210:
	v_mov_b32_e32 v2, 0x7fc00000
	s_and_saveexec_b32 s5, s4
	s_cbranch_execz .LBB715_212
; %bb.211:
	v_div_scale_f32 v2, null, v17, v17, v7
	v_rcp_f32_e32 v3, v2
	v_fma_f32 v4, -v2, v3, 1.0
	v_fmac_f32_e32 v3, v4, v3
	v_div_scale_f32 v4, vcc_lo, v7, v17, v7
	v_mul_f32_e32 v5, v4, v3
	v_fma_f32 v6, -v2, v5, v4
	v_fmac_f32_e32 v5, v6, v3
	v_fma_f32 v2, -v2, v5, v4
	v_div_fmas_f32 v2, v2, v3, v5
	v_div_fixup_f32 v2, v2, v17, v7
.LBB715_212:
	s_or_b32 exec_lo, exec_lo, s5
	global_store_dword v[0:1], v2, off offset:768
	s_and_b32 exec_lo, exec_lo, s10
	s_cbranch_execz .LBB715_240
; %bb.213:
	v_mov_b32_e32 v2, 0x7fc00000
	s_and_saveexec_b32 s5, s4
	s_cbranch_execz .LBB715_215
; %bb.214:
	v_div_scale_f32 v2, null, v17, v17, v8
	v_rcp_f32_e32 v3, v2
	v_fma_f32 v4, -v2, v3, 1.0
	v_fmac_f32_e32 v3, v4, v3
	v_div_scale_f32 v4, vcc_lo, v8, v17, v8
	v_mul_f32_e32 v5, v4, v3
	v_fma_f32 v6, -v2, v5, v4
	v_fmac_f32_e32 v5, v6, v3
	v_fma_f32 v2, -v2, v5, v4
	v_div_fmas_f32 v2, v2, v3, v5
	v_div_fixup_f32 v2, v2, v17, v8
.LBB715_215:
	s_or_b32 exec_lo, exec_lo, s5
	global_store_dword v[0:1], v2, off offset:896
	s_and_b32 exec_lo, exec_lo, s9
	s_cbranch_execz .LBB715_240
; %bb.216:
	v_mov_b32_e32 v2, 0x7fc00000
	s_and_saveexec_b32 s5, s4
	s_cbranch_execz .LBB715_218
; %bb.217:
	v_div_scale_f32 v2, null, v17, v17, v9
	v_rcp_f32_e32 v3, v2
	v_fma_f32 v4, -v2, v3, 1.0
	v_fmac_f32_e32 v3, v4, v3
	v_div_scale_f32 v4, vcc_lo, v9, v17, v9
	v_mul_f32_e32 v5, v4, v3
	v_fma_f32 v6, -v2, v5, v4
	v_fmac_f32_e32 v5, v6, v3
	v_fma_f32 v2, -v2, v5, v4
	v_div_fmas_f32 v2, v2, v3, v5
	v_div_fixup_f32 v2, v2, v17, v9
.LBB715_218:
	s_or_b32 exec_lo, exec_lo, s5
	global_store_dword v[0:1], v2, off offset:1024
	s_and_b32 exec_lo, exec_lo, s8
	s_cbranch_execz .LBB715_240
; %bb.219:
	v_mov_b32_e32 v2, 0x7fc00000
	s_and_saveexec_b32 s5, s4
	s_cbranch_execz .LBB715_221
; %bb.220:
	v_div_scale_f32 v2, null, v17, v17, v10
	v_rcp_f32_e32 v3, v2
	v_fma_f32 v4, -v2, v3, 1.0
	v_fmac_f32_e32 v3, v4, v3
	v_div_scale_f32 v4, vcc_lo, v10, v17, v10
	v_mul_f32_e32 v5, v4, v3
	v_fma_f32 v6, -v2, v5, v4
	v_fmac_f32_e32 v5, v6, v3
	v_fma_f32 v2, -v2, v5, v4
	v_div_fmas_f32 v2, v2, v3, v5
	v_div_fixup_f32 v2, v2, v17, v10
.LBB715_221:
	s_or_b32 exec_lo, exec_lo, s5
	global_store_dword v[0:1], v2, off offset:1152
	s_and_b32 exec_lo, exec_lo, s7
	s_cbranch_execz .LBB715_240
; %bb.222:
	v_mov_b32_e32 v2, 0x7fc00000
	s_and_saveexec_b32 s5, s4
	s_cbranch_execz .LBB715_224
; %bb.223:
	v_div_scale_f32 v2, null, v17, v17, v11
	v_rcp_f32_e32 v3, v2
	v_fma_f32 v4, -v2, v3, 1.0
	v_fmac_f32_e32 v3, v4, v3
	v_div_scale_f32 v4, vcc_lo, v11, v17, v11
	v_mul_f32_e32 v5, v4, v3
	v_fma_f32 v6, -v2, v5, v4
	v_fmac_f32_e32 v5, v6, v3
	v_fma_f32 v2, -v2, v5, v4
	v_div_fmas_f32 v2, v2, v3, v5
	v_div_fixup_f32 v2, v2, v17, v11
.LBB715_224:
	s_or_b32 exec_lo, exec_lo, s5
	global_store_dword v[0:1], v2, off offset:1280
	s_and_b32 exec_lo, exec_lo, s6
	s_cbranch_execz .LBB715_240
; %bb.225:
	v_mov_b32_e32 v2, 0x7fc00000
	s_and_saveexec_b32 s5, s4
	s_cbranch_execz .LBB715_227
; %bb.226:
	v_div_scale_f32 v2, null, v17, v17, v12
	v_rcp_f32_e32 v3, v2
	v_fma_f32 v4, -v2, v3, 1.0
	v_fmac_f32_e32 v3, v4, v3
	v_div_scale_f32 v4, vcc_lo, v12, v17, v12
	v_mul_f32_e32 v5, v4, v3
	v_fma_f32 v6, -v2, v5, v4
	v_fmac_f32_e32 v5, v6, v3
	v_fma_f32 v2, -v2, v5, v4
	v_div_fmas_f32 v2, v2, v3, v5
	v_div_fixup_f32 v2, v2, v17, v12
.LBB715_227:
	s_or_b32 exec_lo, exec_lo, s5
	global_store_dword v[0:1], v2, off offset:1408
	s_and_b32 exec_lo, exec_lo, s3
	s_cbranch_execz .LBB715_240
; %bb.228:
	v_mov_b32_e32 v2, 0x7fc00000
	s_and_saveexec_b32 s3, s4
	s_cbranch_execz .LBB715_230
; %bb.229:
	v_div_scale_f32 v2, null, v17, v17, v13
	v_rcp_f32_e32 v3, v2
	v_fma_f32 v4, -v2, v3, 1.0
	v_fmac_f32_e32 v3, v4, v3
	v_div_scale_f32 v4, vcc_lo, v13, v17, v13
	v_mul_f32_e32 v5, v4, v3
	v_fma_f32 v6, -v2, v5, v4
	v_fmac_f32_e32 v5, v6, v3
	v_fma_f32 v2, -v2, v5, v4
	v_div_fmas_f32 v2, v2, v3, v5
	v_div_fixup_f32 v2, v2, v17, v13
.LBB715_230:
	s_or_b32 exec_lo, exec_lo, s3
	global_store_dword v[0:1], v2, off offset:1536
	s_and_b32 exec_lo, exec_lo, s2
	s_cbranch_execz .LBB715_240
; %bb.231:
	v_mov_b32_e32 v2, 0x7fc00000
	s_and_saveexec_b32 s2, s4
	s_cbranch_execz .LBB715_233
; %bb.232:
	v_div_scale_f32 v2, null, v17, v17, v14
	v_rcp_f32_e32 v3, v2
	v_fma_f32 v4, -v2, v3, 1.0
	v_fmac_f32_e32 v3, v4, v3
	v_div_scale_f32 v4, vcc_lo, v14, v17, v14
	v_mul_f32_e32 v5, v4, v3
	v_fma_f32 v6, -v2, v5, v4
	v_fmac_f32_e32 v5, v6, v3
	v_fma_f32 v2, -v2, v5, v4
	v_div_fmas_f32 v2, v2, v3, v5
	v_div_fixup_f32 v2, v2, v17, v14
.LBB715_233:
	s_or_b32 exec_lo, exec_lo, s2
	global_store_dword v[0:1], v2, off offset:1664
	s_and_b32 exec_lo, exec_lo, s1
	s_cbranch_execz .LBB715_240
; %bb.234:
	v_mov_b32_e32 v2, 0x7fc00000
	s_and_saveexec_b32 s1, s4
	s_cbranch_execz .LBB715_236
; %bb.235:
	v_div_scale_f32 v2, null, v17, v17, v15
	v_rcp_f32_e32 v3, v2
	v_fma_f32 v4, -v2, v3, 1.0
	v_fmac_f32_e32 v3, v4, v3
	v_div_scale_f32 v4, vcc_lo, v15, v17, v15
	v_mul_f32_e32 v5, v4, v3
	v_fma_f32 v6, -v2, v5, v4
	v_fmac_f32_e32 v5, v6, v3
	v_fma_f32 v2, -v2, v5, v4
	v_div_fmas_f32 v2, v2, v3, v5
	v_div_fixup_f32 v2, v2, v17, v15
.LBB715_236:
	s_or_b32 exec_lo, exec_lo, s1
	global_store_dword v[0:1], v2, off offset:1792
	s_and_b32 exec_lo, exec_lo, s0
	s_cbranch_execz .LBB715_240
; %bb.237:
	v_mov_b32_e32 v2, 0x7fc00000
	s_and_saveexec_b32 s0, s4
	s_cbranch_execz .LBB715_239
; %bb.238:
	v_div_scale_f32 v2, null, v17, v17, v16
	v_rcp_f32_e32 v3, v2
	v_fma_f32 v4, -v2, v3, 1.0
	v_fmac_f32_e32 v3, v4, v3
	v_div_scale_f32 v4, vcc_lo, v16, v17, v16
	v_mul_f32_e32 v5, v4, v3
	v_fma_f32 v6, -v2, v5, v4
	v_fmac_f32_e32 v5, v6, v3
	v_fma_f32 v2, -v2, v5, v4
	v_div_fmas_f32 v2, v2, v3, v5
	v_div_fixup_f32 v2, v2, v17, v16
.LBB715_239:
	s_or_b32 exec_lo, exec_lo, s0
	global_store_dword v[0:1], v2, off offset:1920
.LBB715_240:
	s_endpgm
	.section	.rodata,"a",@progbits
	.p2align	6, 0x0
	.amdhsa_kernel _ZN12_GLOBAL__N_120softmax_warp_forwardIfffLi9ELb0ELb1ELi32EEEvPT0_PKT_iiiPKbib
		.amdhsa_group_segment_fixed_size 0
		.amdhsa_private_segment_fixed_size 0
		.amdhsa_kernarg_size 304
		.amdhsa_user_sgpr_count 6
		.amdhsa_user_sgpr_private_segment_buffer 1
		.amdhsa_user_sgpr_dispatch_ptr 0
		.amdhsa_user_sgpr_queue_ptr 0
		.amdhsa_user_sgpr_kernarg_segment_ptr 1
		.amdhsa_user_sgpr_dispatch_id 0
		.amdhsa_user_sgpr_flat_scratch_init 0
		.amdhsa_user_sgpr_private_segment_size 0
		.amdhsa_wavefront_size32 1
		.amdhsa_uses_dynamic_stack 0
		.amdhsa_system_sgpr_private_segment_wavefront_offset 0
		.amdhsa_system_sgpr_workgroup_id_x 1
		.amdhsa_system_sgpr_workgroup_id_y 0
		.amdhsa_system_sgpr_workgroup_id_z 0
		.amdhsa_system_sgpr_workgroup_info 0
		.amdhsa_system_vgpr_workitem_id 1
		.amdhsa_next_free_vgpr 59
		.amdhsa_next_free_sgpr 39
		.amdhsa_reserve_vcc 1
		.amdhsa_reserve_flat_scratch 0
		.amdhsa_float_round_mode_32 0
		.amdhsa_float_round_mode_16_64 0
		.amdhsa_float_denorm_mode_32 3
		.amdhsa_float_denorm_mode_16_64 3
		.amdhsa_dx10_clamp 1
		.amdhsa_ieee_mode 1
		.amdhsa_fp16_overflow 0
		.amdhsa_workgroup_processor_mode 1
		.amdhsa_memory_ordered 1
		.amdhsa_forward_progress 1
		.amdhsa_shared_vgpr_count 0
		.amdhsa_exception_fp_ieee_invalid_op 0
		.amdhsa_exception_fp_denorm_src 0
		.amdhsa_exception_fp_ieee_div_zero 0
		.amdhsa_exception_fp_ieee_overflow 0
		.amdhsa_exception_fp_ieee_underflow 0
		.amdhsa_exception_fp_ieee_inexact 0
		.amdhsa_exception_int_div_zero 0
	.end_amdhsa_kernel
	.section	.text._ZN12_GLOBAL__N_120softmax_warp_forwardIfffLi9ELb0ELb1ELi32EEEvPT0_PKT_iiiPKbib,"axG",@progbits,_ZN12_GLOBAL__N_120softmax_warp_forwardIfffLi9ELb0ELb1ELi32EEEvPT0_PKT_iiiPKbib,comdat
.Lfunc_end715:
	.size	_ZN12_GLOBAL__N_120softmax_warp_forwardIfffLi9ELb0ELb1ELi32EEEvPT0_PKT_iiiPKbib, .Lfunc_end715-_ZN12_GLOBAL__N_120softmax_warp_forwardIfffLi9ELb0ELb1ELi32EEEvPT0_PKT_iiiPKbib
                                        ; -- End function
	.set _ZN12_GLOBAL__N_120softmax_warp_forwardIfffLi9ELb0ELb1ELi32EEEvPT0_PKT_iiiPKbib.num_vgpr, 59
	.set _ZN12_GLOBAL__N_120softmax_warp_forwardIfffLi9ELb0ELb1ELi32EEEvPT0_PKT_iiiPKbib.num_agpr, 0
	.set _ZN12_GLOBAL__N_120softmax_warp_forwardIfffLi9ELb0ELb1ELi32EEEvPT0_PKT_iiiPKbib.numbered_sgpr, 39
	.set _ZN12_GLOBAL__N_120softmax_warp_forwardIfffLi9ELb0ELb1ELi32EEEvPT0_PKT_iiiPKbib.num_named_barrier, 0
	.set _ZN12_GLOBAL__N_120softmax_warp_forwardIfffLi9ELb0ELb1ELi32EEEvPT0_PKT_iiiPKbib.private_seg_size, 0
	.set _ZN12_GLOBAL__N_120softmax_warp_forwardIfffLi9ELb0ELb1ELi32EEEvPT0_PKT_iiiPKbib.uses_vcc, 1
	.set _ZN12_GLOBAL__N_120softmax_warp_forwardIfffLi9ELb0ELb1ELi32EEEvPT0_PKT_iiiPKbib.uses_flat_scratch, 0
	.set _ZN12_GLOBAL__N_120softmax_warp_forwardIfffLi9ELb0ELb1ELi32EEEvPT0_PKT_iiiPKbib.has_dyn_sized_stack, 0
	.set _ZN12_GLOBAL__N_120softmax_warp_forwardIfffLi9ELb0ELb1ELi32EEEvPT0_PKT_iiiPKbib.has_recursion, 0
	.set _ZN12_GLOBAL__N_120softmax_warp_forwardIfffLi9ELb0ELb1ELi32EEEvPT0_PKT_iiiPKbib.has_indirect_call, 0
	.section	.AMDGPU.csdata,"",@progbits
; Kernel info:
; codeLenInByte = 11300
; TotalNumSgprs: 41
; NumVgprs: 59
; ScratchSize: 0
; MemoryBound: 0
; FloatMode: 240
; IeeeMode: 1
; LDSByteSize: 0 bytes/workgroup (compile time only)
; SGPRBlocks: 0
; VGPRBlocks: 7
; NumSGPRsForWavesPerEU: 41
; NumVGPRsForWavesPerEU: 59
; Occupancy: 16
; WaveLimiterHint : 0
; COMPUTE_PGM_RSRC2:SCRATCH_EN: 0
; COMPUTE_PGM_RSRC2:USER_SGPR: 6
; COMPUTE_PGM_RSRC2:TRAP_HANDLER: 0
; COMPUTE_PGM_RSRC2:TGID_X_EN: 1
; COMPUTE_PGM_RSRC2:TGID_Y_EN: 0
; COMPUTE_PGM_RSRC2:TGID_Z_EN: 0
; COMPUTE_PGM_RSRC2:TIDIG_COMP_CNT: 1
	.section	.text._ZN12_GLOBAL__N_120softmax_warp_forwardIfffLi10ELb0ELb1ELi64EEEvPT0_PKT_iiiPKbib,"axG",@progbits,_ZN12_GLOBAL__N_120softmax_warp_forwardIfffLi10ELb0ELb1ELi64EEEvPT0_PKT_iiiPKbib,comdat
	.globl	_ZN12_GLOBAL__N_120softmax_warp_forwardIfffLi10ELb0ELb1ELi64EEEvPT0_PKT_iiiPKbib ; -- Begin function _ZN12_GLOBAL__N_120softmax_warp_forwardIfffLi10ELb0ELb1ELi64EEEvPT0_PKT_iiiPKbib
	.p2align	8
	.type	_ZN12_GLOBAL__N_120softmax_warp_forwardIfffLi10ELb0ELb1ELi64EEEvPT0_PKT_iiiPKbib,@function
_ZN12_GLOBAL__N_120softmax_warp_forwardIfffLi10ELb0ELb1ELi64EEEvPT0_PKT_iiiPKbib: ; @_ZN12_GLOBAL__N_120softmax_warp_forwardIfffLi10ELb0ELb1ELi64EEEvPT0_PKT_iiiPKbib
; %bb.0:
	s_clause 0x1
	s_load_dword s0, s[4:5], 0x3c
	s_load_dwordx4 s[16:19], s[4:5], 0x10
	s_waitcnt lgkmcnt(0)
	s_lshr_b32 s0, s0, 16
	v_mad_u64_u32 v[1:2], null, s6, s0, v[1:2]
	s_load_dwordx2 s[0:1], s[4:5], 0x28
	v_mul_lo_u32 v4, v1, s17
	v_add_nc_u32_e32 v2, v4, v0
	v_ashrrev_i32_e32 v3, 31, v2
	s_waitcnt lgkmcnt(0)
	s_bitcmp0_b32 s1, 0
	v_mov_b32_e32 v17, v3
	v_mov_b32_e32 v16, v2
	s_cbranch_scc1 .LBB716_2
; %bb.1:
	s_abs_i32 s1, s0
	v_sub_nc_u32_e32 v7, 0, v4
	v_cvt_f32_u32_e32 v5, s1
	s_sub_i32 s2, 0, s1
	v_max_i32_e32 v7, v4, v7
	v_rcp_iflag_f32_e32 v5, v5
	v_xor_b32_e32 v4, s0, v4
	v_ashrrev_i32_e32 v4, 31, v4
	v_mul_f32_e32 v5, 0x4f7ffffe, v5
	v_cvt_u32_f32_e32 v5, v5
	v_mul_lo_u32 v6, s2, v5
	v_mul_hi_u32 v6, v5, v6
	v_add_nc_u32_e32 v5, v5, v6
	v_mul_hi_u32 v5, v7, v5
	v_mul_lo_u32 v6, v5, s1
	v_sub_nc_u32_e32 v6, v7, v6
	v_add_nc_u32_e32 v7, 1, v5
	v_subrev_nc_u32_e32 v8, s1, v6
	v_cmp_le_u32_e32 vcc_lo, s1, v6
	v_cndmask_b32_e32 v5, v5, v7, vcc_lo
	v_cndmask_b32_e32 v6, v6, v8, vcc_lo
	v_add_nc_u32_e32 v7, 1, v5
	v_cmp_le_u32_e32 vcc_lo, s1, v6
	v_cndmask_b32_e32 v5, v5, v7, vcc_lo
	v_xor_b32_e32 v5, v5, v4
	v_sub_nc_u32_e32 v4, v5, v4
	v_mad_u64_u32 v[16:17], null, v4, s17, v[0:1]
	v_ashrrev_i32_e32 v17, 31, v16
.LBB716_2:
	s_load_dwordx4 s[20:23], s[4:5], 0x0
	v_lshlrev_b64 v[48:49], 2, v[2:3]
	v_sub_nc_u32_e32 v52, s16, v1
	v_cmp_gt_i32_e32 vcc_lo, s18, v0
	v_mov_b32_e32 v32, 0xff800000
	v_mov_b32_e32 v1, 0xff800000
	v_cmp_lt_i32_e64 s17, 0, v52
	s_and_b32 s35, s17, vcc_lo
	s_waitcnt lgkmcnt(0)
	v_add_co_u32 v18, s0, s22, v48
	v_add_co_ci_u32_e64 v19, null, s23, v49, s0
	s_and_saveexec_b32 s0, s35
	s_cbranch_execz .LBB716_4
; %bb.3:
	global_load_dword v1, v[18:19], off
.LBB716_4:
	s_or_b32 exec_lo, exec_lo, s0
	v_add_nc_u32_e32 v2, 64, v0
	v_cmp_gt_i32_e64 s16, s18, v2
	s_and_b32 s36, s17, s16
	s_and_saveexec_b32 s0, s36
	s_cbranch_execz .LBB716_6
; %bb.5:
	global_load_dword v32, v[18:19], off offset:256
.LBB716_6:
	s_or_b32 exec_lo, exec_lo, s0
	v_add_nc_u32_e32 v2, 0x80, v0
	v_mov_b32_e32 v3, 0xff800000
	v_cmp_gt_i32_e64 s15, s18, v2
	v_mov_b32_e32 v2, 0xff800000
	s_and_b32 s34, s17, s15
	s_and_saveexec_b32 s0, s34
	s_cbranch_execz .LBB716_8
; %bb.7:
	global_load_dword v2, v[18:19], off offset:512
.LBB716_8:
	s_or_b32 exec_lo, exec_lo, s0
	v_add_nc_u32_e32 v4, 0xc0, v0
	v_cmp_gt_i32_e64 s14, s18, v4
	s_and_b32 s33, s17, s14
	s_and_saveexec_b32 s0, s33
	s_cbranch_execz .LBB716_10
; %bb.9:
	global_load_dword v3, v[18:19], off offset:768
.LBB716_10:
	s_or_b32 exec_lo, exec_lo, s0
	v_add_nc_u32_e32 v4, 0x100, v0
	v_mov_b32_e32 v5, 0xff800000
	v_cmp_gt_i32_e64 s13, s18, v4
	v_mov_b32_e32 v4, 0xff800000
	s_and_b32 s31, s17, s13
	s_and_saveexec_b32 s0, s31
	s_cbranch_execz .LBB716_12
; %bb.11:
	global_load_dword v4, v[18:19], off offset:1024
.LBB716_12:
	;; [unrolled: 20-line block ×3, first 2 shown]
	s_or_b32 exec_lo, exec_lo, s0
	v_add_nc_u32_e32 v8, 0x1c0, v0
	v_cmp_gt_i32_e64 s10, s18, v8
	s_and_b32 s28, s17, s10
	s_and_saveexec_b32 s0, s28
	s_cbranch_execz .LBB716_18
; %bb.17:
	global_load_dword v7, v[18:19], off offset:1792
.LBB716_18:
	s_or_b32 exec_lo, exec_lo, s0
	v_add_nc_u32_e32 v8, 0x200, v0
	v_mov_b32_e32 v9, 0xff800000
	v_cmp_gt_i32_e64 s9, s18, v8
	v_mov_b32_e32 v8, 0xff800000
	s_and_b32 s27, s17, s9
	s_and_saveexec_b32 s1, s27
	s_cbranch_execz .LBB716_20
; %bb.19:
	v_add_co_u32 v10, s0, 0x800, v18
	v_add_co_ci_u32_e64 v11, null, 0, v19, s0
	global_load_dword v8, v[10:11], off
.LBB716_20:
	s_or_b32 exec_lo, exec_lo, s1
	v_add_nc_u32_e32 v10, 0x240, v0
	v_cmp_gt_i32_e64 s8, s18, v10
	s_and_b32 s26, s17, s8
	s_and_saveexec_b32 s1, s26
	s_cbranch_execz .LBB716_22
; %bb.21:
	v_add_co_u32 v9, s0, 0x800, v18
	v_add_co_ci_u32_e64 v10, null, 0, v19, s0
	global_load_dword v9, v[9:10], off offset:256
.LBB716_22:
	s_or_b32 exec_lo, exec_lo, s1
	v_add_nc_u32_e32 v10, 0x280, v0
	v_mov_b32_e32 v11, 0xff800000
	v_cmp_gt_i32_e64 s7, s18, v10
	v_mov_b32_e32 v10, 0xff800000
	s_and_b32 s25, s17, s7
	s_and_saveexec_b32 s1, s25
	s_cbranch_execz .LBB716_24
; %bb.23:
	v_add_co_u32 v12, s0, 0x800, v18
	v_add_co_ci_u32_e64 v13, null, 0, v19, s0
	global_load_dword v10, v[12:13], off offset:512
.LBB716_24:
	s_or_b32 exec_lo, exec_lo, s1
	v_add_nc_u32_e32 v12, 0x2c0, v0
	v_cmp_gt_i32_e64 s6, s18, v12
	s_and_b32 s24, s17, s6
	s_and_saveexec_b32 s1, s24
	s_cbranch_execz .LBB716_26
; %bb.25:
	v_add_co_u32 v11, s0, 0x800, v18
	v_add_co_ci_u32_e64 v12, null, 0, v19, s0
	global_load_dword v11, v[11:12], off offset:768
.LBB716_26:
	s_or_b32 exec_lo, exec_lo, s1
	v_add_nc_u32_e32 v12, 0x300, v0
	v_mov_b32_e32 v13, 0xff800000
	v_cmp_gt_i32_e64 s3, s18, v12
	v_mov_b32_e32 v12, 0xff800000
	s_and_b32 s23, s17, s3
	s_and_saveexec_b32 s1, s23
	s_cbranch_execz .LBB716_28
; %bb.27:
	v_add_co_u32 v14, s0, 0x800, v18
	v_add_co_ci_u32_e64 v15, null, 0, v19, s0
	global_load_dword v12, v[14:15], off offset:1024
.LBB716_28:
	;; [unrolled: 24-line block ×3, first 2 shown]
	s_or_b32 exec_lo, exec_lo, s37
	v_add_nc_u32_e32 v0, 0x3c0, v0
	v_cmp_gt_i32_e64 s0, s18, v0
	s_and_b32 s18, s17, s0
	s_and_saveexec_b32 s37, s18
	s_cbranch_execz .LBB716_34
; %bb.33:
	v_add_co_u32 v18, s17, 0x800, v18
	v_add_co_ci_u32_e64 v19, null, 0, v19, s17
	global_load_dword v15, v[18:19], off offset:1792
.LBB716_34:
	s_or_b32 exec_lo, exec_lo, s37
	s_load_dwordx2 s[4:5], s[4:5], 0x20
	s_waitcnt lgkmcnt(0)
	v_add_co_u32 v50, s4, s4, v16
	v_add_co_ci_u32_e64 v51, null, s5, v17, s4
	s_mov_b32 s5, 0
	s_and_saveexec_b32 s17, s35
	s_cbranch_execz .LBB716_64
; %bb.35:
	global_load_ubyte v0, v[50:51], off
	s_waitcnt vmcnt(0)
	v_and_b32_e32 v0, 1, v0
	v_cmp_eq_u32_e64 s4, 1, v0
	s_xor_b32 s4, s4, -1
	s_and_b32 s5, s4, exec_lo
	s_or_b32 exec_lo, exec_lo, s17
	v_mov_b32_e32 v0, v1
	s_and_saveexec_b32 s17, s36
	s_cbranch_execnz .LBB716_65
.LBB716_36:
	s_or_b32 exec_lo, exec_lo, s17
	s_and_saveexec_b32 s17, s34
	s_cbranch_execz .LBB716_68
.LBB716_37:
	global_load_ubyte v16, v[50:51], off offset:128
	s_waitcnt vmcnt(0)
	v_and_b32_e32 v16, 1, v16
	v_cmp_eq_u32_e64 s4, 1, v16
	s_xor_b32 s38, s4, -1
	s_mov_b32 s4, s5
	s_and_saveexec_b32 s37, s38
; %bb.38:
	v_cmp_gt_f32_e64 s4, v0, v2
	s_and_b32 s4, s5, s4
	v_cndmask_b32_e64 v0, v2, v0, s4
	s_or_b32 s4, s5, exec_lo
; %bb.39:
	s_or_b32 exec_lo, exec_lo, s37
	s_andn2_b32 s5, s5, exec_lo
	s_and_b32 s4, s4, exec_lo
	s_or_b32 s5, s5, s4
	s_or_b32 exec_lo, exec_lo, s17
	s_and_saveexec_b32 s17, s33
	s_cbranch_execnz .LBB716_69
.LBB716_40:
	s_or_b32 exec_lo, exec_lo, s17
	s_and_saveexec_b32 s17, s31
	s_cbranch_execz .LBB716_72
.LBB716_41:
	global_load_ubyte v16, v[50:51], off offset:256
	s_waitcnt vmcnt(0)
	v_and_b32_e32 v16, 1, v16
	v_cmp_eq_u32_e64 s4, 1, v16
	s_xor_b32 s38, s4, -1
	s_mov_b32 s4, s5
	s_and_saveexec_b32 s37, s38
; %bb.42:
	v_cmp_gt_f32_e64 s4, v0, v4
	s_and_b32 s4, s5, s4
	v_cndmask_b32_e64 v0, v4, v0, s4
	s_or_b32 s4, s5, exec_lo
; %bb.43:
	s_or_b32 exec_lo, exec_lo, s37
	s_andn2_b32 s5, s5, exec_lo
	s_and_b32 s4, s4, exec_lo
	s_or_b32 s5, s5, s4
	s_or_b32 exec_lo, exec_lo, s17
	s_and_saveexec_b32 s17, s30
	s_cbranch_execnz .LBB716_73
.LBB716_44:
	s_or_b32 exec_lo, exec_lo, s17
	s_and_saveexec_b32 s17, s29
	s_cbranch_execz .LBB716_76
.LBB716_45:
	global_load_ubyte v16, v[50:51], off offset:384
	s_waitcnt vmcnt(0)
	v_and_b32_e32 v16, 1, v16
	v_cmp_eq_u32_e64 s4, 1, v16
	s_xor_b32 s38, s4, -1
	s_mov_b32 s4, s5
	s_and_saveexec_b32 s37, s38
; %bb.46:
	v_cmp_gt_f32_e64 s4, v0, v6
	s_and_b32 s4, s5, s4
	v_cndmask_b32_e64 v0, v6, v0, s4
	s_or_b32 s4, s5, exec_lo
; %bb.47:
	s_or_b32 exec_lo, exec_lo, s37
	s_andn2_b32 s5, s5, exec_lo
	s_and_b32 s4, s4, exec_lo
	s_or_b32 s5, s5, s4
	s_or_b32 exec_lo, exec_lo, s17
	s_and_saveexec_b32 s17, s28
	s_cbranch_execnz .LBB716_77
.LBB716_48:
	s_or_b32 exec_lo, exec_lo, s17
	s_and_saveexec_b32 s17, s27
	s_cbranch_execz .LBB716_80
.LBB716_49:
	global_load_ubyte v16, v[50:51], off offset:512
	s_waitcnt vmcnt(0)
	v_and_b32_e32 v16, 1, v16
	v_cmp_eq_u32_e64 s4, 1, v16
	s_xor_b32 s38, s4, -1
	s_mov_b32 s4, s5
	s_and_saveexec_b32 s37, s38
; %bb.50:
	v_cmp_gt_f32_e64 s4, v0, v8
	s_and_b32 s4, s5, s4
	v_cndmask_b32_e64 v0, v8, v0, s4
	s_or_b32 s4, s5, exec_lo
; %bb.51:
	s_or_b32 exec_lo, exec_lo, s37
	s_andn2_b32 s5, s5, exec_lo
	s_and_b32 s4, s4, exec_lo
	s_or_b32 s5, s5, s4
	s_or_b32 exec_lo, exec_lo, s17
	s_and_saveexec_b32 s17, s26
	s_cbranch_execnz .LBB716_81
.LBB716_52:
	s_or_b32 exec_lo, exec_lo, s17
	s_and_saveexec_b32 s17, s25
	s_cbranch_execz .LBB716_84
.LBB716_53:
	global_load_ubyte v16, v[50:51], off offset:640
	s_waitcnt vmcnt(0)
	v_and_b32_e32 v16, 1, v16
	v_cmp_eq_u32_e64 s4, 1, v16
	s_xor_b32 s38, s4, -1
	s_mov_b32 s4, s5
	s_and_saveexec_b32 s37, s38
; %bb.54:
	v_cmp_gt_f32_e64 s4, v0, v10
	s_and_b32 s4, s5, s4
	v_cndmask_b32_e64 v0, v10, v0, s4
	s_or_b32 s4, s5, exec_lo
; %bb.55:
	s_or_b32 exec_lo, exec_lo, s37
	s_andn2_b32 s5, s5, exec_lo
	s_and_b32 s4, s4, exec_lo
	s_or_b32 s5, s5, s4
	s_or_b32 exec_lo, exec_lo, s17
	s_and_saveexec_b32 s17, s24
	s_cbranch_execnz .LBB716_85
.LBB716_56:
	s_or_b32 exec_lo, exec_lo, s17
	s_and_saveexec_b32 s17, s23
	s_cbranch_execz .LBB716_88
.LBB716_57:
	global_load_ubyte v16, v[50:51], off offset:768
	s_waitcnt vmcnt(0)
	v_and_b32_e32 v16, 1, v16
	v_cmp_eq_u32_e64 s4, 1, v16
	s_xor_b32 s38, s4, -1
	s_mov_b32 s4, s5
	s_and_saveexec_b32 s37, s38
; %bb.58:
	v_cmp_gt_f32_e64 s4, v0, v12
	s_and_b32 s4, s5, s4
	v_cndmask_b32_e64 v0, v12, v0, s4
	s_or_b32 s4, s5, exec_lo
; %bb.59:
	s_or_b32 exec_lo, exec_lo, s37
	s_andn2_b32 s5, s5, exec_lo
	s_and_b32 s4, s4, exec_lo
	s_or_b32 s5, s5, s4
	s_or_b32 exec_lo, exec_lo, s17
	s_and_saveexec_b32 s17, s22
	s_cbranch_execnz .LBB716_89
.LBB716_60:
	s_or_b32 exec_lo, exec_lo, s17
	s_and_saveexec_b32 s17, s19
	s_cbranch_execz .LBB716_92
.LBB716_61:
	global_load_ubyte v16, v[50:51], off offset:896
	s_waitcnt vmcnt(0)
	v_and_b32_e32 v16, 1, v16
	v_cmp_eq_u32_e64 s4, 1, v16
	s_xor_b32 s38, s4, -1
	s_mov_b32 s4, s5
	s_and_saveexec_b32 s37, s38
; %bb.62:
	v_cmp_gt_f32_e64 s4, v0, v14
	s_and_b32 s4, s5, s4
	v_cndmask_b32_e64 v0, v14, v0, s4
	s_or_b32 s4, s5, exec_lo
; %bb.63:
	s_or_b32 exec_lo, exec_lo, s37
	s_andn2_b32 s5, s5, exec_lo
	s_and_b32 s4, s4, exec_lo
	s_or_b32 s5, s5, s4
	s_or_b32 exec_lo, exec_lo, s17
	s_and_saveexec_b32 s17, s18
	s_cbranch_execz .LBB716_96
	s_branch .LBB716_93
.LBB716_64:
	s_or_b32 exec_lo, exec_lo, s17
	s_waitcnt vmcnt(0)
	v_mov_b32_e32 v0, v1
	s_and_saveexec_b32 s17, s36
	s_cbranch_execz .LBB716_36
.LBB716_65:
	global_load_ubyte v0, v[50:51], off offset:64
	s_waitcnt vmcnt(0)
	v_and_b32_e32 v0, 1, v0
	v_cmp_eq_u32_e64 s4, 1, v0
	v_mov_b32_e32 v0, v1
	s_xor_b32 s38, s4, -1
	s_mov_b32 s4, s5
	s_and_saveexec_b32 s37, s38
; %bb.66:
	v_cmp_gt_f32_e64 s4, v1, v32
	s_and_b32 s4, s5, s4
	v_cndmask_b32_e64 v0, v32, v1, s4
	s_or_b32 s4, s5, exec_lo
; %bb.67:
	s_or_b32 exec_lo, exec_lo, s37
	s_andn2_b32 s5, s5, exec_lo
	s_and_b32 s4, s4, exec_lo
	s_or_b32 s5, s5, s4
	s_or_b32 exec_lo, exec_lo, s17
	s_and_saveexec_b32 s17, s34
	s_cbranch_execnz .LBB716_37
.LBB716_68:
	s_or_b32 exec_lo, exec_lo, s17
	s_and_saveexec_b32 s17, s33
	s_cbranch_execz .LBB716_40
.LBB716_69:
	global_load_ubyte v16, v[50:51], off offset:192
	s_waitcnt vmcnt(0)
	v_and_b32_e32 v16, 1, v16
	v_cmp_eq_u32_e64 s4, 1, v16
	s_xor_b32 s38, s4, -1
	s_mov_b32 s4, s5
	s_and_saveexec_b32 s37, s38
; %bb.70:
	v_cmp_gt_f32_e64 s4, v0, v3
	s_and_b32 s4, s5, s4
	v_cndmask_b32_e64 v0, v3, v0, s4
	s_or_b32 s4, s5, exec_lo
; %bb.71:
	s_or_b32 exec_lo, exec_lo, s37
	s_andn2_b32 s5, s5, exec_lo
	s_and_b32 s4, s4, exec_lo
	s_or_b32 s5, s5, s4
	s_or_b32 exec_lo, exec_lo, s17
	s_and_saveexec_b32 s17, s31
	s_cbranch_execnz .LBB716_41
.LBB716_72:
	s_or_b32 exec_lo, exec_lo, s17
	s_and_saveexec_b32 s17, s30
	s_cbranch_execz .LBB716_44
.LBB716_73:
	global_load_ubyte v16, v[50:51], off offset:320
	s_waitcnt vmcnt(0)
	v_and_b32_e32 v16, 1, v16
	v_cmp_eq_u32_e64 s4, 1, v16
	s_xor_b32 s38, s4, -1
	s_mov_b32 s4, s5
	s_and_saveexec_b32 s37, s38
; %bb.74:
	v_cmp_gt_f32_e64 s4, v0, v5
	s_and_b32 s4, s5, s4
	v_cndmask_b32_e64 v0, v5, v0, s4
	s_or_b32 s4, s5, exec_lo
; %bb.75:
	s_or_b32 exec_lo, exec_lo, s37
	s_andn2_b32 s5, s5, exec_lo
	s_and_b32 s4, s4, exec_lo
	s_or_b32 s5, s5, s4
	s_or_b32 exec_lo, exec_lo, s17
	s_and_saveexec_b32 s17, s29
	s_cbranch_execnz .LBB716_45
.LBB716_76:
	s_or_b32 exec_lo, exec_lo, s17
	s_and_saveexec_b32 s17, s28
	s_cbranch_execz .LBB716_48
.LBB716_77:
	global_load_ubyte v16, v[50:51], off offset:448
	s_waitcnt vmcnt(0)
	v_and_b32_e32 v16, 1, v16
	v_cmp_eq_u32_e64 s4, 1, v16
	s_xor_b32 s38, s4, -1
	s_mov_b32 s4, s5
	s_and_saveexec_b32 s37, s38
; %bb.78:
	v_cmp_gt_f32_e64 s4, v0, v7
	s_and_b32 s4, s5, s4
	v_cndmask_b32_e64 v0, v7, v0, s4
	s_or_b32 s4, s5, exec_lo
; %bb.79:
	s_or_b32 exec_lo, exec_lo, s37
	s_andn2_b32 s5, s5, exec_lo
	s_and_b32 s4, s4, exec_lo
	s_or_b32 s5, s5, s4
	s_or_b32 exec_lo, exec_lo, s17
	s_and_saveexec_b32 s17, s27
	s_cbranch_execnz .LBB716_49
.LBB716_80:
	s_or_b32 exec_lo, exec_lo, s17
	s_and_saveexec_b32 s17, s26
	s_cbranch_execz .LBB716_52
.LBB716_81:
	global_load_ubyte v16, v[50:51], off offset:576
	s_waitcnt vmcnt(0)
	v_and_b32_e32 v16, 1, v16
	v_cmp_eq_u32_e64 s4, 1, v16
	s_xor_b32 s38, s4, -1
	s_mov_b32 s4, s5
	s_and_saveexec_b32 s37, s38
; %bb.82:
	v_cmp_gt_f32_e64 s4, v0, v9
	s_and_b32 s4, s5, s4
	v_cndmask_b32_e64 v0, v9, v0, s4
	s_or_b32 s4, s5, exec_lo
; %bb.83:
	s_or_b32 exec_lo, exec_lo, s37
	s_andn2_b32 s5, s5, exec_lo
	s_and_b32 s4, s4, exec_lo
	s_or_b32 s5, s5, s4
	s_or_b32 exec_lo, exec_lo, s17
	s_and_saveexec_b32 s17, s25
	s_cbranch_execnz .LBB716_53
.LBB716_84:
	s_or_b32 exec_lo, exec_lo, s17
	s_and_saveexec_b32 s17, s24
	s_cbranch_execz .LBB716_56
.LBB716_85:
	global_load_ubyte v16, v[50:51], off offset:704
	s_waitcnt vmcnt(0)
	v_and_b32_e32 v16, 1, v16
	v_cmp_eq_u32_e64 s4, 1, v16
	s_xor_b32 s38, s4, -1
	s_mov_b32 s4, s5
	s_and_saveexec_b32 s37, s38
; %bb.86:
	v_cmp_gt_f32_e64 s4, v0, v11
	s_and_b32 s4, s5, s4
	v_cndmask_b32_e64 v0, v11, v0, s4
	s_or_b32 s4, s5, exec_lo
; %bb.87:
	s_or_b32 exec_lo, exec_lo, s37
	s_andn2_b32 s5, s5, exec_lo
	s_and_b32 s4, s4, exec_lo
	s_or_b32 s5, s5, s4
	s_or_b32 exec_lo, exec_lo, s17
	s_and_saveexec_b32 s17, s23
	s_cbranch_execnz .LBB716_57
.LBB716_88:
	s_or_b32 exec_lo, exec_lo, s17
	s_and_saveexec_b32 s17, s22
	s_cbranch_execz .LBB716_60
.LBB716_89:
	global_load_ubyte v16, v[50:51], off offset:832
	s_waitcnt vmcnt(0)
	v_and_b32_e32 v16, 1, v16
	v_cmp_eq_u32_e64 s4, 1, v16
	s_xor_b32 s38, s4, -1
	s_mov_b32 s4, s5
	s_and_saveexec_b32 s37, s38
; %bb.90:
	v_cmp_gt_f32_e64 s4, v0, v13
	s_and_b32 s4, s5, s4
	v_cndmask_b32_e64 v0, v13, v0, s4
	s_or_b32 s4, s5, exec_lo
; %bb.91:
	s_or_b32 exec_lo, exec_lo, s37
	s_andn2_b32 s5, s5, exec_lo
	s_and_b32 s4, s4, exec_lo
	s_or_b32 s5, s5, s4
	s_or_b32 exec_lo, exec_lo, s17
	s_and_saveexec_b32 s17, s19
	s_cbranch_execnz .LBB716_61
.LBB716_92:
	s_or_b32 exec_lo, exec_lo, s17
	s_and_saveexec_b32 s17, s18
	s_cbranch_execz .LBB716_96
.LBB716_93:
	global_load_ubyte v16, v[50:51], off offset:960
	s_waitcnt vmcnt(0)
	v_and_b32_e32 v16, 1, v16
	v_cmp_eq_u32_e64 s4, 1, v16
	s_xor_b32 s38, s4, -1
	s_mov_b32 s4, s5
	s_and_saveexec_b32 s37, s38
; %bb.94:
	v_cmp_gt_f32_e64 s4, v0, v15
	s_and_b32 s4, s5, s4
	v_cndmask_b32_e64 v0, v15, v0, s4
	s_or_b32 s4, s5, exec_lo
; %bb.95:
	s_or_b32 exec_lo, exec_lo, s37
	s_andn2_b32 s5, s5, exec_lo
	s_and_b32 s4, s4, exec_lo
	s_or_b32 s5, s5, s4
.LBB716_96:
	s_or_b32 exec_lo, exec_lo, s17
	v_mbcnt_lo_u32_b32 v16, -1, 0
	v_cndmask_b32_e64 v0, 0xff800000, v0, s5
	s_xor_b32 s5, s36, -1
	v_or_b32_e32 v17, 32, v16
	v_xor_b32_e32 v18, 16, v16
	v_cmp_gt_i32_e64 s4, 64, v17
	v_cndmask_b32_e64 v17, v16, v17, s4
	v_cmp_gt_i32_e64 s4, 64, v18
	v_lshlrev_b32_e32 v53, 2, v17
	v_cndmask_b32_e64 v18, v16, v18, s4
	ds_bpermute_b32 v17, v53, v0
	v_lshlrev_b32_e32 v54, 2, v18
	v_xor_b32_e32 v18, 8, v16
	s_waitcnt lgkmcnt(0)
	v_cmp_lt_f32_e64 s4, v0, v17
	v_cndmask_b32_e64 v0, v0, v17, s4
	v_cmp_gt_i32_e64 s4, 64, v18
	ds_bpermute_b32 v17, v54, v0
	v_cndmask_b32_e64 v18, v16, v18, s4
	v_lshlrev_b32_e32 v55, 2, v18
	v_xor_b32_e32 v18, 4, v16
	s_waitcnt lgkmcnt(0)
	v_cmp_lt_f32_e64 s4, v0, v17
	v_cndmask_b32_e64 v0, v0, v17, s4
	v_cmp_gt_i32_e64 s4, 64, v18
	ds_bpermute_b32 v17, v55, v0
	v_cndmask_b32_e64 v18, v16, v18, s4
	;; [unrolled: 8-line block ×4, first 2 shown]
	v_lshlrev_b32_e32 v58, 2, v16
	s_waitcnt lgkmcnt(0)
	v_cmp_lt_f32_e64 s4, v0, v17
	v_cndmask_b32_e64 v0, v0, v17, s4
	ds_bpermute_b32 v16, v58, v0
	s_waitcnt lgkmcnt(0)
	v_cmp_lt_f32_e64 s4, v0, v16
	v_cndmask_b32_e64 v59, v0, v16, s4
	v_mov_b32_e32 v0, 0
	s_and_saveexec_b32 s17, s35
	s_cbranch_execz .LBB716_100
; %bb.97:
	global_load_ubyte v0, v[50:51], off
	s_waitcnt vmcnt(0)
	v_and_b32_e32 v0, 1, v0
	v_cmp_eq_u32_e64 s4, 1, v0
	v_mov_b32_e32 v0, 0
	s_xor_b32 s4, s4, -1
	s_and_saveexec_b32 s35, s4
	s_cbranch_execz .LBB716_99
; %bb.98:
	v_sub_f32_e32 v0, v1, v59
	v_mul_f32_e32 v1, 0x3fb8aa3b, v0
	v_cmp_ngt_f32_e64 s4, 0xc2ce8ed0, v0
	v_fma_f32 v16, 0x3fb8aa3b, v0, -v1
	v_rndne_f32_e32 v17, v1
	v_fmamk_f32 v16, v0, 0x32a5705f, v16
	v_sub_f32_e32 v1, v1, v17
	v_add_f32_e32 v1, v1, v16
	v_cvt_i32_f32_e32 v16, v17
	v_exp_f32_e32 v1, v1
	v_ldexp_f32 v1, v1, v16
	v_cndmask_b32_e64 v1, 0, v1, s4
	v_cmp_nlt_f32_e64 s4, 0x42b17218, v0
	v_cndmask_b32_e64 v0, 0x7f800000, v1, s4
.LBB716_99:
	s_or_b32 exec_lo, exec_lo, s35
.LBB716_100:
	s_or_b32 exec_lo, exec_lo, s17
                                        ; implicit-def: $vgpr16_vgpr17_vgpr18_vgpr19_vgpr20_vgpr21_vgpr22_vgpr23_vgpr24_vgpr25_vgpr26_vgpr27_vgpr28_vgpr29_vgpr30_vgpr31
	s_and_saveexec_b32 s4, s5
	s_xor_b32 s4, exec_lo, s4
	s_cbranch_execz .LBB716_130
; %bb.101:
	s_mov_b32 s5, 0
                                        ; implicit-def: $vgpr32
	v_mov_b32_e32 v1, s5
	v_mov_b32_e32 v31, v15
	;; [unrolled: 1-line block ×17, first 2 shown]
	s_or_saveexec_b32 s17, s4
	s_xor_b32 s5, s34, -1
	s_xor_b32 exec_lo, exec_lo, s17
	s_cbranch_execnz .LBB716_131
.LBB716_102:
	s_or_b32 exec_lo, exec_lo, s17
                                        ; implicit-def: $vgpr32_vgpr33_vgpr34_vgpr35_vgpr36_vgpr37_vgpr38_vgpr39_vgpr40_vgpr41_vgpr42_vgpr43_vgpr44_vgpr45_vgpr46_vgpr47
	s_and_saveexec_b32 s4, s5
	s_xor_b32 s4, exec_lo, s4
	s_cbranch_execz .LBB716_134
.LBB716_103:
	s_mov_b32 s5, 0
	v_mov_b32_e32 v18, s5
	v_mov_b32_e32 v47, v31
	;; [unrolled: 1-line block ×17, first 2 shown]
                                        ; implicit-def: $vgpr16_vgpr17_vgpr18_vgpr19_vgpr20_vgpr21_vgpr22_vgpr23_vgpr24_vgpr25_vgpr26_vgpr27_vgpr28_vgpr29_vgpr30_vgpr31
	s_or_saveexec_b32 s17, s4
	s_xor_b32 s5, s33, -1
	s_xor_b32 exec_lo, exec_lo, s17
	s_cbranch_execnz .LBB716_135
.LBB716_104:
	s_or_b32 exec_lo, exec_lo, s17
                                        ; implicit-def: $vgpr1_vgpr2_vgpr3_vgpr4_vgpr5_vgpr6_vgpr7_vgpr8_vgpr9_vgpr10_vgpr11_vgpr12_vgpr13_vgpr14_vgpr15_vgpr16
	s_and_saveexec_b32 s4, s5
	s_xor_b32 s4, exec_lo, s4
	s_cbranch_execz .LBB716_138
.LBB716_105:
	s_mov_b32 s5, 0
	v_mov_b32_e32 v35, s5
	v_mov_b32_e32 v1, v32
	;; [unrolled: 1-line block ×17, first 2 shown]
                                        ; implicit-def: $vgpr32_vgpr33_vgpr34_vgpr35_vgpr36_vgpr37_vgpr38_vgpr39_vgpr40_vgpr41_vgpr42_vgpr43_vgpr44_vgpr45_vgpr46_vgpr47
	s_or_saveexec_b32 s17, s4
	s_xor_b32 s5, s31, -1
	s_xor_b32 exec_lo, exec_lo, s17
	s_cbranch_execnz .LBB716_139
.LBB716_106:
	s_or_b32 exec_lo, exec_lo, s17
                                        ; implicit-def: $vgpr17_vgpr18_vgpr19_vgpr20_vgpr21_vgpr22_vgpr23_vgpr24_vgpr25_vgpr26_vgpr27_vgpr28_vgpr29_vgpr30_vgpr31_vgpr32
	s_and_saveexec_b32 s4, s5
	s_xor_b32 s4, exec_lo, s4
	s_cbranch_execz .LBB716_142
.LBB716_107:
	s_mov_b32 s5, 0
	v_mov_b32_e32 v5, s5
	v_mov_b32_e32 v32, v16
	;; [unrolled: 1-line block ×17, first 2 shown]
                                        ; implicit-def: $vgpr1_vgpr2_vgpr3_vgpr4_vgpr5_vgpr6_vgpr7_vgpr8_vgpr9_vgpr10_vgpr11_vgpr12_vgpr13_vgpr14_vgpr15_vgpr16
	s_or_saveexec_b32 s17, s4
	s_xor_b32 s5, s30, -1
	s_xor_b32 exec_lo, exec_lo, s17
	s_cbranch_execnz .LBB716_143
.LBB716_108:
	s_or_b32 exec_lo, exec_lo, s17
                                        ; implicit-def: $vgpr1_vgpr2_vgpr3_vgpr4_vgpr5_vgpr6_vgpr7_vgpr8_vgpr9_vgpr10_vgpr11_vgpr12_vgpr13_vgpr14_vgpr15_vgpr16
	s_and_saveexec_b32 s4, s5
	s_xor_b32 s4, exec_lo, s4
	s_cbranch_execz .LBB716_146
.LBB716_109:
	s_mov_b32 s5, 0
	v_mov_b32_e32 v22, s5
	v_mov_b32_e32 v1, v17
	;; [unrolled: 1-line block ×17, first 2 shown]
                                        ; implicit-def: $vgpr17_vgpr18_vgpr19_vgpr20_vgpr21_vgpr22_vgpr23_vgpr24_vgpr25_vgpr26_vgpr27_vgpr28_vgpr29_vgpr30_vgpr31_vgpr32
	s_or_saveexec_b32 s17, s4
	s_xor_b32 s5, s29, -1
	s_xor_b32 exec_lo, exec_lo, s17
	s_cbranch_execnz .LBB716_147
.LBB716_110:
	s_or_b32 exec_lo, exec_lo, s17
                                        ; implicit-def: $vgpr17_vgpr18_vgpr19_vgpr20_vgpr21_vgpr22_vgpr23_vgpr24_vgpr25_vgpr26_vgpr27_vgpr28_vgpr29_vgpr30_vgpr31_vgpr32
	s_and_saveexec_b32 s4, s5
	s_xor_b32 s4, exec_lo, s4
	s_cbranch_execz .LBB716_150
.LBB716_111:
	s_mov_b32 s5, 0
	v_mov_b32_e32 v7, s5
	v_mov_b32_e32 v32, v16
	v_mov_b32_e32 v31, v15
	v_mov_b32_e32 v30, v14
	v_mov_b32_e32 v29, v13
	v_mov_b32_e32 v28, v12
	v_mov_b32_e32 v27, v11
	v_mov_b32_e32 v26, v10
	v_mov_b32_e32 v25, v9
	v_mov_b32_e32 v24, v8
	v_mov_b32_e32 v23, v7
	v_mov_b32_e32 v22, v6
	v_mov_b32_e32 v21, v5
	v_mov_b32_e32 v20, v4
	v_mov_b32_e32 v19, v3
	v_mov_b32_e32 v18, v2
	v_mov_b32_e32 v17, v1
                                        ; implicit-def: $vgpr1_vgpr2_vgpr3_vgpr4_vgpr5_vgpr6_vgpr7_vgpr8_vgpr9_vgpr10_vgpr11_vgpr12_vgpr13_vgpr14_vgpr15_vgpr16
	s_or_saveexec_b32 s17, s4
	s_xor_b32 s5, s28, -1
	s_xor_b32 exec_lo, exec_lo, s17
	s_cbranch_execnz .LBB716_151
.LBB716_112:
	s_or_b32 exec_lo, exec_lo, s17
                                        ; implicit-def: $vgpr1_vgpr2_vgpr3_vgpr4_vgpr5_vgpr6_vgpr7_vgpr8_vgpr9_vgpr10_vgpr11_vgpr12_vgpr13_vgpr14_vgpr15_vgpr16
	s_and_saveexec_b32 s4, s5
	s_xor_b32 s4, exec_lo, s4
	s_cbranch_execz .LBB716_154
.LBB716_113:
	s_mov_b32 s5, 0
	v_mov_b32_e32 v24, s5
	v_mov_b32_e32 v1, v17
	v_mov_b32_e32 v2, v18
	v_mov_b32_e32 v3, v19
	v_mov_b32_e32 v4, v20
	v_mov_b32_e32 v5, v21
	v_mov_b32_e32 v6, v22
	v_mov_b32_e32 v7, v23
	v_mov_b32_e32 v8, v24
	v_mov_b32_e32 v9, v25
	v_mov_b32_e32 v10, v26
	v_mov_b32_e32 v11, v27
	v_mov_b32_e32 v12, v28
	v_mov_b32_e32 v13, v29
	v_mov_b32_e32 v14, v30
	v_mov_b32_e32 v15, v31
	v_mov_b32_e32 v16, v32
                                        ; implicit-def: $vgpr17_vgpr18_vgpr19_vgpr20_vgpr21_vgpr22_vgpr23_vgpr24_vgpr25_vgpr26_vgpr27_vgpr28_vgpr29_vgpr30_vgpr31_vgpr32
	s_or_saveexec_b32 s17, s4
	s_xor_b32 s5, s27, -1
	s_xor_b32 exec_lo, exec_lo, s17
	s_cbranch_execnz .LBB716_155
.LBB716_114:
	s_or_b32 exec_lo, exec_lo, s17
                                        ; implicit-def: $vgpr17_vgpr18_vgpr19_vgpr20_vgpr21_vgpr22_vgpr23_vgpr24_vgpr25_vgpr26_vgpr27_vgpr28_vgpr29_vgpr30_vgpr31_vgpr32
	s_and_saveexec_b32 s4, s5
	s_xor_b32 s4, exec_lo, s4
	s_cbranch_execz .LBB716_158
.LBB716_115:
	s_mov_b32 s5, 0
	v_mov_b32_e32 v9, s5
	v_mov_b32_e32 v32, v16
	;; [unrolled: 1-line block ×17, first 2 shown]
                                        ; implicit-def: $vgpr1_vgpr2_vgpr3_vgpr4_vgpr5_vgpr6_vgpr7_vgpr8_vgpr9_vgpr10_vgpr11_vgpr12_vgpr13_vgpr14_vgpr15_vgpr16
	s_or_saveexec_b32 s17, s4
	s_xor_b32 s5, s26, -1
	s_xor_b32 exec_lo, exec_lo, s17
	s_cbranch_execnz .LBB716_159
.LBB716_116:
	s_or_b32 exec_lo, exec_lo, s17
                                        ; implicit-def: $vgpr1_vgpr2_vgpr3_vgpr4_vgpr5_vgpr6_vgpr7_vgpr8_vgpr9_vgpr10_vgpr11_vgpr12_vgpr13_vgpr14_vgpr15_vgpr16
	s_and_saveexec_b32 s4, s5
	s_xor_b32 s4, exec_lo, s4
	s_cbranch_execz .LBB716_162
.LBB716_117:
	s_mov_b32 s5, 0
	v_mov_b32_e32 v26, s5
	v_mov_b32_e32 v1, v17
	;; [unrolled: 1-line block ×17, first 2 shown]
                                        ; implicit-def: $vgpr17_vgpr18_vgpr19_vgpr20_vgpr21_vgpr22_vgpr23_vgpr24_vgpr25_vgpr26_vgpr27_vgpr28_vgpr29_vgpr30_vgpr31_vgpr32
	s_or_saveexec_b32 s17, s4
	s_xor_b32 s5, s25, -1
	s_xor_b32 exec_lo, exec_lo, s17
	s_cbranch_execnz .LBB716_163
.LBB716_118:
	s_or_b32 exec_lo, exec_lo, s17
                                        ; implicit-def: $vgpr17_vgpr18_vgpr19_vgpr20_vgpr21_vgpr22_vgpr23_vgpr24_vgpr25_vgpr26_vgpr27_vgpr28_vgpr29_vgpr30_vgpr31_vgpr32
	s_and_saveexec_b32 s4, s5
	s_xor_b32 s4, exec_lo, s4
	s_cbranch_execz .LBB716_166
.LBB716_119:
	s_mov_b32 s5, 0
	v_mov_b32_e32 v11, s5
	v_mov_b32_e32 v32, v16
	;; [unrolled: 1-line block ×17, first 2 shown]
                                        ; implicit-def: $vgpr1_vgpr2_vgpr3_vgpr4_vgpr5_vgpr6_vgpr7_vgpr8_vgpr9_vgpr10_vgpr11_vgpr12_vgpr13_vgpr14_vgpr15_vgpr16
	s_or_saveexec_b32 s17, s4
	s_xor_b32 s5, s24, -1
	s_xor_b32 exec_lo, exec_lo, s17
	s_cbranch_execnz .LBB716_167
.LBB716_120:
	s_or_b32 exec_lo, exec_lo, s17
                                        ; implicit-def: $vgpr1_vgpr2_vgpr3_vgpr4_vgpr5_vgpr6_vgpr7_vgpr8_vgpr9_vgpr10_vgpr11_vgpr12_vgpr13_vgpr14_vgpr15_vgpr16
	s_and_saveexec_b32 s4, s5
	s_xor_b32 s4, exec_lo, s4
	s_cbranch_execz .LBB716_170
.LBB716_121:
	s_mov_b32 s5, 0
	v_mov_b32_e32 v28, s5
	v_mov_b32_e32 v1, v17
	;; [unrolled: 1-line block ×17, first 2 shown]
                                        ; implicit-def: $vgpr17_vgpr18_vgpr19_vgpr20_vgpr21_vgpr22_vgpr23_vgpr24_vgpr25_vgpr26_vgpr27_vgpr28_vgpr29_vgpr30_vgpr31_vgpr32
	s_or_saveexec_b32 s17, s4
	s_xor_b32 s5, s23, -1
	s_xor_b32 exec_lo, exec_lo, s17
	s_cbranch_execnz .LBB716_171
.LBB716_122:
	s_or_b32 exec_lo, exec_lo, s17
                                        ; implicit-def: $vgpr17_vgpr18_vgpr19_vgpr20_vgpr21_vgpr22_vgpr23_vgpr24_vgpr25_vgpr26_vgpr27_vgpr28_vgpr29_vgpr30_vgpr31_vgpr32
	s_and_saveexec_b32 s4, s5
	s_xor_b32 s4, exec_lo, s4
	s_cbranch_execz .LBB716_174
.LBB716_123:
	s_mov_b32 s5, 0
	v_mov_b32_e32 v13, s5
	v_mov_b32_e32 v32, v16
	;; [unrolled: 1-line block ×17, first 2 shown]
                                        ; implicit-def: $vgpr1_vgpr2_vgpr3_vgpr4_vgpr5_vgpr6_vgpr7_vgpr8_vgpr9_vgpr10_vgpr11_vgpr12_vgpr13_vgpr14_vgpr15_vgpr16
	s_or_saveexec_b32 s17, s4
	s_xor_b32 s5, s22, -1
	s_xor_b32 exec_lo, exec_lo, s17
	s_cbranch_execnz .LBB716_175
.LBB716_124:
	s_or_b32 exec_lo, exec_lo, s17
                                        ; implicit-def: $vgpr1_vgpr2_vgpr3_vgpr4_vgpr5_vgpr6_vgpr7_vgpr8_vgpr9_vgpr10_vgpr11_vgpr12_vgpr13_vgpr14_vgpr15_vgpr16
	s_and_saveexec_b32 s4, s5
	s_xor_b32 s4, exec_lo, s4
	s_cbranch_execz .LBB716_178
.LBB716_125:
	s_mov_b32 s5, 0
	v_mov_b32_e32 v30, s5
	v_mov_b32_e32 v1, v17
	v_mov_b32_e32 v2, v18
	v_mov_b32_e32 v3, v19
	v_mov_b32_e32 v4, v20
	v_mov_b32_e32 v5, v21
	v_mov_b32_e32 v6, v22
	v_mov_b32_e32 v7, v23
	v_mov_b32_e32 v8, v24
	v_mov_b32_e32 v9, v25
	v_mov_b32_e32 v10, v26
	v_mov_b32_e32 v11, v27
	v_mov_b32_e32 v12, v28
	v_mov_b32_e32 v13, v29
	v_mov_b32_e32 v14, v30
	v_mov_b32_e32 v15, v31
	v_mov_b32_e32 v16, v32
                                        ; implicit-def: $vgpr17_vgpr18_vgpr19_vgpr20_vgpr21_vgpr22_vgpr23_vgpr24_vgpr25_vgpr26_vgpr27_vgpr28_vgpr29_vgpr30_vgpr31_vgpr32
	s_or_saveexec_b32 s17, s4
	s_xor_b32 s5, s19, -1
	s_xor_b32 exec_lo, exec_lo, s17
	s_cbranch_execnz .LBB716_179
.LBB716_126:
	s_or_b32 exec_lo, exec_lo, s17
                                        ; implicit-def: $vgpr17_vgpr18_vgpr19_vgpr20_vgpr21_vgpr22_vgpr23_vgpr24_vgpr25_vgpr26_vgpr27_vgpr28_vgpr29_vgpr30_vgpr31_vgpr32
	s_and_saveexec_b32 s4, s5
	s_xor_b32 s4, exec_lo, s4
	s_cbranch_execz .LBB716_182
.LBB716_127:
	s_mov_b32 s5, 0
	v_mov_b32_e32 v15, s5
	v_mov_b32_e32 v32, v16
	;; [unrolled: 1-line block ×17, first 2 shown]
                                        ; implicit-def: $vgpr1_vgpr2_vgpr3_vgpr4_vgpr5_vgpr6_vgpr7_vgpr8_vgpr9_vgpr10_vgpr11_vgpr12_vgpr13_vgpr14_vgpr15_vgpr16
	s_or_saveexec_b32 s17, s4
	s_xor_b32 s5, s18, -1
	s_xor_b32 exec_lo, exec_lo, s17
	s_cbranch_execnz .LBB716_183
.LBB716_128:
	s_or_b32 exec_lo, exec_lo, s17
                                        ; implicit-def: $vgpr1_vgpr2_vgpr3_vgpr4_vgpr5_vgpr6_vgpr7_vgpr8_vgpr9_vgpr10_vgpr11_vgpr12_vgpr13_vgpr14_vgpr15_vgpr16
	s_and_saveexec_b32 s4, s5
	s_xor_b32 s4, exec_lo, s4
	s_cbranch_execz .LBB716_186
.LBB716_129:
	s_mov_b32 s5, 0
                                        ; implicit-def: $vgpr50_vgpr51
                                        ; implicit-def: $vgpr59
	v_mov_b32_e32 v32, s5
	v_mov_b32_e32 v1, v17
	v_mov_b32_e32 v2, v18
	v_mov_b32_e32 v3, v19
	v_mov_b32_e32 v4, v20
	v_mov_b32_e32 v5, v21
	v_mov_b32_e32 v6, v22
	v_mov_b32_e32 v7, v23
	v_mov_b32_e32 v8, v24
	v_mov_b32_e32 v9, v25
	v_mov_b32_e32 v10, v26
	v_mov_b32_e32 v11, v27
	v_mov_b32_e32 v12, v28
	v_mov_b32_e32 v13, v29
	v_mov_b32_e32 v14, v30
	v_mov_b32_e32 v15, v31
	v_mov_b32_e32 v16, v32
                                        ; implicit-def: $vgpr17_vgpr18_vgpr19_vgpr20_vgpr21_vgpr22_vgpr23_vgpr24_vgpr25_vgpr26_vgpr27_vgpr28_vgpr29_vgpr30_vgpr31_vgpr32
	s_andn2_saveexec_b32 s5, s4
	s_cbranch_execz .LBB716_190
	s_branch .LBB716_187
.LBB716_130:
	s_or_saveexec_b32 s17, s4
	s_xor_b32 s5, s34, -1
	s_xor_b32 exec_lo, exec_lo, s17
	s_cbranch_execz .LBB716_102
.LBB716_131:
	global_load_ubyte v16, v[50:51], off offset:64
	s_mov_b32 s34, 0
	s_waitcnt vmcnt(0)
	v_and_b32_e32 v16, 1, v16
	v_cmp_eq_u32_e64 s4, 1, v16
	v_mov_b32_e32 v31, v15
	v_mov_b32_e32 v17, v1
	v_mov_b32_e32 v30, v14
	v_mov_b32_e32 v29, v13
	v_mov_b32_e32 v28, v12
	v_mov_b32_e32 v27, v11
	v_mov_b32_e32 v26, v10
	v_mov_b32_e32 v25, v9
	v_mov_b32_e32 v24, v8
	v_mov_b32_e32 v23, v7
	v_mov_b32_e32 v22, v6
	v_mov_b32_e32 v21, v5
	v_mov_b32_e32 v20, v4
	v_mov_b32_e32 v19, v3
	v_mov_b32_e32 v18, v2
	v_mov_b32_e32 v16, v0
	v_mov_b32_e32 v17, s34
	s_xor_b32 s4, s4, -1
	s_and_saveexec_b32 s34, s4
	s_xor_b32 s34, exec_lo, s34
	s_cbranch_execz .LBB716_133
; %bb.132:
	v_sub_f32_e32 v1, v32, v59
	v_mul_f32_e32 v16, 0x3fb8aa3b, v1
	v_cmp_ngt_f32_e64 s4, 0xc2ce8ed0, v1
	v_fma_f32 v17, 0x3fb8aa3b, v1, -v16
	v_rndne_f32_e32 v18, v16
	v_fmamk_f32 v17, v1, 0x32a5705f, v17
	v_sub_f32_e32 v16, v16, v18
	v_add_f32_e32 v16, v16, v17
	v_cvt_i32_f32_e32 v17, v18
	v_exp_f32_e32 v16, v16
	v_ldexp_f32 v16, v16, v17
	v_cndmask_b32_e64 v16, 0, v16, s4
	v_cmp_nlt_f32_e64 s4, 0x42b17218, v1
	v_cndmask_b32_e64 v1, 0x7f800000, v16, s4
	v_mov_b32_e32 v31, v15
	v_mov_b32_e32 v30, v14
	v_mov_b32_e32 v29, v13
	v_mov_b32_e32 v28, v12
	v_add_f32_e32 v32, v0, v1
	v_mov_b32_e32 v27, v11
	v_mov_b32_e32 v26, v10
	;; [unrolled: 1-line block ×13, first 2 shown]
.LBB716_133:
	s_andn2_saveexec_b32 s4, s34
	s_or_b32 exec_lo, exec_lo, s4
	s_or_b32 exec_lo, exec_lo, s17
                                        ; implicit-def: $vgpr32_vgpr33_vgpr34_vgpr35_vgpr36_vgpr37_vgpr38_vgpr39_vgpr40_vgpr41_vgpr42_vgpr43_vgpr44_vgpr45_vgpr46_vgpr47
	s_and_saveexec_b32 s4, s5
	s_xor_b32 s4, exec_lo, s4
	s_cbranch_execnz .LBB716_103
.LBB716_134:
	s_or_saveexec_b32 s17, s4
	s_xor_b32 s5, s33, -1
	s_xor_b32 exec_lo, exec_lo, s17
	s_cbranch_execz .LBB716_104
.LBB716_135:
	global_load_ubyte v1, v[50:51], off offset:128
	s_mov_b32 s33, 0
	v_mov_b32_e32 v47, v31
	v_mov_b32_e32 v34, v18
	;; [unrolled: 1-line block ×17, first 2 shown]
	s_waitcnt vmcnt(0)
	v_and_b32_e32 v1, 1, v1
	v_cmp_eq_u32_e64 s4, 1, v1
	s_xor_b32 s4, s4, -1
	s_and_saveexec_b32 s33, s4
	s_xor_b32 s33, exec_lo, s33
	s_cbranch_execz .LBB716_137
; %bb.136:
	v_sub_f32_e32 v1, v18, v59
	v_mul_f32_e32 v2, 0x3fb8aa3b, v1
	v_cmp_ngt_f32_e64 s4, 0xc2ce8ed0, v1
	v_fma_f32 v3, 0x3fb8aa3b, v1, -v2
	v_rndne_f32_e32 v4, v2
	v_fmamk_f32 v3, v1, 0x32a5705f, v3
	v_sub_f32_e32 v2, v2, v4
	v_add_f32_e32 v2, v2, v3
	v_cvt_i32_f32_e32 v3, v4
	v_exp_f32_e32 v2, v2
	v_ldexp_f32 v2, v2, v3
	v_cndmask_b32_e64 v2, 0, v2, s4
	v_cmp_nlt_f32_e64 s4, 0x42b17218, v1
	v_cndmask_b32_e64 v18, 0x7f800000, v2, s4
	v_mov_b32_e32 v47, v31
	v_mov_b32_e32 v46, v30
	;; [unrolled: 1-line block ×16, first 2 shown]
	v_add_f32_e32 v0, v0, v18
.LBB716_137:
	s_andn2_saveexec_b32 s4, s33
	s_or_b32 exec_lo, exec_lo, s4
	s_or_b32 exec_lo, exec_lo, s17
                                        ; implicit-def: $vgpr1_vgpr2_vgpr3_vgpr4_vgpr5_vgpr6_vgpr7_vgpr8_vgpr9_vgpr10_vgpr11_vgpr12_vgpr13_vgpr14_vgpr15_vgpr16
	s_and_saveexec_b32 s4, s5
	s_xor_b32 s4, exec_lo, s4
	s_cbranch_execnz .LBB716_105
.LBB716_138:
	s_or_saveexec_b32 s17, s4
	s_xor_b32 s5, s31, -1
	s_xor_b32 exec_lo, exec_lo, s17
	s_cbranch_execz .LBB716_106
.LBB716_139:
	global_load_ubyte v1, v[50:51], off offset:192
	s_mov_b32 s31, 0
	s_waitcnt vmcnt(0)
	v_and_b32_e32 v1, 1, v1
	v_cmp_eq_u32_e64 s4, 1, v1
	v_mov_b32_e32 v1, v32
	v_mov_b32_e32 v4, v35
	;; [unrolled: 1-line block ×17, first 2 shown]
	s_xor_b32 s4, s4, -1
	s_and_saveexec_b32 s31, s4
	s_xor_b32 s31, exec_lo, s31
	s_cbranch_execz .LBB716_141
; %bb.140:
	v_sub_f32_e32 v1, v35, v59
	v_mul_f32_e32 v2, 0x3fb8aa3b, v1
	v_cmp_ngt_f32_e64 s4, 0xc2ce8ed0, v1
	v_fma_f32 v3, 0x3fb8aa3b, v1, -v2
	v_rndne_f32_e32 v4, v2
	v_fmamk_f32 v3, v1, 0x32a5705f, v3
	v_sub_f32_e32 v2, v2, v4
	v_add_f32_e32 v2, v2, v3
	v_cvt_i32_f32_e32 v3, v4
	v_exp_f32_e32 v2, v2
	v_ldexp_f32 v2, v2, v3
	v_cndmask_b32_e64 v2, 0, v2, s4
	v_cmp_nlt_f32_e64 s4, 0x42b17218, v1
	v_cndmask_b32_e64 v35, 0x7f800000, v2, s4
	v_mov_b32_e32 v1, v32
	v_mov_b32_e32 v2, v33
	;; [unrolled: 1-line block ×16, first 2 shown]
	v_add_f32_e32 v0, v0, v35
.LBB716_141:
	s_andn2_saveexec_b32 s4, s31
	s_or_b32 exec_lo, exec_lo, s4
	s_or_b32 exec_lo, exec_lo, s17
                                        ; implicit-def: $vgpr17_vgpr18_vgpr19_vgpr20_vgpr21_vgpr22_vgpr23_vgpr24_vgpr25_vgpr26_vgpr27_vgpr28_vgpr29_vgpr30_vgpr31_vgpr32
	s_and_saveexec_b32 s4, s5
	s_xor_b32 s4, exec_lo, s4
	s_cbranch_execnz .LBB716_107
.LBB716_142:
	s_or_saveexec_b32 s17, s4
	s_xor_b32 s5, s30, -1
	s_xor_b32 exec_lo, exec_lo, s17
	s_cbranch_execz .LBB716_108
.LBB716_143:
	global_load_ubyte v17, v[50:51], off offset:256
	s_mov_b32 s30, 0
	s_waitcnt vmcnt(0)
	v_and_b32_e32 v17, 1, v17
	v_cmp_eq_u32_e64 s4, 1, v17
	v_mov_b32_e32 v32, v16
	v_mov_b32_e32 v21, v5
	v_mov_b32_e32 v31, v15
	v_mov_b32_e32 v30, v14
	v_mov_b32_e32 v29, v13
	v_mov_b32_e32 v28, v12
	v_mov_b32_e32 v27, v11
	v_mov_b32_e32 v26, v10
	v_mov_b32_e32 v25, v9
	v_mov_b32_e32 v24, v8
	v_mov_b32_e32 v23, v7
	v_mov_b32_e32 v22, v6
	v_mov_b32_e32 v20, v4
	v_mov_b32_e32 v19, v3
	v_mov_b32_e32 v18, v2
	v_mov_b32_e32 v17, v1
	v_mov_b32_e32 v21, s30
	s_xor_b32 s4, s4, -1
	s_and_saveexec_b32 s30, s4
	s_xor_b32 s30, exec_lo, s30
	s_cbranch_execz .LBB716_145
; %bb.144:
	v_sub_f32_e32 v5, v5, v59
	v_mul_f32_e32 v17, 0x3fb8aa3b, v5
	v_cmp_ngt_f32_e64 s4, 0xc2ce8ed0, v5
	v_fma_f32 v18, 0x3fb8aa3b, v5, -v17
	v_rndne_f32_e32 v19, v17
	v_fmamk_f32 v18, v5, 0x32a5705f, v18
	v_sub_f32_e32 v17, v17, v19
	v_add_f32_e32 v17, v17, v18
	v_cvt_i32_f32_e32 v18, v19
	v_exp_f32_e32 v17, v17
	v_ldexp_f32 v17, v17, v18
	v_cndmask_b32_e64 v17, 0, v17, s4
	v_cmp_nlt_f32_e64 s4, 0x42b17218, v5
	v_cndmask_b32_e64 v5, 0x7f800000, v17, s4
	v_mov_b32_e32 v32, v16
	v_mov_b32_e32 v31, v15
	;; [unrolled: 1-line block ×16, first 2 shown]
	v_add_f32_e32 v0, v0, v5
.LBB716_145:
	s_andn2_saveexec_b32 s4, s30
	s_or_b32 exec_lo, exec_lo, s4
	s_or_b32 exec_lo, exec_lo, s17
                                        ; implicit-def: $vgpr1_vgpr2_vgpr3_vgpr4_vgpr5_vgpr6_vgpr7_vgpr8_vgpr9_vgpr10_vgpr11_vgpr12_vgpr13_vgpr14_vgpr15_vgpr16
	s_and_saveexec_b32 s4, s5
	s_xor_b32 s4, exec_lo, s4
	s_cbranch_execnz .LBB716_109
.LBB716_146:
	s_or_saveexec_b32 s17, s4
	s_xor_b32 s5, s29, -1
	s_xor_b32 exec_lo, exec_lo, s17
	s_cbranch_execz .LBB716_110
.LBB716_147:
	global_load_ubyte v1, v[50:51], off offset:320
	s_mov_b32 s29, 0
	s_waitcnt vmcnt(0)
	v_and_b32_e32 v1, 1, v1
	v_cmp_eq_u32_e64 s4, 1, v1
	v_mov_b32_e32 v1, v17
	v_mov_b32_e32 v6, v22
	;; [unrolled: 1-line block ×17, first 2 shown]
	s_xor_b32 s4, s4, -1
	s_and_saveexec_b32 s29, s4
	s_xor_b32 s29, exec_lo, s29
	s_cbranch_execz .LBB716_149
; %bb.148:
	v_sub_f32_e32 v1, v22, v59
	v_mul_f32_e32 v2, 0x3fb8aa3b, v1
	v_cmp_ngt_f32_e64 s4, 0xc2ce8ed0, v1
	v_fma_f32 v3, 0x3fb8aa3b, v1, -v2
	v_rndne_f32_e32 v4, v2
	v_fmamk_f32 v3, v1, 0x32a5705f, v3
	v_sub_f32_e32 v2, v2, v4
	v_add_f32_e32 v2, v2, v3
	v_cvt_i32_f32_e32 v3, v4
	v_exp_f32_e32 v2, v2
	v_ldexp_f32 v2, v2, v3
	v_cndmask_b32_e64 v2, 0, v2, s4
	v_cmp_nlt_f32_e64 s4, 0x42b17218, v1
	v_cndmask_b32_e64 v22, 0x7f800000, v2, s4
	v_mov_b32_e32 v1, v17
	v_mov_b32_e32 v2, v18
	;; [unrolled: 1-line block ×16, first 2 shown]
	v_add_f32_e32 v0, v0, v22
.LBB716_149:
	s_andn2_saveexec_b32 s4, s29
	s_or_b32 exec_lo, exec_lo, s4
	s_or_b32 exec_lo, exec_lo, s17
                                        ; implicit-def: $vgpr17_vgpr18_vgpr19_vgpr20_vgpr21_vgpr22_vgpr23_vgpr24_vgpr25_vgpr26_vgpr27_vgpr28_vgpr29_vgpr30_vgpr31_vgpr32
	s_and_saveexec_b32 s4, s5
	s_xor_b32 s4, exec_lo, s4
	s_cbranch_execnz .LBB716_111
.LBB716_150:
	s_or_saveexec_b32 s17, s4
	s_xor_b32 s5, s28, -1
	s_xor_b32 exec_lo, exec_lo, s17
	s_cbranch_execz .LBB716_112
.LBB716_151:
	global_load_ubyte v17, v[50:51], off offset:384
	s_mov_b32 s28, 0
	s_waitcnt vmcnt(0)
	v_and_b32_e32 v17, 1, v17
	v_cmp_eq_u32_e64 s4, 1, v17
	v_mov_b32_e32 v32, v16
	v_mov_b32_e32 v23, v7
	;; [unrolled: 1-line block ×17, first 2 shown]
	s_xor_b32 s4, s4, -1
	s_and_saveexec_b32 s28, s4
	s_xor_b32 s28, exec_lo, s28
	s_cbranch_execz .LBB716_153
; %bb.152:
	v_sub_f32_e32 v7, v7, v59
	v_mul_f32_e32 v17, 0x3fb8aa3b, v7
	v_cmp_ngt_f32_e64 s4, 0xc2ce8ed0, v7
	v_fma_f32 v18, 0x3fb8aa3b, v7, -v17
	v_rndne_f32_e32 v19, v17
	v_fmamk_f32 v18, v7, 0x32a5705f, v18
	v_sub_f32_e32 v17, v17, v19
	v_add_f32_e32 v17, v17, v18
	v_cvt_i32_f32_e32 v18, v19
	v_exp_f32_e32 v17, v17
	v_ldexp_f32 v17, v17, v18
	v_cndmask_b32_e64 v17, 0, v17, s4
	v_cmp_nlt_f32_e64 s4, 0x42b17218, v7
	v_cndmask_b32_e64 v7, 0x7f800000, v17, s4
	v_mov_b32_e32 v32, v16
	v_mov_b32_e32 v31, v15
	;; [unrolled: 1-line block ×16, first 2 shown]
	v_add_f32_e32 v0, v0, v7
.LBB716_153:
	s_andn2_saveexec_b32 s4, s28
	s_or_b32 exec_lo, exec_lo, s4
	s_or_b32 exec_lo, exec_lo, s17
                                        ; implicit-def: $vgpr1_vgpr2_vgpr3_vgpr4_vgpr5_vgpr6_vgpr7_vgpr8_vgpr9_vgpr10_vgpr11_vgpr12_vgpr13_vgpr14_vgpr15_vgpr16
	s_and_saveexec_b32 s4, s5
	s_xor_b32 s4, exec_lo, s4
	s_cbranch_execnz .LBB716_113
.LBB716_154:
	s_or_saveexec_b32 s17, s4
	s_xor_b32 s5, s27, -1
	s_xor_b32 exec_lo, exec_lo, s17
	s_cbranch_execz .LBB716_114
.LBB716_155:
	global_load_ubyte v1, v[50:51], off offset:448
	s_mov_b32 s27, 0
	s_waitcnt vmcnt(0)
	v_and_b32_e32 v1, 1, v1
	v_cmp_eq_u32_e64 s4, 1, v1
	v_mov_b32_e32 v1, v17
	v_mov_b32_e32 v8, v24
	;; [unrolled: 1-line block ×17, first 2 shown]
	s_xor_b32 s4, s4, -1
	s_and_saveexec_b32 s27, s4
	s_xor_b32 s27, exec_lo, s27
	s_cbranch_execz .LBB716_157
; %bb.156:
	v_sub_f32_e32 v1, v24, v59
	v_mul_f32_e32 v2, 0x3fb8aa3b, v1
	v_cmp_ngt_f32_e64 s4, 0xc2ce8ed0, v1
	v_fma_f32 v3, 0x3fb8aa3b, v1, -v2
	v_rndne_f32_e32 v4, v2
	v_fmamk_f32 v3, v1, 0x32a5705f, v3
	v_sub_f32_e32 v2, v2, v4
	v_add_f32_e32 v2, v2, v3
	v_cvt_i32_f32_e32 v3, v4
	v_exp_f32_e32 v2, v2
	v_ldexp_f32 v2, v2, v3
	v_cndmask_b32_e64 v2, 0, v2, s4
	v_cmp_nlt_f32_e64 s4, 0x42b17218, v1
	v_cndmask_b32_e64 v24, 0x7f800000, v2, s4
	v_mov_b32_e32 v1, v17
	v_mov_b32_e32 v2, v18
	;; [unrolled: 1-line block ×16, first 2 shown]
	v_add_f32_e32 v0, v0, v24
.LBB716_157:
	s_andn2_saveexec_b32 s4, s27
	s_or_b32 exec_lo, exec_lo, s4
	s_or_b32 exec_lo, exec_lo, s17
                                        ; implicit-def: $vgpr17_vgpr18_vgpr19_vgpr20_vgpr21_vgpr22_vgpr23_vgpr24_vgpr25_vgpr26_vgpr27_vgpr28_vgpr29_vgpr30_vgpr31_vgpr32
	s_and_saveexec_b32 s4, s5
	s_xor_b32 s4, exec_lo, s4
	s_cbranch_execnz .LBB716_115
.LBB716_158:
	s_or_saveexec_b32 s17, s4
	s_xor_b32 s5, s26, -1
	s_xor_b32 exec_lo, exec_lo, s17
	s_cbranch_execz .LBB716_116
.LBB716_159:
	global_load_ubyte v17, v[50:51], off offset:512
	s_mov_b32 s26, 0
	s_waitcnt vmcnt(0)
	v_and_b32_e32 v17, 1, v17
	v_cmp_eq_u32_e64 s4, 1, v17
	v_mov_b32_e32 v32, v16
	v_mov_b32_e32 v25, v9
	;; [unrolled: 1-line block ×17, first 2 shown]
	s_xor_b32 s4, s4, -1
	s_and_saveexec_b32 s26, s4
	s_xor_b32 s26, exec_lo, s26
	s_cbranch_execz .LBB716_161
; %bb.160:
	v_sub_f32_e32 v9, v9, v59
	v_mul_f32_e32 v17, 0x3fb8aa3b, v9
	v_cmp_ngt_f32_e64 s4, 0xc2ce8ed0, v9
	v_fma_f32 v18, 0x3fb8aa3b, v9, -v17
	v_rndne_f32_e32 v19, v17
	v_fmamk_f32 v18, v9, 0x32a5705f, v18
	v_sub_f32_e32 v17, v17, v19
	v_add_f32_e32 v17, v17, v18
	v_cvt_i32_f32_e32 v18, v19
	v_exp_f32_e32 v17, v17
	v_ldexp_f32 v17, v17, v18
	v_cndmask_b32_e64 v17, 0, v17, s4
	v_cmp_nlt_f32_e64 s4, 0x42b17218, v9
	v_cndmask_b32_e64 v9, 0x7f800000, v17, s4
	v_mov_b32_e32 v32, v16
	v_mov_b32_e32 v31, v15
	;; [unrolled: 1-line block ×16, first 2 shown]
	v_add_f32_e32 v0, v0, v9
.LBB716_161:
	s_andn2_saveexec_b32 s4, s26
	s_or_b32 exec_lo, exec_lo, s4
	s_or_b32 exec_lo, exec_lo, s17
                                        ; implicit-def: $vgpr1_vgpr2_vgpr3_vgpr4_vgpr5_vgpr6_vgpr7_vgpr8_vgpr9_vgpr10_vgpr11_vgpr12_vgpr13_vgpr14_vgpr15_vgpr16
	s_and_saveexec_b32 s4, s5
	s_xor_b32 s4, exec_lo, s4
	s_cbranch_execnz .LBB716_117
.LBB716_162:
	s_or_saveexec_b32 s17, s4
	s_xor_b32 s5, s25, -1
	s_xor_b32 exec_lo, exec_lo, s17
	s_cbranch_execz .LBB716_118
.LBB716_163:
	global_load_ubyte v1, v[50:51], off offset:576
	s_mov_b32 s25, 0
	s_waitcnt vmcnt(0)
	v_and_b32_e32 v1, 1, v1
	v_cmp_eq_u32_e64 s4, 1, v1
	v_mov_b32_e32 v1, v17
	v_mov_b32_e32 v10, v26
	;; [unrolled: 1-line block ×17, first 2 shown]
	s_xor_b32 s4, s4, -1
	s_and_saveexec_b32 s25, s4
	s_xor_b32 s25, exec_lo, s25
	s_cbranch_execz .LBB716_165
; %bb.164:
	v_sub_f32_e32 v1, v26, v59
	v_mul_f32_e32 v2, 0x3fb8aa3b, v1
	v_cmp_ngt_f32_e64 s4, 0xc2ce8ed0, v1
	v_fma_f32 v3, 0x3fb8aa3b, v1, -v2
	v_rndne_f32_e32 v4, v2
	v_fmamk_f32 v3, v1, 0x32a5705f, v3
	v_sub_f32_e32 v2, v2, v4
	v_add_f32_e32 v2, v2, v3
	v_cvt_i32_f32_e32 v3, v4
	v_exp_f32_e32 v2, v2
	v_ldexp_f32 v2, v2, v3
	v_cndmask_b32_e64 v2, 0, v2, s4
	v_cmp_nlt_f32_e64 s4, 0x42b17218, v1
	v_cndmask_b32_e64 v26, 0x7f800000, v2, s4
	v_mov_b32_e32 v1, v17
	v_mov_b32_e32 v2, v18
	;; [unrolled: 1-line block ×16, first 2 shown]
	v_add_f32_e32 v0, v0, v26
.LBB716_165:
	s_andn2_saveexec_b32 s4, s25
	s_or_b32 exec_lo, exec_lo, s4
	s_or_b32 exec_lo, exec_lo, s17
                                        ; implicit-def: $vgpr17_vgpr18_vgpr19_vgpr20_vgpr21_vgpr22_vgpr23_vgpr24_vgpr25_vgpr26_vgpr27_vgpr28_vgpr29_vgpr30_vgpr31_vgpr32
	s_and_saveexec_b32 s4, s5
	s_xor_b32 s4, exec_lo, s4
	s_cbranch_execnz .LBB716_119
.LBB716_166:
	s_or_saveexec_b32 s17, s4
	s_xor_b32 s5, s24, -1
	s_xor_b32 exec_lo, exec_lo, s17
	s_cbranch_execz .LBB716_120
.LBB716_167:
	global_load_ubyte v17, v[50:51], off offset:640
	s_mov_b32 s24, 0
	s_waitcnt vmcnt(0)
	v_and_b32_e32 v17, 1, v17
	v_cmp_eq_u32_e64 s4, 1, v17
	v_mov_b32_e32 v32, v16
	v_mov_b32_e32 v27, v11
	v_mov_b32_e32 v31, v15
	v_mov_b32_e32 v30, v14
	v_mov_b32_e32 v29, v13
	v_mov_b32_e32 v28, v12
	v_mov_b32_e32 v26, v10
	v_mov_b32_e32 v25, v9
	v_mov_b32_e32 v24, v8
	v_mov_b32_e32 v23, v7
	v_mov_b32_e32 v22, v6
	v_mov_b32_e32 v21, v5
	v_mov_b32_e32 v20, v4
	v_mov_b32_e32 v19, v3
	v_mov_b32_e32 v18, v2
	v_mov_b32_e32 v17, v1
	v_mov_b32_e32 v27, s24
	s_xor_b32 s4, s4, -1
	s_and_saveexec_b32 s24, s4
	s_xor_b32 s24, exec_lo, s24
	s_cbranch_execz .LBB716_169
; %bb.168:
	v_sub_f32_e32 v11, v11, v59
	v_mul_f32_e32 v17, 0x3fb8aa3b, v11
	v_cmp_ngt_f32_e64 s4, 0xc2ce8ed0, v11
	v_fma_f32 v18, 0x3fb8aa3b, v11, -v17
	v_rndne_f32_e32 v19, v17
	v_fmamk_f32 v18, v11, 0x32a5705f, v18
	v_sub_f32_e32 v17, v17, v19
	v_add_f32_e32 v17, v17, v18
	v_cvt_i32_f32_e32 v18, v19
	v_exp_f32_e32 v17, v17
	v_ldexp_f32 v17, v17, v18
	v_cndmask_b32_e64 v17, 0, v17, s4
	v_cmp_nlt_f32_e64 s4, 0x42b17218, v11
	v_cndmask_b32_e64 v11, 0x7f800000, v17, s4
	v_mov_b32_e32 v32, v16
	v_mov_b32_e32 v31, v15
	v_mov_b32_e32 v30, v14
	v_mov_b32_e32 v29, v13
	v_mov_b32_e32 v28, v12
	v_mov_b32_e32 v27, v11
	v_mov_b32_e32 v26, v10
	v_mov_b32_e32 v25, v9
	v_mov_b32_e32 v24, v8
	v_mov_b32_e32 v23, v7
	v_mov_b32_e32 v22, v6
	v_mov_b32_e32 v21, v5
	v_mov_b32_e32 v20, v4
	v_mov_b32_e32 v19, v3
	v_mov_b32_e32 v18, v2
	v_mov_b32_e32 v17, v1
	v_add_f32_e32 v0, v0, v11
.LBB716_169:
	s_andn2_saveexec_b32 s4, s24
	s_or_b32 exec_lo, exec_lo, s4
	s_or_b32 exec_lo, exec_lo, s17
                                        ; implicit-def: $vgpr1_vgpr2_vgpr3_vgpr4_vgpr5_vgpr6_vgpr7_vgpr8_vgpr9_vgpr10_vgpr11_vgpr12_vgpr13_vgpr14_vgpr15_vgpr16
	s_and_saveexec_b32 s4, s5
	s_xor_b32 s4, exec_lo, s4
	s_cbranch_execnz .LBB716_121
.LBB716_170:
	s_or_saveexec_b32 s17, s4
	s_xor_b32 s5, s23, -1
	s_xor_b32 exec_lo, exec_lo, s17
	s_cbranch_execz .LBB716_122
.LBB716_171:
	global_load_ubyte v1, v[50:51], off offset:704
	s_mov_b32 s23, 0
	s_waitcnt vmcnt(0)
	v_and_b32_e32 v1, 1, v1
	v_cmp_eq_u32_e64 s4, 1, v1
	v_mov_b32_e32 v1, v17
	v_mov_b32_e32 v12, v28
	;; [unrolled: 1-line block ×17, first 2 shown]
	s_xor_b32 s4, s4, -1
	s_and_saveexec_b32 s23, s4
	s_xor_b32 s23, exec_lo, s23
	s_cbranch_execz .LBB716_173
; %bb.172:
	v_sub_f32_e32 v1, v28, v59
	v_mul_f32_e32 v2, 0x3fb8aa3b, v1
	v_cmp_ngt_f32_e64 s4, 0xc2ce8ed0, v1
	v_fma_f32 v3, 0x3fb8aa3b, v1, -v2
	v_rndne_f32_e32 v4, v2
	v_fmamk_f32 v3, v1, 0x32a5705f, v3
	v_sub_f32_e32 v2, v2, v4
	v_add_f32_e32 v2, v2, v3
	v_cvt_i32_f32_e32 v3, v4
	v_exp_f32_e32 v2, v2
	v_ldexp_f32 v2, v2, v3
	v_cndmask_b32_e64 v2, 0, v2, s4
	v_cmp_nlt_f32_e64 s4, 0x42b17218, v1
	v_cndmask_b32_e64 v28, 0x7f800000, v2, s4
	v_mov_b32_e32 v1, v17
	v_mov_b32_e32 v2, v18
	;; [unrolled: 1-line block ×16, first 2 shown]
	v_add_f32_e32 v0, v0, v28
.LBB716_173:
	s_andn2_saveexec_b32 s4, s23
	s_or_b32 exec_lo, exec_lo, s4
	s_or_b32 exec_lo, exec_lo, s17
                                        ; implicit-def: $vgpr17_vgpr18_vgpr19_vgpr20_vgpr21_vgpr22_vgpr23_vgpr24_vgpr25_vgpr26_vgpr27_vgpr28_vgpr29_vgpr30_vgpr31_vgpr32
	s_and_saveexec_b32 s4, s5
	s_xor_b32 s4, exec_lo, s4
	s_cbranch_execnz .LBB716_123
.LBB716_174:
	s_or_saveexec_b32 s17, s4
	s_xor_b32 s5, s22, -1
	s_xor_b32 exec_lo, exec_lo, s17
	s_cbranch_execz .LBB716_124
.LBB716_175:
	global_load_ubyte v17, v[50:51], off offset:768
	s_mov_b32 s22, 0
	s_waitcnt vmcnt(0)
	v_and_b32_e32 v17, 1, v17
	v_cmp_eq_u32_e64 s4, 1, v17
	v_mov_b32_e32 v32, v16
	v_mov_b32_e32 v29, v13
	;; [unrolled: 1-line block ×17, first 2 shown]
	s_xor_b32 s4, s4, -1
	s_and_saveexec_b32 s22, s4
	s_xor_b32 s22, exec_lo, s22
	s_cbranch_execz .LBB716_177
; %bb.176:
	v_sub_f32_e32 v13, v13, v59
	v_mul_f32_e32 v17, 0x3fb8aa3b, v13
	v_cmp_ngt_f32_e64 s4, 0xc2ce8ed0, v13
	v_fma_f32 v18, 0x3fb8aa3b, v13, -v17
	v_rndne_f32_e32 v19, v17
	v_fmamk_f32 v18, v13, 0x32a5705f, v18
	v_sub_f32_e32 v17, v17, v19
	v_add_f32_e32 v17, v17, v18
	v_cvt_i32_f32_e32 v18, v19
	v_exp_f32_e32 v17, v17
	v_ldexp_f32 v17, v17, v18
	v_cndmask_b32_e64 v17, 0, v17, s4
	v_cmp_nlt_f32_e64 s4, 0x42b17218, v13
	v_cndmask_b32_e64 v13, 0x7f800000, v17, s4
	v_mov_b32_e32 v32, v16
	v_mov_b32_e32 v31, v15
	;; [unrolled: 1-line block ×16, first 2 shown]
	v_add_f32_e32 v0, v0, v13
.LBB716_177:
	s_andn2_saveexec_b32 s4, s22
	s_or_b32 exec_lo, exec_lo, s4
	s_or_b32 exec_lo, exec_lo, s17
                                        ; implicit-def: $vgpr1_vgpr2_vgpr3_vgpr4_vgpr5_vgpr6_vgpr7_vgpr8_vgpr9_vgpr10_vgpr11_vgpr12_vgpr13_vgpr14_vgpr15_vgpr16
	s_and_saveexec_b32 s4, s5
	s_xor_b32 s4, exec_lo, s4
	s_cbranch_execnz .LBB716_125
.LBB716_178:
	s_or_saveexec_b32 s17, s4
	s_xor_b32 s5, s19, -1
	s_xor_b32 exec_lo, exec_lo, s17
	s_cbranch_execz .LBB716_126
.LBB716_179:
	global_load_ubyte v1, v[50:51], off offset:832
	s_mov_b32 s19, 0
	s_waitcnt vmcnt(0)
	v_and_b32_e32 v1, 1, v1
	v_cmp_eq_u32_e64 s4, 1, v1
	v_mov_b32_e32 v1, v17
	v_mov_b32_e32 v14, v30
	;; [unrolled: 1-line block ×17, first 2 shown]
	s_xor_b32 s4, s4, -1
	s_and_saveexec_b32 s19, s4
	s_xor_b32 s19, exec_lo, s19
	s_cbranch_execz .LBB716_181
; %bb.180:
	v_sub_f32_e32 v1, v30, v59
	v_mul_f32_e32 v2, 0x3fb8aa3b, v1
	v_cmp_ngt_f32_e64 s4, 0xc2ce8ed0, v1
	v_fma_f32 v3, 0x3fb8aa3b, v1, -v2
	v_rndne_f32_e32 v4, v2
	v_fmamk_f32 v3, v1, 0x32a5705f, v3
	v_sub_f32_e32 v2, v2, v4
	v_add_f32_e32 v2, v2, v3
	v_cvt_i32_f32_e32 v3, v4
	v_exp_f32_e32 v2, v2
	v_ldexp_f32 v2, v2, v3
	v_cndmask_b32_e64 v2, 0, v2, s4
	v_cmp_nlt_f32_e64 s4, 0x42b17218, v1
	v_cndmask_b32_e64 v30, 0x7f800000, v2, s4
	v_mov_b32_e32 v1, v17
	v_mov_b32_e32 v2, v18
	;; [unrolled: 1-line block ×16, first 2 shown]
	v_add_f32_e32 v0, v0, v30
.LBB716_181:
	s_andn2_saveexec_b32 s4, s19
	s_or_b32 exec_lo, exec_lo, s4
	s_or_b32 exec_lo, exec_lo, s17
                                        ; implicit-def: $vgpr17_vgpr18_vgpr19_vgpr20_vgpr21_vgpr22_vgpr23_vgpr24_vgpr25_vgpr26_vgpr27_vgpr28_vgpr29_vgpr30_vgpr31_vgpr32
	s_and_saveexec_b32 s4, s5
	s_xor_b32 s4, exec_lo, s4
	s_cbranch_execnz .LBB716_127
.LBB716_182:
	s_or_saveexec_b32 s17, s4
	s_xor_b32 s5, s18, -1
	s_xor_b32 exec_lo, exec_lo, s17
	s_cbranch_execz .LBB716_128
.LBB716_183:
	global_load_ubyte v17, v[50:51], off offset:896
	s_mov_b32 s18, 0
	s_waitcnt vmcnt(0)
	v_and_b32_e32 v17, 1, v17
	v_cmp_eq_u32_e64 s4, 1, v17
	v_mov_b32_e32 v32, v16
	v_mov_b32_e32 v31, v15
	v_mov_b32_e32 v30, v14
	v_mov_b32_e32 v29, v13
	v_mov_b32_e32 v28, v12
	v_mov_b32_e32 v27, v11
	v_mov_b32_e32 v26, v10
	v_mov_b32_e32 v25, v9
	v_mov_b32_e32 v24, v8
	v_mov_b32_e32 v23, v7
	v_mov_b32_e32 v22, v6
	v_mov_b32_e32 v21, v5
	v_mov_b32_e32 v20, v4
	v_mov_b32_e32 v19, v3
	v_mov_b32_e32 v18, v2
	v_mov_b32_e32 v17, v1
	v_mov_b32_e32 v31, s18
	s_xor_b32 s4, s4, -1
	s_and_saveexec_b32 s18, s4
	s_xor_b32 s18, exec_lo, s18
	s_cbranch_execz .LBB716_185
; %bb.184:
	v_sub_f32_e32 v15, v15, v59
	v_mul_f32_e32 v17, 0x3fb8aa3b, v15
	v_cmp_ngt_f32_e64 s4, 0xc2ce8ed0, v15
	v_fma_f32 v18, 0x3fb8aa3b, v15, -v17
	v_rndne_f32_e32 v19, v17
	v_fmamk_f32 v18, v15, 0x32a5705f, v18
	v_sub_f32_e32 v17, v17, v19
	v_add_f32_e32 v17, v17, v18
	v_cvt_i32_f32_e32 v18, v19
	v_exp_f32_e32 v17, v17
	v_ldexp_f32 v17, v17, v18
	v_cndmask_b32_e64 v17, 0, v17, s4
	v_cmp_nlt_f32_e64 s4, 0x42b17218, v15
	v_cndmask_b32_e64 v15, 0x7f800000, v17, s4
	v_mov_b32_e32 v32, v16
	v_mov_b32_e32 v30, v14
	;; [unrolled: 1-line block ×16, first 2 shown]
	v_add_f32_e32 v0, v0, v15
.LBB716_185:
	s_andn2_saveexec_b32 s4, s18
	s_or_b32 exec_lo, exec_lo, s4
	s_or_b32 exec_lo, exec_lo, s17
                                        ; implicit-def: $vgpr1_vgpr2_vgpr3_vgpr4_vgpr5_vgpr6_vgpr7_vgpr8_vgpr9_vgpr10_vgpr11_vgpr12_vgpr13_vgpr14_vgpr15_vgpr16
	s_and_saveexec_b32 s4, s5
	s_xor_b32 s4, exec_lo, s4
	s_cbranch_execnz .LBB716_129
.LBB716_186:
	s_andn2_saveexec_b32 s5, s4
	s_cbranch_execz .LBB716_190
.LBB716_187:
	global_load_ubyte v1, v[50:51], off offset:960
	s_mov_b32 s17, 0
	s_waitcnt vmcnt(0)
	v_and_b32_e32 v1, 1, v1
	v_cmp_eq_u32_e64 s4, 1, v1
	v_mov_b32_e32 v1, v17
	v_mov_b32_e32 v16, v32
	;; [unrolled: 1-line block ×17, first 2 shown]
	s_xor_b32 s4, s4, -1
	s_and_saveexec_b32 s17, s4
	s_xor_b32 s17, exec_lo, s17
	s_cbranch_execz .LBB716_189
; %bb.188:
	v_sub_f32_e32 v1, v32, v59
	v_mul_f32_e32 v2, 0x3fb8aa3b, v1
	v_cmp_ngt_f32_e64 s4, 0xc2ce8ed0, v1
	v_fma_f32 v3, 0x3fb8aa3b, v1, -v2
	v_rndne_f32_e32 v4, v2
	v_fmamk_f32 v3, v1, 0x32a5705f, v3
	v_sub_f32_e32 v2, v2, v4
	v_add_f32_e32 v2, v2, v3
	v_cvt_i32_f32_e32 v3, v4
	v_exp_f32_e32 v2, v2
	v_ldexp_f32 v2, v2, v3
	v_cndmask_b32_e64 v2, 0, v2, s4
	v_cmp_nlt_f32_e64 s4, 0x42b17218, v1
	v_cndmask_b32_e64 v32, 0x7f800000, v2, s4
	v_mov_b32_e32 v1, v17
	v_mov_b32_e32 v2, v18
	;; [unrolled: 1-line block ×16, first 2 shown]
	v_add_f32_e32 v0, v0, v32
.LBB716_189:
	s_andn2_saveexec_b32 s4, s17
	s_or_b32 exec_lo, exec_lo, s4
.LBB716_190:
	s_or_b32 exec_lo, exec_lo, s5
	ds_bpermute_b32 v17, v53, v0
	s_mov_b32 s5, exec_lo
	s_waitcnt lgkmcnt(0)
	v_add_f32_e32 v0, v0, v17
	ds_bpermute_b32 v17, v54, v0
	s_waitcnt lgkmcnt(0)
	v_add_f32_e32 v0, v0, v17
	ds_bpermute_b32 v17, v55, v0
	s_waitcnt lgkmcnt(0)
	v_add_f32_e32 v0, v0, v17
	ds_bpermute_b32 v17, v56, v0
	s_waitcnt lgkmcnt(0)
	v_add_f32_e32 v0, v0, v17
	ds_bpermute_b32 v17, v57, v0
	s_waitcnt lgkmcnt(0)
	v_add_f32_e32 v0, v0, v17
	ds_bpermute_b32 v17, v58, v0
	v_cmpx_lt_i32_e32 0, v52
	s_cbranch_execz .LBB716_240
; %bb.191:
	s_and_b32 exec_lo, exec_lo, vcc_lo
	s_cbranch_execz .LBB716_240
; %bb.192:
	s_waitcnt lgkmcnt(0)
	v_add_f32_e32 v17, v0, v17
	v_mov_b32_e32 v18, 0x7fc00000
	v_cmp_neq_f32_e64 s4, 0, v17
	s_and_saveexec_b32 s5, s4
	s_cbranch_execz .LBB716_194
; %bb.193:
	v_div_scale_f32 v0, null, v17, v17, v1
	v_rcp_f32_e32 v18, v0
	v_fma_f32 v19, -v0, v18, 1.0
	v_fmac_f32_e32 v18, v19, v18
	v_div_scale_f32 v19, vcc_lo, v1, v17, v1
	v_mul_f32_e32 v20, v19, v18
	v_fma_f32 v21, -v0, v20, v19
	v_fmac_f32_e32 v20, v21, v18
	v_fma_f32 v0, -v0, v20, v19
	v_div_fmas_f32 v0, v0, v18, v20
	v_div_fixup_f32 v18, v0, v17, v1
.LBB716_194:
	s_or_b32 exec_lo, exec_lo, s5
	v_add_co_u32 v0, vcc_lo, s20, v48
	v_add_co_ci_u32_e64 v1, null, s21, v49, vcc_lo
	global_store_dword v[0:1], v18, off
	s_and_b32 exec_lo, exec_lo, s16
	s_cbranch_execz .LBB716_240
; %bb.195:
	v_mov_b32_e32 v18, 0x7fc00000
	s_and_saveexec_b32 s5, s4
	s_cbranch_execz .LBB716_197
; %bb.196:
	v_div_scale_f32 v18, null, v17, v17, v2
	v_rcp_f32_e32 v19, v18
	v_fma_f32 v20, -v18, v19, 1.0
	v_fmac_f32_e32 v19, v20, v19
	v_div_scale_f32 v20, vcc_lo, v2, v17, v2
	v_mul_f32_e32 v21, v20, v19
	v_fma_f32 v22, -v18, v21, v20
	v_fmac_f32_e32 v21, v22, v19
	v_fma_f32 v18, -v18, v21, v20
	v_div_fmas_f32 v18, v18, v19, v21
	v_div_fixup_f32 v18, v18, v17, v2
.LBB716_197:
	s_or_b32 exec_lo, exec_lo, s5
	global_store_dword v[0:1], v18, off offset:256
	s_and_b32 exec_lo, exec_lo, s15
	s_cbranch_execz .LBB716_240
; %bb.198:
	v_mov_b32_e32 v2, 0x7fc00000
	s_and_saveexec_b32 s5, s4
	s_cbranch_execz .LBB716_200
; %bb.199:
	v_div_scale_f32 v2, null, v17, v17, v3
	v_rcp_f32_e32 v18, v2
	v_fma_f32 v19, -v2, v18, 1.0
	v_fmac_f32_e32 v18, v19, v18
	v_div_scale_f32 v19, vcc_lo, v3, v17, v3
	v_mul_f32_e32 v20, v19, v18
	v_fma_f32 v21, -v2, v20, v19
	v_fmac_f32_e32 v20, v21, v18
	v_fma_f32 v2, -v2, v20, v19
	v_div_fmas_f32 v2, v2, v18, v20
	v_div_fixup_f32 v2, v2, v17, v3
.LBB716_200:
	s_or_b32 exec_lo, exec_lo, s5
	global_store_dword v[0:1], v2, off offset:512
	;; [unrolled: 21-line block ×7, first 2 shown]
	s_and_b32 exec_lo, exec_lo, s9
	s_cbranch_execz .LBB716_240
; %bb.216:
	v_mov_b32_e32 v2, 0x7fc00000
	s_and_saveexec_b32 s5, s4
	s_cbranch_execz .LBB716_218
; %bb.217:
	v_div_scale_f32 v2, null, v17, v17, v9
	v_rcp_f32_e32 v3, v2
	v_fma_f32 v4, -v2, v3, 1.0
	v_fmac_f32_e32 v3, v4, v3
	v_div_scale_f32 v4, vcc_lo, v9, v17, v9
	v_mul_f32_e32 v5, v4, v3
	v_fma_f32 v6, -v2, v5, v4
	v_fmac_f32_e32 v5, v6, v3
	v_fma_f32 v2, -v2, v5, v4
	v_div_fmas_f32 v2, v2, v3, v5
	v_div_fixup_f32 v2, v2, v17, v9
.LBB716_218:
	s_or_b32 exec_lo, exec_lo, s5
	v_add_co_u32 v0, vcc_lo, 0x800, v0
	v_add_co_ci_u32_e64 v1, null, 0, v1, vcc_lo
	global_store_dword v[0:1], v2, off
	s_and_b32 exec_lo, exec_lo, s8
	s_cbranch_execz .LBB716_240
; %bb.219:
	v_mov_b32_e32 v2, 0x7fc00000
	s_and_saveexec_b32 s5, s4
	s_cbranch_execz .LBB716_221
; %bb.220:
	v_div_scale_f32 v2, null, v17, v17, v10
	v_rcp_f32_e32 v3, v2
	v_fma_f32 v4, -v2, v3, 1.0
	v_fmac_f32_e32 v3, v4, v3
	v_div_scale_f32 v4, vcc_lo, v10, v17, v10
	v_mul_f32_e32 v5, v4, v3
	v_fma_f32 v6, -v2, v5, v4
	v_fmac_f32_e32 v5, v6, v3
	v_fma_f32 v2, -v2, v5, v4
	v_div_fmas_f32 v2, v2, v3, v5
	v_div_fixup_f32 v2, v2, v17, v10
.LBB716_221:
	s_or_b32 exec_lo, exec_lo, s5
	global_store_dword v[0:1], v2, off offset:256
	s_and_b32 exec_lo, exec_lo, s7
	s_cbranch_execz .LBB716_240
; %bb.222:
	v_mov_b32_e32 v2, 0x7fc00000
	s_and_saveexec_b32 s5, s4
	s_cbranch_execz .LBB716_224
; %bb.223:
	v_div_scale_f32 v2, null, v17, v17, v11
	v_rcp_f32_e32 v3, v2
	v_fma_f32 v4, -v2, v3, 1.0
	v_fmac_f32_e32 v3, v4, v3
	v_div_scale_f32 v4, vcc_lo, v11, v17, v11
	v_mul_f32_e32 v5, v4, v3
	v_fma_f32 v6, -v2, v5, v4
	v_fmac_f32_e32 v5, v6, v3
	v_fma_f32 v2, -v2, v5, v4
	v_div_fmas_f32 v2, v2, v3, v5
	v_div_fixup_f32 v2, v2, v17, v11
.LBB716_224:
	s_or_b32 exec_lo, exec_lo, s5
	global_store_dword v[0:1], v2, off offset:512
	;; [unrolled: 21-line block ×7, first 2 shown]
.LBB716_240:
	s_endpgm
	.section	.rodata,"a",@progbits
	.p2align	6, 0x0
	.amdhsa_kernel _ZN12_GLOBAL__N_120softmax_warp_forwardIfffLi10ELb0ELb1ELi64EEEvPT0_PKT_iiiPKbib
		.amdhsa_group_segment_fixed_size 0
		.amdhsa_private_segment_fixed_size 0
		.amdhsa_kernarg_size 304
		.amdhsa_user_sgpr_count 6
		.amdhsa_user_sgpr_private_segment_buffer 1
		.amdhsa_user_sgpr_dispatch_ptr 0
		.amdhsa_user_sgpr_queue_ptr 0
		.amdhsa_user_sgpr_kernarg_segment_ptr 1
		.amdhsa_user_sgpr_dispatch_id 0
		.amdhsa_user_sgpr_flat_scratch_init 0
		.amdhsa_user_sgpr_private_segment_size 0
		.amdhsa_wavefront_size32 1
		.amdhsa_uses_dynamic_stack 0
		.amdhsa_system_sgpr_private_segment_wavefront_offset 0
		.amdhsa_system_sgpr_workgroup_id_x 1
		.amdhsa_system_sgpr_workgroup_id_y 0
		.amdhsa_system_sgpr_workgroup_id_z 0
		.amdhsa_system_sgpr_workgroup_info 0
		.amdhsa_system_vgpr_workitem_id 1
		.amdhsa_next_free_vgpr 60
		.amdhsa_next_free_sgpr 39
		.amdhsa_reserve_vcc 1
		.amdhsa_reserve_flat_scratch 0
		.amdhsa_float_round_mode_32 0
		.amdhsa_float_round_mode_16_64 0
		.amdhsa_float_denorm_mode_32 3
		.amdhsa_float_denorm_mode_16_64 3
		.amdhsa_dx10_clamp 1
		.amdhsa_ieee_mode 1
		.amdhsa_fp16_overflow 0
		.amdhsa_workgroup_processor_mode 1
		.amdhsa_memory_ordered 1
		.amdhsa_forward_progress 1
		.amdhsa_shared_vgpr_count 0
		.amdhsa_exception_fp_ieee_invalid_op 0
		.amdhsa_exception_fp_denorm_src 0
		.amdhsa_exception_fp_ieee_div_zero 0
		.amdhsa_exception_fp_ieee_overflow 0
		.amdhsa_exception_fp_ieee_underflow 0
		.amdhsa_exception_fp_ieee_inexact 0
		.amdhsa_exception_int_div_zero 0
	.end_amdhsa_kernel
	.section	.text._ZN12_GLOBAL__N_120softmax_warp_forwardIfffLi10ELb0ELb1ELi64EEEvPT0_PKT_iiiPKbib,"axG",@progbits,_ZN12_GLOBAL__N_120softmax_warp_forwardIfffLi10ELb0ELb1ELi64EEEvPT0_PKT_iiiPKbib,comdat
.Lfunc_end716:
	.size	_ZN12_GLOBAL__N_120softmax_warp_forwardIfffLi10ELb0ELb1ELi64EEEvPT0_PKT_iiiPKbib, .Lfunc_end716-_ZN12_GLOBAL__N_120softmax_warp_forwardIfffLi10ELb0ELb1ELi64EEEvPT0_PKT_iiiPKbib
                                        ; -- End function
	.set _ZN12_GLOBAL__N_120softmax_warp_forwardIfffLi10ELb0ELb1ELi64EEEvPT0_PKT_iiiPKbib.num_vgpr, 60
	.set _ZN12_GLOBAL__N_120softmax_warp_forwardIfffLi10ELb0ELb1ELi64EEEvPT0_PKT_iiiPKbib.num_agpr, 0
	.set _ZN12_GLOBAL__N_120softmax_warp_forwardIfffLi10ELb0ELb1ELi64EEEvPT0_PKT_iiiPKbib.numbered_sgpr, 39
	.set _ZN12_GLOBAL__N_120softmax_warp_forwardIfffLi10ELb0ELb1ELi64EEEvPT0_PKT_iiiPKbib.num_named_barrier, 0
	.set _ZN12_GLOBAL__N_120softmax_warp_forwardIfffLi10ELb0ELb1ELi64EEEvPT0_PKT_iiiPKbib.private_seg_size, 0
	.set _ZN12_GLOBAL__N_120softmax_warp_forwardIfffLi10ELb0ELb1ELi64EEEvPT0_PKT_iiiPKbib.uses_vcc, 1
	.set _ZN12_GLOBAL__N_120softmax_warp_forwardIfffLi10ELb0ELb1ELi64EEEvPT0_PKT_iiiPKbib.uses_flat_scratch, 0
	.set _ZN12_GLOBAL__N_120softmax_warp_forwardIfffLi10ELb0ELb1ELi64EEEvPT0_PKT_iiiPKbib.has_dyn_sized_stack, 0
	.set _ZN12_GLOBAL__N_120softmax_warp_forwardIfffLi10ELb0ELb1ELi64EEEvPT0_PKT_iiiPKbib.has_recursion, 0
	.set _ZN12_GLOBAL__N_120softmax_warp_forwardIfffLi10ELb0ELb1ELi64EEEvPT0_PKT_iiiPKbib.has_indirect_call, 0
	.section	.AMDGPU.csdata,"",@progbits
; Kernel info:
; codeLenInByte = 11552
; TotalNumSgprs: 41
; NumVgprs: 60
; ScratchSize: 0
; MemoryBound: 0
; FloatMode: 240
; IeeeMode: 1
; LDSByteSize: 0 bytes/workgroup (compile time only)
; SGPRBlocks: 0
; VGPRBlocks: 7
; NumSGPRsForWavesPerEU: 41
; NumVGPRsForWavesPerEU: 60
; Occupancy: 16
; WaveLimiterHint : 0
; COMPUTE_PGM_RSRC2:SCRATCH_EN: 0
; COMPUTE_PGM_RSRC2:USER_SGPR: 6
; COMPUTE_PGM_RSRC2:TRAP_HANDLER: 0
; COMPUTE_PGM_RSRC2:TGID_X_EN: 1
; COMPUTE_PGM_RSRC2:TGID_Y_EN: 0
; COMPUTE_PGM_RSRC2:TGID_Z_EN: 0
; COMPUTE_PGM_RSRC2:TIDIG_COMP_CNT: 1
	.section	.text._ZN12_GLOBAL__N_120softmax_warp_forwardIfffLi10ELb0ELb1ELi32EEEvPT0_PKT_iiiPKbib,"axG",@progbits,_ZN12_GLOBAL__N_120softmax_warp_forwardIfffLi10ELb0ELb1ELi32EEEvPT0_PKT_iiiPKbib,comdat
	.globl	_ZN12_GLOBAL__N_120softmax_warp_forwardIfffLi10ELb0ELb1ELi32EEEvPT0_PKT_iiiPKbib ; -- Begin function _ZN12_GLOBAL__N_120softmax_warp_forwardIfffLi10ELb0ELb1ELi32EEEvPT0_PKT_iiiPKbib
	.p2align	8
	.type	_ZN12_GLOBAL__N_120softmax_warp_forwardIfffLi10ELb0ELb1ELi32EEEvPT0_PKT_iiiPKbib,@function
_ZN12_GLOBAL__N_120softmax_warp_forwardIfffLi10ELb0ELb1ELi32EEEvPT0_PKT_iiiPKbib: ; @_ZN12_GLOBAL__N_120softmax_warp_forwardIfffLi10ELb0ELb1ELi32EEEvPT0_PKT_iiiPKbib
; %bb.0:
	s_clause 0x1
	s_load_dword s0, s[4:5], 0x3c
	s_load_dwordx4 s[40:43], s[4:5], 0x10
	s_waitcnt lgkmcnt(0)
	s_lshr_b32 s0, s0, 16
	v_mad_u64_u32 v[1:2], null, s6, s0, v[1:2]
	s_load_dwordx2 s[0:1], s[4:5], 0x28
	v_mul_lo_u32 v4, v1, s41
	v_add_nc_u32_e32 v2, v4, v0
	v_ashrrev_i32_e32 v3, 31, v2
	s_waitcnt lgkmcnt(0)
	s_bitcmp0_b32 s1, 0
	v_mov_b32_e32 v33, v3
	v_mov_b32_e32 v32, v2
	s_cbranch_scc1 .LBB717_2
; %bb.1:
	s_abs_i32 s1, s0
	v_sub_nc_u32_e32 v7, 0, v4
	v_cvt_f32_u32_e32 v5, s1
	s_sub_i32 s2, 0, s1
	v_max_i32_e32 v7, v4, v7
	v_rcp_iflag_f32_e32 v5, v5
	v_xor_b32_e32 v4, s0, v4
	v_ashrrev_i32_e32 v4, 31, v4
	v_mul_f32_e32 v5, 0x4f7ffffe, v5
	v_cvt_u32_f32_e32 v5, v5
	v_mul_lo_u32 v6, s2, v5
	v_mul_hi_u32 v6, v5, v6
	v_add_nc_u32_e32 v5, v5, v6
	v_mul_hi_u32 v5, v7, v5
	v_mul_lo_u32 v6, v5, s1
	v_sub_nc_u32_e32 v6, v7, v6
	v_add_nc_u32_e32 v7, 1, v5
	v_subrev_nc_u32_e32 v8, s1, v6
	v_cmp_le_u32_e32 vcc_lo, s1, v6
	v_cndmask_b32_e32 v5, v5, v7, vcc_lo
	v_cndmask_b32_e32 v6, v6, v8, vcc_lo
	v_add_nc_u32_e32 v7, 1, v5
	v_cmp_le_u32_e32 vcc_lo, s1, v6
	v_cndmask_b32_e32 v5, v5, v7, vcc_lo
	v_xor_b32_e32 v5, v5, v4
	v_sub_nc_u32_e32 v4, v5, v4
	v_mad_u64_u32 v[32:33], null, v4, s41, v[0:1]
	v_ashrrev_i32_e32 v33, 31, v32
.LBB717_2:
	s_load_dwordx4 s[36:39], s[4:5], 0x0
	v_lshlrev_b64 v[96:97], 2, v[2:3]
	v_sub_nc_u32_e32 v100, s40, v1
	v_cmp_gt_i32_e32 vcc_lo, s42, v0
	v_mov_b32_e32 v64, 0xff800000
	v_mov_b32_e32 v1, 0xff800000
	v_cmp_lt_i32_e64 s34, 0, v100
	s_and_b32 s68, s34, vcc_lo
	s_waitcnt lgkmcnt(0)
	v_add_co_u32 v34, s0, s38, v96
	v_add_co_ci_u32_e64 v35, null, s39, v97, s0
	s_and_saveexec_b32 s0, s68
	s_cbranch_execz .LBB717_4
; %bb.3:
	global_load_dword v1, v[34:35], off
.LBB717_4:
	s_or_b32 exec_lo, exec_lo, s0
	v_add_nc_u32_e32 v2, 32, v0
	v_cmp_gt_i32_e64 s33, s42, v2
	s_and_b32 s69, s34, s33
	s_and_saveexec_b32 s0, s69
	s_cbranch_execz .LBB717_6
; %bb.5:
	global_load_dword v64, v[34:35], off offset:128
.LBB717_6:
	s_or_b32 exec_lo, exec_lo, s0
	v_add_nc_u32_e32 v2, 64, v0
	v_mov_b32_e32 v3, 0xff800000
	v_cmp_gt_i32_e64 s31, s42, v2
	v_mov_b32_e32 v2, 0xff800000
	s_and_b32 s67, s34, s31
	s_and_saveexec_b32 s0, s67
	s_cbranch_execz .LBB717_8
; %bb.7:
	global_load_dword v2, v[34:35], off offset:256
.LBB717_8:
	s_or_b32 exec_lo, exec_lo, s0
	v_add_nc_u32_e32 v4, 0x60, v0
	v_cmp_gt_i32_e64 s30, s42, v4
	s_and_b32 s66, s34, s30
	s_and_saveexec_b32 s0, s66
	s_cbranch_execz .LBB717_10
; %bb.9:
	global_load_dword v3, v[34:35], off offset:384
.LBB717_10:
	s_or_b32 exec_lo, exec_lo, s0
	v_add_nc_u32_e32 v4, 0x80, v0
	v_mov_b32_e32 v5, 0xff800000
	v_cmp_gt_i32_e64 s29, s42, v4
	v_mov_b32_e32 v4, 0xff800000
	s_and_b32 s65, s34, s29
	s_and_saveexec_b32 s0, s65
	s_cbranch_execz .LBB717_12
; %bb.11:
	global_load_dword v4, v[34:35], off offset:512
.LBB717_12:
	;; [unrolled: 20-line block ×7, first 2 shown]
	s_or_b32 exec_lo, exec_lo, s0
	v_add_nc_u32_e32 v16, 0x1e0, v0
	v_cmp_gt_i32_e64 s18, s42, v16
	s_and_b32 s54, s34, s18
	s_and_saveexec_b32 s0, s54
	s_cbranch_execz .LBB717_34
; %bb.33:
	global_load_dword v15, v[34:35], off offset:1920
.LBB717_34:
	s_or_b32 exec_lo, exec_lo, s0
	v_add_nc_u32_e32 v16, 0x200, v0
	v_mov_b32_e32 v17, 0xff800000
	v_cmp_gt_i32_e64 s17, s42, v16
	v_mov_b32_e32 v16, 0xff800000
	s_and_b32 s53, s34, s17
	s_and_saveexec_b32 s1, s53
	s_cbranch_execz .LBB717_36
; %bb.35:
	v_add_co_u32 v18, s0, 0x800, v34
	v_add_co_ci_u32_e64 v19, null, 0, v35, s0
	global_load_dword v16, v[18:19], off
.LBB717_36:
	s_or_b32 exec_lo, exec_lo, s1
	v_add_nc_u32_e32 v18, 0x220, v0
	v_cmp_gt_i32_e64 s16, s42, v18
	s_and_b32 s52, s34, s16
	s_and_saveexec_b32 s1, s52
	s_cbranch_execz .LBB717_38
; %bb.37:
	v_add_co_u32 v17, s0, 0x800, v34
	v_add_co_ci_u32_e64 v18, null, 0, v35, s0
	global_load_dword v17, v[17:18], off offset:128
.LBB717_38:
	s_or_b32 exec_lo, exec_lo, s1
	v_add_nc_u32_e32 v18, 0x240, v0
	v_mov_b32_e32 v19, 0xff800000
	v_cmp_gt_i32_e64 s15, s42, v18
	v_mov_b32_e32 v18, 0xff800000
	s_and_b32 s51, s34, s15
	s_and_saveexec_b32 s1, s51
	s_cbranch_execz .LBB717_40
; %bb.39:
	v_add_co_u32 v20, s0, 0x800, v34
	v_add_co_ci_u32_e64 v21, null, 0, v35, s0
	global_load_dword v18, v[20:21], off offset:256
.LBB717_40:
	s_or_b32 exec_lo, exec_lo, s1
	v_add_nc_u32_e32 v20, 0x260, v0
	v_cmp_gt_i32_e64 s14, s42, v20
	s_and_b32 s50, s34, s14
	s_and_saveexec_b32 s1, s50
	s_cbranch_execz .LBB717_42
; %bb.41:
	v_add_co_u32 v19, s0, 0x800, v34
	v_add_co_ci_u32_e64 v20, null, 0, v35, s0
	global_load_dword v19, v[19:20], off offset:384
.LBB717_42:
	s_or_b32 exec_lo, exec_lo, s1
	v_add_nc_u32_e32 v20, 0x280, v0
	v_mov_b32_e32 v21, 0xff800000
	v_cmp_gt_i32_e64 s13, s42, v20
	v_mov_b32_e32 v20, 0xff800000
	s_and_b32 s49, s34, s13
	s_and_saveexec_b32 s1, s49
	s_cbranch_execz .LBB717_44
; %bb.43:
	v_add_co_u32 v22, s0, 0x800, v34
	v_add_co_ci_u32_e64 v23, null, 0, v35, s0
	global_load_dword v20, v[22:23], off offset:512
.LBB717_44:
	;; [unrolled: 24-line block ×7, first 2 shown]
	s_or_b32 exec_lo, exec_lo, s35
	v_add_nc_u32_e32 v0, 0x3e0, v0
	v_cmp_gt_i32_e64 s0, s42, v0
	s_and_b32 s35, s34, s0
	s_and_saveexec_b32 s42, s35
	s_cbranch_execz .LBB717_66
; %bb.65:
	v_add_co_u32 v34, s34, 0x800, v34
	v_add_co_ci_u32_e64 v35, null, 0, v35, s34
	global_load_dword v31, v[34:35], off offset:1920
.LBB717_66:
	s_or_b32 exec_lo, exec_lo, s42
	s_load_dwordx2 s[4:5], s[4:5], 0x20
	s_waitcnt lgkmcnt(0)
	v_add_co_u32 v98, s4, s4, v32
	v_add_co_ci_u32_e64 v99, null, s5, v33, s4
	s_mov_b32 s5, 0
	s_and_saveexec_b32 s34, s68
	s_cbranch_execz .LBB717_128
; %bb.67:
	global_load_ubyte v0, v[98:99], off
	s_waitcnt vmcnt(0)
	v_and_b32_e32 v0, 1, v0
	v_cmp_eq_u32_e64 s4, 1, v0
	s_xor_b32 s4, s4, -1
	s_and_b32 s5, s4, exec_lo
	s_or_b32 exec_lo, exec_lo, s34
	v_mov_b32_e32 v0, v1
	s_and_saveexec_b32 s34, s69
	s_cbranch_execnz .LBB717_129
.LBB717_68:
	s_or_b32 exec_lo, exec_lo, s34
	s_and_saveexec_b32 s34, s67
	s_cbranch_execz .LBB717_132
.LBB717_69:
	global_load_ubyte v32, v[98:99], off offset:64
	s_waitcnt vmcnt(0)
	v_and_b32_e32 v32, 1, v32
	v_cmp_eq_u32_e64 s4, 1, v32
	s_xor_b32 s70, s4, -1
	s_mov_b32 s4, s5
	s_and_saveexec_b32 s42, s70
; %bb.70:
	v_cmp_gt_f32_e64 s4, v0, v2
	s_and_b32 s4, s5, s4
	v_cndmask_b32_e64 v0, v2, v0, s4
	s_or_b32 s4, s5, exec_lo
; %bb.71:
	s_or_b32 exec_lo, exec_lo, s42
	s_andn2_b32 s5, s5, exec_lo
	s_and_b32 s4, s4, exec_lo
	s_or_b32 s5, s5, s4
	s_or_b32 exec_lo, exec_lo, s34
	s_and_saveexec_b32 s34, s66
	s_cbranch_execnz .LBB717_133
.LBB717_72:
	s_or_b32 exec_lo, exec_lo, s34
	s_and_saveexec_b32 s34, s65
	s_cbranch_execz .LBB717_136
.LBB717_73:
	global_load_ubyte v32, v[98:99], off offset:128
	s_waitcnt vmcnt(0)
	v_and_b32_e32 v32, 1, v32
	v_cmp_eq_u32_e64 s4, 1, v32
	s_xor_b32 s70, s4, -1
	s_mov_b32 s4, s5
	s_and_saveexec_b32 s42, s70
; %bb.74:
	v_cmp_gt_f32_e64 s4, v0, v4
	s_and_b32 s4, s5, s4
	v_cndmask_b32_e64 v0, v4, v0, s4
	s_or_b32 s4, s5, exec_lo
; %bb.75:
	s_or_b32 exec_lo, exec_lo, s42
	s_andn2_b32 s5, s5, exec_lo
	s_and_b32 s4, s4, exec_lo
	s_or_b32 s5, s5, s4
	s_or_b32 exec_lo, exec_lo, s34
	s_and_saveexec_b32 s34, s64
	s_cbranch_execnz .LBB717_137
.LBB717_76:
	s_or_b32 exec_lo, exec_lo, s34
	s_and_saveexec_b32 s34, s63
	s_cbranch_execz .LBB717_140
.LBB717_77:
	global_load_ubyte v32, v[98:99], off offset:192
	s_waitcnt vmcnt(0)
	v_and_b32_e32 v32, 1, v32
	v_cmp_eq_u32_e64 s4, 1, v32
	s_xor_b32 s70, s4, -1
	s_mov_b32 s4, s5
	s_and_saveexec_b32 s42, s70
; %bb.78:
	v_cmp_gt_f32_e64 s4, v0, v6
	s_and_b32 s4, s5, s4
	v_cndmask_b32_e64 v0, v6, v0, s4
	s_or_b32 s4, s5, exec_lo
; %bb.79:
	s_or_b32 exec_lo, exec_lo, s42
	s_andn2_b32 s5, s5, exec_lo
	s_and_b32 s4, s4, exec_lo
	s_or_b32 s5, s5, s4
	s_or_b32 exec_lo, exec_lo, s34
	s_and_saveexec_b32 s34, s62
	s_cbranch_execnz .LBB717_141
.LBB717_80:
	s_or_b32 exec_lo, exec_lo, s34
	s_and_saveexec_b32 s34, s61
	s_cbranch_execz .LBB717_144
.LBB717_81:
	global_load_ubyte v32, v[98:99], off offset:256
	s_waitcnt vmcnt(0)
	v_and_b32_e32 v32, 1, v32
	v_cmp_eq_u32_e64 s4, 1, v32
	s_xor_b32 s70, s4, -1
	s_mov_b32 s4, s5
	s_and_saveexec_b32 s42, s70
; %bb.82:
	v_cmp_gt_f32_e64 s4, v0, v8
	s_and_b32 s4, s5, s4
	v_cndmask_b32_e64 v0, v8, v0, s4
	s_or_b32 s4, s5, exec_lo
; %bb.83:
	s_or_b32 exec_lo, exec_lo, s42
	s_andn2_b32 s5, s5, exec_lo
	s_and_b32 s4, s4, exec_lo
	s_or_b32 s5, s5, s4
	s_or_b32 exec_lo, exec_lo, s34
	s_and_saveexec_b32 s34, s60
	s_cbranch_execnz .LBB717_145
.LBB717_84:
	s_or_b32 exec_lo, exec_lo, s34
	s_and_saveexec_b32 s34, s59
	s_cbranch_execz .LBB717_148
.LBB717_85:
	global_load_ubyte v32, v[98:99], off offset:320
	s_waitcnt vmcnt(0)
	v_and_b32_e32 v32, 1, v32
	v_cmp_eq_u32_e64 s4, 1, v32
	s_xor_b32 s70, s4, -1
	s_mov_b32 s4, s5
	s_and_saveexec_b32 s42, s70
; %bb.86:
	v_cmp_gt_f32_e64 s4, v0, v10
	s_and_b32 s4, s5, s4
	v_cndmask_b32_e64 v0, v10, v0, s4
	s_or_b32 s4, s5, exec_lo
; %bb.87:
	s_or_b32 exec_lo, exec_lo, s42
	s_andn2_b32 s5, s5, exec_lo
	s_and_b32 s4, s4, exec_lo
	s_or_b32 s5, s5, s4
	s_or_b32 exec_lo, exec_lo, s34
	s_and_saveexec_b32 s34, s58
	s_cbranch_execnz .LBB717_149
.LBB717_88:
	s_or_b32 exec_lo, exec_lo, s34
	s_and_saveexec_b32 s34, s57
	s_cbranch_execz .LBB717_152
.LBB717_89:
	global_load_ubyte v32, v[98:99], off offset:384
	s_waitcnt vmcnt(0)
	v_and_b32_e32 v32, 1, v32
	v_cmp_eq_u32_e64 s4, 1, v32
	s_xor_b32 s70, s4, -1
	s_mov_b32 s4, s5
	s_and_saveexec_b32 s42, s70
; %bb.90:
	v_cmp_gt_f32_e64 s4, v0, v12
	s_and_b32 s4, s5, s4
	v_cndmask_b32_e64 v0, v12, v0, s4
	s_or_b32 s4, s5, exec_lo
; %bb.91:
	s_or_b32 exec_lo, exec_lo, s42
	s_andn2_b32 s5, s5, exec_lo
	s_and_b32 s4, s4, exec_lo
	s_or_b32 s5, s5, s4
	s_or_b32 exec_lo, exec_lo, s34
	s_and_saveexec_b32 s34, s56
	s_cbranch_execnz .LBB717_153
.LBB717_92:
	s_or_b32 exec_lo, exec_lo, s34
	s_and_saveexec_b32 s34, s55
	s_cbranch_execz .LBB717_156
.LBB717_93:
	global_load_ubyte v32, v[98:99], off offset:448
	s_waitcnt vmcnt(0)
	v_and_b32_e32 v32, 1, v32
	v_cmp_eq_u32_e64 s4, 1, v32
	s_xor_b32 s70, s4, -1
	s_mov_b32 s4, s5
	s_and_saveexec_b32 s42, s70
; %bb.94:
	v_cmp_gt_f32_e64 s4, v0, v14
	s_and_b32 s4, s5, s4
	v_cndmask_b32_e64 v0, v14, v0, s4
	s_or_b32 s4, s5, exec_lo
; %bb.95:
	s_or_b32 exec_lo, exec_lo, s42
	s_andn2_b32 s5, s5, exec_lo
	s_and_b32 s4, s4, exec_lo
	s_or_b32 s5, s5, s4
	s_or_b32 exec_lo, exec_lo, s34
	s_and_saveexec_b32 s34, s54
	s_cbranch_execnz .LBB717_157
.LBB717_96:
	s_or_b32 exec_lo, exec_lo, s34
	s_and_saveexec_b32 s34, s53
	s_cbranch_execz .LBB717_160
.LBB717_97:
	global_load_ubyte v32, v[98:99], off offset:512
	s_waitcnt vmcnt(0)
	v_and_b32_e32 v32, 1, v32
	v_cmp_eq_u32_e64 s4, 1, v32
	s_xor_b32 s70, s4, -1
	s_mov_b32 s4, s5
	s_and_saveexec_b32 s42, s70
; %bb.98:
	v_cmp_gt_f32_e64 s4, v0, v16
	s_and_b32 s4, s5, s4
	v_cndmask_b32_e64 v0, v16, v0, s4
	s_or_b32 s4, s5, exec_lo
; %bb.99:
	s_or_b32 exec_lo, exec_lo, s42
	s_andn2_b32 s5, s5, exec_lo
	s_and_b32 s4, s4, exec_lo
	s_or_b32 s5, s5, s4
	s_or_b32 exec_lo, exec_lo, s34
	s_and_saveexec_b32 s34, s52
	s_cbranch_execnz .LBB717_161
.LBB717_100:
	s_or_b32 exec_lo, exec_lo, s34
	s_and_saveexec_b32 s34, s51
	s_cbranch_execz .LBB717_164
.LBB717_101:
	global_load_ubyte v32, v[98:99], off offset:576
	s_waitcnt vmcnt(0)
	v_and_b32_e32 v32, 1, v32
	v_cmp_eq_u32_e64 s4, 1, v32
	s_xor_b32 s70, s4, -1
	s_mov_b32 s4, s5
	s_and_saveexec_b32 s42, s70
; %bb.102:
	v_cmp_gt_f32_e64 s4, v0, v18
	s_and_b32 s4, s5, s4
	v_cndmask_b32_e64 v0, v18, v0, s4
	s_or_b32 s4, s5, exec_lo
; %bb.103:
	s_or_b32 exec_lo, exec_lo, s42
	s_andn2_b32 s5, s5, exec_lo
	s_and_b32 s4, s4, exec_lo
	s_or_b32 s5, s5, s4
	s_or_b32 exec_lo, exec_lo, s34
	s_and_saveexec_b32 s34, s50
	s_cbranch_execnz .LBB717_165
.LBB717_104:
	s_or_b32 exec_lo, exec_lo, s34
	s_and_saveexec_b32 s34, s49
	s_cbranch_execz .LBB717_168
.LBB717_105:
	global_load_ubyte v32, v[98:99], off offset:640
	s_waitcnt vmcnt(0)
	v_and_b32_e32 v32, 1, v32
	v_cmp_eq_u32_e64 s4, 1, v32
	s_xor_b32 s70, s4, -1
	s_mov_b32 s4, s5
	s_and_saveexec_b32 s42, s70
; %bb.106:
	v_cmp_gt_f32_e64 s4, v0, v20
	s_and_b32 s4, s5, s4
	v_cndmask_b32_e64 v0, v20, v0, s4
	s_or_b32 s4, s5, exec_lo
; %bb.107:
	s_or_b32 exec_lo, exec_lo, s42
	s_andn2_b32 s5, s5, exec_lo
	s_and_b32 s4, s4, exec_lo
	s_or_b32 s5, s5, s4
	s_or_b32 exec_lo, exec_lo, s34
	s_and_saveexec_b32 s34, s48
	s_cbranch_execnz .LBB717_169
.LBB717_108:
	s_or_b32 exec_lo, exec_lo, s34
	s_and_saveexec_b32 s34, s47
	s_cbranch_execz .LBB717_172
.LBB717_109:
	global_load_ubyte v32, v[98:99], off offset:704
	s_waitcnt vmcnt(0)
	v_and_b32_e32 v32, 1, v32
	v_cmp_eq_u32_e64 s4, 1, v32
	s_xor_b32 s70, s4, -1
	s_mov_b32 s4, s5
	s_and_saveexec_b32 s42, s70
; %bb.110:
	v_cmp_gt_f32_e64 s4, v0, v22
	s_and_b32 s4, s5, s4
	v_cndmask_b32_e64 v0, v22, v0, s4
	s_or_b32 s4, s5, exec_lo
; %bb.111:
	s_or_b32 exec_lo, exec_lo, s42
	s_andn2_b32 s5, s5, exec_lo
	s_and_b32 s4, s4, exec_lo
	s_or_b32 s5, s5, s4
	s_or_b32 exec_lo, exec_lo, s34
	s_and_saveexec_b32 s34, s46
	s_cbranch_execnz .LBB717_173
.LBB717_112:
	s_or_b32 exec_lo, exec_lo, s34
	s_and_saveexec_b32 s34, s45
	s_cbranch_execz .LBB717_176
.LBB717_113:
	global_load_ubyte v32, v[98:99], off offset:768
	s_waitcnt vmcnt(0)
	v_and_b32_e32 v32, 1, v32
	v_cmp_eq_u32_e64 s4, 1, v32
	s_xor_b32 s70, s4, -1
	s_mov_b32 s4, s5
	s_and_saveexec_b32 s42, s70
; %bb.114:
	v_cmp_gt_f32_e64 s4, v0, v24
	s_and_b32 s4, s5, s4
	v_cndmask_b32_e64 v0, v24, v0, s4
	s_or_b32 s4, s5, exec_lo
; %bb.115:
	s_or_b32 exec_lo, exec_lo, s42
	s_andn2_b32 s5, s5, exec_lo
	s_and_b32 s4, s4, exec_lo
	s_or_b32 s5, s5, s4
	s_or_b32 exec_lo, exec_lo, s34
	s_and_saveexec_b32 s34, s44
	s_cbranch_execnz .LBB717_177
.LBB717_116:
	s_or_b32 exec_lo, exec_lo, s34
	s_and_saveexec_b32 s34, s43
	s_cbranch_execz .LBB717_180
.LBB717_117:
	global_load_ubyte v32, v[98:99], off offset:832
	s_waitcnt vmcnt(0)
	v_and_b32_e32 v32, 1, v32
	v_cmp_eq_u32_e64 s4, 1, v32
	s_xor_b32 s70, s4, -1
	s_mov_b32 s4, s5
	s_and_saveexec_b32 s42, s70
; %bb.118:
	v_cmp_gt_f32_e64 s4, v0, v26
	s_and_b32 s4, s5, s4
	v_cndmask_b32_e64 v0, v26, v0, s4
	s_or_b32 s4, s5, exec_lo
; %bb.119:
	s_or_b32 exec_lo, exec_lo, s42
	s_andn2_b32 s5, s5, exec_lo
	s_and_b32 s4, s4, exec_lo
	s_or_b32 s5, s5, s4
	s_or_b32 exec_lo, exec_lo, s34
	s_and_saveexec_b32 s34, s41
	s_cbranch_execnz .LBB717_181
.LBB717_120:
	s_or_b32 exec_lo, exec_lo, s34
	s_and_saveexec_b32 s34, s40
	s_cbranch_execz .LBB717_184
.LBB717_121:
	global_load_ubyte v32, v[98:99], off offset:896
	s_waitcnt vmcnt(0)
	v_and_b32_e32 v32, 1, v32
	v_cmp_eq_u32_e64 s4, 1, v32
	s_xor_b32 s70, s4, -1
	s_mov_b32 s4, s5
	s_and_saveexec_b32 s42, s70
; %bb.122:
	v_cmp_gt_f32_e64 s4, v0, v28
	s_and_b32 s4, s5, s4
	v_cndmask_b32_e64 v0, v28, v0, s4
	s_or_b32 s4, s5, exec_lo
; %bb.123:
	s_or_b32 exec_lo, exec_lo, s42
	s_andn2_b32 s5, s5, exec_lo
	s_and_b32 s4, s4, exec_lo
	s_or_b32 s5, s5, s4
	s_or_b32 exec_lo, exec_lo, s34
	s_and_saveexec_b32 s34, s39
	s_cbranch_execnz .LBB717_185
.LBB717_124:
	s_or_b32 exec_lo, exec_lo, s34
	s_and_saveexec_b32 s34, s38
	s_cbranch_execz .LBB717_188
.LBB717_125:
	global_load_ubyte v32, v[98:99], off offset:960
	s_waitcnt vmcnt(0)
	v_and_b32_e32 v32, 1, v32
	v_cmp_eq_u32_e64 s4, 1, v32
	s_xor_b32 s70, s4, -1
	s_mov_b32 s4, s5
	s_and_saveexec_b32 s42, s70
; %bb.126:
	v_cmp_gt_f32_e64 s4, v0, v30
	s_and_b32 s4, s5, s4
	v_cndmask_b32_e64 v0, v30, v0, s4
	s_or_b32 s4, s5, exec_lo
; %bb.127:
	s_or_b32 exec_lo, exec_lo, s42
	s_andn2_b32 s5, s5, exec_lo
	s_and_b32 s4, s4, exec_lo
	s_or_b32 s5, s5, s4
	s_or_b32 exec_lo, exec_lo, s34
	s_and_saveexec_b32 s34, s35
	s_cbranch_execz .LBB717_192
	s_branch .LBB717_189
.LBB717_128:
	s_or_b32 exec_lo, exec_lo, s34
	s_waitcnt vmcnt(0)
	v_mov_b32_e32 v0, v1
	s_and_saveexec_b32 s34, s69
	s_cbranch_execz .LBB717_68
.LBB717_129:
	global_load_ubyte v0, v[98:99], off offset:32
	s_waitcnt vmcnt(0)
	v_and_b32_e32 v0, 1, v0
	v_cmp_eq_u32_e64 s4, 1, v0
	v_mov_b32_e32 v0, v1
	s_xor_b32 s70, s4, -1
	s_mov_b32 s4, s5
	s_and_saveexec_b32 s42, s70
; %bb.130:
	v_cmp_gt_f32_e64 s4, v1, v64
	s_and_b32 s4, s5, s4
	v_cndmask_b32_e64 v0, v64, v1, s4
	s_or_b32 s4, s5, exec_lo
; %bb.131:
	s_or_b32 exec_lo, exec_lo, s42
	s_andn2_b32 s5, s5, exec_lo
	s_and_b32 s4, s4, exec_lo
	s_or_b32 s5, s5, s4
	s_or_b32 exec_lo, exec_lo, s34
	s_and_saveexec_b32 s34, s67
	s_cbranch_execnz .LBB717_69
.LBB717_132:
	s_or_b32 exec_lo, exec_lo, s34
	s_and_saveexec_b32 s34, s66
	s_cbranch_execz .LBB717_72
.LBB717_133:
	global_load_ubyte v32, v[98:99], off offset:96
	s_waitcnt vmcnt(0)
	v_and_b32_e32 v32, 1, v32
	v_cmp_eq_u32_e64 s4, 1, v32
	s_xor_b32 s70, s4, -1
	s_mov_b32 s4, s5
	s_and_saveexec_b32 s42, s70
; %bb.134:
	v_cmp_gt_f32_e64 s4, v0, v3
	s_and_b32 s4, s5, s4
	v_cndmask_b32_e64 v0, v3, v0, s4
	s_or_b32 s4, s5, exec_lo
; %bb.135:
	s_or_b32 exec_lo, exec_lo, s42
	s_andn2_b32 s5, s5, exec_lo
	s_and_b32 s4, s4, exec_lo
	s_or_b32 s5, s5, s4
	s_or_b32 exec_lo, exec_lo, s34
	s_and_saveexec_b32 s34, s65
	s_cbranch_execnz .LBB717_73
.LBB717_136:
	s_or_b32 exec_lo, exec_lo, s34
	s_and_saveexec_b32 s34, s64
	s_cbranch_execz .LBB717_76
.LBB717_137:
	global_load_ubyte v32, v[98:99], off offset:160
	s_waitcnt vmcnt(0)
	v_and_b32_e32 v32, 1, v32
	v_cmp_eq_u32_e64 s4, 1, v32
	s_xor_b32 s70, s4, -1
	s_mov_b32 s4, s5
	s_and_saveexec_b32 s42, s70
; %bb.138:
	v_cmp_gt_f32_e64 s4, v0, v5
	s_and_b32 s4, s5, s4
	v_cndmask_b32_e64 v0, v5, v0, s4
	s_or_b32 s4, s5, exec_lo
; %bb.139:
	s_or_b32 exec_lo, exec_lo, s42
	s_andn2_b32 s5, s5, exec_lo
	s_and_b32 s4, s4, exec_lo
	s_or_b32 s5, s5, s4
	s_or_b32 exec_lo, exec_lo, s34
	s_and_saveexec_b32 s34, s63
	s_cbranch_execnz .LBB717_77
.LBB717_140:
	s_or_b32 exec_lo, exec_lo, s34
	s_and_saveexec_b32 s34, s62
	s_cbranch_execz .LBB717_80
.LBB717_141:
	global_load_ubyte v32, v[98:99], off offset:224
	s_waitcnt vmcnt(0)
	v_and_b32_e32 v32, 1, v32
	v_cmp_eq_u32_e64 s4, 1, v32
	s_xor_b32 s70, s4, -1
	s_mov_b32 s4, s5
	s_and_saveexec_b32 s42, s70
; %bb.142:
	v_cmp_gt_f32_e64 s4, v0, v7
	s_and_b32 s4, s5, s4
	v_cndmask_b32_e64 v0, v7, v0, s4
	s_or_b32 s4, s5, exec_lo
; %bb.143:
	s_or_b32 exec_lo, exec_lo, s42
	s_andn2_b32 s5, s5, exec_lo
	s_and_b32 s4, s4, exec_lo
	s_or_b32 s5, s5, s4
	s_or_b32 exec_lo, exec_lo, s34
	s_and_saveexec_b32 s34, s61
	s_cbranch_execnz .LBB717_81
.LBB717_144:
	s_or_b32 exec_lo, exec_lo, s34
	s_and_saveexec_b32 s34, s60
	s_cbranch_execz .LBB717_84
.LBB717_145:
	global_load_ubyte v32, v[98:99], off offset:288
	s_waitcnt vmcnt(0)
	v_and_b32_e32 v32, 1, v32
	v_cmp_eq_u32_e64 s4, 1, v32
	s_xor_b32 s70, s4, -1
	s_mov_b32 s4, s5
	s_and_saveexec_b32 s42, s70
; %bb.146:
	v_cmp_gt_f32_e64 s4, v0, v9
	s_and_b32 s4, s5, s4
	v_cndmask_b32_e64 v0, v9, v0, s4
	s_or_b32 s4, s5, exec_lo
; %bb.147:
	s_or_b32 exec_lo, exec_lo, s42
	s_andn2_b32 s5, s5, exec_lo
	s_and_b32 s4, s4, exec_lo
	s_or_b32 s5, s5, s4
	s_or_b32 exec_lo, exec_lo, s34
	s_and_saveexec_b32 s34, s59
	s_cbranch_execnz .LBB717_85
.LBB717_148:
	s_or_b32 exec_lo, exec_lo, s34
	s_and_saveexec_b32 s34, s58
	s_cbranch_execz .LBB717_88
.LBB717_149:
	global_load_ubyte v32, v[98:99], off offset:352
	s_waitcnt vmcnt(0)
	v_and_b32_e32 v32, 1, v32
	v_cmp_eq_u32_e64 s4, 1, v32
	s_xor_b32 s70, s4, -1
	s_mov_b32 s4, s5
	s_and_saveexec_b32 s42, s70
; %bb.150:
	v_cmp_gt_f32_e64 s4, v0, v11
	s_and_b32 s4, s5, s4
	v_cndmask_b32_e64 v0, v11, v0, s4
	s_or_b32 s4, s5, exec_lo
; %bb.151:
	s_or_b32 exec_lo, exec_lo, s42
	s_andn2_b32 s5, s5, exec_lo
	s_and_b32 s4, s4, exec_lo
	s_or_b32 s5, s5, s4
	s_or_b32 exec_lo, exec_lo, s34
	s_and_saveexec_b32 s34, s57
	s_cbranch_execnz .LBB717_89
.LBB717_152:
	s_or_b32 exec_lo, exec_lo, s34
	s_and_saveexec_b32 s34, s56
	s_cbranch_execz .LBB717_92
.LBB717_153:
	global_load_ubyte v32, v[98:99], off offset:416
	s_waitcnt vmcnt(0)
	v_and_b32_e32 v32, 1, v32
	v_cmp_eq_u32_e64 s4, 1, v32
	s_xor_b32 s70, s4, -1
	s_mov_b32 s4, s5
	s_and_saveexec_b32 s42, s70
; %bb.154:
	v_cmp_gt_f32_e64 s4, v0, v13
	s_and_b32 s4, s5, s4
	v_cndmask_b32_e64 v0, v13, v0, s4
	s_or_b32 s4, s5, exec_lo
; %bb.155:
	s_or_b32 exec_lo, exec_lo, s42
	s_andn2_b32 s5, s5, exec_lo
	s_and_b32 s4, s4, exec_lo
	s_or_b32 s5, s5, s4
	s_or_b32 exec_lo, exec_lo, s34
	s_and_saveexec_b32 s34, s55
	s_cbranch_execnz .LBB717_93
.LBB717_156:
	s_or_b32 exec_lo, exec_lo, s34
	s_and_saveexec_b32 s34, s54
	s_cbranch_execz .LBB717_96
.LBB717_157:
	global_load_ubyte v32, v[98:99], off offset:480
	s_waitcnt vmcnt(0)
	v_and_b32_e32 v32, 1, v32
	v_cmp_eq_u32_e64 s4, 1, v32
	s_xor_b32 s70, s4, -1
	s_mov_b32 s4, s5
	s_and_saveexec_b32 s42, s70
; %bb.158:
	v_cmp_gt_f32_e64 s4, v0, v15
	s_and_b32 s4, s5, s4
	v_cndmask_b32_e64 v0, v15, v0, s4
	s_or_b32 s4, s5, exec_lo
; %bb.159:
	s_or_b32 exec_lo, exec_lo, s42
	s_andn2_b32 s5, s5, exec_lo
	s_and_b32 s4, s4, exec_lo
	s_or_b32 s5, s5, s4
	s_or_b32 exec_lo, exec_lo, s34
	s_and_saveexec_b32 s34, s53
	s_cbranch_execnz .LBB717_97
.LBB717_160:
	s_or_b32 exec_lo, exec_lo, s34
	s_and_saveexec_b32 s34, s52
	s_cbranch_execz .LBB717_100
.LBB717_161:
	global_load_ubyte v32, v[98:99], off offset:544
	s_waitcnt vmcnt(0)
	v_and_b32_e32 v32, 1, v32
	v_cmp_eq_u32_e64 s4, 1, v32
	s_xor_b32 s70, s4, -1
	s_mov_b32 s4, s5
	s_and_saveexec_b32 s42, s70
; %bb.162:
	v_cmp_gt_f32_e64 s4, v0, v17
	s_and_b32 s4, s5, s4
	v_cndmask_b32_e64 v0, v17, v0, s4
	s_or_b32 s4, s5, exec_lo
; %bb.163:
	s_or_b32 exec_lo, exec_lo, s42
	s_andn2_b32 s5, s5, exec_lo
	s_and_b32 s4, s4, exec_lo
	s_or_b32 s5, s5, s4
	s_or_b32 exec_lo, exec_lo, s34
	s_and_saveexec_b32 s34, s51
	s_cbranch_execnz .LBB717_101
.LBB717_164:
	s_or_b32 exec_lo, exec_lo, s34
	s_and_saveexec_b32 s34, s50
	s_cbranch_execz .LBB717_104
.LBB717_165:
	global_load_ubyte v32, v[98:99], off offset:608
	s_waitcnt vmcnt(0)
	v_and_b32_e32 v32, 1, v32
	v_cmp_eq_u32_e64 s4, 1, v32
	s_xor_b32 s70, s4, -1
	s_mov_b32 s4, s5
	s_and_saveexec_b32 s42, s70
; %bb.166:
	v_cmp_gt_f32_e64 s4, v0, v19
	s_and_b32 s4, s5, s4
	v_cndmask_b32_e64 v0, v19, v0, s4
	s_or_b32 s4, s5, exec_lo
; %bb.167:
	s_or_b32 exec_lo, exec_lo, s42
	s_andn2_b32 s5, s5, exec_lo
	s_and_b32 s4, s4, exec_lo
	s_or_b32 s5, s5, s4
	s_or_b32 exec_lo, exec_lo, s34
	s_and_saveexec_b32 s34, s49
	s_cbranch_execnz .LBB717_105
.LBB717_168:
	s_or_b32 exec_lo, exec_lo, s34
	s_and_saveexec_b32 s34, s48
	s_cbranch_execz .LBB717_108
.LBB717_169:
	global_load_ubyte v32, v[98:99], off offset:672
	s_waitcnt vmcnt(0)
	v_and_b32_e32 v32, 1, v32
	v_cmp_eq_u32_e64 s4, 1, v32
	s_xor_b32 s70, s4, -1
	s_mov_b32 s4, s5
	s_and_saveexec_b32 s42, s70
; %bb.170:
	v_cmp_gt_f32_e64 s4, v0, v21
	s_and_b32 s4, s5, s4
	v_cndmask_b32_e64 v0, v21, v0, s4
	s_or_b32 s4, s5, exec_lo
; %bb.171:
	s_or_b32 exec_lo, exec_lo, s42
	s_andn2_b32 s5, s5, exec_lo
	s_and_b32 s4, s4, exec_lo
	s_or_b32 s5, s5, s4
	s_or_b32 exec_lo, exec_lo, s34
	s_and_saveexec_b32 s34, s47
	s_cbranch_execnz .LBB717_109
.LBB717_172:
	s_or_b32 exec_lo, exec_lo, s34
	s_and_saveexec_b32 s34, s46
	s_cbranch_execz .LBB717_112
.LBB717_173:
	global_load_ubyte v32, v[98:99], off offset:736
	s_waitcnt vmcnt(0)
	v_and_b32_e32 v32, 1, v32
	v_cmp_eq_u32_e64 s4, 1, v32
	s_xor_b32 s70, s4, -1
	s_mov_b32 s4, s5
	s_and_saveexec_b32 s42, s70
; %bb.174:
	v_cmp_gt_f32_e64 s4, v0, v23
	s_and_b32 s4, s5, s4
	v_cndmask_b32_e64 v0, v23, v0, s4
	s_or_b32 s4, s5, exec_lo
; %bb.175:
	s_or_b32 exec_lo, exec_lo, s42
	s_andn2_b32 s5, s5, exec_lo
	s_and_b32 s4, s4, exec_lo
	s_or_b32 s5, s5, s4
	s_or_b32 exec_lo, exec_lo, s34
	s_and_saveexec_b32 s34, s45
	s_cbranch_execnz .LBB717_113
.LBB717_176:
	s_or_b32 exec_lo, exec_lo, s34
	s_and_saveexec_b32 s34, s44
	s_cbranch_execz .LBB717_116
.LBB717_177:
	global_load_ubyte v32, v[98:99], off offset:800
	s_waitcnt vmcnt(0)
	v_and_b32_e32 v32, 1, v32
	v_cmp_eq_u32_e64 s4, 1, v32
	s_xor_b32 s70, s4, -1
	s_mov_b32 s4, s5
	s_and_saveexec_b32 s42, s70
; %bb.178:
	v_cmp_gt_f32_e64 s4, v0, v25
	s_and_b32 s4, s5, s4
	v_cndmask_b32_e64 v0, v25, v0, s4
	s_or_b32 s4, s5, exec_lo
; %bb.179:
	s_or_b32 exec_lo, exec_lo, s42
	s_andn2_b32 s5, s5, exec_lo
	s_and_b32 s4, s4, exec_lo
	s_or_b32 s5, s5, s4
	s_or_b32 exec_lo, exec_lo, s34
	s_and_saveexec_b32 s34, s43
	s_cbranch_execnz .LBB717_117
.LBB717_180:
	s_or_b32 exec_lo, exec_lo, s34
	s_and_saveexec_b32 s34, s41
	s_cbranch_execz .LBB717_120
.LBB717_181:
	global_load_ubyte v32, v[98:99], off offset:864
	s_waitcnt vmcnt(0)
	v_and_b32_e32 v32, 1, v32
	v_cmp_eq_u32_e64 s4, 1, v32
	s_xor_b32 s70, s4, -1
	s_mov_b32 s4, s5
	s_and_saveexec_b32 s42, s70
; %bb.182:
	v_cmp_gt_f32_e64 s4, v0, v27
	s_and_b32 s4, s5, s4
	v_cndmask_b32_e64 v0, v27, v0, s4
	s_or_b32 s4, s5, exec_lo
; %bb.183:
	s_or_b32 exec_lo, exec_lo, s42
	s_andn2_b32 s5, s5, exec_lo
	s_and_b32 s4, s4, exec_lo
	s_or_b32 s5, s5, s4
	s_or_b32 exec_lo, exec_lo, s34
	s_and_saveexec_b32 s34, s40
	s_cbranch_execnz .LBB717_121
.LBB717_184:
	s_or_b32 exec_lo, exec_lo, s34
	s_and_saveexec_b32 s34, s39
	s_cbranch_execz .LBB717_124
.LBB717_185:
	global_load_ubyte v32, v[98:99], off offset:928
	s_waitcnt vmcnt(0)
	v_and_b32_e32 v32, 1, v32
	v_cmp_eq_u32_e64 s4, 1, v32
	s_xor_b32 s70, s4, -1
	s_mov_b32 s4, s5
	s_and_saveexec_b32 s42, s70
; %bb.186:
	v_cmp_gt_f32_e64 s4, v0, v29
	s_and_b32 s4, s5, s4
	v_cndmask_b32_e64 v0, v29, v0, s4
	s_or_b32 s4, s5, exec_lo
; %bb.187:
	s_or_b32 exec_lo, exec_lo, s42
	s_andn2_b32 s5, s5, exec_lo
	s_and_b32 s4, s4, exec_lo
	s_or_b32 s5, s5, s4
	s_or_b32 exec_lo, exec_lo, s34
	s_and_saveexec_b32 s34, s38
	s_cbranch_execnz .LBB717_125
.LBB717_188:
	s_or_b32 exec_lo, exec_lo, s34
	s_and_saveexec_b32 s34, s35
	s_cbranch_execz .LBB717_192
.LBB717_189:
	global_load_ubyte v32, v[98:99], off offset:992
	s_waitcnt vmcnt(0)
	v_and_b32_e32 v32, 1, v32
	v_cmp_eq_u32_e64 s4, 1, v32
	s_xor_b32 s70, s4, -1
	s_mov_b32 s4, s5
	s_and_saveexec_b32 s42, s70
; %bb.190:
	v_cmp_gt_f32_e64 s4, v0, v31
	s_and_b32 s4, s5, s4
	v_cndmask_b32_e64 v0, v31, v0, s4
	s_or_b32 s4, s5, exec_lo
; %bb.191:
	s_or_b32 exec_lo, exec_lo, s42
	s_andn2_b32 s5, s5, exec_lo
	s_and_b32 s4, s4, exec_lo
	s_or_b32 s5, s5, s4
.LBB717_192:
	s_or_b32 exec_lo, exec_lo, s34
	v_mbcnt_lo_u32_b32 v32, -1, 0
	v_cndmask_b32_e64 v0, 0xff800000, v0, s5
	s_xor_b32 s5, s69, -1
	v_xor_b32_e32 v33, 16, v32
	v_xor_b32_e32 v34, 8, v32
	v_cmp_gt_i32_e64 s4, 32, v33
	v_cndmask_b32_e64 v33, v32, v33, s4
	v_cmp_gt_i32_e64 s4, 32, v34
	v_lshlrev_b32_e32 v101, 2, v33
	v_cndmask_b32_e64 v34, v32, v34, s4
	ds_bpermute_b32 v33, v101, v0
	v_lshlrev_b32_e32 v102, 2, v34
	v_xor_b32_e32 v34, 4, v32
	s_waitcnt lgkmcnt(0)
	v_cmp_lt_f32_e64 s4, v0, v33
	v_cndmask_b32_e64 v0, v0, v33, s4
	v_cmp_gt_i32_e64 s4, 32, v34
	ds_bpermute_b32 v33, v102, v0
	v_cndmask_b32_e64 v34, v32, v34, s4
	v_lshlrev_b32_e32 v103, 2, v34
	v_xor_b32_e32 v34, 2, v32
	s_waitcnt lgkmcnt(0)
	v_cmp_lt_f32_e64 s4, v0, v33
	v_cndmask_b32_e64 v0, v0, v33, s4
	v_cmp_gt_i32_e64 s4, 32, v34
	ds_bpermute_b32 v33, v103, v0
	v_cndmask_b32_e64 v34, v32, v34, s4
	;; [unrolled: 8-line block ×3, first 2 shown]
	v_lshlrev_b32_e32 v105, 2, v32
	s_waitcnt lgkmcnt(0)
	v_cmp_lt_f32_e64 s4, v0, v33
	v_cndmask_b32_e64 v0, v0, v33, s4
	ds_bpermute_b32 v32, v105, v0
	s_waitcnt lgkmcnt(0)
	v_cmp_lt_f32_e64 s4, v0, v32
	v_cndmask_b32_e64 v106, v0, v32, s4
	v_mov_b32_e32 v0, 0
	s_and_saveexec_b32 s34, s68
	s_cbranch_execz .LBB717_196
; %bb.193:
	global_load_ubyte v0, v[98:99], off
	s_waitcnt vmcnt(0)
	v_and_b32_e32 v0, 1, v0
	v_cmp_eq_u32_e64 s4, 1, v0
	v_mov_b32_e32 v0, 0
	s_xor_b32 s4, s4, -1
	s_and_saveexec_b32 s42, s4
	s_cbranch_execz .LBB717_195
; %bb.194:
	v_sub_f32_e32 v0, v1, v106
	v_mul_f32_e32 v1, 0x3fb8aa3b, v0
	v_cmp_ngt_f32_e64 s4, 0xc2ce8ed0, v0
	v_fma_f32 v32, 0x3fb8aa3b, v0, -v1
	v_rndne_f32_e32 v33, v1
	v_fmamk_f32 v32, v0, 0x32a5705f, v32
	v_sub_f32_e32 v1, v1, v33
	v_add_f32_e32 v1, v1, v32
	v_cvt_i32_f32_e32 v32, v33
	v_exp_f32_e32 v1, v1
	v_ldexp_f32 v1, v1, v32
	v_cndmask_b32_e64 v1, 0, v1, s4
	v_cmp_nlt_f32_e64 s4, 0x42b17218, v0
	v_cndmask_b32_e64 v0, 0x7f800000, v1, s4
.LBB717_195:
	s_or_b32 exec_lo, exec_lo, s42
.LBB717_196:
	s_or_b32 exec_lo, exec_lo, s34
                                        ; implicit-def: $vgpr32_vgpr33_vgpr34_vgpr35_vgpr36_vgpr37_vgpr38_vgpr39_vgpr40_vgpr41_vgpr42_vgpr43_vgpr44_vgpr45_vgpr46_vgpr47_vgpr48_vgpr49_vgpr50_vgpr51_vgpr52_vgpr53_vgpr54_vgpr55_vgpr56_vgpr57_vgpr58_vgpr59_vgpr60_vgpr61_vgpr62_vgpr63
	s_and_saveexec_b32 s4, s5
	s_xor_b32 s4, exec_lo, s4
	s_cbranch_execz .LBB717_258
; %bb.197:
	s_mov_b32 s5, 0
                                        ; implicit-def: $vgpr64
	v_mov_b32_e32 v1, s5
	v_mov_b32_e32 v63, v31
	;; [unrolled: 1-line block ×33, first 2 shown]
	s_or_saveexec_b32 s34, s4
	s_xor_b32 s5, s67, -1
	s_xor_b32 exec_lo, exec_lo, s34
	s_cbranch_execnz .LBB717_259
.LBB717_198:
	s_or_b32 exec_lo, exec_lo, s34
                                        ; implicit-def: $vgpr64_vgpr65_vgpr66_vgpr67_vgpr68_vgpr69_vgpr70_vgpr71_vgpr72_vgpr73_vgpr74_vgpr75_vgpr76_vgpr77_vgpr78_vgpr79_vgpr80_vgpr81_vgpr82_vgpr83_vgpr84_vgpr85_vgpr86_vgpr87_vgpr88_vgpr89_vgpr90_vgpr91_vgpr92_vgpr93_vgpr94_vgpr95
	s_and_saveexec_b32 s4, s5
	s_xor_b32 s4, exec_lo, s4
	s_cbranch_execz .LBB717_262
.LBB717_199:
	s_mov_b32 s5, 0
	v_mov_b32_e32 v34, s5
	v_mov_b32_e32 v95, v63
	;; [unrolled: 1-line block ×33, first 2 shown]
                                        ; implicit-def: $vgpr32_vgpr33_vgpr34_vgpr35_vgpr36_vgpr37_vgpr38_vgpr39_vgpr40_vgpr41_vgpr42_vgpr43_vgpr44_vgpr45_vgpr46_vgpr47_vgpr48_vgpr49_vgpr50_vgpr51_vgpr52_vgpr53_vgpr54_vgpr55_vgpr56_vgpr57_vgpr58_vgpr59_vgpr60_vgpr61_vgpr62_vgpr63
	s_or_saveexec_b32 s34, s4
	s_xor_b32 s5, s66, -1
	s_xor_b32 exec_lo, exec_lo, s34
	s_cbranch_execnz .LBB717_263
.LBB717_200:
	s_or_b32 exec_lo, exec_lo, s34
                                        ; implicit-def: $vgpr1_vgpr2_vgpr3_vgpr4_vgpr5_vgpr6_vgpr7_vgpr8_vgpr9_vgpr10_vgpr11_vgpr12_vgpr13_vgpr14_vgpr15_vgpr16_vgpr17_vgpr18_vgpr19_vgpr20_vgpr21_vgpr22_vgpr23_vgpr24_vgpr25_vgpr26_vgpr27_vgpr28_vgpr29_vgpr30_vgpr31_vgpr32
	s_and_saveexec_b32 s4, s5
	s_xor_b32 s4, exec_lo, s4
	s_cbranch_execz .LBB717_266
.LBB717_201:
	s_mov_b32 s5, 0
	v_mov_b32_e32 v67, s5
	v_mov_b32_e32 v1, v64
	;; [unrolled: 1-line block ×33, first 2 shown]
                                        ; implicit-def: $vgpr64_vgpr65_vgpr66_vgpr67_vgpr68_vgpr69_vgpr70_vgpr71_vgpr72_vgpr73_vgpr74_vgpr75_vgpr76_vgpr77_vgpr78_vgpr79_vgpr80_vgpr81_vgpr82_vgpr83_vgpr84_vgpr85_vgpr86_vgpr87_vgpr88_vgpr89_vgpr90_vgpr91_vgpr92_vgpr93_vgpr94_vgpr95
	s_or_saveexec_b32 s34, s4
	s_xor_b32 s5, s65, -1
	s_xor_b32 exec_lo, exec_lo, s34
	s_cbranch_execnz .LBB717_267
.LBB717_202:
	s_or_b32 exec_lo, exec_lo, s34
                                        ; implicit-def: $vgpr33_vgpr34_vgpr35_vgpr36_vgpr37_vgpr38_vgpr39_vgpr40_vgpr41_vgpr42_vgpr43_vgpr44_vgpr45_vgpr46_vgpr47_vgpr48_vgpr49_vgpr50_vgpr51_vgpr52_vgpr53_vgpr54_vgpr55_vgpr56_vgpr57_vgpr58_vgpr59_vgpr60_vgpr61_vgpr62_vgpr63_vgpr64
	s_and_saveexec_b32 s4, s5
	s_xor_b32 s4, exec_lo, s4
	s_cbranch_execz .LBB717_270
.LBB717_203:
	s_mov_b32 s5, 0
	v_mov_b32_e32 v5, s5
	v_mov_b32_e32 v64, v32
	;; [unrolled: 1-line block ×33, first 2 shown]
                                        ; implicit-def: $vgpr1_vgpr2_vgpr3_vgpr4_vgpr5_vgpr6_vgpr7_vgpr8_vgpr9_vgpr10_vgpr11_vgpr12_vgpr13_vgpr14_vgpr15_vgpr16_vgpr17_vgpr18_vgpr19_vgpr20_vgpr21_vgpr22_vgpr23_vgpr24_vgpr25_vgpr26_vgpr27_vgpr28_vgpr29_vgpr30_vgpr31_vgpr32
	s_or_saveexec_b32 s34, s4
	s_xor_b32 s5, s64, -1
	s_xor_b32 exec_lo, exec_lo, s34
	s_cbranch_execnz .LBB717_271
.LBB717_204:
	s_or_b32 exec_lo, exec_lo, s34
                                        ; implicit-def: $vgpr1_vgpr2_vgpr3_vgpr4_vgpr5_vgpr6_vgpr7_vgpr8_vgpr9_vgpr10_vgpr11_vgpr12_vgpr13_vgpr14_vgpr15_vgpr16_vgpr17_vgpr18_vgpr19_vgpr20_vgpr21_vgpr22_vgpr23_vgpr24_vgpr25_vgpr26_vgpr27_vgpr28_vgpr29_vgpr30_vgpr31_vgpr32
	s_and_saveexec_b32 s4, s5
	s_xor_b32 s4, exec_lo, s4
	s_cbranch_execz .LBB717_274
.LBB717_205:
	s_mov_b32 s5, 0
	v_mov_b32_e32 v38, s5
	v_mov_b32_e32 v1, v33
	;; [unrolled: 1-line block ×33, first 2 shown]
                                        ; implicit-def: $vgpr33_vgpr34_vgpr35_vgpr36_vgpr37_vgpr38_vgpr39_vgpr40_vgpr41_vgpr42_vgpr43_vgpr44_vgpr45_vgpr46_vgpr47_vgpr48_vgpr49_vgpr50_vgpr51_vgpr52_vgpr53_vgpr54_vgpr55_vgpr56_vgpr57_vgpr58_vgpr59_vgpr60_vgpr61_vgpr62_vgpr63_vgpr64
	s_or_saveexec_b32 s34, s4
	s_xor_b32 s5, s63, -1
	s_xor_b32 exec_lo, exec_lo, s34
	s_cbranch_execnz .LBB717_275
.LBB717_206:
	s_or_b32 exec_lo, exec_lo, s34
                                        ; implicit-def: $vgpr33_vgpr34_vgpr35_vgpr36_vgpr37_vgpr38_vgpr39_vgpr40_vgpr41_vgpr42_vgpr43_vgpr44_vgpr45_vgpr46_vgpr47_vgpr48_vgpr49_vgpr50_vgpr51_vgpr52_vgpr53_vgpr54_vgpr55_vgpr56_vgpr57_vgpr58_vgpr59_vgpr60_vgpr61_vgpr62_vgpr63_vgpr64
	s_and_saveexec_b32 s4, s5
	s_xor_b32 s4, exec_lo, s4
	s_cbranch_execz .LBB717_278
.LBB717_207:
	s_mov_b32 s5, 0
	v_mov_b32_e32 v7, s5
	v_mov_b32_e32 v64, v32
	;; [unrolled: 1-line block ×33, first 2 shown]
                                        ; implicit-def: $vgpr1_vgpr2_vgpr3_vgpr4_vgpr5_vgpr6_vgpr7_vgpr8_vgpr9_vgpr10_vgpr11_vgpr12_vgpr13_vgpr14_vgpr15_vgpr16_vgpr17_vgpr18_vgpr19_vgpr20_vgpr21_vgpr22_vgpr23_vgpr24_vgpr25_vgpr26_vgpr27_vgpr28_vgpr29_vgpr30_vgpr31_vgpr32
	s_or_saveexec_b32 s34, s4
	s_xor_b32 s5, s62, -1
	s_xor_b32 exec_lo, exec_lo, s34
	s_cbranch_execnz .LBB717_279
.LBB717_208:
	s_or_b32 exec_lo, exec_lo, s34
                                        ; implicit-def: $vgpr1_vgpr2_vgpr3_vgpr4_vgpr5_vgpr6_vgpr7_vgpr8_vgpr9_vgpr10_vgpr11_vgpr12_vgpr13_vgpr14_vgpr15_vgpr16_vgpr17_vgpr18_vgpr19_vgpr20_vgpr21_vgpr22_vgpr23_vgpr24_vgpr25_vgpr26_vgpr27_vgpr28_vgpr29_vgpr30_vgpr31_vgpr32
	s_and_saveexec_b32 s4, s5
	s_xor_b32 s4, exec_lo, s4
	s_cbranch_execz .LBB717_282
.LBB717_209:
	s_mov_b32 s5, 0
	v_mov_b32_e32 v40, s5
	v_mov_b32_e32 v1, v33
	;; [unrolled: 1-line block ×33, first 2 shown]
                                        ; implicit-def: $vgpr33_vgpr34_vgpr35_vgpr36_vgpr37_vgpr38_vgpr39_vgpr40_vgpr41_vgpr42_vgpr43_vgpr44_vgpr45_vgpr46_vgpr47_vgpr48_vgpr49_vgpr50_vgpr51_vgpr52_vgpr53_vgpr54_vgpr55_vgpr56_vgpr57_vgpr58_vgpr59_vgpr60_vgpr61_vgpr62_vgpr63_vgpr64
	s_or_saveexec_b32 s34, s4
	s_xor_b32 s5, s61, -1
	s_xor_b32 exec_lo, exec_lo, s34
	s_cbranch_execnz .LBB717_283
.LBB717_210:
	s_or_b32 exec_lo, exec_lo, s34
                                        ; implicit-def: $vgpr33_vgpr34_vgpr35_vgpr36_vgpr37_vgpr38_vgpr39_vgpr40_vgpr41_vgpr42_vgpr43_vgpr44_vgpr45_vgpr46_vgpr47_vgpr48_vgpr49_vgpr50_vgpr51_vgpr52_vgpr53_vgpr54_vgpr55_vgpr56_vgpr57_vgpr58_vgpr59_vgpr60_vgpr61_vgpr62_vgpr63_vgpr64
	s_and_saveexec_b32 s4, s5
	s_xor_b32 s4, exec_lo, s4
	s_cbranch_execz .LBB717_286
.LBB717_211:
	s_mov_b32 s5, 0
	v_mov_b32_e32 v9, s5
	v_mov_b32_e32 v64, v32
	;; [unrolled: 1-line block ×33, first 2 shown]
                                        ; implicit-def: $vgpr1_vgpr2_vgpr3_vgpr4_vgpr5_vgpr6_vgpr7_vgpr8_vgpr9_vgpr10_vgpr11_vgpr12_vgpr13_vgpr14_vgpr15_vgpr16_vgpr17_vgpr18_vgpr19_vgpr20_vgpr21_vgpr22_vgpr23_vgpr24_vgpr25_vgpr26_vgpr27_vgpr28_vgpr29_vgpr30_vgpr31_vgpr32
	s_or_saveexec_b32 s34, s4
	s_xor_b32 s5, s60, -1
	s_xor_b32 exec_lo, exec_lo, s34
	s_cbranch_execnz .LBB717_287
.LBB717_212:
	s_or_b32 exec_lo, exec_lo, s34
                                        ; implicit-def: $vgpr1_vgpr2_vgpr3_vgpr4_vgpr5_vgpr6_vgpr7_vgpr8_vgpr9_vgpr10_vgpr11_vgpr12_vgpr13_vgpr14_vgpr15_vgpr16_vgpr17_vgpr18_vgpr19_vgpr20_vgpr21_vgpr22_vgpr23_vgpr24_vgpr25_vgpr26_vgpr27_vgpr28_vgpr29_vgpr30_vgpr31_vgpr32
	s_and_saveexec_b32 s4, s5
	s_xor_b32 s4, exec_lo, s4
	s_cbranch_execz .LBB717_290
.LBB717_213:
	s_mov_b32 s5, 0
	v_mov_b32_e32 v42, s5
	v_mov_b32_e32 v1, v33
	;; [unrolled: 1-line block ×33, first 2 shown]
                                        ; implicit-def: $vgpr33_vgpr34_vgpr35_vgpr36_vgpr37_vgpr38_vgpr39_vgpr40_vgpr41_vgpr42_vgpr43_vgpr44_vgpr45_vgpr46_vgpr47_vgpr48_vgpr49_vgpr50_vgpr51_vgpr52_vgpr53_vgpr54_vgpr55_vgpr56_vgpr57_vgpr58_vgpr59_vgpr60_vgpr61_vgpr62_vgpr63_vgpr64
	s_or_saveexec_b32 s34, s4
	s_xor_b32 s5, s59, -1
	s_xor_b32 exec_lo, exec_lo, s34
	s_cbranch_execnz .LBB717_291
.LBB717_214:
	s_or_b32 exec_lo, exec_lo, s34
                                        ; implicit-def: $vgpr33_vgpr34_vgpr35_vgpr36_vgpr37_vgpr38_vgpr39_vgpr40_vgpr41_vgpr42_vgpr43_vgpr44_vgpr45_vgpr46_vgpr47_vgpr48_vgpr49_vgpr50_vgpr51_vgpr52_vgpr53_vgpr54_vgpr55_vgpr56_vgpr57_vgpr58_vgpr59_vgpr60_vgpr61_vgpr62_vgpr63_vgpr64
	s_and_saveexec_b32 s4, s5
	s_xor_b32 s4, exec_lo, s4
	s_cbranch_execz .LBB717_294
.LBB717_215:
	s_mov_b32 s5, 0
	v_mov_b32_e32 v11, s5
	v_mov_b32_e32 v64, v32
	;; [unrolled: 1-line block ×33, first 2 shown]
                                        ; implicit-def: $vgpr1_vgpr2_vgpr3_vgpr4_vgpr5_vgpr6_vgpr7_vgpr8_vgpr9_vgpr10_vgpr11_vgpr12_vgpr13_vgpr14_vgpr15_vgpr16_vgpr17_vgpr18_vgpr19_vgpr20_vgpr21_vgpr22_vgpr23_vgpr24_vgpr25_vgpr26_vgpr27_vgpr28_vgpr29_vgpr30_vgpr31_vgpr32
	s_or_saveexec_b32 s34, s4
	s_xor_b32 s5, s58, -1
	s_xor_b32 exec_lo, exec_lo, s34
	s_cbranch_execnz .LBB717_295
.LBB717_216:
	s_or_b32 exec_lo, exec_lo, s34
                                        ; implicit-def: $vgpr1_vgpr2_vgpr3_vgpr4_vgpr5_vgpr6_vgpr7_vgpr8_vgpr9_vgpr10_vgpr11_vgpr12_vgpr13_vgpr14_vgpr15_vgpr16_vgpr17_vgpr18_vgpr19_vgpr20_vgpr21_vgpr22_vgpr23_vgpr24_vgpr25_vgpr26_vgpr27_vgpr28_vgpr29_vgpr30_vgpr31_vgpr32
	s_and_saveexec_b32 s4, s5
	s_xor_b32 s4, exec_lo, s4
	s_cbranch_execz .LBB717_298
.LBB717_217:
	s_mov_b32 s5, 0
	v_mov_b32_e32 v44, s5
	v_mov_b32_e32 v1, v33
	;; [unrolled: 1-line block ×33, first 2 shown]
                                        ; implicit-def: $vgpr33_vgpr34_vgpr35_vgpr36_vgpr37_vgpr38_vgpr39_vgpr40_vgpr41_vgpr42_vgpr43_vgpr44_vgpr45_vgpr46_vgpr47_vgpr48_vgpr49_vgpr50_vgpr51_vgpr52_vgpr53_vgpr54_vgpr55_vgpr56_vgpr57_vgpr58_vgpr59_vgpr60_vgpr61_vgpr62_vgpr63_vgpr64
	s_or_saveexec_b32 s34, s4
	s_xor_b32 s5, s57, -1
	s_xor_b32 exec_lo, exec_lo, s34
	s_cbranch_execnz .LBB717_299
.LBB717_218:
	s_or_b32 exec_lo, exec_lo, s34
                                        ; implicit-def: $vgpr33_vgpr34_vgpr35_vgpr36_vgpr37_vgpr38_vgpr39_vgpr40_vgpr41_vgpr42_vgpr43_vgpr44_vgpr45_vgpr46_vgpr47_vgpr48_vgpr49_vgpr50_vgpr51_vgpr52_vgpr53_vgpr54_vgpr55_vgpr56_vgpr57_vgpr58_vgpr59_vgpr60_vgpr61_vgpr62_vgpr63_vgpr64
	s_and_saveexec_b32 s4, s5
	s_xor_b32 s4, exec_lo, s4
	s_cbranch_execz .LBB717_302
.LBB717_219:
	s_mov_b32 s5, 0
	v_mov_b32_e32 v13, s5
	v_mov_b32_e32 v64, v32
	;; [unrolled: 1-line block ×33, first 2 shown]
                                        ; implicit-def: $vgpr1_vgpr2_vgpr3_vgpr4_vgpr5_vgpr6_vgpr7_vgpr8_vgpr9_vgpr10_vgpr11_vgpr12_vgpr13_vgpr14_vgpr15_vgpr16_vgpr17_vgpr18_vgpr19_vgpr20_vgpr21_vgpr22_vgpr23_vgpr24_vgpr25_vgpr26_vgpr27_vgpr28_vgpr29_vgpr30_vgpr31_vgpr32
	s_or_saveexec_b32 s34, s4
	s_xor_b32 s5, s56, -1
	s_xor_b32 exec_lo, exec_lo, s34
	s_cbranch_execnz .LBB717_303
.LBB717_220:
	s_or_b32 exec_lo, exec_lo, s34
                                        ; implicit-def: $vgpr1_vgpr2_vgpr3_vgpr4_vgpr5_vgpr6_vgpr7_vgpr8_vgpr9_vgpr10_vgpr11_vgpr12_vgpr13_vgpr14_vgpr15_vgpr16_vgpr17_vgpr18_vgpr19_vgpr20_vgpr21_vgpr22_vgpr23_vgpr24_vgpr25_vgpr26_vgpr27_vgpr28_vgpr29_vgpr30_vgpr31_vgpr32
	s_and_saveexec_b32 s4, s5
	s_xor_b32 s4, exec_lo, s4
	s_cbranch_execz .LBB717_306
.LBB717_221:
	s_mov_b32 s5, 0
	v_mov_b32_e32 v46, s5
	v_mov_b32_e32 v1, v33
	;; [unrolled: 1-line block ×33, first 2 shown]
                                        ; implicit-def: $vgpr33_vgpr34_vgpr35_vgpr36_vgpr37_vgpr38_vgpr39_vgpr40_vgpr41_vgpr42_vgpr43_vgpr44_vgpr45_vgpr46_vgpr47_vgpr48_vgpr49_vgpr50_vgpr51_vgpr52_vgpr53_vgpr54_vgpr55_vgpr56_vgpr57_vgpr58_vgpr59_vgpr60_vgpr61_vgpr62_vgpr63_vgpr64
	s_or_saveexec_b32 s34, s4
	s_xor_b32 s5, s55, -1
	s_xor_b32 exec_lo, exec_lo, s34
	s_cbranch_execnz .LBB717_307
.LBB717_222:
	s_or_b32 exec_lo, exec_lo, s34
                                        ; implicit-def: $vgpr33_vgpr34_vgpr35_vgpr36_vgpr37_vgpr38_vgpr39_vgpr40_vgpr41_vgpr42_vgpr43_vgpr44_vgpr45_vgpr46_vgpr47_vgpr48_vgpr49_vgpr50_vgpr51_vgpr52_vgpr53_vgpr54_vgpr55_vgpr56_vgpr57_vgpr58_vgpr59_vgpr60_vgpr61_vgpr62_vgpr63_vgpr64
	s_and_saveexec_b32 s4, s5
	s_xor_b32 s4, exec_lo, s4
	s_cbranch_execz .LBB717_310
.LBB717_223:
	s_mov_b32 s5, 0
	v_mov_b32_e32 v15, s5
	v_mov_b32_e32 v64, v32
	;; [unrolled: 1-line block ×33, first 2 shown]
                                        ; implicit-def: $vgpr1_vgpr2_vgpr3_vgpr4_vgpr5_vgpr6_vgpr7_vgpr8_vgpr9_vgpr10_vgpr11_vgpr12_vgpr13_vgpr14_vgpr15_vgpr16_vgpr17_vgpr18_vgpr19_vgpr20_vgpr21_vgpr22_vgpr23_vgpr24_vgpr25_vgpr26_vgpr27_vgpr28_vgpr29_vgpr30_vgpr31_vgpr32
	s_or_saveexec_b32 s34, s4
	s_xor_b32 s5, s54, -1
	s_xor_b32 exec_lo, exec_lo, s34
	s_cbranch_execnz .LBB717_311
.LBB717_224:
	s_or_b32 exec_lo, exec_lo, s34
                                        ; implicit-def: $vgpr1_vgpr2_vgpr3_vgpr4_vgpr5_vgpr6_vgpr7_vgpr8_vgpr9_vgpr10_vgpr11_vgpr12_vgpr13_vgpr14_vgpr15_vgpr16_vgpr17_vgpr18_vgpr19_vgpr20_vgpr21_vgpr22_vgpr23_vgpr24_vgpr25_vgpr26_vgpr27_vgpr28_vgpr29_vgpr30_vgpr31_vgpr32
	s_and_saveexec_b32 s4, s5
	s_xor_b32 s4, exec_lo, s4
	s_cbranch_execz .LBB717_314
.LBB717_225:
	s_mov_b32 s5, 0
	v_mov_b32_e32 v48, s5
	v_mov_b32_e32 v1, v33
	;; [unrolled: 1-line block ×33, first 2 shown]
                                        ; implicit-def: $vgpr33_vgpr34_vgpr35_vgpr36_vgpr37_vgpr38_vgpr39_vgpr40_vgpr41_vgpr42_vgpr43_vgpr44_vgpr45_vgpr46_vgpr47_vgpr48_vgpr49_vgpr50_vgpr51_vgpr52_vgpr53_vgpr54_vgpr55_vgpr56_vgpr57_vgpr58_vgpr59_vgpr60_vgpr61_vgpr62_vgpr63_vgpr64
	s_or_saveexec_b32 s34, s4
	s_xor_b32 s5, s53, -1
	s_xor_b32 exec_lo, exec_lo, s34
	s_cbranch_execnz .LBB717_315
.LBB717_226:
	s_or_b32 exec_lo, exec_lo, s34
                                        ; implicit-def: $vgpr33_vgpr34_vgpr35_vgpr36_vgpr37_vgpr38_vgpr39_vgpr40_vgpr41_vgpr42_vgpr43_vgpr44_vgpr45_vgpr46_vgpr47_vgpr48_vgpr49_vgpr50_vgpr51_vgpr52_vgpr53_vgpr54_vgpr55_vgpr56_vgpr57_vgpr58_vgpr59_vgpr60_vgpr61_vgpr62_vgpr63_vgpr64
	s_and_saveexec_b32 s4, s5
	s_xor_b32 s4, exec_lo, s4
	s_cbranch_execz .LBB717_318
.LBB717_227:
	s_mov_b32 s5, 0
	v_mov_b32_e32 v17, s5
	v_mov_b32_e32 v64, v32
	;; [unrolled: 1-line block ×33, first 2 shown]
                                        ; implicit-def: $vgpr1_vgpr2_vgpr3_vgpr4_vgpr5_vgpr6_vgpr7_vgpr8_vgpr9_vgpr10_vgpr11_vgpr12_vgpr13_vgpr14_vgpr15_vgpr16_vgpr17_vgpr18_vgpr19_vgpr20_vgpr21_vgpr22_vgpr23_vgpr24_vgpr25_vgpr26_vgpr27_vgpr28_vgpr29_vgpr30_vgpr31_vgpr32
	s_or_saveexec_b32 s34, s4
	s_xor_b32 s5, s52, -1
	s_xor_b32 exec_lo, exec_lo, s34
	s_cbranch_execnz .LBB717_319
.LBB717_228:
	s_or_b32 exec_lo, exec_lo, s34
                                        ; implicit-def: $vgpr1_vgpr2_vgpr3_vgpr4_vgpr5_vgpr6_vgpr7_vgpr8_vgpr9_vgpr10_vgpr11_vgpr12_vgpr13_vgpr14_vgpr15_vgpr16_vgpr17_vgpr18_vgpr19_vgpr20_vgpr21_vgpr22_vgpr23_vgpr24_vgpr25_vgpr26_vgpr27_vgpr28_vgpr29_vgpr30_vgpr31_vgpr32
	s_and_saveexec_b32 s4, s5
	s_xor_b32 s4, exec_lo, s4
	s_cbranch_execz .LBB717_322
.LBB717_229:
	s_mov_b32 s5, 0
	v_mov_b32_e32 v50, s5
	v_mov_b32_e32 v1, v33
	;; [unrolled: 1-line block ×33, first 2 shown]
                                        ; implicit-def: $vgpr33_vgpr34_vgpr35_vgpr36_vgpr37_vgpr38_vgpr39_vgpr40_vgpr41_vgpr42_vgpr43_vgpr44_vgpr45_vgpr46_vgpr47_vgpr48_vgpr49_vgpr50_vgpr51_vgpr52_vgpr53_vgpr54_vgpr55_vgpr56_vgpr57_vgpr58_vgpr59_vgpr60_vgpr61_vgpr62_vgpr63_vgpr64
	s_or_saveexec_b32 s34, s4
	s_xor_b32 s5, s51, -1
	s_xor_b32 exec_lo, exec_lo, s34
	s_cbranch_execnz .LBB717_323
.LBB717_230:
	s_or_b32 exec_lo, exec_lo, s34
                                        ; implicit-def: $vgpr33_vgpr34_vgpr35_vgpr36_vgpr37_vgpr38_vgpr39_vgpr40_vgpr41_vgpr42_vgpr43_vgpr44_vgpr45_vgpr46_vgpr47_vgpr48_vgpr49_vgpr50_vgpr51_vgpr52_vgpr53_vgpr54_vgpr55_vgpr56_vgpr57_vgpr58_vgpr59_vgpr60_vgpr61_vgpr62_vgpr63_vgpr64
	s_and_saveexec_b32 s4, s5
	s_xor_b32 s4, exec_lo, s4
	s_cbranch_execz .LBB717_326
.LBB717_231:
	s_mov_b32 s5, 0
	v_mov_b32_e32 v19, s5
	v_mov_b32_e32 v64, v32
	;; [unrolled: 1-line block ×33, first 2 shown]
                                        ; implicit-def: $vgpr1_vgpr2_vgpr3_vgpr4_vgpr5_vgpr6_vgpr7_vgpr8_vgpr9_vgpr10_vgpr11_vgpr12_vgpr13_vgpr14_vgpr15_vgpr16_vgpr17_vgpr18_vgpr19_vgpr20_vgpr21_vgpr22_vgpr23_vgpr24_vgpr25_vgpr26_vgpr27_vgpr28_vgpr29_vgpr30_vgpr31_vgpr32
	s_or_saveexec_b32 s34, s4
	s_xor_b32 s5, s50, -1
	s_xor_b32 exec_lo, exec_lo, s34
	s_cbranch_execnz .LBB717_327
.LBB717_232:
	s_or_b32 exec_lo, exec_lo, s34
                                        ; implicit-def: $vgpr1_vgpr2_vgpr3_vgpr4_vgpr5_vgpr6_vgpr7_vgpr8_vgpr9_vgpr10_vgpr11_vgpr12_vgpr13_vgpr14_vgpr15_vgpr16_vgpr17_vgpr18_vgpr19_vgpr20_vgpr21_vgpr22_vgpr23_vgpr24_vgpr25_vgpr26_vgpr27_vgpr28_vgpr29_vgpr30_vgpr31_vgpr32
	s_and_saveexec_b32 s4, s5
	s_xor_b32 s4, exec_lo, s4
	s_cbranch_execz .LBB717_330
.LBB717_233:
	s_mov_b32 s5, 0
	v_mov_b32_e32 v52, s5
	v_mov_b32_e32 v1, v33
	v_mov_b32_e32 v2, v34
	v_mov_b32_e32 v3, v35
	v_mov_b32_e32 v4, v36
	v_mov_b32_e32 v5, v37
	v_mov_b32_e32 v6, v38
	v_mov_b32_e32 v7, v39
	v_mov_b32_e32 v8, v40
	v_mov_b32_e32 v9, v41
	v_mov_b32_e32 v10, v42
	v_mov_b32_e32 v11, v43
	v_mov_b32_e32 v12, v44
	v_mov_b32_e32 v13, v45
	v_mov_b32_e32 v14, v46
	v_mov_b32_e32 v15, v47
	v_mov_b32_e32 v16, v48
	v_mov_b32_e32 v17, v49
	v_mov_b32_e32 v18, v50
	v_mov_b32_e32 v19, v51
	v_mov_b32_e32 v20, v52
	v_mov_b32_e32 v21, v53
	v_mov_b32_e32 v22, v54
	v_mov_b32_e32 v23, v55
	v_mov_b32_e32 v24, v56
	v_mov_b32_e32 v25, v57
	v_mov_b32_e32 v26, v58
	v_mov_b32_e32 v27, v59
	v_mov_b32_e32 v28, v60
	v_mov_b32_e32 v29, v61
	v_mov_b32_e32 v30, v62
	v_mov_b32_e32 v31, v63
	v_mov_b32_e32 v32, v64
                                        ; implicit-def: $vgpr33_vgpr34_vgpr35_vgpr36_vgpr37_vgpr38_vgpr39_vgpr40_vgpr41_vgpr42_vgpr43_vgpr44_vgpr45_vgpr46_vgpr47_vgpr48_vgpr49_vgpr50_vgpr51_vgpr52_vgpr53_vgpr54_vgpr55_vgpr56_vgpr57_vgpr58_vgpr59_vgpr60_vgpr61_vgpr62_vgpr63_vgpr64
	s_or_saveexec_b32 s34, s4
	s_xor_b32 s5, s49, -1
	s_xor_b32 exec_lo, exec_lo, s34
	s_cbranch_execnz .LBB717_331
.LBB717_234:
	s_or_b32 exec_lo, exec_lo, s34
                                        ; implicit-def: $vgpr33_vgpr34_vgpr35_vgpr36_vgpr37_vgpr38_vgpr39_vgpr40_vgpr41_vgpr42_vgpr43_vgpr44_vgpr45_vgpr46_vgpr47_vgpr48_vgpr49_vgpr50_vgpr51_vgpr52_vgpr53_vgpr54_vgpr55_vgpr56_vgpr57_vgpr58_vgpr59_vgpr60_vgpr61_vgpr62_vgpr63_vgpr64
	s_and_saveexec_b32 s4, s5
	s_xor_b32 s4, exec_lo, s4
	s_cbranch_execz .LBB717_334
.LBB717_235:
	s_mov_b32 s5, 0
	v_mov_b32_e32 v21, s5
	v_mov_b32_e32 v64, v32
	;; [unrolled: 1-line block ×33, first 2 shown]
                                        ; implicit-def: $vgpr1_vgpr2_vgpr3_vgpr4_vgpr5_vgpr6_vgpr7_vgpr8_vgpr9_vgpr10_vgpr11_vgpr12_vgpr13_vgpr14_vgpr15_vgpr16_vgpr17_vgpr18_vgpr19_vgpr20_vgpr21_vgpr22_vgpr23_vgpr24_vgpr25_vgpr26_vgpr27_vgpr28_vgpr29_vgpr30_vgpr31_vgpr32
	s_or_saveexec_b32 s34, s4
	s_xor_b32 s5, s48, -1
	s_xor_b32 exec_lo, exec_lo, s34
	s_cbranch_execnz .LBB717_335
.LBB717_236:
	s_or_b32 exec_lo, exec_lo, s34
                                        ; implicit-def: $vgpr1_vgpr2_vgpr3_vgpr4_vgpr5_vgpr6_vgpr7_vgpr8_vgpr9_vgpr10_vgpr11_vgpr12_vgpr13_vgpr14_vgpr15_vgpr16_vgpr17_vgpr18_vgpr19_vgpr20_vgpr21_vgpr22_vgpr23_vgpr24_vgpr25_vgpr26_vgpr27_vgpr28_vgpr29_vgpr30_vgpr31_vgpr32
	s_and_saveexec_b32 s4, s5
	s_xor_b32 s4, exec_lo, s4
	s_cbranch_execz .LBB717_338
.LBB717_237:
	s_mov_b32 s5, 0
	v_mov_b32_e32 v54, s5
	v_mov_b32_e32 v1, v33
	;; [unrolled: 1-line block ×33, first 2 shown]
                                        ; implicit-def: $vgpr33_vgpr34_vgpr35_vgpr36_vgpr37_vgpr38_vgpr39_vgpr40_vgpr41_vgpr42_vgpr43_vgpr44_vgpr45_vgpr46_vgpr47_vgpr48_vgpr49_vgpr50_vgpr51_vgpr52_vgpr53_vgpr54_vgpr55_vgpr56_vgpr57_vgpr58_vgpr59_vgpr60_vgpr61_vgpr62_vgpr63_vgpr64
	s_or_saveexec_b32 s34, s4
	s_xor_b32 s5, s47, -1
	s_xor_b32 exec_lo, exec_lo, s34
	s_cbranch_execnz .LBB717_339
.LBB717_238:
	s_or_b32 exec_lo, exec_lo, s34
                                        ; implicit-def: $vgpr33_vgpr34_vgpr35_vgpr36_vgpr37_vgpr38_vgpr39_vgpr40_vgpr41_vgpr42_vgpr43_vgpr44_vgpr45_vgpr46_vgpr47_vgpr48_vgpr49_vgpr50_vgpr51_vgpr52_vgpr53_vgpr54_vgpr55_vgpr56_vgpr57_vgpr58_vgpr59_vgpr60_vgpr61_vgpr62_vgpr63_vgpr64
	s_and_saveexec_b32 s4, s5
	s_xor_b32 s4, exec_lo, s4
	s_cbranch_execz .LBB717_342
.LBB717_239:
	s_mov_b32 s5, 0
	v_mov_b32_e32 v23, s5
	v_mov_b32_e32 v64, v32
	;; [unrolled: 1-line block ×33, first 2 shown]
                                        ; implicit-def: $vgpr1_vgpr2_vgpr3_vgpr4_vgpr5_vgpr6_vgpr7_vgpr8_vgpr9_vgpr10_vgpr11_vgpr12_vgpr13_vgpr14_vgpr15_vgpr16_vgpr17_vgpr18_vgpr19_vgpr20_vgpr21_vgpr22_vgpr23_vgpr24_vgpr25_vgpr26_vgpr27_vgpr28_vgpr29_vgpr30_vgpr31_vgpr32
	s_or_saveexec_b32 s34, s4
	s_xor_b32 s5, s46, -1
	s_xor_b32 exec_lo, exec_lo, s34
	s_cbranch_execnz .LBB717_343
.LBB717_240:
	s_or_b32 exec_lo, exec_lo, s34
                                        ; implicit-def: $vgpr1_vgpr2_vgpr3_vgpr4_vgpr5_vgpr6_vgpr7_vgpr8_vgpr9_vgpr10_vgpr11_vgpr12_vgpr13_vgpr14_vgpr15_vgpr16_vgpr17_vgpr18_vgpr19_vgpr20_vgpr21_vgpr22_vgpr23_vgpr24_vgpr25_vgpr26_vgpr27_vgpr28_vgpr29_vgpr30_vgpr31_vgpr32
	s_and_saveexec_b32 s4, s5
	s_xor_b32 s4, exec_lo, s4
	s_cbranch_execz .LBB717_346
.LBB717_241:
	s_mov_b32 s5, 0
	v_mov_b32_e32 v56, s5
	v_mov_b32_e32 v1, v33
	;; [unrolled: 1-line block ×33, first 2 shown]
                                        ; implicit-def: $vgpr33_vgpr34_vgpr35_vgpr36_vgpr37_vgpr38_vgpr39_vgpr40_vgpr41_vgpr42_vgpr43_vgpr44_vgpr45_vgpr46_vgpr47_vgpr48_vgpr49_vgpr50_vgpr51_vgpr52_vgpr53_vgpr54_vgpr55_vgpr56_vgpr57_vgpr58_vgpr59_vgpr60_vgpr61_vgpr62_vgpr63_vgpr64
	s_or_saveexec_b32 s34, s4
	s_xor_b32 s5, s45, -1
	s_xor_b32 exec_lo, exec_lo, s34
	s_cbranch_execnz .LBB717_347
.LBB717_242:
	s_or_b32 exec_lo, exec_lo, s34
                                        ; implicit-def: $vgpr33_vgpr34_vgpr35_vgpr36_vgpr37_vgpr38_vgpr39_vgpr40_vgpr41_vgpr42_vgpr43_vgpr44_vgpr45_vgpr46_vgpr47_vgpr48_vgpr49_vgpr50_vgpr51_vgpr52_vgpr53_vgpr54_vgpr55_vgpr56_vgpr57_vgpr58_vgpr59_vgpr60_vgpr61_vgpr62_vgpr63_vgpr64
	s_and_saveexec_b32 s4, s5
	s_xor_b32 s4, exec_lo, s4
	s_cbranch_execz .LBB717_350
.LBB717_243:
	s_mov_b32 s5, 0
	v_mov_b32_e32 v25, s5
	v_mov_b32_e32 v64, v32
	;; [unrolled: 1-line block ×33, first 2 shown]
                                        ; implicit-def: $vgpr1_vgpr2_vgpr3_vgpr4_vgpr5_vgpr6_vgpr7_vgpr8_vgpr9_vgpr10_vgpr11_vgpr12_vgpr13_vgpr14_vgpr15_vgpr16_vgpr17_vgpr18_vgpr19_vgpr20_vgpr21_vgpr22_vgpr23_vgpr24_vgpr25_vgpr26_vgpr27_vgpr28_vgpr29_vgpr30_vgpr31_vgpr32
	s_or_saveexec_b32 s34, s4
	s_xor_b32 s5, s44, -1
	s_xor_b32 exec_lo, exec_lo, s34
	s_cbranch_execnz .LBB717_351
.LBB717_244:
	s_or_b32 exec_lo, exec_lo, s34
                                        ; implicit-def: $vgpr1_vgpr2_vgpr3_vgpr4_vgpr5_vgpr6_vgpr7_vgpr8_vgpr9_vgpr10_vgpr11_vgpr12_vgpr13_vgpr14_vgpr15_vgpr16_vgpr17_vgpr18_vgpr19_vgpr20_vgpr21_vgpr22_vgpr23_vgpr24_vgpr25_vgpr26_vgpr27_vgpr28_vgpr29_vgpr30_vgpr31_vgpr32
	s_and_saveexec_b32 s4, s5
	s_xor_b32 s4, exec_lo, s4
	s_cbranch_execz .LBB717_354
.LBB717_245:
	s_mov_b32 s5, 0
	v_mov_b32_e32 v58, s5
	v_mov_b32_e32 v1, v33
	;; [unrolled: 1-line block ×33, first 2 shown]
                                        ; implicit-def: $vgpr33_vgpr34_vgpr35_vgpr36_vgpr37_vgpr38_vgpr39_vgpr40_vgpr41_vgpr42_vgpr43_vgpr44_vgpr45_vgpr46_vgpr47_vgpr48_vgpr49_vgpr50_vgpr51_vgpr52_vgpr53_vgpr54_vgpr55_vgpr56_vgpr57_vgpr58_vgpr59_vgpr60_vgpr61_vgpr62_vgpr63_vgpr64
	s_or_saveexec_b32 s34, s4
	s_xor_b32 s5, s43, -1
	s_xor_b32 exec_lo, exec_lo, s34
	s_cbranch_execnz .LBB717_355
.LBB717_246:
	s_or_b32 exec_lo, exec_lo, s34
                                        ; implicit-def: $vgpr33_vgpr34_vgpr35_vgpr36_vgpr37_vgpr38_vgpr39_vgpr40_vgpr41_vgpr42_vgpr43_vgpr44_vgpr45_vgpr46_vgpr47_vgpr48_vgpr49_vgpr50_vgpr51_vgpr52_vgpr53_vgpr54_vgpr55_vgpr56_vgpr57_vgpr58_vgpr59_vgpr60_vgpr61_vgpr62_vgpr63_vgpr64
	s_and_saveexec_b32 s4, s5
	s_xor_b32 s4, exec_lo, s4
	s_cbranch_execz .LBB717_358
.LBB717_247:
	s_mov_b32 s5, 0
	v_mov_b32_e32 v27, s5
	v_mov_b32_e32 v64, v32
	;; [unrolled: 1-line block ×33, first 2 shown]
                                        ; implicit-def: $vgpr1_vgpr2_vgpr3_vgpr4_vgpr5_vgpr6_vgpr7_vgpr8_vgpr9_vgpr10_vgpr11_vgpr12_vgpr13_vgpr14_vgpr15_vgpr16_vgpr17_vgpr18_vgpr19_vgpr20_vgpr21_vgpr22_vgpr23_vgpr24_vgpr25_vgpr26_vgpr27_vgpr28_vgpr29_vgpr30_vgpr31_vgpr32
	s_or_saveexec_b32 s34, s4
	s_xor_b32 s5, s41, -1
	s_xor_b32 exec_lo, exec_lo, s34
	s_cbranch_execnz .LBB717_359
.LBB717_248:
	s_or_b32 exec_lo, exec_lo, s34
                                        ; implicit-def: $vgpr1_vgpr2_vgpr3_vgpr4_vgpr5_vgpr6_vgpr7_vgpr8_vgpr9_vgpr10_vgpr11_vgpr12_vgpr13_vgpr14_vgpr15_vgpr16_vgpr17_vgpr18_vgpr19_vgpr20_vgpr21_vgpr22_vgpr23_vgpr24_vgpr25_vgpr26_vgpr27_vgpr28_vgpr29_vgpr30_vgpr31_vgpr32
	s_and_saveexec_b32 s4, s5
	s_xor_b32 s4, exec_lo, s4
	s_cbranch_execz .LBB717_362
.LBB717_249:
	s_mov_b32 s5, 0
	v_mov_b32_e32 v60, s5
	v_mov_b32_e32 v1, v33
	;; [unrolled: 1-line block ×33, first 2 shown]
                                        ; implicit-def: $vgpr33_vgpr34_vgpr35_vgpr36_vgpr37_vgpr38_vgpr39_vgpr40_vgpr41_vgpr42_vgpr43_vgpr44_vgpr45_vgpr46_vgpr47_vgpr48_vgpr49_vgpr50_vgpr51_vgpr52_vgpr53_vgpr54_vgpr55_vgpr56_vgpr57_vgpr58_vgpr59_vgpr60_vgpr61_vgpr62_vgpr63_vgpr64
	s_or_saveexec_b32 s34, s4
	s_xor_b32 s5, s40, -1
	s_xor_b32 exec_lo, exec_lo, s34
	s_cbranch_execnz .LBB717_363
.LBB717_250:
	s_or_b32 exec_lo, exec_lo, s34
                                        ; implicit-def: $vgpr33_vgpr34_vgpr35_vgpr36_vgpr37_vgpr38_vgpr39_vgpr40_vgpr41_vgpr42_vgpr43_vgpr44_vgpr45_vgpr46_vgpr47_vgpr48_vgpr49_vgpr50_vgpr51_vgpr52_vgpr53_vgpr54_vgpr55_vgpr56_vgpr57_vgpr58_vgpr59_vgpr60_vgpr61_vgpr62_vgpr63_vgpr64
	s_and_saveexec_b32 s4, s5
	s_xor_b32 s4, exec_lo, s4
	s_cbranch_execz .LBB717_366
.LBB717_251:
	s_mov_b32 s5, 0
	v_mov_b32_e32 v29, s5
	v_mov_b32_e32 v64, v32
	;; [unrolled: 1-line block ×33, first 2 shown]
                                        ; implicit-def: $vgpr1_vgpr2_vgpr3_vgpr4_vgpr5_vgpr6_vgpr7_vgpr8_vgpr9_vgpr10_vgpr11_vgpr12_vgpr13_vgpr14_vgpr15_vgpr16_vgpr17_vgpr18_vgpr19_vgpr20_vgpr21_vgpr22_vgpr23_vgpr24_vgpr25_vgpr26_vgpr27_vgpr28_vgpr29_vgpr30_vgpr31_vgpr32
	s_or_saveexec_b32 s34, s4
	s_xor_b32 s5, s39, -1
	s_xor_b32 exec_lo, exec_lo, s34
	s_cbranch_execnz .LBB717_367
.LBB717_252:
	s_or_b32 exec_lo, exec_lo, s34
                                        ; implicit-def: $vgpr1_vgpr2_vgpr3_vgpr4_vgpr5_vgpr6_vgpr7_vgpr8_vgpr9_vgpr10_vgpr11_vgpr12_vgpr13_vgpr14_vgpr15_vgpr16_vgpr17_vgpr18_vgpr19_vgpr20_vgpr21_vgpr22_vgpr23_vgpr24_vgpr25_vgpr26_vgpr27_vgpr28_vgpr29_vgpr30_vgpr31_vgpr32
	s_and_saveexec_b32 s4, s5
	s_xor_b32 s4, exec_lo, s4
	s_cbranch_execz .LBB717_370
.LBB717_253:
	s_mov_b32 s5, 0
	v_mov_b32_e32 v62, s5
	v_mov_b32_e32 v1, v33
	;; [unrolled: 1-line block ×33, first 2 shown]
                                        ; implicit-def: $vgpr33_vgpr34_vgpr35_vgpr36_vgpr37_vgpr38_vgpr39_vgpr40_vgpr41_vgpr42_vgpr43_vgpr44_vgpr45_vgpr46_vgpr47_vgpr48_vgpr49_vgpr50_vgpr51_vgpr52_vgpr53_vgpr54_vgpr55_vgpr56_vgpr57_vgpr58_vgpr59_vgpr60_vgpr61_vgpr62_vgpr63_vgpr64
	s_or_saveexec_b32 s34, s4
	s_xor_b32 s5, s38, -1
	s_xor_b32 exec_lo, exec_lo, s34
	s_cbranch_execnz .LBB717_371
.LBB717_254:
	s_or_b32 exec_lo, exec_lo, s34
                                        ; implicit-def: $vgpr33_vgpr34_vgpr35_vgpr36_vgpr37_vgpr38_vgpr39_vgpr40_vgpr41_vgpr42_vgpr43_vgpr44_vgpr45_vgpr46_vgpr47_vgpr48_vgpr49_vgpr50_vgpr51_vgpr52_vgpr53_vgpr54_vgpr55_vgpr56_vgpr57_vgpr58_vgpr59_vgpr60_vgpr61_vgpr62_vgpr63_vgpr64
	s_and_saveexec_b32 s4, s5
	s_xor_b32 s4, exec_lo, s4
	s_cbranch_execz .LBB717_374
.LBB717_255:
	s_mov_b32 s5, 0
	v_mov_b32_e32 v31, s5
	v_mov_b32_e32 v64, v32
	;; [unrolled: 1-line block ×33, first 2 shown]
                                        ; implicit-def: $vgpr1_vgpr2_vgpr3_vgpr4_vgpr5_vgpr6_vgpr7_vgpr8_vgpr9_vgpr10_vgpr11_vgpr12_vgpr13_vgpr14_vgpr15_vgpr16_vgpr17_vgpr18_vgpr19_vgpr20_vgpr21_vgpr22_vgpr23_vgpr24_vgpr25_vgpr26_vgpr27_vgpr28_vgpr29_vgpr30_vgpr31_vgpr32
	s_or_saveexec_b32 s34, s4
	s_xor_b32 s5, s35, -1
	s_xor_b32 exec_lo, exec_lo, s34
	s_cbranch_execnz .LBB717_375
.LBB717_256:
	s_or_b32 exec_lo, exec_lo, s34
                                        ; implicit-def: $vgpr1_vgpr2_vgpr3_vgpr4_vgpr5_vgpr6_vgpr7_vgpr8_vgpr9_vgpr10_vgpr11_vgpr12_vgpr13_vgpr14_vgpr15_vgpr16_vgpr17_vgpr18_vgpr19_vgpr20_vgpr21_vgpr22_vgpr23_vgpr24_vgpr25_vgpr26_vgpr27_vgpr28_vgpr29_vgpr30_vgpr31_vgpr32
	s_and_saveexec_b32 s4, s5
	s_xor_b32 s4, exec_lo, s4
	s_cbranch_execz .LBB717_378
.LBB717_257:
	s_mov_b32 s5, 0
                                        ; implicit-def: $vgpr98_vgpr99
                                        ; implicit-def: $vgpr106
	v_mov_b32_e32 v64, s5
	v_mov_b32_e32 v1, v33
	;; [unrolled: 1-line block ×33, first 2 shown]
                                        ; implicit-def: $vgpr33_vgpr34_vgpr35_vgpr36_vgpr37_vgpr38_vgpr39_vgpr40_vgpr41_vgpr42_vgpr43_vgpr44_vgpr45_vgpr46_vgpr47_vgpr48_vgpr49_vgpr50_vgpr51_vgpr52_vgpr53_vgpr54_vgpr55_vgpr56_vgpr57_vgpr58_vgpr59_vgpr60_vgpr61_vgpr62_vgpr63_vgpr64
	s_andn2_saveexec_b32 s5, s4
	s_cbranch_execz .LBB717_382
	s_branch .LBB717_379
.LBB717_258:
	s_or_saveexec_b32 s34, s4
	s_xor_b32 s5, s67, -1
	s_xor_b32 exec_lo, exec_lo, s34
	s_cbranch_execz .LBB717_198
.LBB717_259:
	global_load_ubyte v32, v[98:99], off offset:32
	s_mov_b32 s42, 0
	s_waitcnt vmcnt(0)
	v_and_b32_e32 v32, 1, v32
	v_cmp_eq_u32_e64 s4, 1, v32
	v_mov_b32_e32 v63, v31
	v_mov_b32_e32 v33, v1
	;; [unrolled: 1-line block ×33, first 2 shown]
	s_xor_b32 s4, s4, -1
	s_and_saveexec_b32 s42, s4
	s_xor_b32 s42, exec_lo, s42
	s_cbranch_execz .LBB717_261
; %bb.260:
	v_sub_f32_e32 v1, v64, v106
	v_mul_f32_e32 v32, 0x3fb8aa3b, v1
	v_cmp_ngt_f32_e64 s4, 0xc2ce8ed0, v1
	v_fma_f32 v33, 0x3fb8aa3b, v1, -v32
	v_rndne_f32_e32 v34, v32
	v_fmamk_f32 v33, v1, 0x32a5705f, v33
	v_sub_f32_e32 v32, v32, v34
	v_add_f32_e32 v32, v32, v33
	v_cvt_i32_f32_e32 v33, v34
	v_exp_f32_e32 v32, v32
	v_ldexp_f32 v32, v32, v33
	v_cndmask_b32_e64 v32, 0, v32, s4
	v_cmp_nlt_f32_e64 s4, 0x42b17218, v1
	v_cndmask_b32_e64 v1, 0x7f800000, v32, s4
	v_mov_b32_e32 v63, v31
	v_mov_b32_e32 v62, v30
	;; [unrolled: 1-line block ×4, first 2 shown]
	v_add_f32_e32 v64, v0, v1
	v_mov_b32_e32 v59, v27
	v_mov_b32_e32 v58, v26
	v_mov_b32_e32 v57, v25
	v_mov_b32_e32 v56, v24
	v_mov_b32_e32 v55, v23
	v_mov_b32_e32 v54, v22
	v_mov_b32_e32 v53, v21
	v_mov_b32_e32 v52, v20
	v_mov_b32_e32 v51, v19
	v_mov_b32_e32 v50, v18
	v_mov_b32_e32 v49, v17
	v_mov_b32_e32 v48, v16
	v_mov_b32_e32 v47, v15
	v_mov_b32_e32 v46, v14
	v_mov_b32_e32 v45, v13
	v_mov_b32_e32 v44, v12
	v_mov_b32_e32 v43, v11
	v_mov_b32_e32 v42, v10
	v_mov_b32_e32 v41, v9
	v_mov_b32_e32 v40, v8
	v_mov_b32_e32 v39, v7
	v_mov_b32_e32 v38, v6
	v_mov_b32_e32 v37, v5
	v_mov_b32_e32 v36, v4
	v_mov_b32_e32 v35, v3
	v_mov_b32_e32 v34, v2
	v_mov_b32_e32 v33, v1
	v_mov_b32_e32 v32, v0
	v_mov_b32_e32 v0, v64
.LBB717_261:
	s_andn2_saveexec_b32 s4, s42
	s_or_b32 exec_lo, exec_lo, s4
	s_or_b32 exec_lo, exec_lo, s34
                                        ; implicit-def: $vgpr64_vgpr65_vgpr66_vgpr67_vgpr68_vgpr69_vgpr70_vgpr71_vgpr72_vgpr73_vgpr74_vgpr75_vgpr76_vgpr77_vgpr78_vgpr79_vgpr80_vgpr81_vgpr82_vgpr83_vgpr84_vgpr85_vgpr86_vgpr87_vgpr88_vgpr89_vgpr90_vgpr91_vgpr92_vgpr93_vgpr94_vgpr95
	s_and_saveexec_b32 s4, s5
	s_xor_b32 s4, exec_lo, s4
	s_cbranch_execnz .LBB717_199
.LBB717_262:
	s_or_saveexec_b32 s34, s4
	s_xor_b32 s5, s66, -1
	s_xor_b32 exec_lo, exec_lo, s34
	s_cbranch_execz .LBB717_200
.LBB717_263:
	global_load_ubyte v1, v[98:99], off offset:64
	s_mov_b32 s42, 0
	v_mov_b32_e32 v95, v63
	v_mov_b32_e32 v66, v34
	;; [unrolled: 1-line block ×33, first 2 shown]
	s_waitcnt vmcnt(0)
	v_and_b32_e32 v1, 1, v1
	v_cmp_eq_u32_e64 s4, 1, v1
	s_xor_b32 s4, s4, -1
	s_and_saveexec_b32 s42, s4
	s_xor_b32 s42, exec_lo, s42
	s_cbranch_execz .LBB717_265
; %bb.264:
	v_sub_f32_e32 v1, v34, v106
	v_mul_f32_e32 v2, 0x3fb8aa3b, v1
	v_cmp_ngt_f32_e64 s4, 0xc2ce8ed0, v1
	v_fma_f32 v3, 0x3fb8aa3b, v1, -v2
	v_rndne_f32_e32 v4, v2
	v_fmamk_f32 v3, v1, 0x32a5705f, v3
	v_sub_f32_e32 v2, v2, v4
	v_add_f32_e32 v2, v2, v3
	v_cvt_i32_f32_e32 v3, v4
	v_exp_f32_e32 v2, v2
	v_ldexp_f32 v2, v2, v3
	v_cndmask_b32_e64 v2, 0, v2, s4
	v_cmp_nlt_f32_e64 s4, 0x42b17218, v1
	v_cndmask_b32_e64 v34, 0x7f800000, v2, s4
	v_mov_b32_e32 v95, v63
	v_mov_b32_e32 v94, v62
	;; [unrolled: 1-line block ×4, first 2 shown]
	v_add_f32_e32 v0, v0, v34
	v_mov_b32_e32 v91, v59
	v_mov_b32_e32 v90, v58
	;; [unrolled: 1-line block ×28, first 2 shown]
.LBB717_265:
	s_andn2_saveexec_b32 s4, s42
	s_or_b32 exec_lo, exec_lo, s4
	s_or_b32 exec_lo, exec_lo, s34
                                        ; implicit-def: $vgpr1_vgpr2_vgpr3_vgpr4_vgpr5_vgpr6_vgpr7_vgpr8_vgpr9_vgpr10_vgpr11_vgpr12_vgpr13_vgpr14_vgpr15_vgpr16_vgpr17_vgpr18_vgpr19_vgpr20_vgpr21_vgpr22_vgpr23_vgpr24_vgpr25_vgpr26_vgpr27_vgpr28_vgpr29_vgpr30_vgpr31_vgpr32
	s_and_saveexec_b32 s4, s5
	s_xor_b32 s4, exec_lo, s4
	s_cbranch_execnz .LBB717_201
.LBB717_266:
	s_or_saveexec_b32 s34, s4
	s_xor_b32 s5, s65, -1
	s_xor_b32 exec_lo, exec_lo, s34
	s_cbranch_execz .LBB717_202
.LBB717_267:
	global_load_ubyte v1, v[98:99], off offset:96
	s_mov_b32 s42, 0
	s_waitcnt vmcnt(0)
	v_and_b32_e32 v1, 1, v1
	v_cmp_eq_u32_e64 s4, 1, v1
	v_mov_b32_e32 v1, v64
	v_mov_b32_e32 v4, v67
	;; [unrolled: 1-line block ×33, first 2 shown]
	s_xor_b32 s4, s4, -1
	s_and_saveexec_b32 s42, s4
	s_xor_b32 s42, exec_lo, s42
	s_cbranch_execz .LBB717_269
; %bb.268:
	v_sub_f32_e32 v1, v67, v106
	v_mul_f32_e32 v2, 0x3fb8aa3b, v1
	v_cmp_ngt_f32_e64 s4, 0xc2ce8ed0, v1
	v_fma_f32 v3, 0x3fb8aa3b, v1, -v2
	v_rndne_f32_e32 v4, v2
	v_fmamk_f32 v3, v1, 0x32a5705f, v3
	v_sub_f32_e32 v2, v2, v4
	v_add_f32_e32 v2, v2, v3
	v_cvt_i32_f32_e32 v3, v4
	v_exp_f32_e32 v2, v2
	v_ldexp_f32 v2, v2, v3
	v_cndmask_b32_e64 v2, 0, v2, s4
	v_cmp_nlt_f32_e64 s4, 0x42b17218, v1
	v_cndmask_b32_e64 v67, 0x7f800000, v2, s4
	v_mov_b32_e32 v1, v64
	v_mov_b32_e32 v2, v65
	;; [unrolled: 1-line block ×4, first 2 shown]
	v_add_f32_e32 v0, v0, v67
	v_mov_b32_e32 v4, v67
	v_mov_b32_e32 v6, v69
	;; [unrolled: 1-line block ×28, first 2 shown]
.LBB717_269:
	s_andn2_saveexec_b32 s4, s42
	s_or_b32 exec_lo, exec_lo, s4
	s_or_b32 exec_lo, exec_lo, s34
                                        ; implicit-def: $vgpr33_vgpr34_vgpr35_vgpr36_vgpr37_vgpr38_vgpr39_vgpr40_vgpr41_vgpr42_vgpr43_vgpr44_vgpr45_vgpr46_vgpr47_vgpr48_vgpr49_vgpr50_vgpr51_vgpr52_vgpr53_vgpr54_vgpr55_vgpr56_vgpr57_vgpr58_vgpr59_vgpr60_vgpr61_vgpr62_vgpr63_vgpr64
	s_and_saveexec_b32 s4, s5
	s_xor_b32 s4, exec_lo, s4
	s_cbranch_execnz .LBB717_203
.LBB717_270:
	s_or_saveexec_b32 s34, s4
	s_xor_b32 s5, s64, -1
	s_xor_b32 exec_lo, exec_lo, s34
	s_cbranch_execz .LBB717_204
.LBB717_271:
	global_load_ubyte v33, v[98:99], off offset:128
	s_mov_b32 s42, 0
	s_waitcnt vmcnt(0)
	v_and_b32_e32 v33, 1, v33
	v_cmp_eq_u32_e64 s4, 1, v33
	v_mov_b32_e32 v64, v32
	v_mov_b32_e32 v37, v5
	;; [unrolled: 1-line block ×33, first 2 shown]
	s_xor_b32 s4, s4, -1
	s_and_saveexec_b32 s42, s4
	s_xor_b32 s42, exec_lo, s42
	s_cbranch_execz .LBB717_273
; %bb.272:
	v_sub_f32_e32 v5, v5, v106
	v_mul_f32_e32 v33, 0x3fb8aa3b, v5
	v_cmp_ngt_f32_e64 s4, 0xc2ce8ed0, v5
	v_fma_f32 v34, 0x3fb8aa3b, v5, -v33
	v_rndne_f32_e32 v35, v33
	v_fmamk_f32 v34, v5, 0x32a5705f, v34
	v_sub_f32_e32 v33, v33, v35
	v_add_f32_e32 v33, v33, v34
	v_cvt_i32_f32_e32 v34, v35
	v_exp_f32_e32 v33, v33
	v_ldexp_f32 v33, v33, v34
	v_cndmask_b32_e64 v33, 0, v33, s4
	v_cmp_nlt_f32_e64 s4, 0x42b17218, v5
	v_cndmask_b32_e64 v5, 0x7f800000, v33, s4
	v_mov_b32_e32 v64, v32
	v_mov_b32_e32 v63, v31
	;; [unrolled: 1-line block ×4, first 2 shown]
	v_add_f32_e32 v0, v0, v5
	v_mov_b32_e32 v60, v28
	v_mov_b32_e32 v59, v27
	;; [unrolled: 1-line block ×28, first 2 shown]
.LBB717_273:
	s_andn2_saveexec_b32 s4, s42
	s_or_b32 exec_lo, exec_lo, s4
	s_or_b32 exec_lo, exec_lo, s34
                                        ; implicit-def: $vgpr1_vgpr2_vgpr3_vgpr4_vgpr5_vgpr6_vgpr7_vgpr8_vgpr9_vgpr10_vgpr11_vgpr12_vgpr13_vgpr14_vgpr15_vgpr16_vgpr17_vgpr18_vgpr19_vgpr20_vgpr21_vgpr22_vgpr23_vgpr24_vgpr25_vgpr26_vgpr27_vgpr28_vgpr29_vgpr30_vgpr31_vgpr32
	s_and_saveexec_b32 s4, s5
	s_xor_b32 s4, exec_lo, s4
	s_cbranch_execnz .LBB717_205
.LBB717_274:
	s_or_saveexec_b32 s34, s4
	s_xor_b32 s5, s63, -1
	s_xor_b32 exec_lo, exec_lo, s34
	s_cbranch_execz .LBB717_206
.LBB717_275:
	global_load_ubyte v1, v[98:99], off offset:160
	s_mov_b32 s42, 0
	s_waitcnt vmcnt(0)
	v_and_b32_e32 v1, 1, v1
	v_cmp_eq_u32_e64 s4, 1, v1
	v_mov_b32_e32 v1, v33
	v_mov_b32_e32 v6, v38
	;; [unrolled: 1-line block ×33, first 2 shown]
	s_xor_b32 s4, s4, -1
	s_and_saveexec_b32 s42, s4
	s_xor_b32 s42, exec_lo, s42
	s_cbranch_execz .LBB717_277
; %bb.276:
	v_sub_f32_e32 v1, v38, v106
	v_mul_f32_e32 v2, 0x3fb8aa3b, v1
	v_cmp_ngt_f32_e64 s4, 0xc2ce8ed0, v1
	v_fma_f32 v3, 0x3fb8aa3b, v1, -v2
	v_rndne_f32_e32 v4, v2
	v_fmamk_f32 v3, v1, 0x32a5705f, v3
	v_sub_f32_e32 v2, v2, v4
	v_add_f32_e32 v2, v2, v3
	v_cvt_i32_f32_e32 v3, v4
	v_exp_f32_e32 v2, v2
	v_ldexp_f32 v2, v2, v3
	v_cndmask_b32_e64 v2, 0, v2, s4
	v_cmp_nlt_f32_e64 s4, 0x42b17218, v1
	v_cndmask_b32_e64 v38, 0x7f800000, v2, s4
	v_mov_b32_e32 v1, v33
	v_mov_b32_e32 v2, v34
	;; [unrolled: 1-line block ×4, first 2 shown]
	v_add_f32_e32 v0, v0, v38
	v_mov_b32_e32 v5, v37
	v_mov_b32_e32 v6, v38
	v_mov_b32_e32 v7, v39
	v_mov_b32_e32 v8, v40
	v_mov_b32_e32 v9, v41
	v_mov_b32_e32 v10, v42
	v_mov_b32_e32 v11, v43
	v_mov_b32_e32 v12, v44
	v_mov_b32_e32 v13, v45
	v_mov_b32_e32 v14, v46
	v_mov_b32_e32 v15, v47
	v_mov_b32_e32 v16, v48
	v_mov_b32_e32 v17, v49
	v_mov_b32_e32 v18, v50
	v_mov_b32_e32 v19, v51
	v_mov_b32_e32 v20, v52
	v_mov_b32_e32 v21, v53
	v_mov_b32_e32 v22, v54
	v_mov_b32_e32 v23, v55
	v_mov_b32_e32 v24, v56
	v_mov_b32_e32 v25, v57
	v_mov_b32_e32 v26, v58
	v_mov_b32_e32 v27, v59
	v_mov_b32_e32 v28, v60
	v_mov_b32_e32 v29, v61
	v_mov_b32_e32 v30, v62
	v_mov_b32_e32 v31, v63
	v_mov_b32_e32 v32, v64
.LBB717_277:
	s_andn2_saveexec_b32 s4, s42
	s_or_b32 exec_lo, exec_lo, s4
	s_or_b32 exec_lo, exec_lo, s34
                                        ; implicit-def: $vgpr33_vgpr34_vgpr35_vgpr36_vgpr37_vgpr38_vgpr39_vgpr40_vgpr41_vgpr42_vgpr43_vgpr44_vgpr45_vgpr46_vgpr47_vgpr48_vgpr49_vgpr50_vgpr51_vgpr52_vgpr53_vgpr54_vgpr55_vgpr56_vgpr57_vgpr58_vgpr59_vgpr60_vgpr61_vgpr62_vgpr63_vgpr64
	s_and_saveexec_b32 s4, s5
	s_xor_b32 s4, exec_lo, s4
	s_cbranch_execnz .LBB717_207
.LBB717_278:
	s_or_saveexec_b32 s34, s4
	s_xor_b32 s5, s62, -1
	s_xor_b32 exec_lo, exec_lo, s34
	s_cbranch_execz .LBB717_208
.LBB717_279:
	global_load_ubyte v33, v[98:99], off offset:192
	s_mov_b32 s42, 0
	s_waitcnt vmcnt(0)
	v_and_b32_e32 v33, 1, v33
	v_cmp_eq_u32_e64 s4, 1, v33
	v_mov_b32_e32 v64, v32
	v_mov_b32_e32 v39, v7
	;; [unrolled: 1-line block ×33, first 2 shown]
	s_xor_b32 s4, s4, -1
	s_and_saveexec_b32 s42, s4
	s_xor_b32 s42, exec_lo, s42
	s_cbranch_execz .LBB717_281
; %bb.280:
	v_sub_f32_e32 v7, v7, v106
	v_mul_f32_e32 v33, 0x3fb8aa3b, v7
	v_cmp_ngt_f32_e64 s4, 0xc2ce8ed0, v7
	v_fma_f32 v34, 0x3fb8aa3b, v7, -v33
	v_rndne_f32_e32 v35, v33
	v_fmamk_f32 v34, v7, 0x32a5705f, v34
	v_sub_f32_e32 v33, v33, v35
	v_add_f32_e32 v33, v33, v34
	v_cvt_i32_f32_e32 v34, v35
	v_exp_f32_e32 v33, v33
	v_ldexp_f32 v33, v33, v34
	v_cndmask_b32_e64 v33, 0, v33, s4
	v_cmp_nlt_f32_e64 s4, 0x42b17218, v7
	v_cndmask_b32_e64 v7, 0x7f800000, v33, s4
	v_mov_b32_e32 v64, v32
	v_mov_b32_e32 v63, v31
	;; [unrolled: 1-line block ×4, first 2 shown]
	v_add_f32_e32 v0, v0, v7
	v_mov_b32_e32 v60, v28
	v_mov_b32_e32 v59, v27
	;; [unrolled: 1-line block ×28, first 2 shown]
.LBB717_281:
	s_andn2_saveexec_b32 s4, s42
	s_or_b32 exec_lo, exec_lo, s4
	s_or_b32 exec_lo, exec_lo, s34
                                        ; implicit-def: $vgpr1_vgpr2_vgpr3_vgpr4_vgpr5_vgpr6_vgpr7_vgpr8_vgpr9_vgpr10_vgpr11_vgpr12_vgpr13_vgpr14_vgpr15_vgpr16_vgpr17_vgpr18_vgpr19_vgpr20_vgpr21_vgpr22_vgpr23_vgpr24_vgpr25_vgpr26_vgpr27_vgpr28_vgpr29_vgpr30_vgpr31_vgpr32
	s_and_saveexec_b32 s4, s5
	s_xor_b32 s4, exec_lo, s4
	s_cbranch_execnz .LBB717_209
.LBB717_282:
	s_or_saveexec_b32 s34, s4
	s_xor_b32 s5, s61, -1
	s_xor_b32 exec_lo, exec_lo, s34
	s_cbranch_execz .LBB717_210
.LBB717_283:
	global_load_ubyte v1, v[98:99], off offset:224
	s_mov_b32 s42, 0
	s_waitcnt vmcnt(0)
	v_and_b32_e32 v1, 1, v1
	v_cmp_eq_u32_e64 s4, 1, v1
	v_mov_b32_e32 v1, v33
	v_mov_b32_e32 v8, v40
	;; [unrolled: 1-line block ×33, first 2 shown]
	s_xor_b32 s4, s4, -1
	s_and_saveexec_b32 s42, s4
	s_xor_b32 s42, exec_lo, s42
	s_cbranch_execz .LBB717_285
; %bb.284:
	v_sub_f32_e32 v1, v40, v106
	v_mul_f32_e32 v2, 0x3fb8aa3b, v1
	v_cmp_ngt_f32_e64 s4, 0xc2ce8ed0, v1
	v_fma_f32 v3, 0x3fb8aa3b, v1, -v2
	v_rndne_f32_e32 v4, v2
	v_fmamk_f32 v3, v1, 0x32a5705f, v3
	v_sub_f32_e32 v2, v2, v4
	v_add_f32_e32 v2, v2, v3
	v_cvt_i32_f32_e32 v3, v4
	v_exp_f32_e32 v2, v2
	v_ldexp_f32 v2, v2, v3
	v_cndmask_b32_e64 v2, 0, v2, s4
	v_cmp_nlt_f32_e64 s4, 0x42b17218, v1
	v_cndmask_b32_e64 v40, 0x7f800000, v2, s4
	v_mov_b32_e32 v1, v33
	v_mov_b32_e32 v2, v34
	;; [unrolled: 1-line block ×4, first 2 shown]
	v_add_f32_e32 v0, v0, v40
	v_mov_b32_e32 v5, v37
	v_mov_b32_e32 v6, v38
	;; [unrolled: 1-line block ×28, first 2 shown]
.LBB717_285:
	s_andn2_saveexec_b32 s4, s42
	s_or_b32 exec_lo, exec_lo, s4
	s_or_b32 exec_lo, exec_lo, s34
                                        ; implicit-def: $vgpr33_vgpr34_vgpr35_vgpr36_vgpr37_vgpr38_vgpr39_vgpr40_vgpr41_vgpr42_vgpr43_vgpr44_vgpr45_vgpr46_vgpr47_vgpr48_vgpr49_vgpr50_vgpr51_vgpr52_vgpr53_vgpr54_vgpr55_vgpr56_vgpr57_vgpr58_vgpr59_vgpr60_vgpr61_vgpr62_vgpr63_vgpr64
	s_and_saveexec_b32 s4, s5
	s_xor_b32 s4, exec_lo, s4
	s_cbranch_execnz .LBB717_211
.LBB717_286:
	s_or_saveexec_b32 s34, s4
	s_xor_b32 s5, s60, -1
	s_xor_b32 exec_lo, exec_lo, s34
	s_cbranch_execz .LBB717_212
.LBB717_287:
	global_load_ubyte v33, v[98:99], off offset:256
	s_mov_b32 s42, 0
	s_waitcnt vmcnt(0)
	v_and_b32_e32 v33, 1, v33
	v_cmp_eq_u32_e64 s4, 1, v33
	v_mov_b32_e32 v64, v32
	v_mov_b32_e32 v41, v9
	;; [unrolled: 1-line block ×33, first 2 shown]
	s_xor_b32 s4, s4, -1
	s_and_saveexec_b32 s42, s4
	s_xor_b32 s42, exec_lo, s42
	s_cbranch_execz .LBB717_289
; %bb.288:
	v_sub_f32_e32 v9, v9, v106
	v_mul_f32_e32 v33, 0x3fb8aa3b, v9
	v_cmp_ngt_f32_e64 s4, 0xc2ce8ed0, v9
	v_fma_f32 v34, 0x3fb8aa3b, v9, -v33
	v_rndne_f32_e32 v35, v33
	v_fmamk_f32 v34, v9, 0x32a5705f, v34
	v_sub_f32_e32 v33, v33, v35
	v_add_f32_e32 v33, v33, v34
	v_cvt_i32_f32_e32 v34, v35
	v_exp_f32_e32 v33, v33
	v_ldexp_f32 v33, v33, v34
	v_cndmask_b32_e64 v33, 0, v33, s4
	v_cmp_nlt_f32_e64 s4, 0x42b17218, v9
	v_cndmask_b32_e64 v9, 0x7f800000, v33, s4
	v_mov_b32_e32 v64, v32
	v_mov_b32_e32 v63, v31
	;; [unrolled: 1-line block ×4, first 2 shown]
	v_add_f32_e32 v0, v0, v9
	v_mov_b32_e32 v60, v28
	v_mov_b32_e32 v59, v27
	v_mov_b32_e32 v58, v26
	v_mov_b32_e32 v57, v25
	v_mov_b32_e32 v56, v24
	v_mov_b32_e32 v55, v23
	v_mov_b32_e32 v54, v22
	v_mov_b32_e32 v53, v21
	v_mov_b32_e32 v52, v20
	v_mov_b32_e32 v51, v19
	v_mov_b32_e32 v50, v18
	v_mov_b32_e32 v49, v17
	v_mov_b32_e32 v48, v16
	v_mov_b32_e32 v47, v15
	v_mov_b32_e32 v46, v14
	v_mov_b32_e32 v45, v13
	v_mov_b32_e32 v44, v12
	v_mov_b32_e32 v43, v11
	v_mov_b32_e32 v42, v10
	v_mov_b32_e32 v41, v9
	v_mov_b32_e32 v40, v8
	v_mov_b32_e32 v39, v7
	v_mov_b32_e32 v38, v6
	v_mov_b32_e32 v37, v5
	v_mov_b32_e32 v36, v4
	v_mov_b32_e32 v35, v3
	v_mov_b32_e32 v34, v2
	v_mov_b32_e32 v33, v1
.LBB717_289:
	s_andn2_saveexec_b32 s4, s42
	s_or_b32 exec_lo, exec_lo, s4
	s_or_b32 exec_lo, exec_lo, s34
                                        ; implicit-def: $vgpr1_vgpr2_vgpr3_vgpr4_vgpr5_vgpr6_vgpr7_vgpr8_vgpr9_vgpr10_vgpr11_vgpr12_vgpr13_vgpr14_vgpr15_vgpr16_vgpr17_vgpr18_vgpr19_vgpr20_vgpr21_vgpr22_vgpr23_vgpr24_vgpr25_vgpr26_vgpr27_vgpr28_vgpr29_vgpr30_vgpr31_vgpr32
	s_and_saveexec_b32 s4, s5
	s_xor_b32 s4, exec_lo, s4
	s_cbranch_execnz .LBB717_213
.LBB717_290:
	s_or_saveexec_b32 s34, s4
	s_xor_b32 s5, s59, -1
	s_xor_b32 exec_lo, exec_lo, s34
	s_cbranch_execz .LBB717_214
.LBB717_291:
	global_load_ubyte v1, v[98:99], off offset:288
	s_mov_b32 s42, 0
	s_waitcnt vmcnt(0)
	v_and_b32_e32 v1, 1, v1
	v_cmp_eq_u32_e64 s4, 1, v1
	v_mov_b32_e32 v1, v33
	v_mov_b32_e32 v10, v42
	;; [unrolled: 1-line block ×33, first 2 shown]
	s_xor_b32 s4, s4, -1
	s_and_saveexec_b32 s42, s4
	s_xor_b32 s42, exec_lo, s42
	s_cbranch_execz .LBB717_293
; %bb.292:
	v_sub_f32_e32 v1, v42, v106
	v_mul_f32_e32 v2, 0x3fb8aa3b, v1
	v_cmp_ngt_f32_e64 s4, 0xc2ce8ed0, v1
	v_fma_f32 v3, 0x3fb8aa3b, v1, -v2
	v_rndne_f32_e32 v4, v2
	v_fmamk_f32 v3, v1, 0x32a5705f, v3
	v_sub_f32_e32 v2, v2, v4
	v_add_f32_e32 v2, v2, v3
	v_cvt_i32_f32_e32 v3, v4
	v_exp_f32_e32 v2, v2
	v_ldexp_f32 v2, v2, v3
	v_cndmask_b32_e64 v2, 0, v2, s4
	v_cmp_nlt_f32_e64 s4, 0x42b17218, v1
	v_cndmask_b32_e64 v42, 0x7f800000, v2, s4
	v_mov_b32_e32 v1, v33
	v_mov_b32_e32 v2, v34
	;; [unrolled: 1-line block ×4, first 2 shown]
	v_add_f32_e32 v0, v0, v42
	v_mov_b32_e32 v5, v37
	v_mov_b32_e32 v6, v38
	;; [unrolled: 1-line block ×28, first 2 shown]
.LBB717_293:
	s_andn2_saveexec_b32 s4, s42
	s_or_b32 exec_lo, exec_lo, s4
	s_or_b32 exec_lo, exec_lo, s34
                                        ; implicit-def: $vgpr33_vgpr34_vgpr35_vgpr36_vgpr37_vgpr38_vgpr39_vgpr40_vgpr41_vgpr42_vgpr43_vgpr44_vgpr45_vgpr46_vgpr47_vgpr48_vgpr49_vgpr50_vgpr51_vgpr52_vgpr53_vgpr54_vgpr55_vgpr56_vgpr57_vgpr58_vgpr59_vgpr60_vgpr61_vgpr62_vgpr63_vgpr64
	s_and_saveexec_b32 s4, s5
	s_xor_b32 s4, exec_lo, s4
	s_cbranch_execnz .LBB717_215
.LBB717_294:
	s_or_saveexec_b32 s34, s4
	s_xor_b32 s5, s58, -1
	s_xor_b32 exec_lo, exec_lo, s34
	s_cbranch_execz .LBB717_216
.LBB717_295:
	global_load_ubyte v33, v[98:99], off offset:320
	s_mov_b32 s42, 0
	s_waitcnt vmcnt(0)
	v_and_b32_e32 v33, 1, v33
	v_cmp_eq_u32_e64 s4, 1, v33
	v_mov_b32_e32 v64, v32
	v_mov_b32_e32 v43, v11
	;; [unrolled: 1-line block ×33, first 2 shown]
	s_xor_b32 s4, s4, -1
	s_and_saveexec_b32 s42, s4
	s_xor_b32 s42, exec_lo, s42
	s_cbranch_execz .LBB717_297
; %bb.296:
	v_sub_f32_e32 v11, v11, v106
	v_mul_f32_e32 v33, 0x3fb8aa3b, v11
	v_cmp_ngt_f32_e64 s4, 0xc2ce8ed0, v11
	v_fma_f32 v34, 0x3fb8aa3b, v11, -v33
	v_rndne_f32_e32 v35, v33
	v_fmamk_f32 v34, v11, 0x32a5705f, v34
	v_sub_f32_e32 v33, v33, v35
	v_add_f32_e32 v33, v33, v34
	v_cvt_i32_f32_e32 v34, v35
	v_exp_f32_e32 v33, v33
	v_ldexp_f32 v33, v33, v34
	v_cndmask_b32_e64 v33, 0, v33, s4
	v_cmp_nlt_f32_e64 s4, 0x42b17218, v11
	v_cndmask_b32_e64 v11, 0x7f800000, v33, s4
	v_mov_b32_e32 v64, v32
	v_mov_b32_e32 v63, v31
	;; [unrolled: 1-line block ×4, first 2 shown]
	v_add_f32_e32 v0, v0, v11
	v_mov_b32_e32 v60, v28
	v_mov_b32_e32 v59, v27
	;; [unrolled: 1-line block ×28, first 2 shown]
.LBB717_297:
	s_andn2_saveexec_b32 s4, s42
	s_or_b32 exec_lo, exec_lo, s4
	s_or_b32 exec_lo, exec_lo, s34
                                        ; implicit-def: $vgpr1_vgpr2_vgpr3_vgpr4_vgpr5_vgpr6_vgpr7_vgpr8_vgpr9_vgpr10_vgpr11_vgpr12_vgpr13_vgpr14_vgpr15_vgpr16_vgpr17_vgpr18_vgpr19_vgpr20_vgpr21_vgpr22_vgpr23_vgpr24_vgpr25_vgpr26_vgpr27_vgpr28_vgpr29_vgpr30_vgpr31_vgpr32
	s_and_saveexec_b32 s4, s5
	s_xor_b32 s4, exec_lo, s4
	s_cbranch_execnz .LBB717_217
.LBB717_298:
	s_or_saveexec_b32 s34, s4
	s_xor_b32 s5, s57, -1
	s_xor_b32 exec_lo, exec_lo, s34
	s_cbranch_execz .LBB717_218
.LBB717_299:
	global_load_ubyte v1, v[98:99], off offset:352
	s_mov_b32 s42, 0
	s_waitcnt vmcnt(0)
	v_and_b32_e32 v1, 1, v1
	v_cmp_eq_u32_e64 s4, 1, v1
	v_mov_b32_e32 v1, v33
	v_mov_b32_e32 v12, v44
	;; [unrolled: 1-line block ×33, first 2 shown]
	s_xor_b32 s4, s4, -1
	s_and_saveexec_b32 s42, s4
	s_xor_b32 s42, exec_lo, s42
	s_cbranch_execz .LBB717_301
; %bb.300:
	v_sub_f32_e32 v1, v44, v106
	v_mul_f32_e32 v2, 0x3fb8aa3b, v1
	v_cmp_ngt_f32_e64 s4, 0xc2ce8ed0, v1
	v_fma_f32 v3, 0x3fb8aa3b, v1, -v2
	v_rndne_f32_e32 v4, v2
	v_fmamk_f32 v3, v1, 0x32a5705f, v3
	v_sub_f32_e32 v2, v2, v4
	v_add_f32_e32 v2, v2, v3
	v_cvt_i32_f32_e32 v3, v4
	v_exp_f32_e32 v2, v2
	v_ldexp_f32 v2, v2, v3
	v_cndmask_b32_e64 v2, 0, v2, s4
	v_cmp_nlt_f32_e64 s4, 0x42b17218, v1
	v_cndmask_b32_e64 v44, 0x7f800000, v2, s4
	v_mov_b32_e32 v1, v33
	v_mov_b32_e32 v2, v34
	;; [unrolled: 1-line block ×4, first 2 shown]
	v_add_f32_e32 v0, v0, v44
	v_mov_b32_e32 v5, v37
	v_mov_b32_e32 v6, v38
	;; [unrolled: 1-line block ×28, first 2 shown]
.LBB717_301:
	s_andn2_saveexec_b32 s4, s42
	s_or_b32 exec_lo, exec_lo, s4
	s_or_b32 exec_lo, exec_lo, s34
                                        ; implicit-def: $vgpr33_vgpr34_vgpr35_vgpr36_vgpr37_vgpr38_vgpr39_vgpr40_vgpr41_vgpr42_vgpr43_vgpr44_vgpr45_vgpr46_vgpr47_vgpr48_vgpr49_vgpr50_vgpr51_vgpr52_vgpr53_vgpr54_vgpr55_vgpr56_vgpr57_vgpr58_vgpr59_vgpr60_vgpr61_vgpr62_vgpr63_vgpr64
	s_and_saveexec_b32 s4, s5
	s_xor_b32 s4, exec_lo, s4
	s_cbranch_execnz .LBB717_219
.LBB717_302:
	s_or_saveexec_b32 s34, s4
	s_xor_b32 s5, s56, -1
	s_xor_b32 exec_lo, exec_lo, s34
	s_cbranch_execz .LBB717_220
.LBB717_303:
	global_load_ubyte v33, v[98:99], off offset:384
	s_mov_b32 s42, 0
	s_waitcnt vmcnt(0)
	v_and_b32_e32 v33, 1, v33
	v_cmp_eq_u32_e64 s4, 1, v33
	v_mov_b32_e32 v64, v32
	v_mov_b32_e32 v45, v13
	;; [unrolled: 1-line block ×33, first 2 shown]
	s_xor_b32 s4, s4, -1
	s_and_saveexec_b32 s42, s4
	s_xor_b32 s42, exec_lo, s42
	s_cbranch_execz .LBB717_305
; %bb.304:
	v_sub_f32_e32 v13, v13, v106
	v_mul_f32_e32 v33, 0x3fb8aa3b, v13
	v_cmp_ngt_f32_e64 s4, 0xc2ce8ed0, v13
	v_fma_f32 v34, 0x3fb8aa3b, v13, -v33
	v_rndne_f32_e32 v35, v33
	v_fmamk_f32 v34, v13, 0x32a5705f, v34
	v_sub_f32_e32 v33, v33, v35
	v_add_f32_e32 v33, v33, v34
	v_cvt_i32_f32_e32 v34, v35
	v_exp_f32_e32 v33, v33
	v_ldexp_f32 v33, v33, v34
	v_cndmask_b32_e64 v33, 0, v33, s4
	v_cmp_nlt_f32_e64 s4, 0x42b17218, v13
	v_cndmask_b32_e64 v13, 0x7f800000, v33, s4
	v_mov_b32_e32 v64, v32
	v_mov_b32_e32 v63, v31
	;; [unrolled: 1-line block ×4, first 2 shown]
	v_add_f32_e32 v0, v0, v13
	v_mov_b32_e32 v60, v28
	v_mov_b32_e32 v59, v27
	;; [unrolled: 1-line block ×28, first 2 shown]
.LBB717_305:
	s_andn2_saveexec_b32 s4, s42
	s_or_b32 exec_lo, exec_lo, s4
	s_or_b32 exec_lo, exec_lo, s34
                                        ; implicit-def: $vgpr1_vgpr2_vgpr3_vgpr4_vgpr5_vgpr6_vgpr7_vgpr8_vgpr9_vgpr10_vgpr11_vgpr12_vgpr13_vgpr14_vgpr15_vgpr16_vgpr17_vgpr18_vgpr19_vgpr20_vgpr21_vgpr22_vgpr23_vgpr24_vgpr25_vgpr26_vgpr27_vgpr28_vgpr29_vgpr30_vgpr31_vgpr32
	s_and_saveexec_b32 s4, s5
	s_xor_b32 s4, exec_lo, s4
	s_cbranch_execnz .LBB717_221
.LBB717_306:
	s_or_saveexec_b32 s34, s4
	s_xor_b32 s5, s55, -1
	s_xor_b32 exec_lo, exec_lo, s34
	s_cbranch_execz .LBB717_222
.LBB717_307:
	global_load_ubyte v1, v[98:99], off offset:416
	s_mov_b32 s42, 0
	s_waitcnt vmcnt(0)
	v_and_b32_e32 v1, 1, v1
	v_cmp_eq_u32_e64 s4, 1, v1
	v_mov_b32_e32 v1, v33
	v_mov_b32_e32 v14, v46
	;; [unrolled: 1-line block ×33, first 2 shown]
	s_xor_b32 s4, s4, -1
	s_and_saveexec_b32 s42, s4
	s_xor_b32 s42, exec_lo, s42
	s_cbranch_execz .LBB717_309
; %bb.308:
	v_sub_f32_e32 v1, v46, v106
	v_mul_f32_e32 v2, 0x3fb8aa3b, v1
	v_cmp_ngt_f32_e64 s4, 0xc2ce8ed0, v1
	v_fma_f32 v3, 0x3fb8aa3b, v1, -v2
	v_rndne_f32_e32 v4, v2
	v_fmamk_f32 v3, v1, 0x32a5705f, v3
	v_sub_f32_e32 v2, v2, v4
	v_add_f32_e32 v2, v2, v3
	v_cvt_i32_f32_e32 v3, v4
	v_exp_f32_e32 v2, v2
	v_ldexp_f32 v2, v2, v3
	v_cndmask_b32_e64 v2, 0, v2, s4
	v_cmp_nlt_f32_e64 s4, 0x42b17218, v1
	v_cndmask_b32_e64 v46, 0x7f800000, v2, s4
	v_mov_b32_e32 v1, v33
	v_mov_b32_e32 v2, v34
	;; [unrolled: 1-line block ×4, first 2 shown]
	v_add_f32_e32 v0, v0, v46
	v_mov_b32_e32 v5, v37
	v_mov_b32_e32 v6, v38
	;; [unrolled: 1-line block ×28, first 2 shown]
.LBB717_309:
	s_andn2_saveexec_b32 s4, s42
	s_or_b32 exec_lo, exec_lo, s4
	s_or_b32 exec_lo, exec_lo, s34
                                        ; implicit-def: $vgpr33_vgpr34_vgpr35_vgpr36_vgpr37_vgpr38_vgpr39_vgpr40_vgpr41_vgpr42_vgpr43_vgpr44_vgpr45_vgpr46_vgpr47_vgpr48_vgpr49_vgpr50_vgpr51_vgpr52_vgpr53_vgpr54_vgpr55_vgpr56_vgpr57_vgpr58_vgpr59_vgpr60_vgpr61_vgpr62_vgpr63_vgpr64
	s_and_saveexec_b32 s4, s5
	s_xor_b32 s4, exec_lo, s4
	s_cbranch_execnz .LBB717_223
.LBB717_310:
	s_or_saveexec_b32 s34, s4
	s_xor_b32 s5, s54, -1
	s_xor_b32 exec_lo, exec_lo, s34
	s_cbranch_execz .LBB717_224
.LBB717_311:
	global_load_ubyte v33, v[98:99], off offset:448
	s_mov_b32 s42, 0
	s_waitcnt vmcnt(0)
	v_and_b32_e32 v33, 1, v33
	v_cmp_eq_u32_e64 s4, 1, v33
	v_mov_b32_e32 v64, v32
	v_mov_b32_e32 v47, v15
	;; [unrolled: 1-line block ×33, first 2 shown]
	s_xor_b32 s4, s4, -1
	s_and_saveexec_b32 s42, s4
	s_xor_b32 s42, exec_lo, s42
	s_cbranch_execz .LBB717_313
; %bb.312:
	v_sub_f32_e32 v15, v15, v106
	v_mul_f32_e32 v33, 0x3fb8aa3b, v15
	v_cmp_ngt_f32_e64 s4, 0xc2ce8ed0, v15
	v_fma_f32 v34, 0x3fb8aa3b, v15, -v33
	v_rndne_f32_e32 v35, v33
	v_fmamk_f32 v34, v15, 0x32a5705f, v34
	v_sub_f32_e32 v33, v33, v35
	v_add_f32_e32 v33, v33, v34
	v_cvt_i32_f32_e32 v34, v35
	v_exp_f32_e32 v33, v33
	v_ldexp_f32 v33, v33, v34
	v_cndmask_b32_e64 v33, 0, v33, s4
	v_cmp_nlt_f32_e64 s4, 0x42b17218, v15
	v_cndmask_b32_e64 v15, 0x7f800000, v33, s4
	v_mov_b32_e32 v64, v32
	v_mov_b32_e32 v63, v31
	;; [unrolled: 1-line block ×4, first 2 shown]
	v_add_f32_e32 v0, v0, v15
	v_mov_b32_e32 v60, v28
	v_mov_b32_e32 v59, v27
	;; [unrolled: 1-line block ×28, first 2 shown]
.LBB717_313:
	s_andn2_saveexec_b32 s4, s42
	s_or_b32 exec_lo, exec_lo, s4
	s_or_b32 exec_lo, exec_lo, s34
                                        ; implicit-def: $vgpr1_vgpr2_vgpr3_vgpr4_vgpr5_vgpr6_vgpr7_vgpr8_vgpr9_vgpr10_vgpr11_vgpr12_vgpr13_vgpr14_vgpr15_vgpr16_vgpr17_vgpr18_vgpr19_vgpr20_vgpr21_vgpr22_vgpr23_vgpr24_vgpr25_vgpr26_vgpr27_vgpr28_vgpr29_vgpr30_vgpr31_vgpr32
	s_and_saveexec_b32 s4, s5
	s_xor_b32 s4, exec_lo, s4
	s_cbranch_execnz .LBB717_225
.LBB717_314:
	s_or_saveexec_b32 s34, s4
	s_xor_b32 s5, s53, -1
	s_xor_b32 exec_lo, exec_lo, s34
	s_cbranch_execz .LBB717_226
.LBB717_315:
	global_load_ubyte v1, v[98:99], off offset:480
	s_mov_b32 s42, 0
	s_waitcnt vmcnt(0)
	v_and_b32_e32 v1, 1, v1
	v_cmp_eq_u32_e64 s4, 1, v1
	v_mov_b32_e32 v1, v33
	v_mov_b32_e32 v16, v48
	;; [unrolled: 1-line block ×33, first 2 shown]
	s_xor_b32 s4, s4, -1
	s_and_saveexec_b32 s42, s4
	s_xor_b32 s42, exec_lo, s42
	s_cbranch_execz .LBB717_317
; %bb.316:
	v_sub_f32_e32 v1, v48, v106
	v_mul_f32_e32 v2, 0x3fb8aa3b, v1
	v_cmp_ngt_f32_e64 s4, 0xc2ce8ed0, v1
	v_fma_f32 v3, 0x3fb8aa3b, v1, -v2
	v_rndne_f32_e32 v4, v2
	v_fmamk_f32 v3, v1, 0x32a5705f, v3
	v_sub_f32_e32 v2, v2, v4
	v_add_f32_e32 v2, v2, v3
	v_cvt_i32_f32_e32 v3, v4
	v_exp_f32_e32 v2, v2
	v_ldexp_f32 v2, v2, v3
	v_cndmask_b32_e64 v2, 0, v2, s4
	v_cmp_nlt_f32_e64 s4, 0x42b17218, v1
	v_cndmask_b32_e64 v48, 0x7f800000, v2, s4
	v_mov_b32_e32 v1, v33
	v_mov_b32_e32 v2, v34
	;; [unrolled: 1-line block ×4, first 2 shown]
	v_add_f32_e32 v0, v0, v48
	v_mov_b32_e32 v5, v37
	v_mov_b32_e32 v6, v38
	;; [unrolled: 1-line block ×28, first 2 shown]
.LBB717_317:
	s_andn2_saveexec_b32 s4, s42
	s_or_b32 exec_lo, exec_lo, s4
	s_or_b32 exec_lo, exec_lo, s34
                                        ; implicit-def: $vgpr33_vgpr34_vgpr35_vgpr36_vgpr37_vgpr38_vgpr39_vgpr40_vgpr41_vgpr42_vgpr43_vgpr44_vgpr45_vgpr46_vgpr47_vgpr48_vgpr49_vgpr50_vgpr51_vgpr52_vgpr53_vgpr54_vgpr55_vgpr56_vgpr57_vgpr58_vgpr59_vgpr60_vgpr61_vgpr62_vgpr63_vgpr64
	s_and_saveexec_b32 s4, s5
	s_xor_b32 s4, exec_lo, s4
	s_cbranch_execnz .LBB717_227
.LBB717_318:
	s_or_saveexec_b32 s34, s4
	s_xor_b32 s5, s52, -1
	s_xor_b32 exec_lo, exec_lo, s34
	s_cbranch_execz .LBB717_228
.LBB717_319:
	global_load_ubyte v33, v[98:99], off offset:512
	s_mov_b32 s42, 0
	s_waitcnt vmcnt(0)
	v_and_b32_e32 v33, 1, v33
	v_cmp_eq_u32_e64 s4, 1, v33
	v_mov_b32_e32 v64, v32
	v_mov_b32_e32 v49, v17
	v_mov_b32_e32 v63, v31
	v_mov_b32_e32 v62, v30
	v_mov_b32_e32 v61, v29
	v_mov_b32_e32 v60, v28
	v_mov_b32_e32 v59, v27
	v_mov_b32_e32 v58, v26
	v_mov_b32_e32 v57, v25
	v_mov_b32_e32 v56, v24
	v_mov_b32_e32 v55, v23
	v_mov_b32_e32 v54, v22
	v_mov_b32_e32 v53, v21
	v_mov_b32_e32 v52, v20
	v_mov_b32_e32 v51, v19
	v_mov_b32_e32 v50, v18
	v_mov_b32_e32 v48, v16
	v_mov_b32_e32 v47, v15
	v_mov_b32_e32 v46, v14
	v_mov_b32_e32 v45, v13
	v_mov_b32_e32 v44, v12
	v_mov_b32_e32 v43, v11
	v_mov_b32_e32 v42, v10
	v_mov_b32_e32 v41, v9
	v_mov_b32_e32 v40, v8
	v_mov_b32_e32 v39, v7
	v_mov_b32_e32 v38, v6
	v_mov_b32_e32 v37, v5
	v_mov_b32_e32 v36, v4
	v_mov_b32_e32 v35, v3
	v_mov_b32_e32 v34, v2
	v_mov_b32_e32 v33, v1
	v_mov_b32_e32 v49, s42
	s_xor_b32 s4, s4, -1
	s_and_saveexec_b32 s42, s4
	s_xor_b32 s42, exec_lo, s42
	s_cbranch_execz .LBB717_321
; %bb.320:
	v_sub_f32_e32 v17, v17, v106
	v_mul_f32_e32 v33, 0x3fb8aa3b, v17
	v_cmp_ngt_f32_e64 s4, 0xc2ce8ed0, v17
	v_fma_f32 v34, 0x3fb8aa3b, v17, -v33
	v_rndne_f32_e32 v35, v33
	v_fmamk_f32 v34, v17, 0x32a5705f, v34
	v_sub_f32_e32 v33, v33, v35
	v_add_f32_e32 v33, v33, v34
	v_cvt_i32_f32_e32 v34, v35
	v_exp_f32_e32 v33, v33
	v_ldexp_f32 v33, v33, v34
	v_cndmask_b32_e64 v33, 0, v33, s4
	v_cmp_nlt_f32_e64 s4, 0x42b17218, v17
	v_cndmask_b32_e64 v17, 0x7f800000, v33, s4
	v_mov_b32_e32 v64, v32
	v_mov_b32_e32 v63, v31
	;; [unrolled: 1-line block ×4, first 2 shown]
	v_add_f32_e32 v0, v0, v17
	v_mov_b32_e32 v60, v28
	v_mov_b32_e32 v59, v27
	;; [unrolled: 1-line block ×28, first 2 shown]
.LBB717_321:
	s_andn2_saveexec_b32 s4, s42
	s_or_b32 exec_lo, exec_lo, s4
	s_or_b32 exec_lo, exec_lo, s34
                                        ; implicit-def: $vgpr1_vgpr2_vgpr3_vgpr4_vgpr5_vgpr6_vgpr7_vgpr8_vgpr9_vgpr10_vgpr11_vgpr12_vgpr13_vgpr14_vgpr15_vgpr16_vgpr17_vgpr18_vgpr19_vgpr20_vgpr21_vgpr22_vgpr23_vgpr24_vgpr25_vgpr26_vgpr27_vgpr28_vgpr29_vgpr30_vgpr31_vgpr32
	s_and_saveexec_b32 s4, s5
	s_xor_b32 s4, exec_lo, s4
	s_cbranch_execnz .LBB717_229
.LBB717_322:
	s_or_saveexec_b32 s34, s4
	s_xor_b32 s5, s51, -1
	s_xor_b32 exec_lo, exec_lo, s34
	s_cbranch_execz .LBB717_230
.LBB717_323:
	global_load_ubyte v1, v[98:99], off offset:544
	s_mov_b32 s42, 0
	s_waitcnt vmcnt(0)
	v_and_b32_e32 v1, 1, v1
	v_cmp_eq_u32_e64 s4, 1, v1
	v_mov_b32_e32 v1, v33
	v_mov_b32_e32 v18, v50
	;; [unrolled: 1-line block ×33, first 2 shown]
	s_xor_b32 s4, s4, -1
	s_and_saveexec_b32 s42, s4
	s_xor_b32 s42, exec_lo, s42
	s_cbranch_execz .LBB717_325
; %bb.324:
	v_sub_f32_e32 v1, v50, v106
	v_mul_f32_e32 v2, 0x3fb8aa3b, v1
	v_cmp_ngt_f32_e64 s4, 0xc2ce8ed0, v1
	v_fma_f32 v3, 0x3fb8aa3b, v1, -v2
	v_rndne_f32_e32 v4, v2
	v_fmamk_f32 v3, v1, 0x32a5705f, v3
	v_sub_f32_e32 v2, v2, v4
	v_add_f32_e32 v2, v2, v3
	v_cvt_i32_f32_e32 v3, v4
	v_exp_f32_e32 v2, v2
	v_ldexp_f32 v2, v2, v3
	v_cndmask_b32_e64 v2, 0, v2, s4
	v_cmp_nlt_f32_e64 s4, 0x42b17218, v1
	v_cndmask_b32_e64 v50, 0x7f800000, v2, s4
	v_mov_b32_e32 v1, v33
	v_mov_b32_e32 v2, v34
	;; [unrolled: 1-line block ×4, first 2 shown]
	v_add_f32_e32 v0, v0, v50
	v_mov_b32_e32 v5, v37
	v_mov_b32_e32 v6, v38
	;; [unrolled: 1-line block ×28, first 2 shown]
.LBB717_325:
	s_andn2_saveexec_b32 s4, s42
	s_or_b32 exec_lo, exec_lo, s4
	s_or_b32 exec_lo, exec_lo, s34
                                        ; implicit-def: $vgpr33_vgpr34_vgpr35_vgpr36_vgpr37_vgpr38_vgpr39_vgpr40_vgpr41_vgpr42_vgpr43_vgpr44_vgpr45_vgpr46_vgpr47_vgpr48_vgpr49_vgpr50_vgpr51_vgpr52_vgpr53_vgpr54_vgpr55_vgpr56_vgpr57_vgpr58_vgpr59_vgpr60_vgpr61_vgpr62_vgpr63_vgpr64
	s_and_saveexec_b32 s4, s5
	s_xor_b32 s4, exec_lo, s4
	s_cbranch_execnz .LBB717_231
.LBB717_326:
	s_or_saveexec_b32 s34, s4
	s_xor_b32 s5, s50, -1
	s_xor_b32 exec_lo, exec_lo, s34
	s_cbranch_execz .LBB717_232
.LBB717_327:
	global_load_ubyte v33, v[98:99], off offset:576
	s_mov_b32 s42, 0
	s_waitcnt vmcnt(0)
	v_and_b32_e32 v33, 1, v33
	v_cmp_eq_u32_e64 s4, 1, v33
	v_mov_b32_e32 v64, v32
	v_mov_b32_e32 v51, v19
	v_mov_b32_e32 v63, v31
	v_mov_b32_e32 v62, v30
	v_mov_b32_e32 v61, v29
	v_mov_b32_e32 v60, v28
	v_mov_b32_e32 v59, v27
	v_mov_b32_e32 v58, v26
	v_mov_b32_e32 v57, v25
	v_mov_b32_e32 v56, v24
	v_mov_b32_e32 v55, v23
	v_mov_b32_e32 v54, v22
	v_mov_b32_e32 v53, v21
	v_mov_b32_e32 v52, v20
	v_mov_b32_e32 v50, v18
	v_mov_b32_e32 v49, v17
	v_mov_b32_e32 v48, v16
	v_mov_b32_e32 v47, v15
	v_mov_b32_e32 v46, v14
	v_mov_b32_e32 v45, v13
	v_mov_b32_e32 v44, v12
	v_mov_b32_e32 v43, v11
	v_mov_b32_e32 v42, v10
	v_mov_b32_e32 v41, v9
	v_mov_b32_e32 v40, v8
	v_mov_b32_e32 v39, v7
	v_mov_b32_e32 v38, v6
	v_mov_b32_e32 v37, v5
	v_mov_b32_e32 v36, v4
	v_mov_b32_e32 v35, v3
	v_mov_b32_e32 v34, v2
	v_mov_b32_e32 v33, v1
	v_mov_b32_e32 v51, s42
	s_xor_b32 s4, s4, -1
	s_and_saveexec_b32 s42, s4
	s_xor_b32 s42, exec_lo, s42
	s_cbranch_execz .LBB717_329
; %bb.328:
	v_sub_f32_e32 v19, v19, v106
	v_mul_f32_e32 v33, 0x3fb8aa3b, v19
	v_cmp_ngt_f32_e64 s4, 0xc2ce8ed0, v19
	v_fma_f32 v34, 0x3fb8aa3b, v19, -v33
	v_rndne_f32_e32 v35, v33
	v_fmamk_f32 v34, v19, 0x32a5705f, v34
	v_sub_f32_e32 v33, v33, v35
	v_add_f32_e32 v33, v33, v34
	v_cvt_i32_f32_e32 v34, v35
	v_exp_f32_e32 v33, v33
	v_ldexp_f32 v33, v33, v34
	v_cndmask_b32_e64 v33, 0, v33, s4
	v_cmp_nlt_f32_e64 s4, 0x42b17218, v19
	v_cndmask_b32_e64 v19, 0x7f800000, v33, s4
	v_mov_b32_e32 v64, v32
	v_mov_b32_e32 v63, v31
	;; [unrolled: 1-line block ×4, first 2 shown]
	v_add_f32_e32 v0, v0, v19
	v_mov_b32_e32 v60, v28
	v_mov_b32_e32 v59, v27
	;; [unrolled: 1-line block ×28, first 2 shown]
.LBB717_329:
	s_andn2_saveexec_b32 s4, s42
	s_or_b32 exec_lo, exec_lo, s4
	s_or_b32 exec_lo, exec_lo, s34
                                        ; implicit-def: $vgpr1_vgpr2_vgpr3_vgpr4_vgpr5_vgpr6_vgpr7_vgpr8_vgpr9_vgpr10_vgpr11_vgpr12_vgpr13_vgpr14_vgpr15_vgpr16_vgpr17_vgpr18_vgpr19_vgpr20_vgpr21_vgpr22_vgpr23_vgpr24_vgpr25_vgpr26_vgpr27_vgpr28_vgpr29_vgpr30_vgpr31_vgpr32
	s_and_saveexec_b32 s4, s5
	s_xor_b32 s4, exec_lo, s4
	s_cbranch_execnz .LBB717_233
.LBB717_330:
	s_or_saveexec_b32 s34, s4
	s_xor_b32 s5, s49, -1
	s_xor_b32 exec_lo, exec_lo, s34
	s_cbranch_execz .LBB717_234
.LBB717_331:
	global_load_ubyte v1, v[98:99], off offset:608
	s_mov_b32 s42, 0
	s_waitcnt vmcnt(0)
	v_and_b32_e32 v1, 1, v1
	v_cmp_eq_u32_e64 s4, 1, v1
	v_mov_b32_e32 v1, v33
	v_mov_b32_e32 v20, v52
	;; [unrolled: 1-line block ×33, first 2 shown]
	s_xor_b32 s4, s4, -1
	s_and_saveexec_b32 s42, s4
	s_xor_b32 s42, exec_lo, s42
	s_cbranch_execz .LBB717_333
; %bb.332:
	v_sub_f32_e32 v1, v52, v106
	v_mul_f32_e32 v2, 0x3fb8aa3b, v1
	v_cmp_ngt_f32_e64 s4, 0xc2ce8ed0, v1
	v_fma_f32 v3, 0x3fb8aa3b, v1, -v2
	v_rndne_f32_e32 v4, v2
	v_fmamk_f32 v3, v1, 0x32a5705f, v3
	v_sub_f32_e32 v2, v2, v4
	v_add_f32_e32 v2, v2, v3
	v_cvt_i32_f32_e32 v3, v4
	v_exp_f32_e32 v2, v2
	v_ldexp_f32 v2, v2, v3
	v_cndmask_b32_e64 v2, 0, v2, s4
	v_cmp_nlt_f32_e64 s4, 0x42b17218, v1
	v_cndmask_b32_e64 v52, 0x7f800000, v2, s4
	v_mov_b32_e32 v1, v33
	v_mov_b32_e32 v2, v34
	;; [unrolled: 1-line block ×4, first 2 shown]
	v_add_f32_e32 v0, v0, v52
	v_mov_b32_e32 v5, v37
	v_mov_b32_e32 v6, v38
	;; [unrolled: 1-line block ×28, first 2 shown]
.LBB717_333:
	s_andn2_saveexec_b32 s4, s42
	s_or_b32 exec_lo, exec_lo, s4
	s_or_b32 exec_lo, exec_lo, s34
                                        ; implicit-def: $vgpr33_vgpr34_vgpr35_vgpr36_vgpr37_vgpr38_vgpr39_vgpr40_vgpr41_vgpr42_vgpr43_vgpr44_vgpr45_vgpr46_vgpr47_vgpr48_vgpr49_vgpr50_vgpr51_vgpr52_vgpr53_vgpr54_vgpr55_vgpr56_vgpr57_vgpr58_vgpr59_vgpr60_vgpr61_vgpr62_vgpr63_vgpr64
	s_and_saveexec_b32 s4, s5
	s_xor_b32 s4, exec_lo, s4
	s_cbranch_execnz .LBB717_235
.LBB717_334:
	s_or_saveexec_b32 s34, s4
	s_xor_b32 s5, s48, -1
	s_xor_b32 exec_lo, exec_lo, s34
	s_cbranch_execz .LBB717_236
.LBB717_335:
	global_load_ubyte v33, v[98:99], off offset:640
	s_mov_b32 s42, 0
	s_waitcnt vmcnt(0)
	v_and_b32_e32 v33, 1, v33
	v_cmp_eq_u32_e64 s4, 1, v33
	v_mov_b32_e32 v64, v32
	v_mov_b32_e32 v53, v21
	;; [unrolled: 1-line block ×33, first 2 shown]
	s_xor_b32 s4, s4, -1
	s_and_saveexec_b32 s42, s4
	s_xor_b32 s42, exec_lo, s42
	s_cbranch_execz .LBB717_337
; %bb.336:
	v_sub_f32_e32 v21, v21, v106
	v_mul_f32_e32 v33, 0x3fb8aa3b, v21
	v_cmp_ngt_f32_e64 s4, 0xc2ce8ed0, v21
	v_fma_f32 v34, 0x3fb8aa3b, v21, -v33
	v_rndne_f32_e32 v35, v33
	v_fmamk_f32 v34, v21, 0x32a5705f, v34
	v_sub_f32_e32 v33, v33, v35
	v_add_f32_e32 v33, v33, v34
	v_cvt_i32_f32_e32 v34, v35
	v_exp_f32_e32 v33, v33
	v_ldexp_f32 v33, v33, v34
	v_cndmask_b32_e64 v33, 0, v33, s4
	v_cmp_nlt_f32_e64 s4, 0x42b17218, v21
	v_cndmask_b32_e64 v21, 0x7f800000, v33, s4
	v_mov_b32_e32 v64, v32
	v_mov_b32_e32 v63, v31
	v_mov_b32_e32 v62, v30
	v_mov_b32_e32 v61, v29
	v_add_f32_e32 v0, v0, v21
	v_mov_b32_e32 v60, v28
	v_mov_b32_e32 v59, v27
	;; [unrolled: 1-line block ×28, first 2 shown]
.LBB717_337:
	s_andn2_saveexec_b32 s4, s42
	s_or_b32 exec_lo, exec_lo, s4
	s_or_b32 exec_lo, exec_lo, s34
                                        ; implicit-def: $vgpr1_vgpr2_vgpr3_vgpr4_vgpr5_vgpr6_vgpr7_vgpr8_vgpr9_vgpr10_vgpr11_vgpr12_vgpr13_vgpr14_vgpr15_vgpr16_vgpr17_vgpr18_vgpr19_vgpr20_vgpr21_vgpr22_vgpr23_vgpr24_vgpr25_vgpr26_vgpr27_vgpr28_vgpr29_vgpr30_vgpr31_vgpr32
	s_and_saveexec_b32 s4, s5
	s_xor_b32 s4, exec_lo, s4
	s_cbranch_execnz .LBB717_237
.LBB717_338:
	s_or_saveexec_b32 s34, s4
	s_xor_b32 s5, s47, -1
	s_xor_b32 exec_lo, exec_lo, s34
	s_cbranch_execz .LBB717_238
.LBB717_339:
	global_load_ubyte v1, v[98:99], off offset:672
	s_mov_b32 s42, 0
	s_waitcnt vmcnt(0)
	v_and_b32_e32 v1, 1, v1
	v_cmp_eq_u32_e64 s4, 1, v1
	v_mov_b32_e32 v1, v33
	v_mov_b32_e32 v22, v54
	;; [unrolled: 1-line block ×33, first 2 shown]
	s_xor_b32 s4, s4, -1
	s_and_saveexec_b32 s42, s4
	s_xor_b32 s42, exec_lo, s42
	s_cbranch_execz .LBB717_341
; %bb.340:
	v_sub_f32_e32 v1, v54, v106
	v_mul_f32_e32 v2, 0x3fb8aa3b, v1
	v_cmp_ngt_f32_e64 s4, 0xc2ce8ed0, v1
	v_fma_f32 v3, 0x3fb8aa3b, v1, -v2
	v_rndne_f32_e32 v4, v2
	v_fmamk_f32 v3, v1, 0x32a5705f, v3
	v_sub_f32_e32 v2, v2, v4
	v_add_f32_e32 v2, v2, v3
	v_cvt_i32_f32_e32 v3, v4
	v_exp_f32_e32 v2, v2
	v_ldexp_f32 v2, v2, v3
	v_cndmask_b32_e64 v2, 0, v2, s4
	v_cmp_nlt_f32_e64 s4, 0x42b17218, v1
	v_cndmask_b32_e64 v54, 0x7f800000, v2, s4
	v_mov_b32_e32 v1, v33
	v_mov_b32_e32 v2, v34
	;; [unrolled: 1-line block ×4, first 2 shown]
	v_add_f32_e32 v0, v0, v54
	v_mov_b32_e32 v5, v37
	v_mov_b32_e32 v6, v38
	;; [unrolled: 1-line block ×28, first 2 shown]
.LBB717_341:
	s_andn2_saveexec_b32 s4, s42
	s_or_b32 exec_lo, exec_lo, s4
	s_or_b32 exec_lo, exec_lo, s34
                                        ; implicit-def: $vgpr33_vgpr34_vgpr35_vgpr36_vgpr37_vgpr38_vgpr39_vgpr40_vgpr41_vgpr42_vgpr43_vgpr44_vgpr45_vgpr46_vgpr47_vgpr48_vgpr49_vgpr50_vgpr51_vgpr52_vgpr53_vgpr54_vgpr55_vgpr56_vgpr57_vgpr58_vgpr59_vgpr60_vgpr61_vgpr62_vgpr63_vgpr64
	s_and_saveexec_b32 s4, s5
	s_xor_b32 s4, exec_lo, s4
	s_cbranch_execnz .LBB717_239
.LBB717_342:
	s_or_saveexec_b32 s34, s4
	s_xor_b32 s5, s46, -1
	s_xor_b32 exec_lo, exec_lo, s34
	s_cbranch_execz .LBB717_240
.LBB717_343:
	global_load_ubyte v33, v[98:99], off offset:704
	s_mov_b32 s42, 0
	s_waitcnt vmcnt(0)
	v_and_b32_e32 v33, 1, v33
	v_cmp_eq_u32_e64 s4, 1, v33
	v_mov_b32_e32 v64, v32
	v_mov_b32_e32 v55, v23
	;; [unrolled: 1-line block ×33, first 2 shown]
	s_xor_b32 s4, s4, -1
	s_and_saveexec_b32 s42, s4
	s_xor_b32 s42, exec_lo, s42
	s_cbranch_execz .LBB717_345
; %bb.344:
	v_sub_f32_e32 v23, v23, v106
	v_mul_f32_e32 v33, 0x3fb8aa3b, v23
	v_cmp_ngt_f32_e64 s4, 0xc2ce8ed0, v23
	v_fma_f32 v34, 0x3fb8aa3b, v23, -v33
	v_rndne_f32_e32 v35, v33
	v_fmamk_f32 v34, v23, 0x32a5705f, v34
	v_sub_f32_e32 v33, v33, v35
	v_add_f32_e32 v33, v33, v34
	v_cvt_i32_f32_e32 v34, v35
	v_exp_f32_e32 v33, v33
	v_ldexp_f32 v33, v33, v34
	v_cndmask_b32_e64 v33, 0, v33, s4
	v_cmp_nlt_f32_e64 s4, 0x42b17218, v23
	v_cndmask_b32_e64 v23, 0x7f800000, v33, s4
	v_mov_b32_e32 v64, v32
	v_mov_b32_e32 v63, v31
	;; [unrolled: 1-line block ×4, first 2 shown]
	v_add_f32_e32 v0, v0, v23
	v_mov_b32_e32 v60, v28
	v_mov_b32_e32 v59, v27
	;; [unrolled: 1-line block ×28, first 2 shown]
.LBB717_345:
	s_andn2_saveexec_b32 s4, s42
	s_or_b32 exec_lo, exec_lo, s4
	s_or_b32 exec_lo, exec_lo, s34
                                        ; implicit-def: $vgpr1_vgpr2_vgpr3_vgpr4_vgpr5_vgpr6_vgpr7_vgpr8_vgpr9_vgpr10_vgpr11_vgpr12_vgpr13_vgpr14_vgpr15_vgpr16_vgpr17_vgpr18_vgpr19_vgpr20_vgpr21_vgpr22_vgpr23_vgpr24_vgpr25_vgpr26_vgpr27_vgpr28_vgpr29_vgpr30_vgpr31_vgpr32
	s_and_saveexec_b32 s4, s5
	s_xor_b32 s4, exec_lo, s4
	s_cbranch_execnz .LBB717_241
.LBB717_346:
	s_or_saveexec_b32 s34, s4
	s_xor_b32 s5, s45, -1
	s_xor_b32 exec_lo, exec_lo, s34
	s_cbranch_execz .LBB717_242
.LBB717_347:
	global_load_ubyte v1, v[98:99], off offset:736
	s_mov_b32 s42, 0
	s_waitcnt vmcnt(0)
	v_and_b32_e32 v1, 1, v1
	v_cmp_eq_u32_e64 s4, 1, v1
	v_mov_b32_e32 v1, v33
	v_mov_b32_e32 v24, v56
	;; [unrolled: 1-line block ×33, first 2 shown]
	s_xor_b32 s4, s4, -1
	s_and_saveexec_b32 s42, s4
	s_xor_b32 s42, exec_lo, s42
	s_cbranch_execz .LBB717_349
; %bb.348:
	v_sub_f32_e32 v1, v56, v106
	v_mul_f32_e32 v2, 0x3fb8aa3b, v1
	v_cmp_ngt_f32_e64 s4, 0xc2ce8ed0, v1
	v_fma_f32 v3, 0x3fb8aa3b, v1, -v2
	v_rndne_f32_e32 v4, v2
	v_fmamk_f32 v3, v1, 0x32a5705f, v3
	v_sub_f32_e32 v2, v2, v4
	v_add_f32_e32 v2, v2, v3
	v_cvt_i32_f32_e32 v3, v4
	v_exp_f32_e32 v2, v2
	v_ldexp_f32 v2, v2, v3
	v_cndmask_b32_e64 v2, 0, v2, s4
	v_cmp_nlt_f32_e64 s4, 0x42b17218, v1
	v_cndmask_b32_e64 v56, 0x7f800000, v2, s4
	v_mov_b32_e32 v1, v33
	v_mov_b32_e32 v2, v34
	;; [unrolled: 1-line block ×4, first 2 shown]
	v_add_f32_e32 v0, v0, v56
	v_mov_b32_e32 v5, v37
	v_mov_b32_e32 v6, v38
	;; [unrolled: 1-line block ×28, first 2 shown]
.LBB717_349:
	s_andn2_saveexec_b32 s4, s42
	s_or_b32 exec_lo, exec_lo, s4
	s_or_b32 exec_lo, exec_lo, s34
                                        ; implicit-def: $vgpr33_vgpr34_vgpr35_vgpr36_vgpr37_vgpr38_vgpr39_vgpr40_vgpr41_vgpr42_vgpr43_vgpr44_vgpr45_vgpr46_vgpr47_vgpr48_vgpr49_vgpr50_vgpr51_vgpr52_vgpr53_vgpr54_vgpr55_vgpr56_vgpr57_vgpr58_vgpr59_vgpr60_vgpr61_vgpr62_vgpr63_vgpr64
	s_and_saveexec_b32 s4, s5
	s_xor_b32 s4, exec_lo, s4
	s_cbranch_execnz .LBB717_243
.LBB717_350:
	s_or_saveexec_b32 s34, s4
	s_xor_b32 s5, s44, -1
	s_xor_b32 exec_lo, exec_lo, s34
	s_cbranch_execz .LBB717_244
.LBB717_351:
	global_load_ubyte v33, v[98:99], off offset:768
	s_mov_b32 s42, 0
	s_waitcnt vmcnt(0)
	v_and_b32_e32 v33, 1, v33
	v_cmp_eq_u32_e64 s4, 1, v33
	v_mov_b32_e32 v64, v32
	v_mov_b32_e32 v57, v25
	;; [unrolled: 1-line block ×33, first 2 shown]
	s_xor_b32 s4, s4, -1
	s_and_saveexec_b32 s42, s4
	s_xor_b32 s42, exec_lo, s42
	s_cbranch_execz .LBB717_353
; %bb.352:
	v_sub_f32_e32 v25, v25, v106
	v_mul_f32_e32 v33, 0x3fb8aa3b, v25
	v_cmp_ngt_f32_e64 s4, 0xc2ce8ed0, v25
	v_fma_f32 v34, 0x3fb8aa3b, v25, -v33
	v_rndne_f32_e32 v35, v33
	v_fmamk_f32 v34, v25, 0x32a5705f, v34
	v_sub_f32_e32 v33, v33, v35
	v_add_f32_e32 v33, v33, v34
	v_cvt_i32_f32_e32 v34, v35
	v_exp_f32_e32 v33, v33
	v_ldexp_f32 v33, v33, v34
	v_cndmask_b32_e64 v33, 0, v33, s4
	v_cmp_nlt_f32_e64 s4, 0x42b17218, v25
	v_cndmask_b32_e64 v25, 0x7f800000, v33, s4
	v_mov_b32_e32 v64, v32
	v_mov_b32_e32 v63, v31
	;; [unrolled: 1-line block ×4, first 2 shown]
	v_add_f32_e32 v0, v0, v25
	v_mov_b32_e32 v60, v28
	v_mov_b32_e32 v59, v27
	;; [unrolled: 1-line block ×28, first 2 shown]
.LBB717_353:
	s_andn2_saveexec_b32 s4, s42
	s_or_b32 exec_lo, exec_lo, s4
	s_or_b32 exec_lo, exec_lo, s34
                                        ; implicit-def: $vgpr1_vgpr2_vgpr3_vgpr4_vgpr5_vgpr6_vgpr7_vgpr8_vgpr9_vgpr10_vgpr11_vgpr12_vgpr13_vgpr14_vgpr15_vgpr16_vgpr17_vgpr18_vgpr19_vgpr20_vgpr21_vgpr22_vgpr23_vgpr24_vgpr25_vgpr26_vgpr27_vgpr28_vgpr29_vgpr30_vgpr31_vgpr32
	s_and_saveexec_b32 s4, s5
	s_xor_b32 s4, exec_lo, s4
	s_cbranch_execnz .LBB717_245
.LBB717_354:
	s_or_saveexec_b32 s34, s4
	s_xor_b32 s5, s43, -1
	s_xor_b32 exec_lo, exec_lo, s34
	s_cbranch_execz .LBB717_246
.LBB717_355:
	global_load_ubyte v1, v[98:99], off offset:800
	s_mov_b32 s42, 0
	s_waitcnt vmcnt(0)
	v_and_b32_e32 v1, 1, v1
	v_cmp_eq_u32_e64 s4, 1, v1
	v_mov_b32_e32 v1, v33
	v_mov_b32_e32 v26, v58
	;; [unrolled: 1-line block ×33, first 2 shown]
	s_xor_b32 s4, s4, -1
	s_and_saveexec_b32 s42, s4
	s_xor_b32 s42, exec_lo, s42
	s_cbranch_execz .LBB717_357
; %bb.356:
	v_sub_f32_e32 v1, v58, v106
	v_mul_f32_e32 v2, 0x3fb8aa3b, v1
	v_cmp_ngt_f32_e64 s4, 0xc2ce8ed0, v1
	v_fma_f32 v3, 0x3fb8aa3b, v1, -v2
	v_rndne_f32_e32 v4, v2
	v_fmamk_f32 v3, v1, 0x32a5705f, v3
	v_sub_f32_e32 v2, v2, v4
	v_add_f32_e32 v2, v2, v3
	v_cvt_i32_f32_e32 v3, v4
	v_exp_f32_e32 v2, v2
	v_ldexp_f32 v2, v2, v3
	v_cndmask_b32_e64 v2, 0, v2, s4
	v_cmp_nlt_f32_e64 s4, 0x42b17218, v1
	v_cndmask_b32_e64 v58, 0x7f800000, v2, s4
	v_mov_b32_e32 v1, v33
	v_mov_b32_e32 v2, v34
	;; [unrolled: 1-line block ×4, first 2 shown]
	v_add_f32_e32 v0, v0, v58
	v_mov_b32_e32 v5, v37
	v_mov_b32_e32 v6, v38
	;; [unrolled: 1-line block ×28, first 2 shown]
.LBB717_357:
	s_andn2_saveexec_b32 s4, s42
	s_or_b32 exec_lo, exec_lo, s4
	s_or_b32 exec_lo, exec_lo, s34
                                        ; implicit-def: $vgpr33_vgpr34_vgpr35_vgpr36_vgpr37_vgpr38_vgpr39_vgpr40_vgpr41_vgpr42_vgpr43_vgpr44_vgpr45_vgpr46_vgpr47_vgpr48_vgpr49_vgpr50_vgpr51_vgpr52_vgpr53_vgpr54_vgpr55_vgpr56_vgpr57_vgpr58_vgpr59_vgpr60_vgpr61_vgpr62_vgpr63_vgpr64
	s_and_saveexec_b32 s4, s5
	s_xor_b32 s4, exec_lo, s4
	s_cbranch_execnz .LBB717_247
.LBB717_358:
	s_or_saveexec_b32 s34, s4
	s_xor_b32 s5, s41, -1
	s_xor_b32 exec_lo, exec_lo, s34
	s_cbranch_execz .LBB717_248
.LBB717_359:
	global_load_ubyte v33, v[98:99], off offset:832
	s_mov_b32 s41, 0
	s_waitcnt vmcnt(0)
	v_and_b32_e32 v33, 1, v33
	v_cmp_eq_u32_e64 s4, 1, v33
	v_mov_b32_e32 v64, v32
	v_mov_b32_e32 v59, v27
	;; [unrolled: 1-line block ×33, first 2 shown]
	s_xor_b32 s4, s4, -1
	s_and_saveexec_b32 s41, s4
	s_xor_b32 s41, exec_lo, s41
	s_cbranch_execz .LBB717_361
; %bb.360:
	v_sub_f32_e32 v27, v27, v106
	v_mul_f32_e32 v33, 0x3fb8aa3b, v27
	v_cmp_ngt_f32_e64 s4, 0xc2ce8ed0, v27
	v_fma_f32 v34, 0x3fb8aa3b, v27, -v33
	v_rndne_f32_e32 v35, v33
	v_fmamk_f32 v34, v27, 0x32a5705f, v34
	v_sub_f32_e32 v33, v33, v35
	v_add_f32_e32 v33, v33, v34
	v_cvt_i32_f32_e32 v34, v35
	v_exp_f32_e32 v33, v33
	v_ldexp_f32 v33, v33, v34
	v_cndmask_b32_e64 v33, 0, v33, s4
	v_cmp_nlt_f32_e64 s4, 0x42b17218, v27
	v_cndmask_b32_e64 v27, 0x7f800000, v33, s4
	v_mov_b32_e32 v64, v32
	v_mov_b32_e32 v63, v31
	;; [unrolled: 1-line block ×4, first 2 shown]
	v_add_f32_e32 v0, v0, v27
	v_mov_b32_e32 v60, v28
	v_mov_b32_e32 v59, v27
	v_mov_b32_e32 v58, v26
	v_mov_b32_e32 v57, v25
	v_mov_b32_e32 v56, v24
	v_mov_b32_e32 v55, v23
	v_mov_b32_e32 v54, v22
	v_mov_b32_e32 v53, v21
	v_mov_b32_e32 v52, v20
	v_mov_b32_e32 v51, v19
	v_mov_b32_e32 v50, v18
	v_mov_b32_e32 v49, v17
	v_mov_b32_e32 v48, v16
	v_mov_b32_e32 v47, v15
	v_mov_b32_e32 v46, v14
	v_mov_b32_e32 v45, v13
	v_mov_b32_e32 v44, v12
	v_mov_b32_e32 v43, v11
	v_mov_b32_e32 v42, v10
	v_mov_b32_e32 v41, v9
	v_mov_b32_e32 v40, v8
	v_mov_b32_e32 v39, v7
	v_mov_b32_e32 v38, v6
	v_mov_b32_e32 v37, v5
	v_mov_b32_e32 v36, v4
	v_mov_b32_e32 v35, v3
	v_mov_b32_e32 v34, v2
	v_mov_b32_e32 v33, v1
.LBB717_361:
	s_andn2_saveexec_b32 s4, s41
	s_or_b32 exec_lo, exec_lo, s4
	s_or_b32 exec_lo, exec_lo, s34
                                        ; implicit-def: $vgpr1_vgpr2_vgpr3_vgpr4_vgpr5_vgpr6_vgpr7_vgpr8_vgpr9_vgpr10_vgpr11_vgpr12_vgpr13_vgpr14_vgpr15_vgpr16_vgpr17_vgpr18_vgpr19_vgpr20_vgpr21_vgpr22_vgpr23_vgpr24_vgpr25_vgpr26_vgpr27_vgpr28_vgpr29_vgpr30_vgpr31_vgpr32
	s_and_saveexec_b32 s4, s5
	s_xor_b32 s4, exec_lo, s4
	s_cbranch_execnz .LBB717_249
.LBB717_362:
	s_or_saveexec_b32 s34, s4
	s_xor_b32 s5, s40, -1
	s_xor_b32 exec_lo, exec_lo, s34
	s_cbranch_execz .LBB717_250
.LBB717_363:
	global_load_ubyte v1, v[98:99], off offset:864
	s_mov_b32 s40, 0
	s_waitcnt vmcnt(0)
	v_and_b32_e32 v1, 1, v1
	v_cmp_eq_u32_e64 s4, 1, v1
	v_mov_b32_e32 v1, v33
	v_mov_b32_e32 v28, v60
	;; [unrolled: 1-line block ×33, first 2 shown]
	s_xor_b32 s4, s4, -1
	s_and_saveexec_b32 s40, s4
	s_xor_b32 s40, exec_lo, s40
	s_cbranch_execz .LBB717_365
; %bb.364:
	v_sub_f32_e32 v1, v60, v106
	v_mul_f32_e32 v2, 0x3fb8aa3b, v1
	v_cmp_ngt_f32_e64 s4, 0xc2ce8ed0, v1
	v_fma_f32 v3, 0x3fb8aa3b, v1, -v2
	v_rndne_f32_e32 v4, v2
	v_fmamk_f32 v3, v1, 0x32a5705f, v3
	v_sub_f32_e32 v2, v2, v4
	v_add_f32_e32 v2, v2, v3
	v_cvt_i32_f32_e32 v3, v4
	v_exp_f32_e32 v2, v2
	v_ldexp_f32 v2, v2, v3
	v_cndmask_b32_e64 v2, 0, v2, s4
	v_cmp_nlt_f32_e64 s4, 0x42b17218, v1
	v_cndmask_b32_e64 v60, 0x7f800000, v2, s4
	v_mov_b32_e32 v1, v33
	v_mov_b32_e32 v2, v34
	;; [unrolled: 1-line block ×4, first 2 shown]
	v_add_f32_e32 v0, v0, v60
	v_mov_b32_e32 v5, v37
	v_mov_b32_e32 v6, v38
	;; [unrolled: 1-line block ×28, first 2 shown]
.LBB717_365:
	s_andn2_saveexec_b32 s4, s40
	s_or_b32 exec_lo, exec_lo, s4
	s_or_b32 exec_lo, exec_lo, s34
                                        ; implicit-def: $vgpr33_vgpr34_vgpr35_vgpr36_vgpr37_vgpr38_vgpr39_vgpr40_vgpr41_vgpr42_vgpr43_vgpr44_vgpr45_vgpr46_vgpr47_vgpr48_vgpr49_vgpr50_vgpr51_vgpr52_vgpr53_vgpr54_vgpr55_vgpr56_vgpr57_vgpr58_vgpr59_vgpr60_vgpr61_vgpr62_vgpr63_vgpr64
	s_and_saveexec_b32 s4, s5
	s_xor_b32 s4, exec_lo, s4
	s_cbranch_execnz .LBB717_251
.LBB717_366:
	s_or_saveexec_b32 s34, s4
	s_xor_b32 s5, s39, -1
	s_xor_b32 exec_lo, exec_lo, s34
	s_cbranch_execz .LBB717_252
.LBB717_367:
	global_load_ubyte v33, v[98:99], off offset:896
	s_mov_b32 s39, 0
	s_waitcnt vmcnt(0)
	v_and_b32_e32 v33, 1, v33
	v_cmp_eq_u32_e64 s4, 1, v33
	v_mov_b32_e32 v64, v32
	v_mov_b32_e32 v61, v29
	;; [unrolled: 1-line block ×33, first 2 shown]
	s_xor_b32 s4, s4, -1
	s_and_saveexec_b32 s39, s4
	s_xor_b32 s39, exec_lo, s39
	s_cbranch_execz .LBB717_369
; %bb.368:
	v_sub_f32_e32 v29, v29, v106
	v_mul_f32_e32 v33, 0x3fb8aa3b, v29
	v_cmp_ngt_f32_e64 s4, 0xc2ce8ed0, v29
	v_fma_f32 v34, 0x3fb8aa3b, v29, -v33
	v_rndne_f32_e32 v35, v33
	v_fmamk_f32 v34, v29, 0x32a5705f, v34
	v_sub_f32_e32 v33, v33, v35
	v_add_f32_e32 v33, v33, v34
	v_cvt_i32_f32_e32 v34, v35
	v_exp_f32_e32 v33, v33
	v_ldexp_f32 v33, v33, v34
	v_cndmask_b32_e64 v33, 0, v33, s4
	v_cmp_nlt_f32_e64 s4, 0x42b17218, v29
	v_cndmask_b32_e64 v29, 0x7f800000, v33, s4
	v_mov_b32_e32 v64, v32
	v_mov_b32_e32 v63, v31
	;; [unrolled: 1-line block ×4, first 2 shown]
	v_add_f32_e32 v0, v0, v29
	v_mov_b32_e32 v61, v29
	v_mov_b32_e32 v59, v27
	;; [unrolled: 1-line block ×28, first 2 shown]
.LBB717_369:
	s_andn2_saveexec_b32 s4, s39
	s_or_b32 exec_lo, exec_lo, s4
	s_or_b32 exec_lo, exec_lo, s34
                                        ; implicit-def: $vgpr1_vgpr2_vgpr3_vgpr4_vgpr5_vgpr6_vgpr7_vgpr8_vgpr9_vgpr10_vgpr11_vgpr12_vgpr13_vgpr14_vgpr15_vgpr16_vgpr17_vgpr18_vgpr19_vgpr20_vgpr21_vgpr22_vgpr23_vgpr24_vgpr25_vgpr26_vgpr27_vgpr28_vgpr29_vgpr30_vgpr31_vgpr32
	s_and_saveexec_b32 s4, s5
	s_xor_b32 s4, exec_lo, s4
	s_cbranch_execnz .LBB717_253
.LBB717_370:
	s_or_saveexec_b32 s34, s4
	s_xor_b32 s5, s38, -1
	s_xor_b32 exec_lo, exec_lo, s34
	s_cbranch_execz .LBB717_254
.LBB717_371:
	global_load_ubyte v1, v[98:99], off offset:928
	s_mov_b32 s38, 0
	s_waitcnt vmcnt(0)
	v_and_b32_e32 v1, 1, v1
	v_cmp_eq_u32_e64 s4, 1, v1
	v_mov_b32_e32 v1, v33
	v_mov_b32_e32 v30, v62
	v_mov_b32_e32 v2, v34
	v_mov_b32_e32 v3, v35
	v_mov_b32_e32 v4, v36
	v_mov_b32_e32 v5, v37
	v_mov_b32_e32 v6, v38
	v_mov_b32_e32 v7, v39
	v_mov_b32_e32 v8, v40
	v_mov_b32_e32 v9, v41
	v_mov_b32_e32 v10, v42
	v_mov_b32_e32 v11, v43
	v_mov_b32_e32 v12, v44
	v_mov_b32_e32 v13, v45
	v_mov_b32_e32 v14, v46
	v_mov_b32_e32 v15, v47
	v_mov_b32_e32 v16, v48
	v_mov_b32_e32 v17, v49
	v_mov_b32_e32 v18, v50
	v_mov_b32_e32 v19, v51
	v_mov_b32_e32 v20, v52
	v_mov_b32_e32 v21, v53
	v_mov_b32_e32 v22, v54
	v_mov_b32_e32 v23, v55
	v_mov_b32_e32 v24, v56
	v_mov_b32_e32 v25, v57
	v_mov_b32_e32 v26, v58
	v_mov_b32_e32 v27, v59
	v_mov_b32_e32 v28, v60
	v_mov_b32_e32 v29, v61
	v_mov_b32_e32 v31, v63
	v_mov_b32_e32 v32, v64
	v_mov_b32_e32 v30, s38
	s_xor_b32 s4, s4, -1
	s_and_saveexec_b32 s38, s4
	s_xor_b32 s38, exec_lo, s38
	s_cbranch_execz .LBB717_373
; %bb.372:
	v_sub_f32_e32 v1, v62, v106
	v_mul_f32_e32 v2, 0x3fb8aa3b, v1
	v_cmp_ngt_f32_e64 s4, 0xc2ce8ed0, v1
	v_fma_f32 v3, 0x3fb8aa3b, v1, -v2
	v_rndne_f32_e32 v4, v2
	v_fmamk_f32 v3, v1, 0x32a5705f, v3
	v_sub_f32_e32 v2, v2, v4
	v_add_f32_e32 v2, v2, v3
	v_cvt_i32_f32_e32 v3, v4
	v_exp_f32_e32 v2, v2
	v_ldexp_f32 v2, v2, v3
	v_cndmask_b32_e64 v2, 0, v2, s4
	v_cmp_nlt_f32_e64 s4, 0x42b17218, v1
	v_cndmask_b32_e64 v62, 0x7f800000, v2, s4
	v_mov_b32_e32 v1, v33
	v_mov_b32_e32 v2, v34
	;; [unrolled: 1-line block ×4, first 2 shown]
	v_add_f32_e32 v0, v0, v62
	v_mov_b32_e32 v5, v37
	v_mov_b32_e32 v6, v38
	;; [unrolled: 1-line block ×28, first 2 shown]
.LBB717_373:
	s_andn2_saveexec_b32 s4, s38
	s_or_b32 exec_lo, exec_lo, s4
	s_or_b32 exec_lo, exec_lo, s34
                                        ; implicit-def: $vgpr33_vgpr34_vgpr35_vgpr36_vgpr37_vgpr38_vgpr39_vgpr40_vgpr41_vgpr42_vgpr43_vgpr44_vgpr45_vgpr46_vgpr47_vgpr48_vgpr49_vgpr50_vgpr51_vgpr52_vgpr53_vgpr54_vgpr55_vgpr56_vgpr57_vgpr58_vgpr59_vgpr60_vgpr61_vgpr62_vgpr63_vgpr64
	s_and_saveexec_b32 s4, s5
	s_xor_b32 s4, exec_lo, s4
	s_cbranch_execnz .LBB717_255
.LBB717_374:
	s_or_saveexec_b32 s34, s4
	s_xor_b32 s5, s35, -1
	s_xor_b32 exec_lo, exec_lo, s34
	s_cbranch_execz .LBB717_256
.LBB717_375:
	global_load_ubyte v33, v[98:99], off offset:960
	s_mov_b32 s35, 0
	s_waitcnt vmcnt(0)
	v_and_b32_e32 v33, 1, v33
	v_cmp_eq_u32_e64 s4, 1, v33
	v_mov_b32_e32 v64, v32
	v_mov_b32_e32 v63, v31
	;; [unrolled: 1-line block ×33, first 2 shown]
	s_xor_b32 s4, s4, -1
	s_and_saveexec_b32 s35, s4
	s_xor_b32 s35, exec_lo, s35
	s_cbranch_execz .LBB717_377
; %bb.376:
	v_sub_f32_e32 v31, v31, v106
	v_mul_f32_e32 v33, 0x3fb8aa3b, v31
	v_cmp_ngt_f32_e64 s4, 0xc2ce8ed0, v31
	v_fma_f32 v34, 0x3fb8aa3b, v31, -v33
	v_rndne_f32_e32 v35, v33
	v_fmamk_f32 v34, v31, 0x32a5705f, v34
	v_sub_f32_e32 v33, v33, v35
	v_add_f32_e32 v33, v33, v34
	v_cvt_i32_f32_e32 v34, v35
	v_exp_f32_e32 v33, v33
	v_ldexp_f32 v33, v33, v34
	v_cndmask_b32_e64 v33, 0, v33, s4
	v_cmp_nlt_f32_e64 s4, 0x42b17218, v31
	v_cndmask_b32_e64 v31, 0x7f800000, v33, s4
	v_mov_b32_e32 v64, v32
	v_mov_b32_e32 v62, v30
	;; [unrolled: 1-line block ×4, first 2 shown]
	v_add_f32_e32 v0, v0, v31
	v_mov_b32_e32 v63, v31
	v_mov_b32_e32 v59, v27
	;; [unrolled: 1-line block ×28, first 2 shown]
.LBB717_377:
	s_andn2_saveexec_b32 s4, s35
	s_or_b32 exec_lo, exec_lo, s4
	s_or_b32 exec_lo, exec_lo, s34
                                        ; implicit-def: $vgpr1_vgpr2_vgpr3_vgpr4_vgpr5_vgpr6_vgpr7_vgpr8_vgpr9_vgpr10_vgpr11_vgpr12_vgpr13_vgpr14_vgpr15_vgpr16_vgpr17_vgpr18_vgpr19_vgpr20_vgpr21_vgpr22_vgpr23_vgpr24_vgpr25_vgpr26_vgpr27_vgpr28_vgpr29_vgpr30_vgpr31_vgpr32
	s_and_saveexec_b32 s4, s5
	s_xor_b32 s4, exec_lo, s4
	s_cbranch_execnz .LBB717_257
.LBB717_378:
	s_andn2_saveexec_b32 s5, s4
	s_cbranch_execz .LBB717_382
.LBB717_379:
	global_load_ubyte v1, v[98:99], off offset:992
	s_mov_b32 s34, 0
	s_waitcnt vmcnt(0)
	v_and_b32_e32 v1, 1, v1
	v_cmp_eq_u32_e64 s4, 1, v1
	v_mov_b32_e32 v1, v33
	v_mov_b32_e32 v32, v64
	;; [unrolled: 1-line block ×33, first 2 shown]
	s_xor_b32 s4, s4, -1
	s_and_saveexec_b32 s34, s4
	s_xor_b32 s34, exec_lo, s34
	s_cbranch_execz .LBB717_381
; %bb.380:
	v_sub_f32_e32 v1, v64, v106
	v_mul_f32_e32 v2, 0x3fb8aa3b, v1
	v_cmp_ngt_f32_e64 s4, 0xc2ce8ed0, v1
	v_fma_f32 v3, 0x3fb8aa3b, v1, -v2
	v_rndne_f32_e32 v4, v2
	v_fmamk_f32 v3, v1, 0x32a5705f, v3
	v_sub_f32_e32 v2, v2, v4
	v_add_f32_e32 v2, v2, v3
	v_cvt_i32_f32_e32 v3, v4
	v_exp_f32_e32 v2, v2
	v_ldexp_f32 v2, v2, v3
	v_cndmask_b32_e64 v2, 0, v2, s4
	v_cmp_nlt_f32_e64 s4, 0x42b17218, v1
	v_cndmask_b32_e64 v64, 0x7f800000, v2, s4
	v_mov_b32_e32 v1, v33
	v_mov_b32_e32 v2, v34
	;; [unrolled: 1-line block ×4, first 2 shown]
	v_add_f32_e32 v0, v0, v64
	v_mov_b32_e32 v5, v37
	v_mov_b32_e32 v6, v38
	;; [unrolled: 1-line block ×28, first 2 shown]
.LBB717_381:
	s_andn2_saveexec_b32 s4, s34
	s_or_b32 exec_lo, exec_lo, s4
.LBB717_382:
	s_or_b32 exec_lo, exec_lo, s5
	ds_bpermute_b32 v33, v101, v0
	s_mov_b32 s5, exec_lo
	s_waitcnt lgkmcnt(0)
	v_add_f32_e32 v0, v0, v33
	ds_bpermute_b32 v33, v102, v0
	s_waitcnt lgkmcnt(0)
	v_add_f32_e32 v0, v0, v33
	ds_bpermute_b32 v33, v103, v0
	;; [unrolled: 3-line block ×4, first 2 shown]
	v_cmpx_lt_i32_e32 0, v100
	s_cbranch_execz .LBB717_480
; %bb.383:
	s_and_b32 exec_lo, exec_lo, vcc_lo
	s_cbranch_execz .LBB717_480
; %bb.384:
	s_waitcnt lgkmcnt(0)
	v_add_f32_e32 v33, v0, v33
	v_mov_b32_e32 v34, 0x7fc00000
	v_cmp_neq_f32_e64 s4, 0, v33
	s_and_saveexec_b32 s5, s4
	s_cbranch_execz .LBB717_386
; %bb.385:
	v_div_scale_f32 v0, null, v33, v33, v1
	v_rcp_f32_e32 v34, v0
	v_fma_f32 v35, -v0, v34, 1.0
	v_fmac_f32_e32 v34, v35, v34
	v_div_scale_f32 v35, vcc_lo, v1, v33, v1
	v_mul_f32_e32 v36, v35, v34
	v_fma_f32 v37, -v0, v36, v35
	v_fmac_f32_e32 v36, v37, v34
	v_fma_f32 v0, -v0, v36, v35
	v_div_fmas_f32 v0, v0, v34, v36
	v_div_fixup_f32 v34, v0, v33, v1
.LBB717_386:
	s_or_b32 exec_lo, exec_lo, s5
	v_add_co_u32 v0, vcc_lo, s36, v96
	v_add_co_ci_u32_e64 v1, null, s37, v97, vcc_lo
	global_store_dword v[0:1], v34, off
	s_and_b32 exec_lo, exec_lo, s33
	s_cbranch_execz .LBB717_480
; %bb.387:
	v_mov_b32_e32 v34, 0x7fc00000
	s_and_saveexec_b32 s5, s4
	s_cbranch_execz .LBB717_389
; %bb.388:
	v_div_scale_f32 v34, null, v33, v33, v2
	v_rcp_f32_e32 v35, v34
	v_fma_f32 v36, -v34, v35, 1.0
	v_fmac_f32_e32 v35, v36, v35
	v_div_scale_f32 v36, vcc_lo, v2, v33, v2
	v_mul_f32_e32 v37, v36, v35
	v_fma_f32 v38, -v34, v37, v36
	v_fmac_f32_e32 v37, v38, v35
	v_fma_f32 v34, -v34, v37, v36
	v_div_fmas_f32 v34, v34, v35, v37
	v_div_fixup_f32 v34, v34, v33, v2
.LBB717_389:
	s_or_b32 exec_lo, exec_lo, s5
	global_store_dword v[0:1], v34, off offset:128
	s_and_b32 exec_lo, exec_lo, s31
	s_cbranch_execz .LBB717_480
; %bb.390:
	v_mov_b32_e32 v2, 0x7fc00000
	s_and_saveexec_b32 s5, s4
	s_cbranch_execz .LBB717_392
; %bb.391:
	v_div_scale_f32 v2, null, v33, v33, v3
	v_rcp_f32_e32 v34, v2
	v_fma_f32 v35, -v2, v34, 1.0
	v_fmac_f32_e32 v34, v35, v34
	v_div_scale_f32 v35, vcc_lo, v3, v33, v3
	v_mul_f32_e32 v36, v35, v34
	v_fma_f32 v37, -v2, v36, v35
	v_fmac_f32_e32 v36, v37, v34
	v_fma_f32 v2, -v2, v36, v35
	v_div_fmas_f32 v2, v2, v34, v36
	v_div_fixup_f32 v2, v2, v33, v3
.LBB717_392:
	s_or_b32 exec_lo, exec_lo, s5
	global_store_dword v[0:1], v2, off offset:256
	;; [unrolled: 21-line block ×15, first 2 shown]
	s_and_b32 exec_lo, exec_lo, s17
	s_cbranch_execz .LBB717_480
; %bb.432:
	v_mov_b32_e32 v2, 0x7fc00000
	s_and_saveexec_b32 s5, s4
	s_cbranch_execz .LBB717_434
; %bb.433:
	v_div_scale_f32 v2, null, v33, v33, v17
	v_rcp_f32_e32 v3, v2
	v_fma_f32 v4, -v2, v3, 1.0
	v_fmac_f32_e32 v3, v4, v3
	v_div_scale_f32 v4, vcc_lo, v17, v33, v17
	v_mul_f32_e32 v5, v4, v3
	v_fma_f32 v6, -v2, v5, v4
	v_fmac_f32_e32 v5, v6, v3
	v_fma_f32 v2, -v2, v5, v4
	v_div_fmas_f32 v2, v2, v3, v5
	v_div_fixup_f32 v2, v2, v33, v17
.LBB717_434:
	s_or_b32 exec_lo, exec_lo, s5
	v_add_co_u32 v0, vcc_lo, 0x800, v0
	v_add_co_ci_u32_e64 v1, null, 0, v1, vcc_lo
	global_store_dword v[0:1], v2, off
	s_and_b32 exec_lo, exec_lo, s16
	s_cbranch_execz .LBB717_480
; %bb.435:
	v_mov_b32_e32 v2, 0x7fc00000
	s_and_saveexec_b32 s5, s4
	s_cbranch_execz .LBB717_437
; %bb.436:
	v_div_scale_f32 v2, null, v33, v33, v18
	v_rcp_f32_e32 v3, v2
	v_fma_f32 v4, -v2, v3, 1.0
	v_fmac_f32_e32 v3, v4, v3
	v_div_scale_f32 v4, vcc_lo, v18, v33, v18
	v_mul_f32_e32 v5, v4, v3
	v_fma_f32 v6, -v2, v5, v4
	v_fmac_f32_e32 v5, v6, v3
	v_fma_f32 v2, -v2, v5, v4
	v_div_fmas_f32 v2, v2, v3, v5
	v_div_fixup_f32 v2, v2, v33, v18
.LBB717_437:
	s_or_b32 exec_lo, exec_lo, s5
	global_store_dword v[0:1], v2, off offset:128
	s_and_b32 exec_lo, exec_lo, s15
	s_cbranch_execz .LBB717_480
; %bb.438:
	v_mov_b32_e32 v2, 0x7fc00000
	s_and_saveexec_b32 s5, s4
	s_cbranch_execz .LBB717_440
; %bb.439:
	v_div_scale_f32 v2, null, v33, v33, v19
	v_rcp_f32_e32 v3, v2
	v_fma_f32 v4, -v2, v3, 1.0
	v_fmac_f32_e32 v3, v4, v3
	v_div_scale_f32 v4, vcc_lo, v19, v33, v19
	v_mul_f32_e32 v5, v4, v3
	v_fma_f32 v6, -v2, v5, v4
	v_fmac_f32_e32 v5, v6, v3
	v_fma_f32 v2, -v2, v5, v4
	v_div_fmas_f32 v2, v2, v3, v5
	v_div_fixup_f32 v2, v2, v33, v19
.LBB717_440:
	s_or_b32 exec_lo, exec_lo, s5
	global_store_dword v[0:1], v2, off offset:256
	;; [unrolled: 21-line block ×15, first 2 shown]
.LBB717_480:
	s_endpgm
	.section	.rodata,"a",@progbits
	.p2align	6, 0x0
	.amdhsa_kernel _ZN12_GLOBAL__N_120softmax_warp_forwardIfffLi10ELb0ELb1ELi32EEEvPT0_PKT_iiiPKbib
		.amdhsa_group_segment_fixed_size 0
		.amdhsa_private_segment_fixed_size 0
		.amdhsa_kernarg_size 304
		.amdhsa_user_sgpr_count 6
		.amdhsa_user_sgpr_private_segment_buffer 1
		.amdhsa_user_sgpr_dispatch_ptr 0
		.amdhsa_user_sgpr_queue_ptr 0
		.amdhsa_user_sgpr_kernarg_segment_ptr 1
		.amdhsa_user_sgpr_dispatch_id 0
		.amdhsa_user_sgpr_flat_scratch_init 0
		.amdhsa_user_sgpr_private_segment_size 0
		.amdhsa_wavefront_size32 1
		.amdhsa_uses_dynamic_stack 0
		.amdhsa_system_sgpr_private_segment_wavefront_offset 0
		.amdhsa_system_sgpr_workgroup_id_x 1
		.amdhsa_system_sgpr_workgroup_id_y 0
		.amdhsa_system_sgpr_workgroup_id_z 0
		.amdhsa_system_sgpr_workgroup_info 0
		.amdhsa_system_vgpr_workitem_id 1
		.amdhsa_next_free_vgpr 107
		.amdhsa_next_free_sgpr 71
		.amdhsa_reserve_vcc 1
		.amdhsa_reserve_flat_scratch 0
		.amdhsa_float_round_mode_32 0
		.amdhsa_float_round_mode_16_64 0
		.amdhsa_float_denorm_mode_32 3
		.amdhsa_float_denorm_mode_16_64 3
		.amdhsa_dx10_clamp 1
		.amdhsa_ieee_mode 1
		.amdhsa_fp16_overflow 0
		.amdhsa_workgroup_processor_mode 1
		.amdhsa_memory_ordered 1
		.amdhsa_forward_progress 1
		.amdhsa_shared_vgpr_count 0
		.amdhsa_exception_fp_ieee_invalid_op 0
		.amdhsa_exception_fp_denorm_src 0
		.amdhsa_exception_fp_ieee_div_zero 0
		.amdhsa_exception_fp_ieee_overflow 0
		.amdhsa_exception_fp_ieee_underflow 0
		.amdhsa_exception_fp_ieee_inexact 0
		.amdhsa_exception_int_div_zero 0
	.end_amdhsa_kernel
	.section	.text._ZN12_GLOBAL__N_120softmax_warp_forwardIfffLi10ELb0ELb1ELi32EEEvPT0_PKT_iiiPKbib,"axG",@progbits,_ZN12_GLOBAL__N_120softmax_warp_forwardIfffLi10ELb0ELb1ELi32EEEvPT0_PKT_iiiPKbib,comdat
.Lfunc_end717:
	.size	_ZN12_GLOBAL__N_120softmax_warp_forwardIfffLi10ELb0ELb1ELi32EEEvPT0_PKT_iiiPKbib, .Lfunc_end717-_ZN12_GLOBAL__N_120softmax_warp_forwardIfffLi10ELb0ELb1ELi32EEEvPT0_PKT_iiiPKbib
                                        ; -- End function
	.set _ZN12_GLOBAL__N_120softmax_warp_forwardIfffLi10ELb0ELb1ELi32EEEvPT0_PKT_iiiPKbib.num_vgpr, 107
	.set _ZN12_GLOBAL__N_120softmax_warp_forwardIfffLi10ELb0ELb1ELi32EEEvPT0_PKT_iiiPKbib.num_agpr, 0
	.set _ZN12_GLOBAL__N_120softmax_warp_forwardIfffLi10ELb0ELb1ELi32EEEvPT0_PKT_iiiPKbib.numbered_sgpr, 71
	.set _ZN12_GLOBAL__N_120softmax_warp_forwardIfffLi10ELb0ELb1ELi32EEEvPT0_PKT_iiiPKbib.num_named_barrier, 0
	.set _ZN12_GLOBAL__N_120softmax_warp_forwardIfffLi10ELb0ELb1ELi32EEEvPT0_PKT_iiiPKbib.private_seg_size, 0
	.set _ZN12_GLOBAL__N_120softmax_warp_forwardIfffLi10ELb0ELb1ELi32EEEvPT0_PKT_iiiPKbib.uses_vcc, 1
	.set _ZN12_GLOBAL__N_120softmax_warp_forwardIfffLi10ELb0ELb1ELi32EEEvPT0_PKT_iiiPKbib.uses_flat_scratch, 0
	.set _ZN12_GLOBAL__N_120softmax_warp_forwardIfffLi10ELb0ELb1ELi32EEEvPT0_PKT_iiiPKbib.has_dyn_sized_stack, 0
	.set _ZN12_GLOBAL__N_120softmax_warp_forwardIfffLi10ELb0ELb1ELi32EEEvPT0_PKT_iiiPKbib.has_recursion, 0
	.set _ZN12_GLOBAL__N_120softmax_warp_forwardIfffLi10ELb0ELb1ELi32EEEvPT0_PKT_iiiPKbib.has_indirect_call, 0
	.section	.AMDGPU.csdata,"",@progbits
; Kernel info:
; codeLenInByte = 28536
; TotalNumSgprs: 73
; NumVgprs: 107
; ScratchSize: 0
; MemoryBound: 0
; FloatMode: 240
; IeeeMode: 1
; LDSByteSize: 0 bytes/workgroup (compile time only)
; SGPRBlocks: 0
; VGPRBlocks: 13
; NumSGPRsForWavesPerEU: 73
; NumVGPRsForWavesPerEU: 107
; Occupancy: 9
; WaveLimiterHint : 0
; COMPUTE_PGM_RSRC2:SCRATCH_EN: 0
; COMPUTE_PGM_RSRC2:USER_SGPR: 6
; COMPUTE_PGM_RSRC2:TRAP_HANDLER: 0
; COMPUTE_PGM_RSRC2:TGID_X_EN: 1
; COMPUTE_PGM_RSRC2:TGID_Y_EN: 0
; COMPUTE_PGM_RSRC2:TGID_Z_EN: 0
; COMPUTE_PGM_RSRC2:TIDIG_COMP_CNT: 1
	.section	.text._ZN12_GLOBAL__N_120softmax_warp_forwardIfffLi11ELb0ELb1ELi64EEEvPT0_PKT_iiiPKbib,"axG",@progbits,_ZN12_GLOBAL__N_120softmax_warp_forwardIfffLi11ELb0ELb1ELi64EEEvPT0_PKT_iiiPKbib,comdat
	.globl	_ZN12_GLOBAL__N_120softmax_warp_forwardIfffLi11ELb0ELb1ELi64EEEvPT0_PKT_iiiPKbib ; -- Begin function _ZN12_GLOBAL__N_120softmax_warp_forwardIfffLi11ELb0ELb1ELi64EEEvPT0_PKT_iiiPKbib
	.p2align	8
	.type	_ZN12_GLOBAL__N_120softmax_warp_forwardIfffLi11ELb0ELb1ELi64EEEvPT0_PKT_iiiPKbib,@function
_ZN12_GLOBAL__N_120softmax_warp_forwardIfffLi11ELb0ELb1ELi64EEEvPT0_PKT_iiiPKbib: ; @_ZN12_GLOBAL__N_120softmax_warp_forwardIfffLi11ELb0ELb1ELi64EEEvPT0_PKT_iiiPKbib
; %bb.0:
	s_clause 0x1
	s_load_dword s0, s[4:5], 0x3c
	s_load_dwordx4 s[40:43], s[4:5], 0x10
	s_waitcnt lgkmcnt(0)
	s_lshr_b32 s0, s0, 16
	v_mad_u64_u32 v[1:2], null, s6, s0, v[1:2]
	s_load_dwordx2 s[0:1], s[4:5], 0x28
	v_mul_lo_u32 v4, v1, s41
	v_add_nc_u32_e32 v2, v4, v0
	v_ashrrev_i32_e32 v3, 31, v2
	s_waitcnt lgkmcnt(0)
	s_bitcmp0_b32 s1, 0
	v_mov_b32_e32 v33, v3
	v_mov_b32_e32 v32, v2
	s_cbranch_scc1 .LBB718_2
; %bb.1:
	s_abs_i32 s1, s0
	v_sub_nc_u32_e32 v7, 0, v4
	v_cvt_f32_u32_e32 v5, s1
	s_sub_i32 s2, 0, s1
	v_max_i32_e32 v7, v4, v7
	v_rcp_iflag_f32_e32 v5, v5
	v_xor_b32_e32 v4, s0, v4
	v_ashrrev_i32_e32 v4, 31, v4
	v_mul_f32_e32 v5, 0x4f7ffffe, v5
	v_cvt_u32_f32_e32 v5, v5
	v_mul_lo_u32 v6, s2, v5
	v_mul_hi_u32 v6, v5, v6
	v_add_nc_u32_e32 v5, v5, v6
	v_mul_hi_u32 v5, v7, v5
	v_mul_lo_u32 v6, v5, s1
	v_sub_nc_u32_e32 v6, v7, v6
	v_add_nc_u32_e32 v7, 1, v5
	v_subrev_nc_u32_e32 v8, s1, v6
	v_cmp_le_u32_e32 vcc_lo, s1, v6
	v_cndmask_b32_e32 v5, v5, v7, vcc_lo
	v_cndmask_b32_e32 v6, v6, v8, vcc_lo
	v_add_nc_u32_e32 v7, 1, v5
	v_cmp_le_u32_e32 vcc_lo, s1, v6
	v_cndmask_b32_e32 v5, v5, v7, vcc_lo
	v_xor_b32_e32 v5, v5, v4
	v_sub_nc_u32_e32 v4, v5, v4
	v_mad_u64_u32 v[32:33], null, v4, s41, v[0:1]
	v_ashrrev_i32_e32 v33, 31, v32
.LBB718_2:
	s_load_dwordx4 s[36:39], s[4:5], 0x0
	v_lshlrev_b64 v[96:97], 2, v[2:3]
	v_sub_nc_u32_e32 v100, s40, v1
	v_cmp_gt_i32_e32 vcc_lo, s42, v0
	v_mov_b32_e32 v64, 0xff800000
	v_mov_b32_e32 v1, 0xff800000
	v_cmp_lt_i32_e64 s34, 0, v100
	s_and_b32 s68, s34, vcc_lo
	s_waitcnt lgkmcnt(0)
	v_add_co_u32 v34, s0, s38, v96
	v_add_co_ci_u32_e64 v35, null, s39, v97, s0
	s_and_saveexec_b32 s0, s68
	s_cbranch_execz .LBB718_4
; %bb.3:
	global_load_dword v1, v[34:35], off
.LBB718_4:
	s_or_b32 exec_lo, exec_lo, s0
	v_add_nc_u32_e32 v2, 64, v0
	v_cmp_gt_i32_e64 s33, s42, v2
	s_and_b32 s69, s34, s33
	s_and_saveexec_b32 s0, s69
	s_cbranch_execz .LBB718_6
; %bb.5:
	global_load_dword v64, v[34:35], off offset:256
.LBB718_6:
	s_or_b32 exec_lo, exec_lo, s0
	v_add_nc_u32_e32 v2, 0x80, v0
	v_mov_b32_e32 v3, 0xff800000
	v_cmp_gt_i32_e64 s31, s42, v2
	v_mov_b32_e32 v2, 0xff800000
	s_and_b32 s67, s34, s31
	s_and_saveexec_b32 s0, s67
	s_cbranch_execz .LBB718_8
; %bb.7:
	global_load_dword v2, v[34:35], off offset:512
.LBB718_8:
	s_or_b32 exec_lo, exec_lo, s0
	v_add_nc_u32_e32 v4, 0xc0, v0
	v_cmp_gt_i32_e64 s30, s42, v4
	s_and_b32 s66, s34, s30
	s_and_saveexec_b32 s0, s66
	s_cbranch_execz .LBB718_10
; %bb.9:
	global_load_dword v3, v[34:35], off offset:768
.LBB718_10:
	s_or_b32 exec_lo, exec_lo, s0
	v_add_nc_u32_e32 v4, 0x100, v0
	v_mov_b32_e32 v5, 0xff800000
	v_cmp_gt_i32_e64 s29, s42, v4
	v_mov_b32_e32 v4, 0xff800000
	s_and_b32 s65, s34, s29
	s_and_saveexec_b32 s0, s65
	s_cbranch_execz .LBB718_12
; %bb.11:
	global_load_dword v4, v[34:35], off offset:1024
.LBB718_12:
	;; [unrolled: 20-line block ×3, first 2 shown]
	s_or_b32 exec_lo, exec_lo, s0
	v_add_nc_u32_e32 v8, 0x1c0, v0
	v_cmp_gt_i32_e64 s26, s42, v8
	s_and_b32 s62, s34, s26
	s_and_saveexec_b32 s0, s62
	s_cbranch_execz .LBB718_18
; %bb.17:
	global_load_dword v7, v[34:35], off offset:1792
.LBB718_18:
	s_or_b32 exec_lo, exec_lo, s0
	v_add_nc_u32_e32 v8, 0x200, v0
	v_mov_b32_e32 v9, 0xff800000
	v_cmp_gt_i32_e64 s25, s42, v8
	v_mov_b32_e32 v8, 0xff800000
	s_and_b32 s61, s34, s25
	s_and_saveexec_b32 s1, s61
	s_cbranch_execz .LBB718_20
; %bb.19:
	v_add_co_u32 v10, s0, 0x800, v34
	v_add_co_ci_u32_e64 v11, null, 0, v35, s0
	global_load_dword v8, v[10:11], off
.LBB718_20:
	s_or_b32 exec_lo, exec_lo, s1
	v_add_nc_u32_e32 v10, 0x240, v0
	v_cmp_gt_i32_e64 s24, s42, v10
	s_and_b32 s60, s34, s24
	s_and_saveexec_b32 s1, s60
	s_cbranch_execz .LBB718_22
; %bb.21:
	v_add_co_u32 v9, s0, 0x800, v34
	v_add_co_ci_u32_e64 v10, null, 0, v35, s0
	global_load_dword v9, v[9:10], off offset:256
.LBB718_22:
	s_or_b32 exec_lo, exec_lo, s1
	v_add_nc_u32_e32 v10, 0x280, v0
	v_mov_b32_e32 v11, 0xff800000
	v_cmp_gt_i32_e64 s23, s42, v10
	v_mov_b32_e32 v10, 0xff800000
	s_and_b32 s59, s34, s23
	s_and_saveexec_b32 s1, s59
	s_cbranch_execz .LBB718_24
; %bb.23:
	v_add_co_u32 v12, s0, 0x800, v34
	v_add_co_ci_u32_e64 v13, null, 0, v35, s0
	global_load_dword v10, v[12:13], off offset:512
.LBB718_24:
	s_or_b32 exec_lo, exec_lo, s1
	v_add_nc_u32_e32 v12, 0x2c0, v0
	v_cmp_gt_i32_e64 s22, s42, v12
	s_and_b32 s58, s34, s22
	s_and_saveexec_b32 s1, s58
	s_cbranch_execz .LBB718_26
; %bb.25:
	v_add_co_u32 v11, s0, 0x800, v34
	v_add_co_ci_u32_e64 v12, null, 0, v35, s0
	global_load_dword v11, v[11:12], off offset:768
.LBB718_26:
	s_or_b32 exec_lo, exec_lo, s1
	v_add_nc_u32_e32 v12, 0x300, v0
	v_mov_b32_e32 v13, 0xff800000
	v_cmp_gt_i32_e64 s21, s42, v12
	v_mov_b32_e32 v12, 0xff800000
	s_and_b32 s57, s34, s21
	s_and_saveexec_b32 s1, s57
	s_cbranch_execz .LBB718_28
; %bb.27:
	v_add_co_u32 v14, s0, 0x800, v34
	v_add_co_ci_u32_e64 v15, null, 0, v35, s0
	global_load_dword v12, v[14:15], off offset:1024
.LBB718_28:
	;; [unrolled: 24-line block ×3, first 2 shown]
	s_or_b32 exec_lo, exec_lo, s1
	v_add_nc_u32_e32 v16, 0x3c0, v0
	v_cmp_gt_i32_e64 s18, s42, v16
	s_and_b32 s54, s34, s18
	s_and_saveexec_b32 s1, s54
	s_cbranch_execz .LBB718_34
; %bb.33:
	v_add_co_u32 v15, s0, 0x800, v34
	v_add_co_ci_u32_e64 v16, null, 0, v35, s0
	global_load_dword v15, v[15:16], off offset:1792
.LBB718_34:
	s_or_b32 exec_lo, exec_lo, s1
	v_or_b32_e32 v16, 0x400, v0
	v_mov_b32_e32 v17, 0xff800000
	v_cmp_gt_i32_e64 s17, s42, v16
	v_mov_b32_e32 v16, 0xff800000
	s_and_b32 s53, s34, s17
	s_and_saveexec_b32 s1, s53
	s_cbranch_execz .LBB718_36
; %bb.35:
	v_add_co_u32 v18, s0, 0x1000, v34
	v_add_co_ci_u32_e64 v19, null, 0, v35, s0
	global_load_dword v16, v[18:19], off
.LBB718_36:
	s_or_b32 exec_lo, exec_lo, s1
	v_add_nc_u32_e32 v18, 0x440, v0
	v_cmp_gt_i32_e64 s16, s42, v18
	s_and_b32 s52, s34, s16
	s_and_saveexec_b32 s1, s52
	s_cbranch_execz .LBB718_38
; %bb.37:
	v_add_co_u32 v17, s0, 0x1000, v34
	v_add_co_ci_u32_e64 v18, null, 0, v35, s0
	global_load_dword v17, v[17:18], off offset:256
.LBB718_38:
	s_or_b32 exec_lo, exec_lo, s1
	v_add_nc_u32_e32 v18, 0x480, v0
	v_mov_b32_e32 v19, 0xff800000
	v_cmp_gt_i32_e64 s15, s42, v18
	v_mov_b32_e32 v18, 0xff800000
	s_and_b32 s51, s34, s15
	s_and_saveexec_b32 s1, s51
	s_cbranch_execz .LBB718_40
; %bb.39:
	v_add_co_u32 v20, s0, 0x1000, v34
	v_add_co_ci_u32_e64 v21, null, 0, v35, s0
	global_load_dword v18, v[20:21], off offset:512
.LBB718_40:
	s_or_b32 exec_lo, exec_lo, s1
	v_add_nc_u32_e32 v20, 0x4c0, v0
	v_cmp_gt_i32_e64 s14, s42, v20
	s_and_b32 s50, s34, s14
	s_and_saveexec_b32 s1, s50
	s_cbranch_execz .LBB718_42
; %bb.41:
	v_add_co_u32 v19, s0, 0x1000, v34
	v_add_co_ci_u32_e64 v20, null, 0, v35, s0
	global_load_dword v19, v[19:20], off offset:768
.LBB718_42:
	s_or_b32 exec_lo, exec_lo, s1
	v_add_nc_u32_e32 v20, 0x500, v0
	v_mov_b32_e32 v21, 0xff800000
	v_cmp_gt_i32_e64 s13, s42, v20
	v_mov_b32_e32 v20, 0xff800000
	s_and_b32 s49, s34, s13
	s_and_saveexec_b32 s1, s49
	s_cbranch_execz .LBB718_44
; %bb.43:
	v_add_co_u32 v22, s0, 0x1000, v34
	v_add_co_ci_u32_e64 v23, null, 0, v35, s0
	global_load_dword v20, v[22:23], off offset:1024
.LBB718_44:
	;; [unrolled: 24-line block ×3, first 2 shown]
	s_or_b32 exec_lo, exec_lo, s1
	v_add_nc_u32_e32 v24, 0x5c0, v0
	v_cmp_gt_i32_e64 s10, s42, v24
	s_and_b32 s46, s34, s10
	s_and_saveexec_b32 s1, s46
	s_cbranch_execz .LBB718_50
; %bb.49:
	v_add_co_u32 v23, s0, 0x1000, v34
	v_add_co_ci_u32_e64 v24, null, 0, v35, s0
	global_load_dword v23, v[23:24], off offset:1792
.LBB718_50:
	s_or_b32 exec_lo, exec_lo, s1
	v_add_nc_u32_e32 v24, 0x600, v0
	v_mov_b32_e32 v25, 0xff800000
	v_cmp_gt_i32_e64 s9, s42, v24
	v_mov_b32_e32 v24, 0xff800000
	s_and_b32 s45, s34, s9
	s_and_saveexec_b32 s1, s45
	s_cbranch_execz .LBB718_52
; %bb.51:
	v_add_co_u32 v26, s0, 0x1800, v34
	v_add_co_ci_u32_e64 v27, null, 0, v35, s0
	global_load_dword v24, v[26:27], off
.LBB718_52:
	s_or_b32 exec_lo, exec_lo, s1
	v_add_nc_u32_e32 v26, 0x640, v0
	v_cmp_gt_i32_e64 s8, s42, v26
	s_and_b32 s44, s34, s8
	s_and_saveexec_b32 s1, s44
	s_cbranch_execz .LBB718_54
; %bb.53:
	v_add_co_u32 v25, s0, 0x1800, v34
	v_add_co_ci_u32_e64 v26, null, 0, v35, s0
	global_load_dword v25, v[25:26], off offset:256
.LBB718_54:
	s_or_b32 exec_lo, exec_lo, s1
	v_add_nc_u32_e32 v26, 0x680, v0
	v_mov_b32_e32 v27, 0xff800000
	v_cmp_gt_i32_e64 s7, s42, v26
	v_mov_b32_e32 v26, 0xff800000
	s_and_b32 s43, s34, s7
	s_and_saveexec_b32 s1, s43
	s_cbranch_execz .LBB718_56
; %bb.55:
	v_add_co_u32 v28, s0, 0x1800, v34
	v_add_co_ci_u32_e64 v29, null, 0, v35, s0
	global_load_dword v26, v[28:29], off offset:512
.LBB718_56:
	s_or_b32 exec_lo, exec_lo, s1
	v_add_nc_u32_e32 v28, 0x6c0, v0
	v_cmp_gt_i32_e64 s6, s42, v28
	s_and_b32 s41, s34, s6
	s_and_saveexec_b32 s1, s41
	s_cbranch_execz .LBB718_58
; %bb.57:
	v_add_co_u32 v27, s0, 0x1800, v34
	v_add_co_ci_u32_e64 v28, null, 0, v35, s0
	global_load_dword v27, v[27:28], off offset:768
.LBB718_58:
	s_or_b32 exec_lo, exec_lo, s1
	v_add_nc_u32_e32 v28, 0x700, v0
	v_mov_b32_e32 v29, 0xff800000
	v_cmp_gt_i32_e64 s3, s42, v28
	v_mov_b32_e32 v28, 0xff800000
	s_and_b32 s40, s34, s3
	s_and_saveexec_b32 s1, s40
	s_cbranch_execz .LBB718_60
; %bb.59:
	v_add_co_u32 v30, s0, 0x1800, v34
	v_add_co_ci_u32_e64 v31, null, 0, v35, s0
	global_load_dword v28, v[30:31], off offset:1024
.LBB718_60:
	;; [unrolled: 24-line block ×3, first 2 shown]
	s_or_b32 exec_lo, exec_lo, s35
	v_add_nc_u32_e32 v0, 0x7c0, v0
	v_cmp_gt_i32_e64 s0, s42, v0
	s_and_b32 s35, s34, s0
	s_and_saveexec_b32 s42, s35
	s_cbranch_execz .LBB718_66
; %bb.65:
	v_add_co_u32 v34, s34, 0x1800, v34
	v_add_co_ci_u32_e64 v35, null, 0, v35, s34
	global_load_dword v31, v[34:35], off offset:1792
.LBB718_66:
	s_or_b32 exec_lo, exec_lo, s42
	s_load_dwordx2 s[4:5], s[4:5], 0x20
	s_waitcnt lgkmcnt(0)
	v_add_co_u32 v98, s4, s4, v32
	v_add_co_ci_u32_e64 v99, null, s5, v33, s4
	s_mov_b32 s5, 0
	s_and_saveexec_b32 s34, s68
	s_cbranch_execz .LBB718_128
; %bb.67:
	global_load_ubyte v0, v[98:99], off
	s_waitcnt vmcnt(0)
	v_and_b32_e32 v0, 1, v0
	v_cmp_eq_u32_e64 s4, 1, v0
	s_xor_b32 s4, s4, -1
	s_and_b32 s5, s4, exec_lo
	s_or_b32 exec_lo, exec_lo, s34
	v_mov_b32_e32 v0, v1
	s_and_saveexec_b32 s34, s69
	s_cbranch_execnz .LBB718_129
.LBB718_68:
	s_or_b32 exec_lo, exec_lo, s34
	s_and_saveexec_b32 s34, s67
	s_cbranch_execz .LBB718_132
.LBB718_69:
	global_load_ubyte v32, v[98:99], off offset:128
	s_waitcnt vmcnt(0)
	v_and_b32_e32 v32, 1, v32
	v_cmp_eq_u32_e64 s4, 1, v32
	s_xor_b32 s70, s4, -1
	s_mov_b32 s4, s5
	s_and_saveexec_b32 s42, s70
; %bb.70:
	v_cmp_gt_f32_e64 s4, v0, v2
	s_and_b32 s4, s5, s4
	v_cndmask_b32_e64 v0, v2, v0, s4
	s_or_b32 s4, s5, exec_lo
; %bb.71:
	s_or_b32 exec_lo, exec_lo, s42
	s_andn2_b32 s5, s5, exec_lo
	s_and_b32 s4, s4, exec_lo
	s_or_b32 s5, s5, s4
	s_or_b32 exec_lo, exec_lo, s34
	s_and_saveexec_b32 s34, s66
	s_cbranch_execnz .LBB718_133
.LBB718_72:
	s_or_b32 exec_lo, exec_lo, s34
	s_and_saveexec_b32 s34, s65
	s_cbranch_execz .LBB718_136
.LBB718_73:
	global_load_ubyte v32, v[98:99], off offset:256
	s_waitcnt vmcnt(0)
	v_and_b32_e32 v32, 1, v32
	v_cmp_eq_u32_e64 s4, 1, v32
	s_xor_b32 s70, s4, -1
	s_mov_b32 s4, s5
	s_and_saveexec_b32 s42, s70
; %bb.74:
	v_cmp_gt_f32_e64 s4, v0, v4
	s_and_b32 s4, s5, s4
	v_cndmask_b32_e64 v0, v4, v0, s4
	s_or_b32 s4, s5, exec_lo
; %bb.75:
	s_or_b32 exec_lo, exec_lo, s42
	s_andn2_b32 s5, s5, exec_lo
	s_and_b32 s4, s4, exec_lo
	s_or_b32 s5, s5, s4
	s_or_b32 exec_lo, exec_lo, s34
	s_and_saveexec_b32 s34, s64
	s_cbranch_execnz .LBB718_137
.LBB718_76:
	s_or_b32 exec_lo, exec_lo, s34
	s_and_saveexec_b32 s34, s63
	s_cbranch_execz .LBB718_140
.LBB718_77:
	global_load_ubyte v32, v[98:99], off offset:384
	s_waitcnt vmcnt(0)
	v_and_b32_e32 v32, 1, v32
	v_cmp_eq_u32_e64 s4, 1, v32
	s_xor_b32 s70, s4, -1
	s_mov_b32 s4, s5
	s_and_saveexec_b32 s42, s70
; %bb.78:
	v_cmp_gt_f32_e64 s4, v0, v6
	s_and_b32 s4, s5, s4
	v_cndmask_b32_e64 v0, v6, v0, s4
	s_or_b32 s4, s5, exec_lo
; %bb.79:
	s_or_b32 exec_lo, exec_lo, s42
	s_andn2_b32 s5, s5, exec_lo
	s_and_b32 s4, s4, exec_lo
	s_or_b32 s5, s5, s4
	s_or_b32 exec_lo, exec_lo, s34
	s_and_saveexec_b32 s34, s62
	s_cbranch_execnz .LBB718_141
.LBB718_80:
	s_or_b32 exec_lo, exec_lo, s34
	s_and_saveexec_b32 s34, s61
	s_cbranch_execz .LBB718_144
.LBB718_81:
	global_load_ubyte v32, v[98:99], off offset:512
	s_waitcnt vmcnt(0)
	v_and_b32_e32 v32, 1, v32
	v_cmp_eq_u32_e64 s4, 1, v32
	s_xor_b32 s70, s4, -1
	s_mov_b32 s4, s5
	s_and_saveexec_b32 s42, s70
; %bb.82:
	v_cmp_gt_f32_e64 s4, v0, v8
	s_and_b32 s4, s5, s4
	v_cndmask_b32_e64 v0, v8, v0, s4
	s_or_b32 s4, s5, exec_lo
; %bb.83:
	s_or_b32 exec_lo, exec_lo, s42
	s_andn2_b32 s5, s5, exec_lo
	s_and_b32 s4, s4, exec_lo
	s_or_b32 s5, s5, s4
	s_or_b32 exec_lo, exec_lo, s34
	s_and_saveexec_b32 s34, s60
	s_cbranch_execnz .LBB718_145
.LBB718_84:
	s_or_b32 exec_lo, exec_lo, s34
	s_and_saveexec_b32 s34, s59
	s_cbranch_execz .LBB718_148
.LBB718_85:
	global_load_ubyte v32, v[98:99], off offset:640
	s_waitcnt vmcnt(0)
	v_and_b32_e32 v32, 1, v32
	v_cmp_eq_u32_e64 s4, 1, v32
	s_xor_b32 s70, s4, -1
	s_mov_b32 s4, s5
	s_and_saveexec_b32 s42, s70
; %bb.86:
	v_cmp_gt_f32_e64 s4, v0, v10
	s_and_b32 s4, s5, s4
	v_cndmask_b32_e64 v0, v10, v0, s4
	s_or_b32 s4, s5, exec_lo
; %bb.87:
	s_or_b32 exec_lo, exec_lo, s42
	s_andn2_b32 s5, s5, exec_lo
	s_and_b32 s4, s4, exec_lo
	s_or_b32 s5, s5, s4
	s_or_b32 exec_lo, exec_lo, s34
	s_and_saveexec_b32 s34, s58
	s_cbranch_execnz .LBB718_149
.LBB718_88:
	s_or_b32 exec_lo, exec_lo, s34
	s_and_saveexec_b32 s34, s57
	s_cbranch_execz .LBB718_152
.LBB718_89:
	global_load_ubyte v32, v[98:99], off offset:768
	s_waitcnt vmcnt(0)
	v_and_b32_e32 v32, 1, v32
	v_cmp_eq_u32_e64 s4, 1, v32
	s_xor_b32 s70, s4, -1
	s_mov_b32 s4, s5
	s_and_saveexec_b32 s42, s70
; %bb.90:
	v_cmp_gt_f32_e64 s4, v0, v12
	s_and_b32 s4, s5, s4
	v_cndmask_b32_e64 v0, v12, v0, s4
	s_or_b32 s4, s5, exec_lo
; %bb.91:
	s_or_b32 exec_lo, exec_lo, s42
	s_andn2_b32 s5, s5, exec_lo
	s_and_b32 s4, s4, exec_lo
	s_or_b32 s5, s5, s4
	s_or_b32 exec_lo, exec_lo, s34
	s_and_saveexec_b32 s34, s56
	s_cbranch_execnz .LBB718_153
.LBB718_92:
	s_or_b32 exec_lo, exec_lo, s34
	s_and_saveexec_b32 s34, s55
	s_cbranch_execz .LBB718_156
.LBB718_93:
	global_load_ubyte v32, v[98:99], off offset:896
	s_waitcnt vmcnt(0)
	v_and_b32_e32 v32, 1, v32
	v_cmp_eq_u32_e64 s4, 1, v32
	s_xor_b32 s70, s4, -1
	s_mov_b32 s4, s5
	s_and_saveexec_b32 s42, s70
; %bb.94:
	v_cmp_gt_f32_e64 s4, v0, v14
	s_and_b32 s4, s5, s4
	v_cndmask_b32_e64 v0, v14, v0, s4
	s_or_b32 s4, s5, exec_lo
; %bb.95:
	s_or_b32 exec_lo, exec_lo, s42
	s_andn2_b32 s5, s5, exec_lo
	s_and_b32 s4, s4, exec_lo
	s_or_b32 s5, s5, s4
	s_or_b32 exec_lo, exec_lo, s34
	s_and_saveexec_b32 s34, s54
	s_cbranch_execnz .LBB718_157
.LBB718_96:
	s_or_b32 exec_lo, exec_lo, s34
	s_and_saveexec_b32 s34, s53
	s_cbranch_execz .LBB718_160
.LBB718_97:
	global_load_ubyte v32, v[98:99], off offset:1024
	s_waitcnt vmcnt(0)
	v_and_b32_e32 v32, 1, v32
	v_cmp_eq_u32_e64 s4, 1, v32
	s_xor_b32 s70, s4, -1
	s_mov_b32 s4, s5
	s_and_saveexec_b32 s42, s70
; %bb.98:
	v_cmp_gt_f32_e64 s4, v0, v16
	s_and_b32 s4, s5, s4
	v_cndmask_b32_e64 v0, v16, v0, s4
	s_or_b32 s4, s5, exec_lo
; %bb.99:
	s_or_b32 exec_lo, exec_lo, s42
	s_andn2_b32 s5, s5, exec_lo
	s_and_b32 s4, s4, exec_lo
	s_or_b32 s5, s5, s4
	s_or_b32 exec_lo, exec_lo, s34
	s_and_saveexec_b32 s34, s52
	s_cbranch_execnz .LBB718_161
.LBB718_100:
	s_or_b32 exec_lo, exec_lo, s34
	s_and_saveexec_b32 s34, s51
	s_cbranch_execz .LBB718_164
.LBB718_101:
	global_load_ubyte v32, v[98:99], off offset:1152
	s_waitcnt vmcnt(0)
	v_and_b32_e32 v32, 1, v32
	v_cmp_eq_u32_e64 s4, 1, v32
	s_xor_b32 s70, s4, -1
	s_mov_b32 s4, s5
	s_and_saveexec_b32 s42, s70
; %bb.102:
	v_cmp_gt_f32_e64 s4, v0, v18
	s_and_b32 s4, s5, s4
	v_cndmask_b32_e64 v0, v18, v0, s4
	s_or_b32 s4, s5, exec_lo
; %bb.103:
	s_or_b32 exec_lo, exec_lo, s42
	s_andn2_b32 s5, s5, exec_lo
	s_and_b32 s4, s4, exec_lo
	s_or_b32 s5, s5, s4
	s_or_b32 exec_lo, exec_lo, s34
	s_and_saveexec_b32 s34, s50
	s_cbranch_execnz .LBB718_165
.LBB718_104:
	s_or_b32 exec_lo, exec_lo, s34
	s_and_saveexec_b32 s34, s49
	s_cbranch_execz .LBB718_168
.LBB718_105:
	global_load_ubyte v32, v[98:99], off offset:1280
	s_waitcnt vmcnt(0)
	v_and_b32_e32 v32, 1, v32
	v_cmp_eq_u32_e64 s4, 1, v32
	s_xor_b32 s70, s4, -1
	s_mov_b32 s4, s5
	s_and_saveexec_b32 s42, s70
; %bb.106:
	v_cmp_gt_f32_e64 s4, v0, v20
	s_and_b32 s4, s5, s4
	v_cndmask_b32_e64 v0, v20, v0, s4
	s_or_b32 s4, s5, exec_lo
; %bb.107:
	s_or_b32 exec_lo, exec_lo, s42
	s_andn2_b32 s5, s5, exec_lo
	s_and_b32 s4, s4, exec_lo
	s_or_b32 s5, s5, s4
	s_or_b32 exec_lo, exec_lo, s34
	s_and_saveexec_b32 s34, s48
	s_cbranch_execnz .LBB718_169
.LBB718_108:
	s_or_b32 exec_lo, exec_lo, s34
	s_and_saveexec_b32 s34, s47
	s_cbranch_execz .LBB718_172
.LBB718_109:
	global_load_ubyte v32, v[98:99], off offset:1408
	s_waitcnt vmcnt(0)
	v_and_b32_e32 v32, 1, v32
	v_cmp_eq_u32_e64 s4, 1, v32
	s_xor_b32 s70, s4, -1
	s_mov_b32 s4, s5
	s_and_saveexec_b32 s42, s70
; %bb.110:
	v_cmp_gt_f32_e64 s4, v0, v22
	s_and_b32 s4, s5, s4
	v_cndmask_b32_e64 v0, v22, v0, s4
	s_or_b32 s4, s5, exec_lo
; %bb.111:
	s_or_b32 exec_lo, exec_lo, s42
	s_andn2_b32 s5, s5, exec_lo
	s_and_b32 s4, s4, exec_lo
	s_or_b32 s5, s5, s4
	s_or_b32 exec_lo, exec_lo, s34
	s_and_saveexec_b32 s34, s46
	s_cbranch_execnz .LBB718_173
.LBB718_112:
	s_or_b32 exec_lo, exec_lo, s34
	s_and_saveexec_b32 s34, s45
	s_cbranch_execz .LBB718_176
.LBB718_113:
	global_load_ubyte v32, v[98:99], off offset:1536
	s_waitcnt vmcnt(0)
	v_and_b32_e32 v32, 1, v32
	v_cmp_eq_u32_e64 s4, 1, v32
	s_xor_b32 s70, s4, -1
	s_mov_b32 s4, s5
	s_and_saveexec_b32 s42, s70
; %bb.114:
	v_cmp_gt_f32_e64 s4, v0, v24
	s_and_b32 s4, s5, s4
	v_cndmask_b32_e64 v0, v24, v0, s4
	s_or_b32 s4, s5, exec_lo
; %bb.115:
	s_or_b32 exec_lo, exec_lo, s42
	s_andn2_b32 s5, s5, exec_lo
	s_and_b32 s4, s4, exec_lo
	s_or_b32 s5, s5, s4
	s_or_b32 exec_lo, exec_lo, s34
	s_and_saveexec_b32 s34, s44
	s_cbranch_execnz .LBB718_177
.LBB718_116:
	s_or_b32 exec_lo, exec_lo, s34
	s_and_saveexec_b32 s34, s43
	s_cbranch_execz .LBB718_180
.LBB718_117:
	global_load_ubyte v32, v[98:99], off offset:1664
	s_waitcnt vmcnt(0)
	v_and_b32_e32 v32, 1, v32
	v_cmp_eq_u32_e64 s4, 1, v32
	s_xor_b32 s70, s4, -1
	s_mov_b32 s4, s5
	s_and_saveexec_b32 s42, s70
; %bb.118:
	v_cmp_gt_f32_e64 s4, v0, v26
	s_and_b32 s4, s5, s4
	v_cndmask_b32_e64 v0, v26, v0, s4
	s_or_b32 s4, s5, exec_lo
; %bb.119:
	s_or_b32 exec_lo, exec_lo, s42
	s_andn2_b32 s5, s5, exec_lo
	s_and_b32 s4, s4, exec_lo
	s_or_b32 s5, s5, s4
	s_or_b32 exec_lo, exec_lo, s34
	s_and_saveexec_b32 s34, s41
	s_cbranch_execnz .LBB718_181
.LBB718_120:
	s_or_b32 exec_lo, exec_lo, s34
	s_and_saveexec_b32 s34, s40
	s_cbranch_execz .LBB718_184
.LBB718_121:
	global_load_ubyte v32, v[98:99], off offset:1792
	s_waitcnt vmcnt(0)
	v_and_b32_e32 v32, 1, v32
	v_cmp_eq_u32_e64 s4, 1, v32
	s_xor_b32 s70, s4, -1
	s_mov_b32 s4, s5
	s_and_saveexec_b32 s42, s70
; %bb.122:
	v_cmp_gt_f32_e64 s4, v0, v28
	s_and_b32 s4, s5, s4
	v_cndmask_b32_e64 v0, v28, v0, s4
	s_or_b32 s4, s5, exec_lo
; %bb.123:
	s_or_b32 exec_lo, exec_lo, s42
	s_andn2_b32 s5, s5, exec_lo
	s_and_b32 s4, s4, exec_lo
	s_or_b32 s5, s5, s4
	s_or_b32 exec_lo, exec_lo, s34
	s_and_saveexec_b32 s34, s39
	s_cbranch_execnz .LBB718_185
.LBB718_124:
	s_or_b32 exec_lo, exec_lo, s34
	s_and_saveexec_b32 s34, s38
	s_cbranch_execz .LBB718_188
.LBB718_125:
	global_load_ubyte v32, v[98:99], off offset:1920
	s_waitcnt vmcnt(0)
	v_and_b32_e32 v32, 1, v32
	v_cmp_eq_u32_e64 s4, 1, v32
	s_xor_b32 s70, s4, -1
	s_mov_b32 s4, s5
	s_and_saveexec_b32 s42, s70
; %bb.126:
	v_cmp_gt_f32_e64 s4, v0, v30
	s_and_b32 s4, s5, s4
	v_cndmask_b32_e64 v0, v30, v0, s4
	s_or_b32 s4, s5, exec_lo
; %bb.127:
	s_or_b32 exec_lo, exec_lo, s42
	s_andn2_b32 s5, s5, exec_lo
	s_and_b32 s4, s4, exec_lo
	s_or_b32 s5, s5, s4
	s_or_b32 exec_lo, exec_lo, s34
	s_and_saveexec_b32 s34, s35
	s_cbranch_execz .LBB718_192
	s_branch .LBB718_189
.LBB718_128:
	s_or_b32 exec_lo, exec_lo, s34
	s_waitcnt vmcnt(0)
	v_mov_b32_e32 v0, v1
	s_and_saveexec_b32 s34, s69
	s_cbranch_execz .LBB718_68
.LBB718_129:
	global_load_ubyte v0, v[98:99], off offset:64
	s_waitcnt vmcnt(0)
	v_and_b32_e32 v0, 1, v0
	v_cmp_eq_u32_e64 s4, 1, v0
	v_mov_b32_e32 v0, v1
	s_xor_b32 s70, s4, -1
	s_mov_b32 s4, s5
	s_and_saveexec_b32 s42, s70
; %bb.130:
	v_cmp_gt_f32_e64 s4, v1, v64
	s_and_b32 s4, s5, s4
	v_cndmask_b32_e64 v0, v64, v1, s4
	s_or_b32 s4, s5, exec_lo
; %bb.131:
	s_or_b32 exec_lo, exec_lo, s42
	s_andn2_b32 s5, s5, exec_lo
	s_and_b32 s4, s4, exec_lo
	s_or_b32 s5, s5, s4
	s_or_b32 exec_lo, exec_lo, s34
	s_and_saveexec_b32 s34, s67
	s_cbranch_execnz .LBB718_69
.LBB718_132:
	s_or_b32 exec_lo, exec_lo, s34
	s_and_saveexec_b32 s34, s66
	s_cbranch_execz .LBB718_72
.LBB718_133:
	global_load_ubyte v32, v[98:99], off offset:192
	s_waitcnt vmcnt(0)
	v_and_b32_e32 v32, 1, v32
	v_cmp_eq_u32_e64 s4, 1, v32
	s_xor_b32 s70, s4, -1
	s_mov_b32 s4, s5
	s_and_saveexec_b32 s42, s70
; %bb.134:
	v_cmp_gt_f32_e64 s4, v0, v3
	s_and_b32 s4, s5, s4
	v_cndmask_b32_e64 v0, v3, v0, s4
	s_or_b32 s4, s5, exec_lo
; %bb.135:
	s_or_b32 exec_lo, exec_lo, s42
	s_andn2_b32 s5, s5, exec_lo
	s_and_b32 s4, s4, exec_lo
	s_or_b32 s5, s5, s4
	s_or_b32 exec_lo, exec_lo, s34
	s_and_saveexec_b32 s34, s65
	s_cbranch_execnz .LBB718_73
.LBB718_136:
	s_or_b32 exec_lo, exec_lo, s34
	s_and_saveexec_b32 s34, s64
	s_cbranch_execz .LBB718_76
.LBB718_137:
	global_load_ubyte v32, v[98:99], off offset:320
	s_waitcnt vmcnt(0)
	v_and_b32_e32 v32, 1, v32
	v_cmp_eq_u32_e64 s4, 1, v32
	s_xor_b32 s70, s4, -1
	s_mov_b32 s4, s5
	s_and_saveexec_b32 s42, s70
; %bb.138:
	v_cmp_gt_f32_e64 s4, v0, v5
	s_and_b32 s4, s5, s4
	v_cndmask_b32_e64 v0, v5, v0, s4
	s_or_b32 s4, s5, exec_lo
; %bb.139:
	s_or_b32 exec_lo, exec_lo, s42
	s_andn2_b32 s5, s5, exec_lo
	s_and_b32 s4, s4, exec_lo
	s_or_b32 s5, s5, s4
	s_or_b32 exec_lo, exec_lo, s34
	s_and_saveexec_b32 s34, s63
	s_cbranch_execnz .LBB718_77
.LBB718_140:
	s_or_b32 exec_lo, exec_lo, s34
	s_and_saveexec_b32 s34, s62
	s_cbranch_execz .LBB718_80
.LBB718_141:
	global_load_ubyte v32, v[98:99], off offset:448
	s_waitcnt vmcnt(0)
	v_and_b32_e32 v32, 1, v32
	v_cmp_eq_u32_e64 s4, 1, v32
	s_xor_b32 s70, s4, -1
	s_mov_b32 s4, s5
	s_and_saveexec_b32 s42, s70
; %bb.142:
	v_cmp_gt_f32_e64 s4, v0, v7
	s_and_b32 s4, s5, s4
	v_cndmask_b32_e64 v0, v7, v0, s4
	s_or_b32 s4, s5, exec_lo
; %bb.143:
	s_or_b32 exec_lo, exec_lo, s42
	s_andn2_b32 s5, s5, exec_lo
	s_and_b32 s4, s4, exec_lo
	s_or_b32 s5, s5, s4
	s_or_b32 exec_lo, exec_lo, s34
	s_and_saveexec_b32 s34, s61
	s_cbranch_execnz .LBB718_81
.LBB718_144:
	s_or_b32 exec_lo, exec_lo, s34
	s_and_saveexec_b32 s34, s60
	s_cbranch_execz .LBB718_84
.LBB718_145:
	global_load_ubyte v32, v[98:99], off offset:576
	s_waitcnt vmcnt(0)
	v_and_b32_e32 v32, 1, v32
	v_cmp_eq_u32_e64 s4, 1, v32
	s_xor_b32 s70, s4, -1
	s_mov_b32 s4, s5
	s_and_saveexec_b32 s42, s70
; %bb.146:
	v_cmp_gt_f32_e64 s4, v0, v9
	s_and_b32 s4, s5, s4
	v_cndmask_b32_e64 v0, v9, v0, s4
	s_or_b32 s4, s5, exec_lo
; %bb.147:
	s_or_b32 exec_lo, exec_lo, s42
	s_andn2_b32 s5, s5, exec_lo
	s_and_b32 s4, s4, exec_lo
	s_or_b32 s5, s5, s4
	s_or_b32 exec_lo, exec_lo, s34
	s_and_saveexec_b32 s34, s59
	s_cbranch_execnz .LBB718_85
.LBB718_148:
	s_or_b32 exec_lo, exec_lo, s34
	s_and_saveexec_b32 s34, s58
	s_cbranch_execz .LBB718_88
.LBB718_149:
	global_load_ubyte v32, v[98:99], off offset:704
	s_waitcnt vmcnt(0)
	v_and_b32_e32 v32, 1, v32
	v_cmp_eq_u32_e64 s4, 1, v32
	s_xor_b32 s70, s4, -1
	s_mov_b32 s4, s5
	s_and_saveexec_b32 s42, s70
; %bb.150:
	v_cmp_gt_f32_e64 s4, v0, v11
	s_and_b32 s4, s5, s4
	v_cndmask_b32_e64 v0, v11, v0, s4
	s_or_b32 s4, s5, exec_lo
; %bb.151:
	s_or_b32 exec_lo, exec_lo, s42
	s_andn2_b32 s5, s5, exec_lo
	s_and_b32 s4, s4, exec_lo
	s_or_b32 s5, s5, s4
	s_or_b32 exec_lo, exec_lo, s34
	s_and_saveexec_b32 s34, s57
	s_cbranch_execnz .LBB718_89
.LBB718_152:
	s_or_b32 exec_lo, exec_lo, s34
	s_and_saveexec_b32 s34, s56
	s_cbranch_execz .LBB718_92
.LBB718_153:
	global_load_ubyte v32, v[98:99], off offset:832
	s_waitcnt vmcnt(0)
	v_and_b32_e32 v32, 1, v32
	v_cmp_eq_u32_e64 s4, 1, v32
	s_xor_b32 s70, s4, -1
	s_mov_b32 s4, s5
	s_and_saveexec_b32 s42, s70
; %bb.154:
	v_cmp_gt_f32_e64 s4, v0, v13
	s_and_b32 s4, s5, s4
	v_cndmask_b32_e64 v0, v13, v0, s4
	s_or_b32 s4, s5, exec_lo
; %bb.155:
	s_or_b32 exec_lo, exec_lo, s42
	s_andn2_b32 s5, s5, exec_lo
	s_and_b32 s4, s4, exec_lo
	s_or_b32 s5, s5, s4
	s_or_b32 exec_lo, exec_lo, s34
	s_and_saveexec_b32 s34, s55
	s_cbranch_execnz .LBB718_93
.LBB718_156:
	s_or_b32 exec_lo, exec_lo, s34
	s_and_saveexec_b32 s34, s54
	s_cbranch_execz .LBB718_96
.LBB718_157:
	global_load_ubyte v32, v[98:99], off offset:960
	s_waitcnt vmcnt(0)
	v_and_b32_e32 v32, 1, v32
	v_cmp_eq_u32_e64 s4, 1, v32
	s_xor_b32 s70, s4, -1
	s_mov_b32 s4, s5
	s_and_saveexec_b32 s42, s70
; %bb.158:
	v_cmp_gt_f32_e64 s4, v0, v15
	s_and_b32 s4, s5, s4
	v_cndmask_b32_e64 v0, v15, v0, s4
	s_or_b32 s4, s5, exec_lo
; %bb.159:
	s_or_b32 exec_lo, exec_lo, s42
	s_andn2_b32 s5, s5, exec_lo
	s_and_b32 s4, s4, exec_lo
	s_or_b32 s5, s5, s4
	s_or_b32 exec_lo, exec_lo, s34
	s_and_saveexec_b32 s34, s53
	s_cbranch_execnz .LBB718_97
.LBB718_160:
	s_or_b32 exec_lo, exec_lo, s34
	s_and_saveexec_b32 s34, s52
	s_cbranch_execz .LBB718_100
.LBB718_161:
	global_load_ubyte v32, v[98:99], off offset:1088
	s_waitcnt vmcnt(0)
	v_and_b32_e32 v32, 1, v32
	v_cmp_eq_u32_e64 s4, 1, v32
	s_xor_b32 s70, s4, -1
	s_mov_b32 s4, s5
	s_and_saveexec_b32 s42, s70
; %bb.162:
	v_cmp_gt_f32_e64 s4, v0, v17
	s_and_b32 s4, s5, s4
	v_cndmask_b32_e64 v0, v17, v0, s4
	s_or_b32 s4, s5, exec_lo
; %bb.163:
	s_or_b32 exec_lo, exec_lo, s42
	s_andn2_b32 s5, s5, exec_lo
	s_and_b32 s4, s4, exec_lo
	s_or_b32 s5, s5, s4
	s_or_b32 exec_lo, exec_lo, s34
	s_and_saveexec_b32 s34, s51
	s_cbranch_execnz .LBB718_101
.LBB718_164:
	s_or_b32 exec_lo, exec_lo, s34
	s_and_saveexec_b32 s34, s50
	s_cbranch_execz .LBB718_104
.LBB718_165:
	global_load_ubyte v32, v[98:99], off offset:1216
	s_waitcnt vmcnt(0)
	v_and_b32_e32 v32, 1, v32
	v_cmp_eq_u32_e64 s4, 1, v32
	s_xor_b32 s70, s4, -1
	s_mov_b32 s4, s5
	s_and_saveexec_b32 s42, s70
; %bb.166:
	v_cmp_gt_f32_e64 s4, v0, v19
	s_and_b32 s4, s5, s4
	v_cndmask_b32_e64 v0, v19, v0, s4
	s_or_b32 s4, s5, exec_lo
; %bb.167:
	s_or_b32 exec_lo, exec_lo, s42
	s_andn2_b32 s5, s5, exec_lo
	s_and_b32 s4, s4, exec_lo
	s_or_b32 s5, s5, s4
	s_or_b32 exec_lo, exec_lo, s34
	s_and_saveexec_b32 s34, s49
	s_cbranch_execnz .LBB718_105
.LBB718_168:
	s_or_b32 exec_lo, exec_lo, s34
	s_and_saveexec_b32 s34, s48
	s_cbranch_execz .LBB718_108
.LBB718_169:
	global_load_ubyte v32, v[98:99], off offset:1344
	s_waitcnt vmcnt(0)
	v_and_b32_e32 v32, 1, v32
	v_cmp_eq_u32_e64 s4, 1, v32
	s_xor_b32 s70, s4, -1
	s_mov_b32 s4, s5
	s_and_saveexec_b32 s42, s70
; %bb.170:
	v_cmp_gt_f32_e64 s4, v0, v21
	s_and_b32 s4, s5, s4
	v_cndmask_b32_e64 v0, v21, v0, s4
	s_or_b32 s4, s5, exec_lo
; %bb.171:
	s_or_b32 exec_lo, exec_lo, s42
	s_andn2_b32 s5, s5, exec_lo
	s_and_b32 s4, s4, exec_lo
	s_or_b32 s5, s5, s4
	s_or_b32 exec_lo, exec_lo, s34
	s_and_saveexec_b32 s34, s47
	s_cbranch_execnz .LBB718_109
.LBB718_172:
	s_or_b32 exec_lo, exec_lo, s34
	s_and_saveexec_b32 s34, s46
	s_cbranch_execz .LBB718_112
.LBB718_173:
	global_load_ubyte v32, v[98:99], off offset:1472
	s_waitcnt vmcnt(0)
	v_and_b32_e32 v32, 1, v32
	v_cmp_eq_u32_e64 s4, 1, v32
	s_xor_b32 s70, s4, -1
	s_mov_b32 s4, s5
	s_and_saveexec_b32 s42, s70
; %bb.174:
	v_cmp_gt_f32_e64 s4, v0, v23
	s_and_b32 s4, s5, s4
	v_cndmask_b32_e64 v0, v23, v0, s4
	s_or_b32 s4, s5, exec_lo
; %bb.175:
	s_or_b32 exec_lo, exec_lo, s42
	s_andn2_b32 s5, s5, exec_lo
	s_and_b32 s4, s4, exec_lo
	s_or_b32 s5, s5, s4
	s_or_b32 exec_lo, exec_lo, s34
	s_and_saveexec_b32 s34, s45
	s_cbranch_execnz .LBB718_113
.LBB718_176:
	s_or_b32 exec_lo, exec_lo, s34
	s_and_saveexec_b32 s34, s44
	s_cbranch_execz .LBB718_116
.LBB718_177:
	global_load_ubyte v32, v[98:99], off offset:1600
	s_waitcnt vmcnt(0)
	v_and_b32_e32 v32, 1, v32
	v_cmp_eq_u32_e64 s4, 1, v32
	s_xor_b32 s70, s4, -1
	s_mov_b32 s4, s5
	s_and_saveexec_b32 s42, s70
; %bb.178:
	v_cmp_gt_f32_e64 s4, v0, v25
	s_and_b32 s4, s5, s4
	v_cndmask_b32_e64 v0, v25, v0, s4
	s_or_b32 s4, s5, exec_lo
; %bb.179:
	s_or_b32 exec_lo, exec_lo, s42
	s_andn2_b32 s5, s5, exec_lo
	s_and_b32 s4, s4, exec_lo
	s_or_b32 s5, s5, s4
	s_or_b32 exec_lo, exec_lo, s34
	s_and_saveexec_b32 s34, s43
	s_cbranch_execnz .LBB718_117
.LBB718_180:
	s_or_b32 exec_lo, exec_lo, s34
	s_and_saveexec_b32 s34, s41
	s_cbranch_execz .LBB718_120
.LBB718_181:
	global_load_ubyte v32, v[98:99], off offset:1728
	s_waitcnt vmcnt(0)
	v_and_b32_e32 v32, 1, v32
	v_cmp_eq_u32_e64 s4, 1, v32
	s_xor_b32 s70, s4, -1
	s_mov_b32 s4, s5
	s_and_saveexec_b32 s42, s70
; %bb.182:
	v_cmp_gt_f32_e64 s4, v0, v27
	s_and_b32 s4, s5, s4
	v_cndmask_b32_e64 v0, v27, v0, s4
	s_or_b32 s4, s5, exec_lo
; %bb.183:
	s_or_b32 exec_lo, exec_lo, s42
	s_andn2_b32 s5, s5, exec_lo
	s_and_b32 s4, s4, exec_lo
	s_or_b32 s5, s5, s4
	s_or_b32 exec_lo, exec_lo, s34
	s_and_saveexec_b32 s34, s40
	s_cbranch_execnz .LBB718_121
.LBB718_184:
	s_or_b32 exec_lo, exec_lo, s34
	s_and_saveexec_b32 s34, s39
	s_cbranch_execz .LBB718_124
.LBB718_185:
	global_load_ubyte v32, v[98:99], off offset:1856
	s_waitcnt vmcnt(0)
	v_and_b32_e32 v32, 1, v32
	v_cmp_eq_u32_e64 s4, 1, v32
	s_xor_b32 s70, s4, -1
	s_mov_b32 s4, s5
	s_and_saveexec_b32 s42, s70
; %bb.186:
	v_cmp_gt_f32_e64 s4, v0, v29
	s_and_b32 s4, s5, s4
	v_cndmask_b32_e64 v0, v29, v0, s4
	s_or_b32 s4, s5, exec_lo
; %bb.187:
	s_or_b32 exec_lo, exec_lo, s42
	s_andn2_b32 s5, s5, exec_lo
	s_and_b32 s4, s4, exec_lo
	s_or_b32 s5, s5, s4
	s_or_b32 exec_lo, exec_lo, s34
	s_and_saveexec_b32 s34, s38
	s_cbranch_execnz .LBB718_125
.LBB718_188:
	s_or_b32 exec_lo, exec_lo, s34
	s_and_saveexec_b32 s34, s35
	s_cbranch_execz .LBB718_192
.LBB718_189:
	global_load_ubyte v32, v[98:99], off offset:1984
	s_waitcnt vmcnt(0)
	v_and_b32_e32 v32, 1, v32
	v_cmp_eq_u32_e64 s4, 1, v32
	s_xor_b32 s70, s4, -1
	s_mov_b32 s4, s5
	s_and_saveexec_b32 s42, s70
; %bb.190:
	v_cmp_gt_f32_e64 s4, v0, v31
	s_and_b32 s4, s5, s4
	v_cndmask_b32_e64 v0, v31, v0, s4
	s_or_b32 s4, s5, exec_lo
; %bb.191:
	s_or_b32 exec_lo, exec_lo, s42
	s_andn2_b32 s5, s5, exec_lo
	s_and_b32 s4, s4, exec_lo
	s_or_b32 s5, s5, s4
.LBB718_192:
	s_or_b32 exec_lo, exec_lo, s34
	v_mbcnt_lo_u32_b32 v32, -1, 0
	v_cndmask_b32_e64 v0, 0xff800000, v0, s5
	s_xor_b32 s5, s69, -1
	v_or_b32_e32 v33, 32, v32
	v_xor_b32_e32 v34, 16, v32
	v_cmp_gt_i32_e64 s4, 64, v33
	v_cndmask_b32_e64 v33, v32, v33, s4
	v_cmp_gt_i32_e64 s4, 64, v34
	v_lshlrev_b32_e32 v101, 2, v33
	v_cndmask_b32_e64 v34, v32, v34, s4
	ds_bpermute_b32 v33, v101, v0
	v_lshlrev_b32_e32 v102, 2, v34
	v_xor_b32_e32 v34, 8, v32
	s_waitcnt lgkmcnt(0)
	v_cmp_lt_f32_e64 s4, v0, v33
	v_cndmask_b32_e64 v0, v0, v33, s4
	v_cmp_gt_i32_e64 s4, 64, v34
	ds_bpermute_b32 v33, v102, v0
	v_cndmask_b32_e64 v34, v32, v34, s4
	v_lshlrev_b32_e32 v103, 2, v34
	v_xor_b32_e32 v34, 4, v32
	s_waitcnt lgkmcnt(0)
	v_cmp_lt_f32_e64 s4, v0, v33
	v_cndmask_b32_e64 v0, v0, v33, s4
	v_cmp_gt_i32_e64 s4, 64, v34
	ds_bpermute_b32 v33, v103, v0
	v_cndmask_b32_e64 v34, v32, v34, s4
	;; [unrolled: 8-line block ×4, first 2 shown]
	v_lshlrev_b32_e32 v106, 2, v32
	s_waitcnt lgkmcnt(0)
	v_cmp_lt_f32_e64 s4, v0, v33
	v_cndmask_b32_e64 v0, v0, v33, s4
	ds_bpermute_b32 v32, v106, v0
	s_waitcnt lgkmcnt(0)
	v_cmp_lt_f32_e64 s4, v0, v32
	v_cndmask_b32_e64 v107, v0, v32, s4
	v_mov_b32_e32 v0, 0
	s_and_saveexec_b32 s34, s68
	s_cbranch_execz .LBB718_196
; %bb.193:
	global_load_ubyte v0, v[98:99], off
	s_waitcnt vmcnt(0)
	v_and_b32_e32 v0, 1, v0
	v_cmp_eq_u32_e64 s4, 1, v0
	v_mov_b32_e32 v0, 0
	s_xor_b32 s4, s4, -1
	s_and_saveexec_b32 s42, s4
	s_cbranch_execz .LBB718_195
; %bb.194:
	v_sub_f32_e32 v0, v1, v107
	v_mul_f32_e32 v1, 0x3fb8aa3b, v0
	v_cmp_ngt_f32_e64 s4, 0xc2ce8ed0, v0
	v_fma_f32 v32, 0x3fb8aa3b, v0, -v1
	v_rndne_f32_e32 v33, v1
	v_fmamk_f32 v32, v0, 0x32a5705f, v32
	v_sub_f32_e32 v1, v1, v33
	v_add_f32_e32 v1, v1, v32
	v_cvt_i32_f32_e32 v32, v33
	v_exp_f32_e32 v1, v1
	v_ldexp_f32 v1, v1, v32
	v_cndmask_b32_e64 v1, 0, v1, s4
	v_cmp_nlt_f32_e64 s4, 0x42b17218, v0
	v_cndmask_b32_e64 v0, 0x7f800000, v1, s4
.LBB718_195:
	s_or_b32 exec_lo, exec_lo, s42
.LBB718_196:
	s_or_b32 exec_lo, exec_lo, s34
                                        ; implicit-def: $vgpr32_vgpr33_vgpr34_vgpr35_vgpr36_vgpr37_vgpr38_vgpr39_vgpr40_vgpr41_vgpr42_vgpr43_vgpr44_vgpr45_vgpr46_vgpr47_vgpr48_vgpr49_vgpr50_vgpr51_vgpr52_vgpr53_vgpr54_vgpr55_vgpr56_vgpr57_vgpr58_vgpr59_vgpr60_vgpr61_vgpr62_vgpr63
	s_and_saveexec_b32 s4, s5
	s_xor_b32 s4, exec_lo, s4
	s_cbranch_execz .LBB718_258
; %bb.197:
	s_mov_b32 s5, 0
                                        ; implicit-def: $vgpr64
	v_mov_b32_e32 v1, s5
	v_mov_b32_e32 v63, v31
	;; [unrolled: 1-line block ×33, first 2 shown]
	s_or_saveexec_b32 s34, s4
	s_xor_b32 s5, s67, -1
	s_xor_b32 exec_lo, exec_lo, s34
	s_cbranch_execnz .LBB718_259
.LBB718_198:
	s_or_b32 exec_lo, exec_lo, s34
                                        ; implicit-def: $vgpr64_vgpr65_vgpr66_vgpr67_vgpr68_vgpr69_vgpr70_vgpr71_vgpr72_vgpr73_vgpr74_vgpr75_vgpr76_vgpr77_vgpr78_vgpr79_vgpr80_vgpr81_vgpr82_vgpr83_vgpr84_vgpr85_vgpr86_vgpr87_vgpr88_vgpr89_vgpr90_vgpr91_vgpr92_vgpr93_vgpr94_vgpr95
	s_and_saveexec_b32 s4, s5
	s_xor_b32 s4, exec_lo, s4
	s_cbranch_execz .LBB718_262
.LBB718_199:
	s_mov_b32 s5, 0
	v_mov_b32_e32 v34, s5
	v_mov_b32_e32 v95, v63
	;; [unrolled: 1-line block ×33, first 2 shown]
                                        ; implicit-def: $vgpr32_vgpr33_vgpr34_vgpr35_vgpr36_vgpr37_vgpr38_vgpr39_vgpr40_vgpr41_vgpr42_vgpr43_vgpr44_vgpr45_vgpr46_vgpr47_vgpr48_vgpr49_vgpr50_vgpr51_vgpr52_vgpr53_vgpr54_vgpr55_vgpr56_vgpr57_vgpr58_vgpr59_vgpr60_vgpr61_vgpr62_vgpr63
	s_or_saveexec_b32 s34, s4
	s_xor_b32 s5, s66, -1
	s_xor_b32 exec_lo, exec_lo, s34
	s_cbranch_execnz .LBB718_263
.LBB718_200:
	s_or_b32 exec_lo, exec_lo, s34
                                        ; implicit-def: $vgpr1_vgpr2_vgpr3_vgpr4_vgpr5_vgpr6_vgpr7_vgpr8_vgpr9_vgpr10_vgpr11_vgpr12_vgpr13_vgpr14_vgpr15_vgpr16_vgpr17_vgpr18_vgpr19_vgpr20_vgpr21_vgpr22_vgpr23_vgpr24_vgpr25_vgpr26_vgpr27_vgpr28_vgpr29_vgpr30_vgpr31_vgpr32
	s_and_saveexec_b32 s4, s5
	s_xor_b32 s4, exec_lo, s4
	s_cbranch_execz .LBB718_266
.LBB718_201:
	s_mov_b32 s5, 0
	v_mov_b32_e32 v67, s5
	v_mov_b32_e32 v1, v64
	;; [unrolled: 1-line block ×33, first 2 shown]
                                        ; implicit-def: $vgpr64_vgpr65_vgpr66_vgpr67_vgpr68_vgpr69_vgpr70_vgpr71_vgpr72_vgpr73_vgpr74_vgpr75_vgpr76_vgpr77_vgpr78_vgpr79_vgpr80_vgpr81_vgpr82_vgpr83_vgpr84_vgpr85_vgpr86_vgpr87_vgpr88_vgpr89_vgpr90_vgpr91_vgpr92_vgpr93_vgpr94_vgpr95
	s_or_saveexec_b32 s34, s4
	s_xor_b32 s5, s65, -1
	s_xor_b32 exec_lo, exec_lo, s34
	s_cbranch_execnz .LBB718_267
.LBB718_202:
	s_or_b32 exec_lo, exec_lo, s34
                                        ; implicit-def: $vgpr33_vgpr34_vgpr35_vgpr36_vgpr37_vgpr38_vgpr39_vgpr40_vgpr41_vgpr42_vgpr43_vgpr44_vgpr45_vgpr46_vgpr47_vgpr48_vgpr49_vgpr50_vgpr51_vgpr52_vgpr53_vgpr54_vgpr55_vgpr56_vgpr57_vgpr58_vgpr59_vgpr60_vgpr61_vgpr62_vgpr63_vgpr64
	s_and_saveexec_b32 s4, s5
	s_xor_b32 s4, exec_lo, s4
	s_cbranch_execz .LBB718_270
.LBB718_203:
	s_mov_b32 s5, 0
	v_mov_b32_e32 v5, s5
	v_mov_b32_e32 v64, v32
	;; [unrolled: 1-line block ×33, first 2 shown]
                                        ; implicit-def: $vgpr1_vgpr2_vgpr3_vgpr4_vgpr5_vgpr6_vgpr7_vgpr8_vgpr9_vgpr10_vgpr11_vgpr12_vgpr13_vgpr14_vgpr15_vgpr16_vgpr17_vgpr18_vgpr19_vgpr20_vgpr21_vgpr22_vgpr23_vgpr24_vgpr25_vgpr26_vgpr27_vgpr28_vgpr29_vgpr30_vgpr31_vgpr32
	s_or_saveexec_b32 s34, s4
	s_xor_b32 s5, s64, -1
	s_xor_b32 exec_lo, exec_lo, s34
	s_cbranch_execnz .LBB718_271
.LBB718_204:
	s_or_b32 exec_lo, exec_lo, s34
                                        ; implicit-def: $vgpr1_vgpr2_vgpr3_vgpr4_vgpr5_vgpr6_vgpr7_vgpr8_vgpr9_vgpr10_vgpr11_vgpr12_vgpr13_vgpr14_vgpr15_vgpr16_vgpr17_vgpr18_vgpr19_vgpr20_vgpr21_vgpr22_vgpr23_vgpr24_vgpr25_vgpr26_vgpr27_vgpr28_vgpr29_vgpr30_vgpr31_vgpr32
	s_and_saveexec_b32 s4, s5
	s_xor_b32 s4, exec_lo, s4
	s_cbranch_execz .LBB718_274
.LBB718_205:
	s_mov_b32 s5, 0
	v_mov_b32_e32 v38, s5
	v_mov_b32_e32 v1, v33
	;; [unrolled: 1-line block ×33, first 2 shown]
                                        ; implicit-def: $vgpr33_vgpr34_vgpr35_vgpr36_vgpr37_vgpr38_vgpr39_vgpr40_vgpr41_vgpr42_vgpr43_vgpr44_vgpr45_vgpr46_vgpr47_vgpr48_vgpr49_vgpr50_vgpr51_vgpr52_vgpr53_vgpr54_vgpr55_vgpr56_vgpr57_vgpr58_vgpr59_vgpr60_vgpr61_vgpr62_vgpr63_vgpr64
	s_or_saveexec_b32 s34, s4
	s_xor_b32 s5, s63, -1
	s_xor_b32 exec_lo, exec_lo, s34
	s_cbranch_execnz .LBB718_275
.LBB718_206:
	s_or_b32 exec_lo, exec_lo, s34
                                        ; implicit-def: $vgpr33_vgpr34_vgpr35_vgpr36_vgpr37_vgpr38_vgpr39_vgpr40_vgpr41_vgpr42_vgpr43_vgpr44_vgpr45_vgpr46_vgpr47_vgpr48_vgpr49_vgpr50_vgpr51_vgpr52_vgpr53_vgpr54_vgpr55_vgpr56_vgpr57_vgpr58_vgpr59_vgpr60_vgpr61_vgpr62_vgpr63_vgpr64
	s_and_saveexec_b32 s4, s5
	s_xor_b32 s4, exec_lo, s4
	s_cbranch_execz .LBB718_278
.LBB718_207:
	s_mov_b32 s5, 0
	v_mov_b32_e32 v7, s5
	v_mov_b32_e32 v64, v32
	v_mov_b32_e32 v63, v31
	v_mov_b32_e32 v62, v30
	v_mov_b32_e32 v61, v29
	v_mov_b32_e32 v60, v28
	v_mov_b32_e32 v59, v27
	v_mov_b32_e32 v58, v26
	v_mov_b32_e32 v57, v25
	v_mov_b32_e32 v56, v24
	v_mov_b32_e32 v55, v23
	v_mov_b32_e32 v54, v22
	v_mov_b32_e32 v53, v21
	v_mov_b32_e32 v52, v20
	v_mov_b32_e32 v51, v19
	v_mov_b32_e32 v50, v18
	v_mov_b32_e32 v49, v17
	v_mov_b32_e32 v48, v16
	v_mov_b32_e32 v47, v15
	v_mov_b32_e32 v46, v14
	v_mov_b32_e32 v45, v13
	v_mov_b32_e32 v44, v12
	v_mov_b32_e32 v43, v11
	v_mov_b32_e32 v42, v10
	v_mov_b32_e32 v41, v9
	v_mov_b32_e32 v40, v8
	v_mov_b32_e32 v39, v7
	v_mov_b32_e32 v38, v6
	v_mov_b32_e32 v37, v5
	v_mov_b32_e32 v36, v4
	v_mov_b32_e32 v35, v3
	v_mov_b32_e32 v34, v2
	v_mov_b32_e32 v33, v1
                                        ; implicit-def: $vgpr1_vgpr2_vgpr3_vgpr4_vgpr5_vgpr6_vgpr7_vgpr8_vgpr9_vgpr10_vgpr11_vgpr12_vgpr13_vgpr14_vgpr15_vgpr16_vgpr17_vgpr18_vgpr19_vgpr20_vgpr21_vgpr22_vgpr23_vgpr24_vgpr25_vgpr26_vgpr27_vgpr28_vgpr29_vgpr30_vgpr31_vgpr32
	s_or_saveexec_b32 s34, s4
	s_xor_b32 s5, s62, -1
	s_xor_b32 exec_lo, exec_lo, s34
	s_cbranch_execnz .LBB718_279
.LBB718_208:
	s_or_b32 exec_lo, exec_lo, s34
                                        ; implicit-def: $vgpr1_vgpr2_vgpr3_vgpr4_vgpr5_vgpr6_vgpr7_vgpr8_vgpr9_vgpr10_vgpr11_vgpr12_vgpr13_vgpr14_vgpr15_vgpr16_vgpr17_vgpr18_vgpr19_vgpr20_vgpr21_vgpr22_vgpr23_vgpr24_vgpr25_vgpr26_vgpr27_vgpr28_vgpr29_vgpr30_vgpr31_vgpr32
	s_and_saveexec_b32 s4, s5
	s_xor_b32 s4, exec_lo, s4
	s_cbranch_execz .LBB718_282
.LBB718_209:
	s_mov_b32 s5, 0
	v_mov_b32_e32 v40, s5
	v_mov_b32_e32 v1, v33
	;; [unrolled: 1-line block ×33, first 2 shown]
                                        ; implicit-def: $vgpr33_vgpr34_vgpr35_vgpr36_vgpr37_vgpr38_vgpr39_vgpr40_vgpr41_vgpr42_vgpr43_vgpr44_vgpr45_vgpr46_vgpr47_vgpr48_vgpr49_vgpr50_vgpr51_vgpr52_vgpr53_vgpr54_vgpr55_vgpr56_vgpr57_vgpr58_vgpr59_vgpr60_vgpr61_vgpr62_vgpr63_vgpr64
	s_or_saveexec_b32 s34, s4
	s_xor_b32 s5, s61, -1
	s_xor_b32 exec_lo, exec_lo, s34
	s_cbranch_execnz .LBB718_283
.LBB718_210:
	s_or_b32 exec_lo, exec_lo, s34
                                        ; implicit-def: $vgpr33_vgpr34_vgpr35_vgpr36_vgpr37_vgpr38_vgpr39_vgpr40_vgpr41_vgpr42_vgpr43_vgpr44_vgpr45_vgpr46_vgpr47_vgpr48_vgpr49_vgpr50_vgpr51_vgpr52_vgpr53_vgpr54_vgpr55_vgpr56_vgpr57_vgpr58_vgpr59_vgpr60_vgpr61_vgpr62_vgpr63_vgpr64
	s_and_saveexec_b32 s4, s5
	s_xor_b32 s4, exec_lo, s4
	s_cbranch_execz .LBB718_286
.LBB718_211:
	s_mov_b32 s5, 0
	v_mov_b32_e32 v9, s5
	v_mov_b32_e32 v64, v32
	;; [unrolled: 1-line block ×33, first 2 shown]
                                        ; implicit-def: $vgpr1_vgpr2_vgpr3_vgpr4_vgpr5_vgpr6_vgpr7_vgpr8_vgpr9_vgpr10_vgpr11_vgpr12_vgpr13_vgpr14_vgpr15_vgpr16_vgpr17_vgpr18_vgpr19_vgpr20_vgpr21_vgpr22_vgpr23_vgpr24_vgpr25_vgpr26_vgpr27_vgpr28_vgpr29_vgpr30_vgpr31_vgpr32
	s_or_saveexec_b32 s34, s4
	s_xor_b32 s5, s60, -1
	s_xor_b32 exec_lo, exec_lo, s34
	s_cbranch_execnz .LBB718_287
.LBB718_212:
	s_or_b32 exec_lo, exec_lo, s34
                                        ; implicit-def: $vgpr1_vgpr2_vgpr3_vgpr4_vgpr5_vgpr6_vgpr7_vgpr8_vgpr9_vgpr10_vgpr11_vgpr12_vgpr13_vgpr14_vgpr15_vgpr16_vgpr17_vgpr18_vgpr19_vgpr20_vgpr21_vgpr22_vgpr23_vgpr24_vgpr25_vgpr26_vgpr27_vgpr28_vgpr29_vgpr30_vgpr31_vgpr32
	s_and_saveexec_b32 s4, s5
	s_xor_b32 s4, exec_lo, s4
	s_cbranch_execz .LBB718_290
.LBB718_213:
	s_mov_b32 s5, 0
	v_mov_b32_e32 v42, s5
	v_mov_b32_e32 v1, v33
	;; [unrolled: 1-line block ×33, first 2 shown]
                                        ; implicit-def: $vgpr33_vgpr34_vgpr35_vgpr36_vgpr37_vgpr38_vgpr39_vgpr40_vgpr41_vgpr42_vgpr43_vgpr44_vgpr45_vgpr46_vgpr47_vgpr48_vgpr49_vgpr50_vgpr51_vgpr52_vgpr53_vgpr54_vgpr55_vgpr56_vgpr57_vgpr58_vgpr59_vgpr60_vgpr61_vgpr62_vgpr63_vgpr64
	s_or_saveexec_b32 s34, s4
	s_xor_b32 s5, s59, -1
	s_xor_b32 exec_lo, exec_lo, s34
	s_cbranch_execnz .LBB718_291
.LBB718_214:
	s_or_b32 exec_lo, exec_lo, s34
                                        ; implicit-def: $vgpr33_vgpr34_vgpr35_vgpr36_vgpr37_vgpr38_vgpr39_vgpr40_vgpr41_vgpr42_vgpr43_vgpr44_vgpr45_vgpr46_vgpr47_vgpr48_vgpr49_vgpr50_vgpr51_vgpr52_vgpr53_vgpr54_vgpr55_vgpr56_vgpr57_vgpr58_vgpr59_vgpr60_vgpr61_vgpr62_vgpr63_vgpr64
	s_and_saveexec_b32 s4, s5
	s_xor_b32 s4, exec_lo, s4
	s_cbranch_execz .LBB718_294
.LBB718_215:
	s_mov_b32 s5, 0
	v_mov_b32_e32 v11, s5
	v_mov_b32_e32 v64, v32
	v_mov_b32_e32 v63, v31
	v_mov_b32_e32 v62, v30
	v_mov_b32_e32 v61, v29
	v_mov_b32_e32 v60, v28
	v_mov_b32_e32 v59, v27
	v_mov_b32_e32 v58, v26
	v_mov_b32_e32 v57, v25
	v_mov_b32_e32 v56, v24
	v_mov_b32_e32 v55, v23
	v_mov_b32_e32 v54, v22
	v_mov_b32_e32 v53, v21
	v_mov_b32_e32 v52, v20
	v_mov_b32_e32 v51, v19
	v_mov_b32_e32 v50, v18
	v_mov_b32_e32 v49, v17
	v_mov_b32_e32 v48, v16
	v_mov_b32_e32 v47, v15
	v_mov_b32_e32 v46, v14
	v_mov_b32_e32 v45, v13
	v_mov_b32_e32 v44, v12
	v_mov_b32_e32 v43, v11
	v_mov_b32_e32 v42, v10
	v_mov_b32_e32 v41, v9
	v_mov_b32_e32 v40, v8
	v_mov_b32_e32 v39, v7
	v_mov_b32_e32 v38, v6
	v_mov_b32_e32 v37, v5
	v_mov_b32_e32 v36, v4
	v_mov_b32_e32 v35, v3
	v_mov_b32_e32 v34, v2
	v_mov_b32_e32 v33, v1
                                        ; implicit-def: $vgpr1_vgpr2_vgpr3_vgpr4_vgpr5_vgpr6_vgpr7_vgpr8_vgpr9_vgpr10_vgpr11_vgpr12_vgpr13_vgpr14_vgpr15_vgpr16_vgpr17_vgpr18_vgpr19_vgpr20_vgpr21_vgpr22_vgpr23_vgpr24_vgpr25_vgpr26_vgpr27_vgpr28_vgpr29_vgpr30_vgpr31_vgpr32
	s_or_saveexec_b32 s34, s4
	s_xor_b32 s5, s58, -1
	s_xor_b32 exec_lo, exec_lo, s34
	s_cbranch_execnz .LBB718_295
.LBB718_216:
	s_or_b32 exec_lo, exec_lo, s34
                                        ; implicit-def: $vgpr1_vgpr2_vgpr3_vgpr4_vgpr5_vgpr6_vgpr7_vgpr8_vgpr9_vgpr10_vgpr11_vgpr12_vgpr13_vgpr14_vgpr15_vgpr16_vgpr17_vgpr18_vgpr19_vgpr20_vgpr21_vgpr22_vgpr23_vgpr24_vgpr25_vgpr26_vgpr27_vgpr28_vgpr29_vgpr30_vgpr31_vgpr32
	s_and_saveexec_b32 s4, s5
	s_xor_b32 s4, exec_lo, s4
	s_cbranch_execz .LBB718_298
.LBB718_217:
	s_mov_b32 s5, 0
	v_mov_b32_e32 v44, s5
	v_mov_b32_e32 v1, v33
	;; [unrolled: 1-line block ×33, first 2 shown]
                                        ; implicit-def: $vgpr33_vgpr34_vgpr35_vgpr36_vgpr37_vgpr38_vgpr39_vgpr40_vgpr41_vgpr42_vgpr43_vgpr44_vgpr45_vgpr46_vgpr47_vgpr48_vgpr49_vgpr50_vgpr51_vgpr52_vgpr53_vgpr54_vgpr55_vgpr56_vgpr57_vgpr58_vgpr59_vgpr60_vgpr61_vgpr62_vgpr63_vgpr64
	s_or_saveexec_b32 s34, s4
	s_xor_b32 s5, s57, -1
	s_xor_b32 exec_lo, exec_lo, s34
	s_cbranch_execnz .LBB718_299
.LBB718_218:
	s_or_b32 exec_lo, exec_lo, s34
                                        ; implicit-def: $vgpr33_vgpr34_vgpr35_vgpr36_vgpr37_vgpr38_vgpr39_vgpr40_vgpr41_vgpr42_vgpr43_vgpr44_vgpr45_vgpr46_vgpr47_vgpr48_vgpr49_vgpr50_vgpr51_vgpr52_vgpr53_vgpr54_vgpr55_vgpr56_vgpr57_vgpr58_vgpr59_vgpr60_vgpr61_vgpr62_vgpr63_vgpr64
	s_and_saveexec_b32 s4, s5
	s_xor_b32 s4, exec_lo, s4
	s_cbranch_execz .LBB718_302
.LBB718_219:
	s_mov_b32 s5, 0
	v_mov_b32_e32 v13, s5
	v_mov_b32_e32 v64, v32
	;; [unrolled: 1-line block ×33, first 2 shown]
                                        ; implicit-def: $vgpr1_vgpr2_vgpr3_vgpr4_vgpr5_vgpr6_vgpr7_vgpr8_vgpr9_vgpr10_vgpr11_vgpr12_vgpr13_vgpr14_vgpr15_vgpr16_vgpr17_vgpr18_vgpr19_vgpr20_vgpr21_vgpr22_vgpr23_vgpr24_vgpr25_vgpr26_vgpr27_vgpr28_vgpr29_vgpr30_vgpr31_vgpr32
	s_or_saveexec_b32 s34, s4
	s_xor_b32 s5, s56, -1
	s_xor_b32 exec_lo, exec_lo, s34
	s_cbranch_execnz .LBB718_303
.LBB718_220:
	s_or_b32 exec_lo, exec_lo, s34
                                        ; implicit-def: $vgpr1_vgpr2_vgpr3_vgpr4_vgpr5_vgpr6_vgpr7_vgpr8_vgpr9_vgpr10_vgpr11_vgpr12_vgpr13_vgpr14_vgpr15_vgpr16_vgpr17_vgpr18_vgpr19_vgpr20_vgpr21_vgpr22_vgpr23_vgpr24_vgpr25_vgpr26_vgpr27_vgpr28_vgpr29_vgpr30_vgpr31_vgpr32
	s_and_saveexec_b32 s4, s5
	s_xor_b32 s4, exec_lo, s4
	s_cbranch_execz .LBB718_306
.LBB718_221:
	s_mov_b32 s5, 0
	v_mov_b32_e32 v46, s5
	v_mov_b32_e32 v1, v33
	;; [unrolled: 1-line block ×33, first 2 shown]
                                        ; implicit-def: $vgpr33_vgpr34_vgpr35_vgpr36_vgpr37_vgpr38_vgpr39_vgpr40_vgpr41_vgpr42_vgpr43_vgpr44_vgpr45_vgpr46_vgpr47_vgpr48_vgpr49_vgpr50_vgpr51_vgpr52_vgpr53_vgpr54_vgpr55_vgpr56_vgpr57_vgpr58_vgpr59_vgpr60_vgpr61_vgpr62_vgpr63_vgpr64
	s_or_saveexec_b32 s34, s4
	s_xor_b32 s5, s55, -1
	s_xor_b32 exec_lo, exec_lo, s34
	s_cbranch_execnz .LBB718_307
.LBB718_222:
	s_or_b32 exec_lo, exec_lo, s34
                                        ; implicit-def: $vgpr33_vgpr34_vgpr35_vgpr36_vgpr37_vgpr38_vgpr39_vgpr40_vgpr41_vgpr42_vgpr43_vgpr44_vgpr45_vgpr46_vgpr47_vgpr48_vgpr49_vgpr50_vgpr51_vgpr52_vgpr53_vgpr54_vgpr55_vgpr56_vgpr57_vgpr58_vgpr59_vgpr60_vgpr61_vgpr62_vgpr63_vgpr64
	s_and_saveexec_b32 s4, s5
	s_xor_b32 s4, exec_lo, s4
	s_cbranch_execz .LBB718_310
.LBB718_223:
	s_mov_b32 s5, 0
	v_mov_b32_e32 v15, s5
	v_mov_b32_e32 v64, v32
	;; [unrolled: 1-line block ×33, first 2 shown]
                                        ; implicit-def: $vgpr1_vgpr2_vgpr3_vgpr4_vgpr5_vgpr6_vgpr7_vgpr8_vgpr9_vgpr10_vgpr11_vgpr12_vgpr13_vgpr14_vgpr15_vgpr16_vgpr17_vgpr18_vgpr19_vgpr20_vgpr21_vgpr22_vgpr23_vgpr24_vgpr25_vgpr26_vgpr27_vgpr28_vgpr29_vgpr30_vgpr31_vgpr32
	s_or_saveexec_b32 s34, s4
	s_xor_b32 s5, s54, -1
	s_xor_b32 exec_lo, exec_lo, s34
	s_cbranch_execnz .LBB718_311
.LBB718_224:
	s_or_b32 exec_lo, exec_lo, s34
                                        ; implicit-def: $vgpr1_vgpr2_vgpr3_vgpr4_vgpr5_vgpr6_vgpr7_vgpr8_vgpr9_vgpr10_vgpr11_vgpr12_vgpr13_vgpr14_vgpr15_vgpr16_vgpr17_vgpr18_vgpr19_vgpr20_vgpr21_vgpr22_vgpr23_vgpr24_vgpr25_vgpr26_vgpr27_vgpr28_vgpr29_vgpr30_vgpr31_vgpr32
	s_and_saveexec_b32 s4, s5
	s_xor_b32 s4, exec_lo, s4
	s_cbranch_execz .LBB718_314
.LBB718_225:
	s_mov_b32 s5, 0
	v_mov_b32_e32 v48, s5
	v_mov_b32_e32 v1, v33
	;; [unrolled: 1-line block ×33, first 2 shown]
                                        ; implicit-def: $vgpr33_vgpr34_vgpr35_vgpr36_vgpr37_vgpr38_vgpr39_vgpr40_vgpr41_vgpr42_vgpr43_vgpr44_vgpr45_vgpr46_vgpr47_vgpr48_vgpr49_vgpr50_vgpr51_vgpr52_vgpr53_vgpr54_vgpr55_vgpr56_vgpr57_vgpr58_vgpr59_vgpr60_vgpr61_vgpr62_vgpr63_vgpr64
	s_or_saveexec_b32 s34, s4
	s_xor_b32 s5, s53, -1
	s_xor_b32 exec_lo, exec_lo, s34
	s_cbranch_execnz .LBB718_315
.LBB718_226:
	s_or_b32 exec_lo, exec_lo, s34
                                        ; implicit-def: $vgpr33_vgpr34_vgpr35_vgpr36_vgpr37_vgpr38_vgpr39_vgpr40_vgpr41_vgpr42_vgpr43_vgpr44_vgpr45_vgpr46_vgpr47_vgpr48_vgpr49_vgpr50_vgpr51_vgpr52_vgpr53_vgpr54_vgpr55_vgpr56_vgpr57_vgpr58_vgpr59_vgpr60_vgpr61_vgpr62_vgpr63_vgpr64
	s_and_saveexec_b32 s4, s5
	s_xor_b32 s4, exec_lo, s4
	s_cbranch_execz .LBB718_318
.LBB718_227:
	s_mov_b32 s5, 0
	v_mov_b32_e32 v17, s5
	v_mov_b32_e32 v64, v32
	;; [unrolled: 1-line block ×33, first 2 shown]
                                        ; implicit-def: $vgpr1_vgpr2_vgpr3_vgpr4_vgpr5_vgpr6_vgpr7_vgpr8_vgpr9_vgpr10_vgpr11_vgpr12_vgpr13_vgpr14_vgpr15_vgpr16_vgpr17_vgpr18_vgpr19_vgpr20_vgpr21_vgpr22_vgpr23_vgpr24_vgpr25_vgpr26_vgpr27_vgpr28_vgpr29_vgpr30_vgpr31_vgpr32
	s_or_saveexec_b32 s34, s4
	s_xor_b32 s5, s52, -1
	s_xor_b32 exec_lo, exec_lo, s34
	s_cbranch_execnz .LBB718_319
.LBB718_228:
	s_or_b32 exec_lo, exec_lo, s34
                                        ; implicit-def: $vgpr1_vgpr2_vgpr3_vgpr4_vgpr5_vgpr6_vgpr7_vgpr8_vgpr9_vgpr10_vgpr11_vgpr12_vgpr13_vgpr14_vgpr15_vgpr16_vgpr17_vgpr18_vgpr19_vgpr20_vgpr21_vgpr22_vgpr23_vgpr24_vgpr25_vgpr26_vgpr27_vgpr28_vgpr29_vgpr30_vgpr31_vgpr32
	s_and_saveexec_b32 s4, s5
	s_xor_b32 s4, exec_lo, s4
	s_cbranch_execz .LBB718_322
.LBB718_229:
	s_mov_b32 s5, 0
	v_mov_b32_e32 v50, s5
	v_mov_b32_e32 v1, v33
	;; [unrolled: 1-line block ×33, first 2 shown]
                                        ; implicit-def: $vgpr33_vgpr34_vgpr35_vgpr36_vgpr37_vgpr38_vgpr39_vgpr40_vgpr41_vgpr42_vgpr43_vgpr44_vgpr45_vgpr46_vgpr47_vgpr48_vgpr49_vgpr50_vgpr51_vgpr52_vgpr53_vgpr54_vgpr55_vgpr56_vgpr57_vgpr58_vgpr59_vgpr60_vgpr61_vgpr62_vgpr63_vgpr64
	s_or_saveexec_b32 s34, s4
	s_xor_b32 s5, s51, -1
	s_xor_b32 exec_lo, exec_lo, s34
	s_cbranch_execnz .LBB718_323
.LBB718_230:
	s_or_b32 exec_lo, exec_lo, s34
                                        ; implicit-def: $vgpr33_vgpr34_vgpr35_vgpr36_vgpr37_vgpr38_vgpr39_vgpr40_vgpr41_vgpr42_vgpr43_vgpr44_vgpr45_vgpr46_vgpr47_vgpr48_vgpr49_vgpr50_vgpr51_vgpr52_vgpr53_vgpr54_vgpr55_vgpr56_vgpr57_vgpr58_vgpr59_vgpr60_vgpr61_vgpr62_vgpr63_vgpr64
	s_and_saveexec_b32 s4, s5
	s_xor_b32 s4, exec_lo, s4
	s_cbranch_execz .LBB718_326
.LBB718_231:
	s_mov_b32 s5, 0
	v_mov_b32_e32 v19, s5
	v_mov_b32_e32 v64, v32
	v_mov_b32_e32 v63, v31
	v_mov_b32_e32 v62, v30
	v_mov_b32_e32 v61, v29
	v_mov_b32_e32 v60, v28
	v_mov_b32_e32 v59, v27
	v_mov_b32_e32 v58, v26
	v_mov_b32_e32 v57, v25
	v_mov_b32_e32 v56, v24
	v_mov_b32_e32 v55, v23
	v_mov_b32_e32 v54, v22
	v_mov_b32_e32 v53, v21
	v_mov_b32_e32 v52, v20
	v_mov_b32_e32 v51, v19
	v_mov_b32_e32 v50, v18
	v_mov_b32_e32 v49, v17
	v_mov_b32_e32 v48, v16
	v_mov_b32_e32 v47, v15
	v_mov_b32_e32 v46, v14
	v_mov_b32_e32 v45, v13
	v_mov_b32_e32 v44, v12
	v_mov_b32_e32 v43, v11
	v_mov_b32_e32 v42, v10
	v_mov_b32_e32 v41, v9
	v_mov_b32_e32 v40, v8
	v_mov_b32_e32 v39, v7
	v_mov_b32_e32 v38, v6
	v_mov_b32_e32 v37, v5
	v_mov_b32_e32 v36, v4
	v_mov_b32_e32 v35, v3
	v_mov_b32_e32 v34, v2
	v_mov_b32_e32 v33, v1
                                        ; implicit-def: $vgpr1_vgpr2_vgpr3_vgpr4_vgpr5_vgpr6_vgpr7_vgpr8_vgpr9_vgpr10_vgpr11_vgpr12_vgpr13_vgpr14_vgpr15_vgpr16_vgpr17_vgpr18_vgpr19_vgpr20_vgpr21_vgpr22_vgpr23_vgpr24_vgpr25_vgpr26_vgpr27_vgpr28_vgpr29_vgpr30_vgpr31_vgpr32
	s_or_saveexec_b32 s34, s4
	s_xor_b32 s5, s50, -1
	s_xor_b32 exec_lo, exec_lo, s34
	s_cbranch_execnz .LBB718_327
.LBB718_232:
	s_or_b32 exec_lo, exec_lo, s34
                                        ; implicit-def: $vgpr1_vgpr2_vgpr3_vgpr4_vgpr5_vgpr6_vgpr7_vgpr8_vgpr9_vgpr10_vgpr11_vgpr12_vgpr13_vgpr14_vgpr15_vgpr16_vgpr17_vgpr18_vgpr19_vgpr20_vgpr21_vgpr22_vgpr23_vgpr24_vgpr25_vgpr26_vgpr27_vgpr28_vgpr29_vgpr30_vgpr31_vgpr32
	s_and_saveexec_b32 s4, s5
	s_xor_b32 s4, exec_lo, s4
	s_cbranch_execz .LBB718_330
.LBB718_233:
	s_mov_b32 s5, 0
	v_mov_b32_e32 v52, s5
	v_mov_b32_e32 v1, v33
	;; [unrolled: 1-line block ×33, first 2 shown]
                                        ; implicit-def: $vgpr33_vgpr34_vgpr35_vgpr36_vgpr37_vgpr38_vgpr39_vgpr40_vgpr41_vgpr42_vgpr43_vgpr44_vgpr45_vgpr46_vgpr47_vgpr48_vgpr49_vgpr50_vgpr51_vgpr52_vgpr53_vgpr54_vgpr55_vgpr56_vgpr57_vgpr58_vgpr59_vgpr60_vgpr61_vgpr62_vgpr63_vgpr64
	s_or_saveexec_b32 s34, s4
	s_xor_b32 s5, s49, -1
	s_xor_b32 exec_lo, exec_lo, s34
	s_cbranch_execnz .LBB718_331
.LBB718_234:
	s_or_b32 exec_lo, exec_lo, s34
                                        ; implicit-def: $vgpr33_vgpr34_vgpr35_vgpr36_vgpr37_vgpr38_vgpr39_vgpr40_vgpr41_vgpr42_vgpr43_vgpr44_vgpr45_vgpr46_vgpr47_vgpr48_vgpr49_vgpr50_vgpr51_vgpr52_vgpr53_vgpr54_vgpr55_vgpr56_vgpr57_vgpr58_vgpr59_vgpr60_vgpr61_vgpr62_vgpr63_vgpr64
	s_and_saveexec_b32 s4, s5
	s_xor_b32 s4, exec_lo, s4
	s_cbranch_execz .LBB718_334
.LBB718_235:
	s_mov_b32 s5, 0
	v_mov_b32_e32 v21, s5
	v_mov_b32_e32 v64, v32
	;; [unrolled: 1-line block ×33, first 2 shown]
                                        ; implicit-def: $vgpr1_vgpr2_vgpr3_vgpr4_vgpr5_vgpr6_vgpr7_vgpr8_vgpr9_vgpr10_vgpr11_vgpr12_vgpr13_vgpr14_vgpr15_vgpr16_vgpr17_vgpr18_vgpr19_vgpr20_vgpr21_vgpr22_vgpr23_vgpr24_vgpr25_vgpr26_vgpr27_vgpr28_vgpr29_vgpr30_vgpr31_vgpr32
	s_or_saveexec_b32 s34, s4
	s_xor_b32 s5, s48, -1
	s_xor_b32 exec_lo, exec_lo, s34
	s_cbranch_execnz .LBB718_335
.LBB718_236:
	s_or_b32 exec_lo, exec_lo, s34
                                        ; implicit-def: $vgpr1_vgpr2_vgpr3_vgpr4_vgpr5_vgpr6_vgpr7_vgpr8_vgpr9_vgpr10_vgpr11_vgpr12_vgpr13_vgpr14_vgpr15_vgpr16_vgpr17_vgpr18_vgpr19_vgpr20_vgpr21_vgpr22_vgpr23_vgpr24_vgpr25_vgpr26_vgpr27_vgpr28_vgpr29_vgpr30_vgpr31_vgpr32
	s_and_saveexec_b32 s4, s5
	s_xor_b32 s4, exec_lo, s4
	s_cbranch_execz .LBB718_338
.LBB718_237:
	s_mov_b32 s5, 0
	v_mov_b32_e32 v54, s5
	v_mov_b32_e32 v1, v33
	;; [unrolled: 1-line block ×33, first 2 shown]
                                        ; implicit-def: $vgpr33_vgpr34_vgpr35_vgpr36_vgpr37_vgpr38_vgpr39_vgpr40_vgpr41_vgpr42_vgpr43_vgpr44_vgpr45_vgpr46_vgpr47_vgpr48_vgpr49_vgpr50_vgpr51_vgpr52_vgpr53_vgpr54_vgpr55_vgpr56_vgpr57_vgpr58_vgpr59_vgpr60_vgpr61_vgpr62_vgpr63_vgpr64
	s_or_saveexec_b32 s34, s4
	s_xor_b32 s5, s47, -1
	s_xor_b32 exec_lo, exec_lo, s34
	s_cbranch_execnz .LBB718_339
.LBB718_238:
	s_or_b32 exec_lo, exec_lo, s34
                                        ; implicit-def: $vgpr33_vgpr34_vgpr35_vgpr36_vgpr37_vgpr38_vgpr39_vgpr40_vgpr41_vgpr42_vgpr43_vgpr44_vgpr45_vgpr46_vgpr47_vgpr48_vgpr49_vgpr50_vgpr51_vgpr52_vgpr53_vgpr54_vgpr55_vgpr56_vgpr57_vgpr58_vgpr59_vgpr60_vgpr61_vgpr62_vgpr63_vgpr64
	s_and_saveexec_b32 s4, s5
	s_xor_b32 s4, exec_lo, s4
	s_cbranch_execz .LBB718_342
.LBB718_239:
	s_mov_b32 s5, 0
	v_mov_b32_e32 v23, s5
	v_mov_b32_e32 v64, v32
	;; [unrolled: 1-line block ×33, first 2 shown]
                                        ; implicit-def: $vgpr1_vgpr2_vgpr3_vgpr4_vgpr5_vgpr6_vgpr7_vgpr8_vgpr9_vgpr10_vgpr11_vgpr12_vgpr13_vgpr14_vgpr15_vgpr16_vgpr17_vgpr18_vgpr19_vgpr20_vgpr21_vgpr22_vgpr23_vgpr24_vgpr25_vgpr26_vgpr27_vgpr28_vgpr29_vgpr30_vgpr31_vgpr32
	s_or_saveexec_b32 s34, s4
	s_xor_b32 s5, s46, -1
	s_xor_b32 exec_lo, exec_lo, s34
	s_cbranch_execnz .LBB718_343
.LBB718_240:
	s_or_b32 exec_lo, exec_lo, s34
                                        ; implicit-def: $vgpr1_vgpr2_vgpr3_vgpr4_vgpr5_vgpr6_vgpr7_vgpr8_vgpr9_vgpr10_vgpr11_vgpr12_vgpr13_vgpr14_vgpr15_vgpr16_vgpr17_vgpr18_vgpr19_vgpr20_vgpr21_vgpr22_vgpr23_vgpr24_vgpr25_vgpr26_vgpr27_vgpr28_vgpr29_vgpr30_vgpr31_vgpr32
	s_and_saveexec_b32 s4, s5
	s_xor_b32 s4, exec_lo, s4
	s_cbranch_execz .LBB718_346
.LBB718_241:
	s_mov_b32 s5, 0
	v_mov_b32_e32 v56, s5
	v_mov_b32_e32 v1, v33
	;; [unrolled: 1-line block ×33, first 2 shown]
                                        ; implicit-def: $vgpr33_vgpr34_vgpr35_vgpr36_vgpr37_vgpr38_vgpr39_vgpr40_vgpr41_vgpr42_vgpr43_vgpr44_vgpr45_vgpr46_vgpr47_vgpr48_vgpr49_vgpr50_vgpr51_vgpr52_vgpr53_vgpr54_vgpr55_vgpr56_vgpr57_vgpr58_vgpr59_vgpr60_vgpr61_vgpr62_vgpr63_vgpr64
	s_or_saveexec_b32 s34, s4
	s_xor_b32 s5, s45, -1
	s_xor_b32 exec_lo, exec_lo, s34
	s_cbranch_execnz .LBB718_347
.LBB718_242:
	s_or_b32 exec_lo, exec_lo, s34
                                        ; implicit-def: $vgpr33_vgpr34_vgpr35_vgpr36_vgpr37_vgpr38_vgpr39_vgpr40_vgpr41_vgpr42_vgpr43_vgpr44_vgpr45_vgpr46_vgpr47_vgpr48_vgpr49_vgpr50_vgpr51_vgpr52_vgpr53_vgpr54_vgpr55_vgpr56_vgpr57_vgpr58_vgpr59_vgpr60_vgpr61_vgpr62_vgpr63_vgpr64
	s_and_saveexec_b32 s4, s5
	s_xor_b32 s4, exec_lo, s4
	s_cbranch_execz .LBB718_350
.LBB718_243:
	s_mov_b32 s5, 0
	v_mov_b32_e32 v25, s5
	v_mov_b32_e32 v64, v32
	;; [unrolled: 1-line block ×33, first 2 shown]
                                        ; implicit-def: $vgpr1_vgpr2_vgpr3_vgpr4_vgpr5_vgpr6_vgpr7_vgpr8_vgpr9_vgpr10_vgpr11_vgpr12_vgpr13_vgpr14_vgpr15_vgpr16_vgpr17_vgpr18_vgpr19_vgpr20_vgpr21_vgpr22_vgpr23_vgpr24_vgpr25_vgpr26_vgpr27_vgpr28_vgpr29_vgpr30_vgpr31_vgpr32
	s_or_saveexec_b32 s34, s4
	s_xor_b32 s5, s44, -1
	s_xor_b32 exec_lo, exec_lo, s34
	s_cbranch_execnz .LBB718_351
.LBB718_244:
	s_or_b32 exec_lo, exec_lo, s34
                                        ; implicit-def: $vgpr1_vgpr2_vgpr3_vgpr4_vgpr5_vgpr6_vgpr7_vgpr8_vgpr9_vgpr10_vgpr11_vgpr12_vgpr13_vgpr14_vgpr15_vgpr16_vgpr17_vgpr18_vgpr19_vgpr20_vgpr21_vgpr22_vgpr23_vgpr24_vgpr25_vgpr26_vgpr27_vgpr28_vgpr29_vgpr30_vgpr31_vgpr32
	s_and_saveexec_b32 s4, s5
	s_xor_b32 s4, exec_lo, s4
	s_cbranch_execz .LBB718_354
.LBB718_245:
	s_mov_b32 s5, 0
	v_mov_b32_e32 v58, s5
	v_mov_b32_e32 v1, v33
	;; [unrolled: 1-line block ×33, first 2 shown]
                                        ; implicit-def: $vgpr33_vgpr34_vgpr35_vgpr36_vgpr37_vgpr38_vgpr39_vgpr40_vgpr41_vgpr42_vgpr43_vgpr44_vgpr45_vgpr46_vgpr47_vgpr48_vgpr49_vgpr50_vgpr51_vgpr52_vgpr53_vgpr54_vgpr55_vgpr56_vgpr57_vgpr58_vgpr59_vgpr60_vgpr61_vgpr62_vgpr63_vgpr64
	s_or_saveexec_b32 s34, s4
	s_xor_b32 s5, s43, -1
	s_xor_b32 exec_lo, exec_lo, s34
	s_cbranch_execnz .LBB718_355
.LBB718_246:
	s_or_b32 exec_lo, exec_lo, s34
                                        ; implicit-def: $vgpr33_vgpr34_vgpr35_vgpr36_vgpr37_vgpr38_vgpr39_vgpr40_vgpr41_vgpr42_vgpr43_vgpr44_vgpr45_vgpr46_vgpr47_vgpr48_vgpr49_vgpr50_vgpr51_vgpr52_vgpr53_vgpr54_vgpr55_vgpr56_vgpr57_vgpr58_vgpr59_vgpr60_vgpr61_vgpr62_vgpr63_vgpr64
	s_and_saveexec_b32 s4, s5
	s_xor_b32 s4, exec_lo, s4
	s_cbranch_execz .LBB718_358
.LBB718_247:
	s_mov_b32 s5, 0
	v_mov_b32_e32 v27, s5
	v_mov_b32_e32 v64, v32
	;; [unrolled: 1-line block ×33, first 2 shown]
                                        ; implicit-def: $vgpr1_vgpr2_vgpr3_vgpr4_vgpr5_vgpr6_vgpr7_vgpr8_vgpr9_vgpr10_vgpr11_vgpr12_vgpr13_vgpr14_vgpr15_vgpr16_vgpr17_vgpr18_vgpr19_vgpr20_vgpr21_vgpr22_vgpr23_vgpr24_vgpr25_vgpr26_vgpr27_vgpr28_vgpr29_vgpr30_vgpr31_vgpr32
	s_or_saveexec_b32 s34, s4
	s_xor_b32 s5, s41, -1
	s_xor_b32 exec_lo, exec_lo, s34
	s_cbranch_execnz .LBB718_359
.LBB718_248:
	s_or_b32 exec_lo, exec_lo, s34
                                        ; implicit-def: $vgpr1_vgpr2_vgpr3_vgpr4_vgpr5_vgpr6_vgpr7_vgpr8_vgpr9_vgpr10_vgpr11_vgpr12_vgpr13_vgpr14_vgpr15_vgpr16_vgpr17_vgpr18_vgpr19_vgpr20_vgpr21_vgpr22_vgpr23_vgpr24_vgpr25_vgpr26_vgpr27_vgpr28_vgpr29_vgpr30_vgpr31_vgpr32
	s_and_saveexec_b32 s4, s5
	s_xor_b32 s4, exec_lo, s4
	s_cbranch_execz .LBB718_362
.LBB718_249:
	s_mov_b32 s5, 0
	v_mov_b32_e32 v60, s5
	v_mov_b32_e32 v1, v33
	v_mov_b32_e32 v2, v34
	v_mov_b32_e32 v3, v35
	v_mov_b32_e32 v4, v36
	v_mov_b32_e32 v5, v37
	v_mov_b32_e32 v6, v38
	v_mov_b32_e32 v7, v39
	v_mov_b32_e32 v8, v40
	v_mov_b32_e32 v9, v41
	v_mov_b32_e32 v10, v42
	v_mov_b32_e32 v11, v43
	v_mov_b32_e32 v12, v44
	v_mov_b32_e32 v13, v45
	v_mov_b32_e32 v14, v46
	v_mov_b32_e32 v15, v47
	v_mov_b32_e32 v16, v48
	v_mov_b32_e32 v17, v49
	v_mov_b32_e32 v18, v50
	v_mov_b32_e32 v19, v51
	v_mov_b32_e32 v20, v52
	v_mov_b32_e32 v21, v53
	v_mov_b32_e32 v22, v54
	v_mov_b32_e32 v23, v55
	v_mov_b32_e32 v24, v56
	v_mov_b32_e32 v25, v57
	v_mov_b32_e32 v26, v58
	v_mov_b32_e32 v27, v59
	v_mov_b32_e32 v28, v60
	v_mov_b32_e32 v29, v61
	v_mov_b32_e32 v30, v62
	v_mov_b32_e32 v31, v63
	v_mov_b32_e32 v32, v64
                                        ; implicit-def: $vgpr33_vgpr34_vgpr35_vgpr36_vgpr37_vgpr38_vgpr39_vgpr40_vgpr41_vgpr42_vgpr43_vgpr44_vgpr45_vgpr46_vgpr47_vgpr48_vgpr49_vgpr50_vgpr51_vgpr52_vgpr53_vgpr54_vgpr55_vgpr56_vgpr57_vgpr58_vgpr59_vgpr60_vgpr61_vgpr62_vgpr63_vgpr64
	s_or_saveexec_b32 s34, s4
	s_xor_b32 s5, s40, -1
	s_xor_b32 exec_lo, exec_lo, s34
	s_cbranch_execnz .LBB718_363
.LBB718_250:
	s_or_b32 exec_lo, exec_lo, s34
                                        ; implicit-def: $vgpr33_vgpr34_vgpr35_vgpr36_vgpr37_vgpr38_vgpr39_vgpr40_vgpr41_vgpr42_vgpr43_vgpr44_vgpr45_vgpr46_vgpr47_vgpr48_vgpr49_vgpr50_vgpr51_vgpr52_vgpr53_vgpr54_vgpr55_vgpr56_vgpr57_vgpr58_vgpr59_vgpr60_vgpr61_vgpr62_vgpr63_vgpr64
	s_and_saveexec_b32 s4, s5
	s_xor_b32 s4, exec_lo, s4
	s_cbranch_execz .LBB718_366
.LBB718_251:
	s_mov_b32 s5, 0
	v_mov_b32_e32 v29, s5
	v_mov_b32_e32 v64, v32
	;; [unrolled: 1-line block ×33, first 2 shown]
                                        ; implicit-def: $vgpr1_vgpr2_vgpr3_vgpr4_vgpr5_vgpr6_vgpr7_vgpr8_vgpr9_vgpr10_vgpr11_vgpr12_vgpr13_vgpr14_vgpr15_vgpr16_vgpr17_vgpr18_vgpr19_vgpr20_vgpr21_vgpr22_vgpr23_vgpr24_vgpr25_vgpr26_vgpr27_vgpr28_vgpr29_vgpr30_vgpr31_vgpr32
	s_or_saveexec_b32 s34, s4
	s_xor_b32 s5, s39, -1
	s_xor_b32 exec_lo, exec_lo, s34
	s_cbranch_execnz .LBB718_367
.LBB718_252:
	s_or_b32 exec_lo, exec_lo, s34
                                        ; implicit-def: $vgpr1_vgpr2_vgpr3_vgpr4_vgpr5_vgpr6_vgpr7_vgpr8_vgpr9_vgpr10_vgpr11_vgpr12_vgpr13_vgpr14_vgpr15_vgpr16_vgpr17_vgpr18_vgpr19_vgpr20_vgpr21_vgpr22_vgpr23_vgpr24_vgpr25_vgpr26_vgpr27_vgpr28_vgpr29_vgpr30_vgpr31_vgpr32
	s_and_saveexec_b32 s4, s5
	s_xor_b32 s4, exec_lo, s4
	s_cbranch_execz .LBB718_370
.LBB718_253:
	s_mov_b32 s5, 0
	v_mov_b32_e32 v62, s5
	v_mov_b32_e32 v1, v33
	;; [unrolled: 1-line block ×33, first 2 shown]
                                        ; implicit-def: $vgpr33_vgpr34_vgpr35_vgpr36_vgpr37_vgpr38_vgpr39_vgpr40_vgpr41_vgpr42_vgpr43_vgpr44_vgpr45_vgpr46_vgpr47_vgpr48_vgpr49_vgpr50_vgpr51_vgpr52_vgpr53_vgpr54_vgpr55_vgpr56_vgpr57_vgpr58_vgpr59_vgpr60_vgpr61_vgpr62_vgpr63_vgpr64
	s_or_saveexec_b32 s34, s4
	s_xor_b32 s5, s38, -1
	s_xor_b32 exec_lo, exec_lo, s34
	s_cbranch_execnz .LBB718_371
.LBB718_254:
	s_or_b32 exec_lo, exec_lo, s34
                                        ; implicit-def: $vgpr33_vgpr34_vgpr35_vgpr36_vgpr37_vgpr38_vgpr39_vgpr40_vgpr41_vgpr42_vgpr43_vgpr44_vgpr45_vgpr46_vgpr47_vgpr48_vgpr49_vgpr50_vgpr51_vgpr52_vgpr53_vgpr54_vgpr55_vgpr56_vgpr57_vgpr58_vgpr59_vgpr60_vgpr61_vgpr62_vgpr63_vgpr64
	s_and_saveexec_b32 s4, s5
	s_xor_b32 s4, exec_lo, s4
	s_cbranch_execz .LBB718_374
.LBB718_255:
	s_mov_b32 s5, 0
	v_mov_b32_e32 v31, s5
	v_mov_b32_e32 v64, v32
	;; [unrolled: 1-line block ×33, first 2 shown]
                                        ; implicit-def: $vgpr1_vgpr2_vgpr3_vgpr4_vgpr5_vgpr6_vgpr7_vgpr8_vgpr9_vgpr10_vgpr11_vgpr12_vgpr13_vgpr14_vgpr15_vgpr16_vgpr17_vgpr18_vgpr19_vgpr20_vgpr21_vgpr22_vgpr23_vgpr24_vgpr25_vgpr26_vgpr27_vgpr28_vgpr29_vgpr30_vgpr31_vgpr32
	s_or_saveexec_b32 s34, s4
	s_xor_b32 s5, s35, -1
	s_xor_b32 exec_lo, exec_lo, s34
	s_cbranch_execnz .LBB718_375
.LBB718_256:
	s_or_b32 exec_lo, exec_lo, s34
                                        ; implicit-def: $vgpr1_vgpr2_vgpr3_vgpr4_vgpr5_vgpr6_vgpr7_vgpr8_vgpr9_vgpr10_vgpr11_vgpr12_vgpr13_vgpr14_vgpr15_vgpr16_vgpr17_vgpr18_vgpr19_vgpr20_vgpr21_vgpr22_vgpr23_vgpr24_vgpr25_vgpr26_vgpr27_vgpr28_vgpr29_vgpr30_vgpr31_vgpr32
	s_and_saveexec_b32 s4, s5
	s_xor_b32 s4, exec_lo, s4
	s_cbranch_execz .LBB718_378
.LBB718_257:
	s_mov_b32 s5, 0
                                        ; implicit-def: $vgpr98_vgpr99
                                        ; implicit-def: $vgpr107
	v_mov_b32_e32 v64, s5
	v_mov_b32_e32 v1, v33
	;; [unrolled: 1-line block ×33, first 2 shown]
                                        ; implicit-def: $vgpr33_vgpr34_vgpr35_vgpr36_vgpr37_vgpr38_vgpr39_vgpr40_vgpr41_vgpr42_vgpr43_vgpr44_vgpr45_vgpr46_vgpr47_vgpr48_vgpr49_vgpr50_vgpr51_vgpr52_vgpr53_vgpr54_vgpr55_vgpr56_vgpr57_vgpr58_vgpr59_vgpr60_vgpr61_vgpr62_vgpr63_vgpr64
	s_andn2_saveexec_b32 s5, s4
	s_cbranch_execz .LBB718_382
	s_branch .LBB718_379
.LBB718_258:
	s_or_saveexec_b32 s34, s4
	s_xor_b32 s5, s67, -1
	s_xor_b32 exec_lo, exec_lo, s34
	s_cbranch_execz .LBB718_198
.LBB718_259:
	global_load_ubyte v32, v[98:99], off offset:64
	s_mov_b32 s42, 0
	s_waitcnt vmcnt(0)
	v_and_b32_e32 v32, 1, v32
	v_cmp_eq_u32_e64 s4, 1, v32
	v_mov_b32_e32 v63, v31
	v_mov_b32_e32 v33, v1
	;; [unrolled: 1-line block ×33, first 2 shown]
	s_xor_b32 s4, s4, -1
	s_and_saveexec_b32 s42, s4
	s_xor_b32 s42, exec_lo, s42
	s_cbranch_execz .LBB718_261
; %bb.260:
	v_sub_f32_e32 v1, v64, v107
	v_mul_f32_e32 v32, 0x3fb8aa3b, v1
	v_cmp_ngt_f32_e64 s4, 0xc2ce8ed0, v1
	v_fma_f32 v33, 0x3fb8aa3b, v1, -v32
	v_rndne_f32_e32 v34, v32
	v_fmamk_f32 v33, v1, 0x32a5705f, v33
	v_sub_f32_e32 v32, v32, v34
	v_add_f32_e32 v32, v32, v33
	v_cvt_i32_f32_e32 v33, v34
	v_exp_f32_e32 v32, v32
	v_ldexp_f32 v32, v32, v33
	v_cndmask_b32_e64 v32, 0, v32, s4
	v_cmp_nlt_f32_e64 s4, 0x42b17218, v1
	v_cndmask_b32_e64 v1, 0x7f800000, v32, s4
	v_mov_b32_e32 v63, v31
	v_mov_b32_e32 v62, v30
	;; [unrolled: 1-line block ×4, first 2 shown]
	v_add_f32_e32 v64, v0, v1
	v_mov_b32_e32 v59, v27
	v_mov_b32_e32 v58, v26
	;; [unrolled: 1-line block ×29, first 2 shown]
.LBB718_261:
	s_andn2_saveexec_b32 s4, s42
	s_or_b32 exec_lo, exec_lo, s4
	s_or_b32 exec_lo, exec_lo, s34
                                        ; implicit-def: $vgpr64_vgpr65_vgpr66_vgpr67_vgpr68_vgpr69_vgpr70_vgpr71_vgpr72_vgpr73_vgpr74_vgpr75_vgpr76_vgpr77_vgpr78_vgpr79_vgpr80_vgpr81_vgpr82_vgpr83_vgpr84_vgpr85_vgpr86_vgpr87_vgpr88_vgpr89_vgpr90_vgpr91_vgpr92_vgpr93_vgpr94_vgpr95
	s_and_saveexec_b32 s4, s5
	s_xor_b32 s4, exec_lo, s4
	s_cbranch_execnz .LBB718_199
.LBB718_262:
	s_or_saveexec_b32 s34, s4
	s_xor_b32 s5, s66, -1
	s_xor_b32 exec_lo, exec_lo, s34
	s_cbranch_execz .LBB718_200
.LBB718_263:
	global_load_ubyte v1, v[98:99], off offset:128
	s_mov_b32 s42, 0
	v_mov_b32_e32 v95, v63
	v_mov_b32_e32 v66, v34
	;; [unrolled: 1-line block ×33, first 2 shown]
	s_waitcnt vmcnt(0)
	v_and_b32_e32 v1, 1, v1
	v_cmp_eq_u32_e64 s4, 1, v1
	s_xor_b32 s4, s4, -1
	s_and_saveexec_b32 s42, s4
	s_xor_b32 s42, exec_lo, s42
	s_cbranch_execz .LBB718_265
; %bb.264:
	v_sub_f32_e32 v1, v34, v107
	v_mul_f32_e32 v2, 0x3fb8aa3b, v1
	v_cmp_ngt_f32_e64 s4, 0xc2ce8ed0, v1
	v_fma_f32 v3, 0x3fb8aa3b, v1, -v2
	v_rndne_f32_e32 v4, v2
	v_fmamk_f32 v3, v1, 0x32a5705f, v3
	v_sub_f32_e32 v2, v2, v4
	v_add_f32_e32 v2, v2, v3
	v_cvt_i32_f32_e32 v3, v4
	v_exp_f32_e32 v2, v2
	v_ldexp_f32 v2, v2, v3
	v_cndmask_b32_e64 v2, 0, v2, s4
	v_cmp_nlt_f32_e64 s4, 0x42b17218, v1
	v_cndmask_b32_e64 v34, 0x7f800000, v2, s4
	v_mov_b32_e32 v95, v63
	v_mov_b32_e32 v94, v62
	;; [unrolled: 1-line block ×4, first 2 shown]
	v_add_f32_e32 v0, v0, v34
	v_mov_b32_e32 v91, v59
	v_mov_b32_e32 v90, v58
	;; [unrolled: 1-line block ×28, first 2 shown]
.LBB718_265:
	s_andn2_saveexec_b32 s4, s42
	s_or_b32 exec_lo, exec_lo, s4
	s_or_b32 exec_lo, exec_lo, s34
                                        ; implicit-def: $vgpr1_vgpr2_vgpr3_vgpr4_vgpr5_vgpr6_vgpr7_vgpr8_vgpr9_vgpr10_vgpr11_vgpr12_vgpr13_vgpr14_vgpr15_vgpr16_vgpr17_vgpr18_vgpr19_vgpr20_vgpr21_vgpr22_vgpr23_vgpr24_vgpr25_vgpr26_vgpr27_vgpr28_vgpr29_vgpr30_vgpr31_vgpr32
	s_and_saveexec_b32 s4, s5
	s_xor_b32 s4, exec_lo, s4
	s_cbranch_execnz .LBB718_201
.LBB718_266:
	s_or_saveexec_b32 s34, s4
	s_xor_b32 s5, s65, -1
	s_xor_b32 exec_lo, exec_lo, s34
	s_cbranch_execz .LBB718_202
.LBB718_267:
	global_load_ubyte v1, v[98:99], off offset:192
	s_mov_b32 s42, 0
	s_waitcnt vmcnt(0)
	v_and_b32_e32 v1, 1, v1
	v_cmp_eq_u32_e64 s4, 1, v1
	v_mov_b32_e32 v1, v64
	v_mov_b32_e32 v4, v67
	;; [unrolled: 1-line block ×33, first 2 shown]
	s_xor_b32 s4, s4, -1
	s_and_saveexec_b32 s42, s4
	s_xor_b32 s42, exec_lo, s42
	s_cbranch_execz .LBB718_269
; %bb.268:
	v_sub_f32_e32 v1, v67, v107
	v_mul_f32_e32 v2, 0x3fb8aa3b, v1
	v_cmp_ngt_f32_e64 s4, 0xc2ce8ed0, v1
	v_fma_f32 v3, 0x3fb8aa3b, v1, -v2
	v_rndne_f32_e32 v4, v2
	v_fmamk_f32 v3, v1, 0x32a5705f, v3
	v_sub_f32_e32 v2, v2, v4
	v_add_f32_e32 v2, v2, v3
	v_cvt_i32_f32_e32 v3, v4
	v_exp_f32_e32 v2, v2
	v_ldexp_f32 v2, v2, v3
	v_cndmask_b32_e64 v2, 0, v2, s4
	v_cmp_nlt_f32_e64 s4, 0x42b17218, v1
	v_cndmask_b32_e64 v67, 0x7f800000, v2, s4
	v_mov_b32_e32 v1, v64
	v_mov_b32_e32 v2, v65
	;; [unrolled: 1-line block ×4, first 2 shown]
	v_add_f32_e32 v0, v0, v67
	v_mov_b32_e32 v4, v67
	v_mov_b32_e32 v6, v69
	;; [unrolled: 1-line block ×28, first 2 shown]
.LBB718_269:
	s_andn2_saveexec_b32 s4, s42
	s_or_b32 exec_lo, exec_lo, s4
	s_or_b32 exec_lo, exec_lo, s34
                                        ; implicit-def: $vgpr33_vgpr34_vgpr35_vgpr36_vgpr37_vgpr38_vgpr39_vgpr40_vgpr41_vgpr42_vgpr43_vgpr44_vgpr45_vgpr46_vgpr47_vgpr48_vgpr49_vgpr50_vgpr51_vgpr52_vgpr53_vgpr54_vgpr55_vgpr56_vgpr57_vgpr58_vgpr59_vgpr60_vgpr61_vgpr62_vgpr63_vgpr64
	s_and_saveexec_b32 s4, s5
	s_xor_b32 s4, exec_lo, s4
	s_cbranch_execnz .LBB718_203
.LBB718_270:
	s_or_saveexec_b32 s34, s4
	s_xor_b32 s5, s64, -1
	s_xor_b32 exec_lo, exec_lo, s34
	s_cbranch_execz .LBB718_204
.LBB718_271:
	global_load_ubyte v33, v[98:99], off offset:256
	s_mov_b32 s42, 0
	s_waitcnt vmcnt(0)
	v_and_b32_e32 v33, 1, v33
	v_cmp_eq_u32_e64 s4, 1, v33
	v_mov_b32_e32 v64, v32
	v_mov_b32_e32 v37, v5
	;; [unrolled: 1-line block ×33, first 2 shown]
	s_xor_b32 s4, s4, -1
	s_and_saveexec_b32 s42, s4
	s_xor_b32 s42, exec_lo, s42
	s_cbranch_execz .LBB718_273
; %bb.272:
	v_sub_f32_e32 v5, v5, v107
	v_mul_f32_e32 v33, 0x3fb8aa3b, v5
	v_cmp_ngt_f32_e64 s4, 0xc2ce8ed0, v5
	v_fma_f32 v34, 0x3fb8aa3b, v5, -v33
	v_rndne_f32_e32 v35, v33
	v_fmamk_f32 v34, v5, 0x32a5705f, v34
	v_sub_f32_e32 v33, v33, v35
	v_add_f32_e32 v33, v33, v34
	v_cvt_i32_f32_e32 v34, v35
	v_exp_f32_e32 v33, v33
	v_ldexp_f32 v33, v33, v34
	v_cndmask_b32_e64 v33, 0, v33, s4
	v_cmp_nlt_f32_e64 s4, 0x42b17218, v5
	v_cndmask_b32_e64 v5, 0x7f800000, v33, s4
	v_mov_b32_e32 v64, v32
	v_mov_b32_e32 v63, v31
	;; [unrolled: 1-line block ×4, first 2 shown]
	v_add_f32_e32 v0, v0, v5
	v_mov_b32_e32 v60, v28
	v_mov_b32_e32 v59, v27
	;; [unrolled: 1-line block ×28, first 2 shown]
.LBB718_273:
	s_andn2_saveexec_b32 s4, s42
	s_or_b32 exec_lo, exec_lo, s4
	s_or_b32 exec_lo, exec_lo, s34
                                        ; implicit-def: $vgpr1_vgpr2_vgpr3_vgpr4_vgpr5_vgpr6_vgpr7_vgpr8_vgpr9_vgpr10_vgpr11_vgpr12_vgpr13_vgpr14_vgpr15_vgpr16_vgpr17_vgpr18_vgpr19_vgpr20_vgpr21_vgpr22_vgpr23_vgpr24_vgpr25_vgpr26_vgpr27_vgpr28_vgpr29_vgpr30_vgpr31_vgpr32
	s_and_saveexec_b32 s4, s5
	s_xor_b32 s4, exec_lo, s4
	s_cbranch_execnz .LBB718_205
.LBB718_274:
	s_or_saveexec_b32 s34, s4
	s_xor_b32 s5, s63, -1
	s_xor_b32 exec_lo, exec_lo, s34
	s_cbranch_execz .LBB718_206
.LBB718_275:
	global_load_ubyte v1, v[98:99], off offset:320
	s_mov_b32 s42, 0
	s_waitcnt vmcnt(0)
	v_and_b32_e32 v1, 1, v1
	v_cmp_eq_u32_e64 s4, 1, v1
	v_mov_b32_e32 v1, v33
	v_mov_b32_e32 v6, v38
	;; [unrolled: 1-line block ×33, first 2 shown]
	s_xor_b32 s4, s4, -1
	s_and_saveexec_b32 s42, s4
	s_xor_b32 s42, exec_lo, s42
	s_cbranch_execz .LBB718_277
; %bb.276:
	v_sub_f32_e32 v1, v38, v107
	v_mul_f32_e32 v2, 0x3fb8aa3b, v1
	v_cmp_ngt_f32_e64 s4, 0xc2ce8ed0, v1
	v_fma_f32 v3, 0x3fb8aa3b, v1, -v2
	v_rndne_f32_e32 v4, v2
	v_fmamk_f32 v3, v1, 0x32a5705f, v3
	v_sub_f32_e32 v2, v2, v4
	v_add_f32_e32 v2, v2, v3
	v_cvt_i32_f32_e32 v3, v4
	v_exp_f32_e32 v2, v2
	v_ldexp_f32 v2, v2, v3
	v_cndmask_b32_e64 v2, 0, v2, s4
	v_cmp_nlt_f32_e64 s4, 0x42b17218, v1
	v_cndmask_b32_e64 v38, 0x7f800000, v2, s4
	v_mov_b32_e32 v1, v33
	v_mov_b32_e32 v2, v34
	;; [unrolled: 1-line block ×4, first 2 shown]
	v_add_f32_e32 v0, v0, v38
	v_mov_b32_e32 v5, v37
	v_mov_b32_e32 v6, v38
	;; [unrolled: 1-line block ×28, first 2 shown]
.LBB718_277:
	s_andn2_saveexec_b32 s4, s42
	s_or_b32 exec_lo, exec_lo, s4
	s_or_b32 exec_lo, exec_lo, s34
                                        ; implicit-def: $vgpr33_vgpr34_vgpr35_vgpr36_vgpr37_vgpr38_vgpr39_vgpr40_vgpr41_vgpr42_vgpr43_vgpr44_vgpr45_vgpr46_vgpr47_vgpr48_vgpr49_vgpr50_vgpr51_vgpr52_vgpr53_vgpr54_vgpr55_vgpr56_vgpr57_vgpr58_vgpr59_vgpr60_vgpr61_vgpr62_vgpr63_vgpr64
	s_and_saveexec_b32 s4, s5
	s_xor_b32 s4, exec_lo, s4
	s_cbranch_execnz .LBB718_207
.LBB718_278:
	s_or_saveexec_b32 s34, s4
	s_xor_b32 s5, s62, -1
	s_xor_b32 exec_lo, exec_lo, s34
	s_cbranch_execz .LBB718_208
.LBB718_279:
	global_load_ubyte v33, v[98:99], off offset:384
	s_mov_b32 s42, 0
	s_waitcnt vmcnt(0)
	v_and_b32_e32 v33, 1, v33
	v_cmp_eq_u32_e64 s4, 1, v33
	v_mov_b32_e32 v64, v32
	v_mov_b32_e32 v39, v7
	;; [unrolled: 1-line block ×33, first 2 shown]
	s_xor_b32 s4, s4, -1
	s_and_saveexec_b32 s42, s4
	s_xor_b32 s42, exec_lo, s42
	s_cbranch_execz .LBB718_281
; %bb.280:
	v_sub_f32_e32 v7, v7, v107
	v_mul_f32_e32 v33, 0x3fb8aa3b, v7
	v_cmp_ngt_f32_e64 s4, 0xc2ce8ed0, v7
	v_fma_f32 v34, 0x3fb8aa3b, v7, -v33
	v_rndne_f32_e32 v35, v33
	v_fmamk_f32 v34, v7, 0x32a5705f, v34
	v_sub_f32_e32 v33, v33, v35
	v_add_f32_e32 v33, v33, v34
	v_cvt_i32_f32_e32 v34, v35
	v_exp_f32_e32 v33, v33
	v_ldexp_f32 v33, v33, v34
	v_cndmask_b32_e64 v33, 0, v33, s4
	v_cmp_nlt_f32_e64 s4, 0x42b17218, v7
	v_cndmask_b32_e64 v7, 0x7f800000, v33, s4
	v_mov_b32_e32 v64, v32
	v_mov_b32_e32 v63, v31
	;; [unrolled: 1-line block ×4, first 2 shown]
	v_add_f32_e32 v0, v0, v7
	v_mov_b32_e32 v60, v28
	v_mov_b32_e32 v59, v27
	;; [unrolled: 1-line block ×28, first 2 shown]
.LBB718_281:
	s_andn2_saveexec_b32 s4, s42
	s_or_b32 exec_lo, exec_lo, s4
	s_or_b32 exec_lo, exec_lo, s34
                                        ; implicit-def: $vgpr1_vgpr2_vgpr3_vgpr4_vgpr5_vgpr6_vgpr7_vgpr8_vgpr9_vgpr10_vgpr11_vgpr12_vgpr13_vgpr14_vgpr15_vgpr16_vgpr17_vgpr18_vgpr19_vgpr20_vgpr21_vgpr22_vgpr23_vgpr24_vgpr25_vgpr26_vgpr27_vgpr28_vgpr29_vgpr30_vgpr31_vgpr32
	s_and_saveexec_b32 s4, s5
	s_xor_b32 s4, exec_lo, s4
	s_cbranch_execnz .LBB718_209
.LBB718_282:
	s_or_saveexec_b32 s34, s4
	s_xor_b32 s5, s61, -1
	s_xor_b32 exec_lo, exec_lo, s34
	s_cbranch_execz .LBB718_210
.LBB718_283:
	global_load_ubyte v1, v[98:99], off offset:448
	s_mov_b32 s42, 0
	s_waitcnt vmcnt(0)
	v_and_b32_e32 v1, 1, v1
	v_cmp_eq_u32_e64 s4, 1, v1
	v_mov_b32_e32 v1, v33
	v_mov_b32_e32 v8, v40
	;; [unrolled: 1-line block ×33, first 2 shown]
	s_xor_b32 s4, s4, -1
	s_and_saveexec_b32 s42, s4
	s_xor_b32 s42, exec_lo, s42
	s_cbranch_execz .LBB718_285
; %bb.284:
	v_sub_f32_e32 v1, v40, v107
	v_mul_f32_e32 v2, 0x3fb8aa3b, v1
	v_cmp_ngt_f32_e64 s4, 0xc2ce8ed0, v1
	v_fma_f32 v3, 0x3fb8aa3b, v1, -v2
	v_rndne_f32_e32 v4, v2
	v_fmamk_f32 v3, v1, 0x32a5705f, v3
	v_sub_f32_e32 v2, v2, v4
	v_add_f32_e32 v2, v2, v3
	v_cvt_i32_f32_e32 v3, v4
	v_exp_f32_e32 v2, v2
	v_ldexp_f32 v2, v2, v3
	v_cndmask_b32_e64 v2, 0, v2, s4
	v_cmp_nlt_f32_e64 s4, 0x42b17218, v1
	v_cndmask_b32_e64 v40, 0x7f800000, v2, s4
	v_mov_b32_e32 v1, v33
	v_mov_b32_e32 v2, v34
	;; [unrolled: 1-line block ×4, first 2 shown]
	v_add_f32_e32 v0, v0, v40
	v_mov_b32_e32 v5, v37
	v_mov_b32_e32 v6, v38
	;; [unrolled: 1-line block ×28, first 2 shown]
.LBB718_285:
	s_andn2_saveexec_b32 s4, s42
	s_or_b32 exec_lo, exec_lo, s4
	s_or_b32 exec_lo, exec_lo, s34
                                        ; implicit-def: $vgpr33_vgpr34_vgpr35_vgpr36_vgpr37_vgpr38_vgpr39_vgpr40_vgpr41_vgpr42_vgpr43_vgpr44_vgpr45_vgpr46_vgpr47_vgpr48_vgpr49_vgpr50_vgpr51_vgpr52_vgpr53_vgpr54_vgpr55_vgpr56_vgpr57_vgpr58_vgpr59_vgpr60_vgpr61_vgpr62_vgpr63_vgpr64
	s_and_saveexec_b32 s4, s5
	s_xor_b32 s4, exec_lo, s4
	s_cbranch_execnz .LBB718_211
.LBB718_286:
	s_or_saveexec_b32 s34, s4
	s_xor_b32 s5, s60, -1
	s_xor_b32 exec_lo, exec_lo, s34
	s_cbranch_execz .LBB718_212
.LBB718_287:
	global_load_ubyte v33, v[98:99], off offset:512
	s_mov_b32 s42, 0
	s_waitcnt vmcnt(0)
	v_and_b32_e32 v33, 1, v33
	v_cmp_eq_u32_e64 s4, 1, v33
	v_mov_b32_e32 v64, v32
	v_mov_b32_e32 v41, v9
	;; [unrolled: 1-line block ×33, first 2 shown]
	s_xor_b32 s4, s4, -1
	s_and_saveexec_b32 s42, s4
	s_xor_b32 s42, exec_lo, s42
	s_cbranch_execz .LBB718_289
; %bb.288:
	v_sub_f32_e32 v9, v9, v107
	v_mul_f32_e32 v33, 0x3fb8aa3b, v9
	v_cmp_ngt_f32_e64 s4, 0xc2ce8ed0, v9
	v_fma_f32 v34, 0x3fb8aa3b, v9, -v33
	v_rndne_f32_e32 v35, v33
	v_fmamk_f32 v34, v9, 0x32a5705f, v34
	v_sub_f32_e32 v33, v33, v35
	v_add_f32_e32 v33, v33, v34
	v_cvt_i32_f32_e32 v34, v35
	v_exp_f32_e32 v33, v33
	v_ldexp_f32 v33, v33, v34
	v_cndmask_b32_e64 v33, 0, v33, s4
	v_cmp_nlt_f32_e64 s4, 0x42b17218, v9
	v_cndmask_b32_e64 v9, 0x7f800000, v33, s4
	v_mov_b32_e32 v64, v32
	v_mov_b32_e32 v63, v31
	;; [unrolled: 1-line block ×4, first 2 shown]
	v_add_f32_e32 v0, v0, v9
	v_mov_b32_e32 v60, v28
	v_mov_b32_e32 v59, v27
	;; [unrolled: 1-line block ×28, first 2 shown]
.LBB718_289:
	s_andn2_saveexec_b32 s4, s42
	s_or_b32 exec_lo, exec_lo, s4
	s_or_b32 exec_lo, exec_lo, s34
                                        ; implicit-def: $vgpr1_vgpr2_vgpr3_vgpr4_vgpr5_vgpr6_vgpr7_vgpr8_vgpr9_vgpr10_vgpr11_vgpr12_vgpr13_vgpr14_vgpr15_vgpr16_vgpr17_vgpr18_vgpr19_vgpr20_vgpr21_vgpr22_vgpr23_vgpr24_vgpr25_vgpr26_vgpr27_vgpr28_vgpr29_vgpr30_vgpr31_vgpr32
	s_and_saveexec_b32 s4, s5
	s_xor_b32 s4, exec_lo, s4
	s_cbranch_execnz .LBB718_213
.LBB718_290:
	s_or_saveexec_b32 s34, s4
	s_xor_b32 s5, s59, -1
	s_xor_b32 exec_lo, exec_lo, s34
	s_cbranch_execz .LBB718_214
.LBB718_291:
	global_load_ubyte v1, v[98:99], off offset:576
	s_mov_b32 s42, 0
	s_waitcnt vmcnt(0)
	v_and_b32_e32 v1, 1, v1
	v_cmp_eq_u32_e64 s4, 1, v1
	v_mov_b32_e32 v1, v33
	v_mov_b32_e32 v10, v42
	;; [unrolled: 1-line block ×33, first 2 shown]
	s_xor_b32 s4, s4, -1
	s_and_saveexec_b32 s42, s4
	s_xor_b32 s42, exec_lo, s42
	s_cbranch_execz .LBB718_293
; %bb.292:
	v_sub_f32_e32 v1, v42, v107
	v_mul_f32_e32 v2, 0x3fb8aa3b, v1
	v_cmp_ngt_f32_e64 s4, 0xc2ce8ed0, v1
	v_fma_f32 v3, 0x3fb8aa3b, v1, -v2
	v_rndne_f32_e32 v4, v2
	v_fmamk_f32 v3, v1, 0x32a5705f, v3
	v_sub_f32_e32 v2, v2, v4
	v_add_f32_e32 v2, v2, v3
	v_cvt_i32_f32_e32 v3, v4
	v_exp_f32_e32 v2, v2
	v_ldexp_f32 v2, v2, v3
	v_cndmask_b32_e64 v2, 0, v2, s4
	v_cmp_nlt_f32_e64 s4, 0x42b17218, v1
	v_cndmask_b32_e64 v42, 0x7f800000, v2, s4
	v_mov_b32_e32 v1, v33
	v_mov_b32_e32 v2, v34
	;; [unrolled: 1-line block ×4, first 2 shown]
	v_add_f32_e32 v0, v0, v42
	v_mov_b32_e32 v5, v37
	v_mov_b32_e32 v6, v38
	;; [unrolled: 1-line block ×28, first 2 shown]
.LBB718_293:
	s_andn2_saveexec_b32 s4, s42
	s_or_b32 exec_lo, exec_lo, s4
	s_or_b32 exec_lo, exec_lo, s34
                                        ; implicit-def: $vgpr33_vgpr34_vgpr35_vgpr36_vgpr37_vgpr38_vgpr39_vgpr40_vgpr41_vgpr42_vgpr43_vgpr44_vgpr45_vgpr46_vgpr47_vgpr48_vgpr49_vgpr50_vgpr51_vgpr52_vgpr53_vgpr54_vgpr55_vgpr56_vgpr57_vgpr58_vgpr59_vgpr60_vgpr61_vgpr62_vgpr63_vgpr64
	s_and_saveexec_b32 s4, s5
	s_xor_b32 s4, exec_lo, s4
	s_cbranch_execnz .LBB718_215
.LBB718_294:
	s_or_saveexec_b32 s34, s4
	s_xor_b32 s5, s58, -1
	s_xor_b32 exec_lo, exec_lo, s34
	s_cbranch_execz .LBB718_216
.LBB718_295:
	global_load_ubyte v33, v[98:99], off offset:640
	s_mov_b32 s42, 0
	s_waitcnt vmcnt(0)
	v_and_b32_e32 v33, 1, v33
	v_cmp_eq_u32_e64 s4, 1, v33
	v_mov_b32_e32 v64, v32
	v_mov_b32_e32 v43, v11
	;; [unrolled: 1-line block ×33, first 2 shown]
	s_xor_b32 s4, s4, -1
	s_and_saveexec_b32 s42, s4
	s_xor_b32 s42, exec_lo, s42
	s_cbranch_execz .LBB718_297
; %bb.296:
	v_sub_f32_e32 v11, v11, v107
	v_mul_f32_e32 v33, 0x3fb8aa3b, v11
	v_cmp_ngt_f32_e64 s4, 0xc2ce8ed0, v11
	v_fma_f32 v34, 0x3fb8aa3b, v11, -v33
	v_rndne_f32_e32 v35, v33
	v_fmamk_f32 v34, v11, 0x32a5705f, v34
	v_sub_f32_e32 v33, v33, v35
	v_add_f32_e32 v33, v33, v34
	v_cvt_i32_f32_e32 v34, v35
	v_exp_f32_e32 v33, v33
	v_ldexp_f32 v33, v33, v34
	v_cndmask_b32_e64 v33, 0, v33, s4
	v_cmp_nlt_f32_e64 s4, 0x42b17218, v11
	v_cndmask_b32_e64 v11, 0x7f800000, v33, s4
	v_mov_b32_e32 v64, v32
	v_mov_b32_e32 v63, v31
	;; [unrolled: 1-line block ×4, first 2 shown]
	v_add_f32_e32 v0, v0, v11
	v_mov_b32_e32 v60, v28
	v_mov_b32_e32 v59, v27
	;; [unrolled: 1-line block ×28, first 2 shown]
.LBB718_297:
	s_andn2_saveexec_b32 s4, s42
	s_or_b32 exec_lo, exec_lo, s4
	s_or_b32 exec_lo, exec_lo, s34
                                        ; implicit-def: $vgpr1_vgpr2_vgpr3_vgpr4_vgpr5_vgpr6_vgpr7_vgpr8_vgpr9_vgpr10_vgpr11_vgpr12_vgpr13_vgpr14_vgpr15_vgpr16_vgpr17_vgpr18_vgpr19_vgpr20_vgpr21_vgpr22_vgpr23_vgpr24_vgpr25_vgpr26_vgpr27_vgpr28_vgpr29_vgpr30_vgpr31_vgpr32
	s_and_saveexec_b32 s4, s5
	s_xor_b32 s4, exec_lo, s4
	s_cbranch_execnz .LBB718_217
.LBB718_298:
	s_or_saveexec_b32 s34, s4
	s_xor_b32 s5, s57, -1
	s_xor_b32 exec_lo, exec_lo, s34
	s_cbranch_execz .LBB718_218
.LBB718_299:
	global_load_ubyte v1, v[98:99], off offset:704
	s_mov_b32 s42, 0
	s_waitcnt vmcnt(0)
	v_and_b32_e32 v1, 1, v1
	v_cmp_eq_u32_e64 s4, 1, v1
	v_mov_b32_e32 v1, v33
	v_mov_b32_e32 v12, v44
	;; [unrolled: 1-line block ×33, first 2 shown]
	s_xor_b32 s4, s4, -1
	s_and_saveexec_b32 s42, s4
	s_xor_b32 s42, exec_lo, s42
	s_cbranch_execz .LBB718_301
; %bb.300:
	v_sub_f32_e32 v1, v44, v107
	v_mul_f32_e32 v2, 0x3fb8aa3b, v1
	v_cmp_ngt_f32_e64 s4, 0xc2ce8ed0, v1
	v_fma_f32 v3, 0x3fb8aa3b, v1, -v2
	v_rndne_f32_e32 v4, v2
	v_fmamk_f32 v3, v1, 0x32a5705f, v3
	v_sub_f32_e32 v2, v2, v4
	v_add_f32_e32 v2, v2, v3
	v_cvt_i32_f32_e32 v3, v4
	v_exp_f32_e32 v2, v2
	v_ldexp_f32 v2, v2, v3
	v_cndmask_b32_e64 v2, 0, v2, s4
	v_cmp_nlt_f32_e64 s4, 0x42b17218, v1
	v_cndmask_b32_e64 v44, 0x7f800000, v2, s4
	v_mov_b32_e32 v1, v33
	v_mov_b32_e32 v2, v34
	;; [unrolled: 1-line block ×4, first 2 shown]
	v_add_f32_e32 v0, v0, v44
	v_mov_b32_e32 v5, v37
	v_mov_b32_e32 v6, v38
	;; [unrolled: 1-line block ×28, first 2 shown]
.LBB718_301:
	s_andn2_saveexec_b32 s4, s42
	s_or_b32 exec_lo, exec_lo, s4
	s_or_b32 exec_lo, exec_lo, s34
                                        ; implicit-def: $vgpr33_vgpr34_vgpr35_vgpr36_vgpr37_vgpr38_vgpr39_vgpr40_vgpr41_vgpr42_vgpr43_vgpr44_vgpr45_vgpr46_vgpr47_vgpr48_vgpr49_vgpr50_vgpr51_vgpr52_vgpr53_vgpr54_vgpr55_vgpr56_vgpr57_vgpr58_vgpr59_vgpr60_vgpr61_vgpr62_vgpr63_vgpr64
	s_and_saveexec_b32 s4, s5
	s_xor_b32 s4, exec_lo, s4
	s_cbranch_execnz .LBB718_219
.LBB718_302:
	s_or_saveexec_b32 s34, s4
	s_xor_b32 s5, s56, -1
	s_xor_b32 exec_lo, exec_lo, s34
	s_cbranch_execz .LBB718_220
.LBB718_303:
	global_load_ubyte v33, v[98:99], off offset:768
	s_mov_b32 s42, 0
	s_waitcnt vmcnt(0)
	v_and_b32_e32 v33, 1, v33
	v_cmp_eq_u32_e64 s4, 1, v33
	v_mov_b32_e32 v64, v32
	v_mov_b32_e32 v45, v13
	;; [unrolled: 1-line block ×33, first 2 shown]
	s_xor_b32 s4, s4, -1
	s_and_saveexec_b32 s42, s4
	s_xor_b32 s42, exec_lo, s42
	s_cbranch_execz .LBB718_305
; %bb.304:
	v_sub_f32_e32 v13, v13, v107
	v_mul_f32_e32 v33, 0x3fb8aa3b, v13
	v_cmp_ngt_f32_e64 s4, 0xc2ce8ed0, v13
	v_fma_f32 v34, 0x3fb8aa3b, v13, -v33
	v_rndne_f32_e32 v35, v33
	v_fmamk_f32 v34, v13, 0x32a5705f, v34
	v_sub_f32_e32 v33, v33, v35
	v_add_f32_e32 v33, v33, v34
	v_cvt_i32_f32_e32 v34, v35
	v_exp_f32_e32 v33, v33
	v_ldexp_f32 v33, v33, v34
	v_cndmask_b32_e64 v33, 0, v33, s4
	v_cmp_nlt_f32_e64 s4, 0x42b17218, v13
	v_cndmask_b32_e64 v13, 0x7f800000, v33, s4
	v_mov_b32_e32 v64, v32
	v_mov_b32_e32 v63, v31
	;; [unrolled: 1-line block ×4, first 2 shown]
	v_add_f32_e32 v0, v0, v13
	v_mov_b32_e32 v60, v28
	v_mov_b32_e32 v59, v27
	;; [unrolled: 1-line block ×28, first 2 shown]
.LBB718_305:
	s_andn2_saveexec_b32 s4, s42
	s_or_b32 exec_lo, exec_lo, s4
	s_or_b32 exec_lo, exec_lo, s34
                                        ; implicit-def: $vgpr1_vgpr2_vgpr3_vgpr4_vgpr5_vgpr6_vgpr7_vgpr8_vgpr9_vgpr10_vgpr11_vgpr12_vgpr13_vgpr14_vgpr15_vgpr16_vgpr17_vgpr18_vgpr19_vgpr20_vgpr21_vgpr22_vgpr23_vgpr24_vgpr25_vgpr26_vgpr27_vgpr28_vgpr29_vgpr30_vgpr31_vgpr32
	s_and_saveexec_b32 s4, s5
	s_xor_b32 s4, exec_lo, s4
	s_cbranch_execnz .LBB718_221
.LBB718_306:
	s_or_saveexec_b32 s34, s4
	s_xor_b32 s5, s55, -1
	s_xor_b32 exec_lo, exec_lo, s34
	s_cbranch_execz .LBB718_222
.LBB718_307:
	global_load_ubyte v1, v[98:99], off offset:832
	s_mov_b32 s42, 0
	s_waitcnt vmcnt(0)
	v_and_b32_e32 v1, 1, v1
	v_cmp_eq_u32_e64 s4, 1, v1
	v_mov_b32_e32 v1, v33
	v_mov_b32_e32 v14, v46
	;; [unrolled: 1-line block ×33, first 2 shown]
	s_xor_b32 s4, s4, -1
	s_and_saveexec_b32 s42, s4
	s_xor_b32 s42, exec_lo, s42
	s_cbranch_execz .LBB718_309
; %bb.308:
	v_sub_f32_e32 v1, v46, v107
	v_mul_f32_e32 v2, 0x3fb8aa3b, v1
	v_cmp_ngt_f32_e64 s4, 0xc2ce8ed0, v1
	v_fma_f32 v3, 0x3fb8aa3b, v1, -v2
	v_rndne_f32_e32 v4, v2
	v_fmamk_f32 v3, v1, 0x32a5705f, v3
	v_sub_f32_e32 v2, v2, v4
	v_add_f32_e32 v2, v2, v3
	v_cvt_i32_f32_e32 v3, v4
	v_exp_f32_e32 v2, v2
	v_ldexp_f32 v2, v2, v3
	v_cndmask_b32_e64 v2, 0, v2, s4
	v_cmp_nlt_f32_e64 s4, 0x42b17218, v1
	v_cndmask_b32_e64 v46, 0x7f800000, v2, s4
	v_mov_b32_e32 v1, v33
	v_mov_b32_e32 v2, v34
	;; [unrolled: 1-line block ×4, first 2 shown]
	v_add_f32_e32 v0, v0, v46
	v_mov_b32_e32 v5, v37
	v_mov_b32_e32 v6, v38
	v_mov_b32_e32 v7, v39
	v_mov_b32_e32 v8, v40
	v_mov_b32_e32 v9, v41
	v_mov_b32_e32 v10, v42
	v_mov_b32_e32 v11, v43
	v_mov_b32_e32 v12, v44
	v_mov_b32_e32 v13, v45
	v_mov_b32_e32 v14, v46
	v_mov_b32_e32 v15, v47
	v_mov_b32_e32 v16, v48
	v_mov_b32_e32 v17, v49
	v_mov_b32_e32 v18, v50
	v_mov_b32_e32 v19, v51
	v_mov_b32_e32 v20, v52
	v_mov_b32_e32 v21, v53
	v_mov_b32_e32 v22, v54
	v_mov_b32_e32 v23, v55
	v_mov_b32_e32 v24, v56
	v_mov_b32_e32 v25, v57
	v_mov_b32_e32 v26, v58
	v_mov_b32_e32 v27, v59
	v_mov_b32_e32 v28, v60
	v_mov_b32_e32 v29, v61
	v_mov_b32_e32 v30, v62
	v_mov_b32_e32 v31, v63
	v_mov_b32_e32 v32, v64
.LBB718_309:
	s_andn2_saveexec_b32 s4, s42
	s_or_b32 exec_lo, exec_lo, s4
	s_or_b32 exec_lo, exec_lo, s34
                                        ; implicit-def: $vgpr33_vgpr34_vgpr35_vgpr36_vgpr37_vgpr38_vgpr39_vgpr40_vgpr41_vgpr42_vgpr43_vgpr44_vgpr45_vgpr46_vgpr47_vgpr48_vgpr49_vgpr50_vgpr51_vgpr52_vgpr53_vgpr54_vgpr55_vgpr56_vgpr57_vgpr58_vgpr59_vgpr60_vgpr61_vgpr62_vgpr63_vgpr64
	s_and_saveexec_b32 s4, s5
	s_xor_b32 s4, exec_lo, s4
	s_cbranch_execnz .LBB718_223
.LBB718_310:
	s_or_saveexec_b32 s34, s4
	s_xor_b32 s5, s54, -1
	s_xor_b32 exec_lo, exec_lo, s34
	s_cbranch_execz .LBB718_224
.LBB718_311:
	global_load_ubyte v33, v[98:99], off offset:896
	s_mov_b32 s42, 0
	s_waitcnt vmcnt(0)
	v_and_b32_e32 v33, 1, v33
	v_cmp_eq_u32_e64 s4, 1, v33
	v_mov_b32_e32 v64, v32
	v_mov_b32_e32 v47, v15
	;; [unrolled: 1-line block ×33, first 2 shown]
	s_xor_b32 s4, s4, -1
	s_and_saveexec_b32 s42, s4
	s_xor_b32 s42, exec_lo, s42
	s_cbranch_execz .LBB718_313
; %bb.312:
	v_sub_f32_e32 v15, v15, v107
	v_mul_f32_e32 v33, 0x3fb8aa3b, v15
	v_cmp_ngt_f32_e64 s4, 0xc2ce8ed0, v15
	v_fma_f32 v34, 0x3fb8aa3b, v15, -v33
	v_rndne_f32_e32 v35, v33
	v_fmamk_f32 v34, v15, 0x32a5705f, v34
	v_sub_f32_e32 v33, v33, v35
	v_add_f32_e32 v33, v33, v34
	v_cvt_i32_f32_e32 v34, v35
	v_exp_f32_e32 v33, v33
	v_ldexp_f32 v33, v33, v34
	v_cndmask_b32_e64 v33, 0, v33, s4
	v_cmp_nlt_f32_e64 s4, 0x42b17218, v15
	v_cndmask_b32_e64 v15, 0x7f800000, v33, s4
	v_mov_b32_e32 v64, v32
	v_mov_b32_e32 v63, v31
	;; [unrolled: 1-line block ×4, first 2 shown]
	v_add_f32_e32 v0, v0, v15
	v_mov_b32_e32 v60, v28
	v_mov_b32_e32 v59, v27
	;; [unrolled: 1-line block ×28, first 2 shown]
.LBB718_313:
	s_andn2_saveexec_b32 s4, s42
	s_or_b32 exec_lo, exec_lo, s4
	s_or_b32 exec_lo, exec_lo, s34
                                        ; implicit-def: $vgpr1_vgpr2_vgpr3_vgpr4_vgpr5_vgpr6_vgpr7_vgpr8_vgpr9_vgpr10_vgpr11_vgpr12_vgpr13_vgpr14_vgpr15_vgpr16_vgpr17_vgpr18_vgpr19_vgpr20_vgpr21_vgpr22_vgpr23_vgpr24_vgpr25_vgpr26_vgpr27_vgpr28_vgpr29_vgpr30_vgpr31_vgpr32
	s_and_saveexec_b32 s4, s5
	s_xor_b32 s4, exec_lo, s4
	s_cbranch_execnz .LBB718_225
.LBB718_314:
	s_or_saveexec_b32 s34, s4
	s_xor_b32 s5, s53, -1
	s_xor_b32 exec_lo, exec_lo, s34
	s_cbranch_execz .LBB718_226
.LBB718_315:
	global_load_ubyte v1, v[98:99], off offset:960
	s_mov_b32 s42, 0
	s_waitcnt vmcnt(0)
	v_and_b32_e32 v1, 1, v1
	v_cmp_eq_u32_e64 s4, 1, v1
	v_mov_b32_e32 v1, v33
	v_mov_b32_e32 v16, v48
	;; [unrolled: 1-line block ×33, first 2 shown]
	s_xor_b32 s4, s4, -1
	s_and_saveexec_b32 s42, s4
	s_xor_b32 s42, exec_lo, s42
	s_cbranch_execz .LBB718_317
; %bb.316:
	v_sub_f32_e32 v1, v48, v107
	v_mul_f32_e32 v2, 0x3fb8aa3b, v1
	v_cmp_ngt_f32_e64 s4, 0xc2ce8ed0, v1
	v_fma_f32 v3, 0x3fb8aa3b, v1, -v2
	v_rndne_f32_e32 v4, v2
	v_fmamk_f32 v3, v1, 0x32a5705f, v3
	v_sub_f32_e32 v2, v2, v4
	v_add_f32_e32 v2, v2, v3
	v_cvt_i32_f32_e32 v3, v4
	v_exp_f32_e32 v2, v2
	v_ldexp_f32 v2, v2, v3
	v_cndmask_b32_e64 v2, 0, v2, s4
	v_cmp_nlt_f32_e64 s4, 0x42b17218, v1
	v_cndmask_b32_e64 v48, 0x7f800000, v2, s4
	v_mov_b32_e32 v1, v33
	v_mov_b32_e32 v2, v34
	;; [unrolled: 1-line block ×4, first 2 shown]
	v_add_f32_e32 v0, v0, v48
	v_mov_b32_e32 v5, v37
	v_mov_b32_e32 v6, v38
	;; [unrolled: 1-line block ×28, first 2 shown]
.LBB718_317:
	s_andn2_saveexec_b32 s4, s42
	s_or_b32 exec_lo, exec_lo, s4
	s_or_b32 exec_lo, exec_lo, s34
                                        ; implicit-def: $vgpr33_vgpr34_vgpr35_vgpr36_vgpr37_vgpr38_vgpr39_vgpr40_vgpr41_vgpr42_vgpr43_vgpr44_vgpr45_vgpr46_vgpr47_vgpr48_vgpr49_vgpr50_vgpr51_vgpr52_vgpr53_vgpr54_vgpr55_vgpr56_vgpr57_vgpr58_vgpr59_vgpr60_vgpr61_vgpr62_vgpr63_vgpr64
	s_and_saveexec_b32 s4, s5
	s_xor_b32 s4, exec_lo, s4
	s_cbranch_execnz .LBB718_227
.LBB718_318:
	s_or_saveexec_b32 s34, s4
	s_xor_b32 s5, s52, -1
	s_xor_b32 exec_lo, exec_lo, s34
	s_cbranch_execz .LBB718_228
.LBB718_319:
	global_load_ubyte v33, v[98:99], off offset:1024
	s_mov_b32 s42, 0
	s_waitcnt vmcnt(0)
	v_and_b32_e32 v33, 1, v33
	v_cmp_eq_u32_e64 s4, 1, v33
	v_mov_b32_e32 v64, v32
	v_mov_b32_e32 v49, v17
	;; [unrolled: 1-line block ×33, first 2 shown]
	s_xor_b32 s4, s4, -1
	s_and_saveexec_b32 s42, s4
	s_xor_b32 s42, exec_lo, s42
	s_cbranch_execz .LBB718_321
; %bb.320:
	v_sub_f32_e32 v17, v17, v107
	v_mul_f32_e32 v33, 0x3fb8aa3b, v17
	v_cmp_ngt_f32_e64 s4, 0xc2ce8ed0, v17
	v_fma_f32 v34, 0x3fb8aa3b, v17, -v33
	v_rndne_f32_e32 v35, v33
	v_fmamk_f32 v34, v17, 0x32a5705f, v34
	v_sub_f32_e32 v33, v33, v35
	v_add_f32_e32 v33, v33, v34
	v_cvt_i32_f32_e32 v34, v35
	v_exp_f32_e32 v33, v33
	v_ldexp_f32 v33, v33, v34
	v_cndmask_b32_e64 v33, 0, v33, s4
	v_cmp_nlt_f32_e64 s4, 0x42b17218, v17
	v_cndmask_b32_e64 v17, 0x7f800000, v33, s4
	v_mov_b32_e32 v64, v32
	v_mov_b32_e32 v63, v31
	;; [unrolled: 1-line block ×4, first 2 shown]
	v_add_f32_e32 v0, v0, v17
	v_mov_b32_e32 v60, v28
	v_mov_b32_e32 v59, v27
	;; [unrolled: 1-line block ×28, first 2 shown]
.LBB718_321:
	s_andn2_saveexec_b32 s4, s42
	s_or_b32 exec_lo, exec_lo, s4
	s_or_b32 exec_lo, exec_lo, s34
                                        ; implicit-def: $vgpr1_vgpr2_vgpr3_vgpr4_vgpr5_vgpr6_vgpr7_vgpr8_vgpr9_vgpr10_vgpr11_vgpr12_vgpr13_vgpr14_vgpr15_vgpr16_vgpr17_vgpr18_vgpr19_vgpr20_vgpr21_vgpr22_vgpr23_vgpr24_vgpr25_vgpr26_vgpr27_vgpr28_vgpr29_vgpr30_vgpr31_vgpr32
	s_and_saveexec_b32 s4, s5
	s_xor_b32 s4, exec_lo, s4
	s_cbranch_execnz .LBB718_229
.LBB718_322:
	s_or_saveexec_b32 s34, s4
	s_xor_b32 s5, s51, -1
	s_xor_b32 exec_lo, exec_lo, s34
	s_cbranch_execz .LBB718_230
.LBB718_323:
	global_load_ubyte v1, v[98:99], off offset:1088
	s_mov_b32 s42, 0
	s_waitcnt vmcnt(0)
	v_and_b32_e32 v1, 1, v1
	v_cmp_eq_u32_e64 s4, 1, v1
	v_mov_b32_e32 v1, v33
	v_mov_b32_e32 v18, v50
	;; [unrolled: 1-line block ×33, first 2 shown]
	s_xor_b32 s4, s4, -1
	s_and_saveexec_b32 s42, s4
	s_xor_b32 s42, exec_lo, s42
	s_cbranch_execz .LBB718_325
; %bb.324:
	v_sub_f32_e32 v1, v50, v107
	v_mul_f32_e32 v2, 0x3fb8aa3b, v1
	v_cmp_ngt_f32_e64 s4, 0xc2ce8ed0, v1
	v_fma_f32 v3, 0x3fb8aa3b, v1, -v2
	v_rndne_f32_e32 v4, v2
	v_fmamk_f32 v3, v1, 0x32a5705f, v3
	v_sub_f32_e32 v2, v2, v4
	v_add_f32_e32 v2, v2, v3
	v_cvt_i32_f32_e32 v3, v4
	v_exp_f32_e32 v2, v2
	v_ldexp_f32 v2, v2, v3
	v_cndmask_b32_e64 v2, 0, v2, s4
	v_cmp_nlt_f32_e64 s4, 0x42b17218, v1
	v_cndmask_b32_e64 v50, 0x7f800000, v2, s4
	v_mov_b32_e32 v1, v33
	v_mov_b32_e32 v2, v34
	;; [unrolled: 1-line block ×4, first 2 shown]
	v_add_f32_e32 v0, v0, v50
	v_mov_b32_e32 v5, v37
	v_mov_b32_e32 v6, v38
	;; [unrolled: 1-line block ×28, first 2 shown]
.LBB718_325:
	s_andn2_saveexec_b32 s4, s42
	s_or_b32 exec_lo, exec_lo, s4
	s_or_b32 exec_lo, exec_lo, s34
                                        ; implicit-def: $vgpr33_vgpr34_vgpr35_vgpr36_vgpr37_vgpr38_vgpr39_vgpr40_vgpr41_vgpr42_vgpr43_vgpr44_vgpr45_vgpr46_vgpr47_vgpr48_vgpr49_vgpr50_vgpr51_vgpr52_vgpr53_vgpr54_vgpr55_vgpr56_vgpr57_vgpr58_vgpr59_vgpr60_vgpr61_vgpr62_vgpr63_vgpr64
	s_and_saveexec_b32 s4, s5
	s_xor_b32 s4, exec_lo, s4
	s_cbranch_execnz .LBB718_231
.LBB718_326:
	s_or_saveexec_b32 s34, s4
	s_xor_b32 s5, s50, -1
	s_xor_b32 exec_lo, exec_lo, s34
	s_cbranch_execz .LBB718_232
.LBB718_327:
	global_load_ubyte v33, v[98:99], off offset:1152
	s_mov_b32 s42, 0
	s_waitcnt vmcnt(0)
	v_and_b32_e32 v33, 1, v33
	v_cmp_eq_u32_e64 s4, 1, v33
	v_mov_b32_e32 v64, v32
	v_mov_b32_e32 v51, v19
	;; [unrolled: 1-line block ×33, first 2 shown]
	s_xor_b32 s4, s4, -1
	s_and_saveexec_b32 s42, s4
	s_xor_b32 s42, exec_lo, s42
	s_cbranch_execz .LBB718_329
; %bb.328:
	v_sub_f32_e32 v19, v19, v107
	v_mul_f32_e32 v33, 0x3fb8aa3b, v19
	v_cmp_ngt_f32_e64 s4, 0xc2ce8ed0, v19
	v_fma_f32 v34, 0x3fb8aa3b, v19, -v33
	v_rndne_f32_e32 v35, v33
	v_fmamk_f32 v34, v19, 0x32a5705f, v34
	v_sub_f32_e32 v33, v33, v35
	v_add_f32_e32 v33, v33, v34
	v_cvt_i32_f32_e32 v34, v35
	v_exp_f32_e32 v33, v33
	v_ldexp_f32 v33, v33, v34
	v_cndmask_b32_e64 v33, 0, v33, s4
	v_cmp_nlt_f32_e64 s4, 0x42b17218, v19
	v_cndmask_b32_e64 v19, 0x7f800000, v33, s4
	v_mov_b32_e32 v64, v32
	v_mov_b32_e32 v63, v31
	;; [unrolled: 1-line block ×4, first 2 shown]
	v_add_f32_e32 v0, v0, v19
	v_mov_b32_e32 v60, v28
	v_mov_b32_e32 v59, v27
	;; [unrolled: 1-line block ×28, first 2 shown]
.LBB718_329:
	s_andn2_saveexec_b32 s4, s42
	s_or_b32 exec_lo, exec_lo, s4
	s_or_b32 exec_lo, exec_lo, s34
                                        ; implicit-def: $vgpr1_vgpr2_vgpr3_vgpr4_vgpr5_vgpr6_vgpr7_vgpr8_vgpr9_vgpr10_vgpr11_vgpr12_vgpr13_vgpr14_vgpr15_vgpr16_vgpr17_vgpr18_vgpr19_vgpr20_vgpr21_vgpr22_vgpr23_vgpr24_vgpr25_vgpr26_vgpr27_vgpr28_vgpr29_vgpr30_vgpr31_vgpr32
	s_and_saveexec_b32 s4, s5
	s_xor_b32 s4, exec_lo, s4
	s_cbranch_execnz .LBB718_233
.LBB718_330:
	s_or_saveexec_b32 s34, s4
	s_xor_b32 s5, s49, -1
	s_xor_b32 exec_lo, exec_lo, s34
	s_cbranch_execz .LBB718_234
.LBB718_331:
	global_load_ubyte v1, v[98:99], off offset:1216
	s_mov_b32 s42, 0
	s_waitcnt vmcnt(0)
	v_and_b32_e32 v1, 1, v1
	v_cmp_eq_u32_e64 s4, 1, v1
	v_mov_b32_e32 v1, v33
	v_mov_b32_e32 v20, v52
	;; [unrolled: 1-line block ×33, first 2 shown]
	s_xor_b32 s4, s4, -1
	s_and_saveexec_b32 s42, s4
	s_xor_b32 s42, exec_lo, s42
	s_cbranch_execz .LBB718_333
; %bb.332:
	v_sub_f32_e32 v1, v52, v107
	v_mul_f32_e32 v2, 0x3fb8aa3b, v1
	v_cmp_ngt_f32_e64 s4, 0xc2ce8ed0, v1
	v_fma_f32 v3, 0x3fb8aa3b, v1, -v2
	v_rndne_f32_e32 v4, v2
	v_fmamk_f32 v3, v1, 0x32a5705f, v3
	v_sub_f32_e32 v2, v2, v4
	v_add_f32_e32 v2, v2, v3
	v_cvt_i32_f32_e32 v3, v4
	v_exp_f32_e32 v2, v2
	v_ldexp_f32 v2, v2, v3
	v_cndmask_b32_e64 v2, 0, v2, s4
	v_cmp_nlt_f32_e64 s4, 0x42b17218, v1
	v_cndmask_b32_e64 v52, 0x7f800000, v2, s4
	v_mov_b32_e32 v1, v33
	v_mov_b32_e32 v2, v34
	;; [unrolled: 1-line block ×4, first 2 shown]
	v_add_f32_e32 v0, v0, v52
	v_mov_b32_e32 v5, v37
	v_mov_b32_e32 v6, v38
	v_mov_b32_e32 v7, v39
	v_mov_b32_e32 v8, v40
	v_mov_b32_e32 v9, v41
	v_mov_b32_e32 v10, v42
	v_mov_b32_e32 v11, v43
	v_mov_b32_e32 v12, v44
	v_mov_b32_e32 v13, v45
	v_mov_b32_e32 v14, v46
	v_mov_b32_e32 v15, v47
	v_mov_b32_e32 v16, v48
	v_mov_b32_e32 v17, v49
	v_mov_b32_e32 v18, v50
	v_mov_b32_e32 v19, v51
	v_mov_b32_e32 v20, v52
	v_mov_b32_e32 v21, v53
	v_mov_b32_e32 v22, v54
	v_mov_b32_e32 v23, v55
	v_mov_b32_e32 v24, v56
	v_mov_b32_e32 v25, v57
	v_mov_b32_e32 v26, v58
	v_mov_b32_e32 v27, v59
	v_mov_b32_e32 v28, v60
	v_mov_b32_e32 v29, v61
	v_mov_b32_e32 v30, v62
	v_mov_b32_e32 v31, v63
	v_mov_b32_e32 v32, v64
.LBB718_333:
	s_andn2_saveexec_b32 s4, s42
	s_or_b32 exec_lo, exec_lo, s4
	s_or_b32 exec_lo, exec_lo, s34
                                        ; implicit-def: $vgpr33_vgpr34_vgpr35_vgpr36_vgpr37_vgpr38_vgpr39_vgpr40_vgpr41_vgpr42_vgpr43_vgpr44_vgpr45_vgpr46_vgpr47_vgpr48_vgpr49_vgpr50_vgpr51_vgpr52_vgpr53_vgpr54_vgpr55_vgpr56_vgpr57_vgpr58_vgpr59_vgpr60_vgpr61_vgpr62_vgpr63_vgpr64
	s_and_saveexec_b32 s4, s5
	s_xor_b32 s4, exec_lo, s4
	s_cbranch_execnz .LBB718_235
.LBB718_334:
	s_or_saveexec_b32 s34, s4
	s_xor_b32 s5, s48, -1
	s_xor_b32 exec_lo, exec_lo, s34
	s_cbranch_execz .LBB718_236
.LBB718_335:
	global_load_ubyte v33, v[98:99], off offset:1280
	s_mov_b32 s42, 0
	s_waitcnt vmcnt(0)
	v_and_b32_e32 v33, 1, v33
	v_cmp_eq_u32_e64 s4, 1, v33
	v_mov_b32_e32 v64, v32
	v_mov_b32_e32 v53, v21
	;; [unrolled: 1-line block ×33, first 2 shown]
	s_xor_b32 s4, s4, -1
	s_and_saveexec_b32 s42, s4
	s_xor_b32 s42, exec_lo, s42
	s_cbranch_execz .LBB718_337
; %bb.336:
	v_sub_f32_e32 v21, v21, v107
	v_mul_f32_e32 v33, 0x3fb8aa3b, v21
	v_cmp_ngt_f32_e64 s4, 0xc2ce8ed0, v21
	v_fma_f32 v34, 0x3fb8aa3b, v21, -v33
	v_rndne_f32_e32 v35, v33
	v_fmamk_f32 v34, v21, 0x32a5705f, v34
	v_sub_f32_e32 v33, v33, v35
	v_add_f32_e32 v33, v33, v34
	v_cvt_i32_f32_e32 v34, v35
	v_exp_f32_e32 v33, v33
	v_ldexp_f32 v33, v33, v34
	v_cndmask_b32_e64 v33, 0, v33, s4
	v_cmp_nlt_f32_e64 s4, 0x42b17218, v21
	v_cndmask_b32_e64 v21, 0x7f800000, v33, s4
	v_mov_b32_e32 v64, v32
	v_mov_b32_e32 v63, v31
	;; [unrolled: 1-line block ×4, first 2 shown]
	v_add_f32_e32 v0, v0, v21
	v_mov_b32_e32 v60, v28
	v_mov_b32_e32 v59, v27
	;; [unrolled: 1-line block ×28, first 2 shown]
.LBB718_337:
	s_andn2_saveexec_b32 s4, s42
	s_or_b32 exec_lo, exec_lo, s4
	s_or_b32 exec_lo, exec_lo, s34
                                        ; implicit-def: $vgpr1_vgpr2_vgpr3_vgpr4_vgpr5_vgpr6_vgpr7_vgpr8_vgpr9_vgpr10_vgpr11_vgpr12_vgpr13_vgpr14_vgpr15_vgpr16_vgpr17_vgpr18_vgpr19_vgpr20_vgpr21_vgpr22_vgpr23_vgpr24_vgpr25_vgpr26_vgpr27_vgpr28_vgpr29_vgpr30_vgpr31_vgpr32
	s_and_saveexec_b32 s4, s5
	s_xor_b32 s4, exec_lo, s4
	s_cbranch_execnz .LBB718_237
.LBB718_338:
	s_or_saveexec_b32 s34, s4
	s_xor_b32 s5, s47, -1
	s_xor_b32 exec_lo, exec_lo, s34
	s_cbranch_execz .LBB718_238
.LBB718_339:
	global_load_ubyte v1, v[98:99], off offset:1344
	s_mov_b32 s42, 0
	s_waitcnt vmcnt(0)
	v_and_b32_e32 v1, 1, v1
	v_cmp_eq_u32_e64 s4, 1, v1
	v_mov_b32_e32 v1, v33
	v_mov_b32_e32 v22, v54
	;; [unrolled: 1-line block ×33, first 2 shown]
	s_xor_b32 s4, s4, -1
	s_and_saveexec_b32 s42, s4
	s_xor_b32 s42, exec_lo, s42
	s_cbranch_execz .LBB718_341
; %bb.340:
	v_sub_f32_e32 v1, v54, v107
	v_mul_f32_e32 v2, 0x3fb8aa3b, v1
	v_cmp_ngt_f32_e64 s4, 0xc2ce8ed0, v1
	v_fma_f32 v3, 0x3fb8aa3b, v1, -v2
	v_rndne_f32_e32 v4, v2
	v_fmamk_f32 v3, v1, 0x32a5705f, v3
	v_sub_f32_e32 v2, v2, v4
	v_add_f32_e32 v2, v2, v3
	v_cvt_i32_f32_e32 v3, v4
	v_exp_f32_e32 v2, v2
	v_ldexp_f32 v2, v2, v3
	v_cndmask_b32_e64 v2, 0, v2, s4
	v_cmp_nlt_f32_e64 s4, 0x42b17218, v1
	v_cndmask_b32_e64 v54, 0x7f800000, v2, s4
	v_mov_b32_e32 v1, v33
	v_mov_b32_e32 v2, v34
	;; [unrolled: 1-line block ×4, first 2 shown]
	v_add_f32_e32 v0, v0, v54
	v_mov_b32_e32 v5, v37
	v_mov_b32_e32 v6, v38
	;; [unrolled: 1-line block ×28, first 2 shown]
.LBB718_341:
	s_andn2_saveexec_b32 s4, s42
	s_or_b32 exec_lo, exec_lo, s4
	s_or_b32 exec_lo, exec_lo, s34
                                        ; implicit-def: $vgpr33_vgpr34_vgpr35_vgpr36_vgpr37_vgpr38_vgpr39_vgpr40_vgpr41_vgpr42_vgpr43_vgpr44_vgpr45_vgpr46_vgpr47_vgpr48_vgpr49_vgpr50_vgpr51_vgpr52_vgpr53_vgpr54_vgpr55_vgpr56_vgpr57_vgpr58_vgpr59_vgpr60_vgpr61_vgpr62_vgpr63_vgpr64
	s_and_saveexec_b32 s4, s5
	s_xor_b32 s4, exec_lo, s4
	s_cbranch_execnz .LBB718_239
.LBB718_342:
	s_or_saveexec_b32 s34, s4
	s_xor_b32 s5, s46, -1
	s_xor_b32 exec_lo, exec_lo, s34
	s_cbranch_execz .LBB718_240
.LBB718_343:
	global_load_ubyte v33, v[98:99], off offset:1408
	s_mov_b32 s42, 0
	s_waitcnt vmcnt(0)
	v_and_b32_e32 v33, 1, v33
	v_cmp_eq_u32_e64 s4, 1, v33
	v_mov_b32_e32 v64, v32
	v_mov_b32_e32 v55, v23
	;; [unrolled: 1-line block ×33, first 2 shown]
	s_xor_b32 s4, s4, -1
	s_and_saveexec_b32 s42, s4
	s_xor_b32 s42, exec_lo, s42
	s_cbranch_execz .LBB718_345
; %bb.344:
	v_sub_f32_e32 v23, v23, v107
	v_mul_f32_e32 v33, 0x3fb8aa3b, v23
	v_cmp_ngt_f32_e64 s4, 0xc2ce8ed0, v23
	v_fma_f32 v34, 0x3fb8aa3b, v23, -v33
	v_rndne_f32_e32 v35, v33
	v_fmamk_f32 v34, v23, 0x32a5705f, v34
	v_sub_f32_e32 v33, v33, v35
	v_add_f32_e32 v33, v33, v34
	v_cvt_i32_f32_e32 v34, v35
	v_exp_f32_e32 v33, v33
	v_ldexp_f32 v33, v33, v34
	v_cndmask_b32_e64 v33, 0, v33, s4
	v_cmp_nlt_f32_e64 s4, 0x42b17218, v23
	v_cndmask_b32_e64 v23, 0x7f800000, v33, s4
	v_mov_b32_e32 v64, v32
	v_mov_b32_e32 v63, v31
	;; [unrolled: 1-line block ×4, first 2 shown]
	v_add_f32_e32 v0, v0, v23
	v_mov_b32_e32 v60, v28
	v_mov_b32_e32 v59, v27
	;; [unrolled: 1-line block ×28, first 2 shown]
.LBB718_345:
	s_andn2_saveexec_b32 s4, s42
	s_or_b32 exec_lo, exec_lo, s4
	s_or_b32 exec_lo, exec_lo, s34
                                        ; implicit-def: $vgpr1_vgpr2_vgpr3_vgpr4_vgpr5_vgpr6_vgpr7_vgpr8_vgpr9_vgpr10_vgpr11_vgpr12_vgpr13_vgpr14_vgpr15_vgpr16_vgpr17_vgpr18_vgpr19_vgpr20_vgpr21_vgpr22_vgpr23_vgpr24_vgpr25_vgpr26_vgpr27_vgpr28_vgpr29_vgpr30_vgpr31_vgpr32
	s_and_saveexec_b32 s4, s5
	s_xor_b32 s4, exec_lo, s4
	s_cbranch_execnz .LBB718_241
.LBB718_346:
	s_or_saveexec_b32 s34, s4
	s_xor_b32 s5, s45, -1
	s_xor_b32 exec_lo, exec_lo, s34
	s_cbranch_execz .LBB718_242
.LBB718_347:
	global_load_ubyte v1, v[98:99], off offset:1472
	s_mov_b32 s42, 0
	s_waitcnt vmcnt(0)
	v_and_b32_e32 v1, 1, v1
	v_cmp_eq_u32_e64 s4, 1, v1
	v_mov_b32_e32 v1, v33
	v_mov_b32_e32 v24, v56
	;; [unrolled: 1-line block ×33, first 2 shown]
	s_xor_b32 s4, s4, -1
	s_and_saveexec_b32 s42, s4
	s_xor_b32 s42, exec_lo, s42
	s_cbranch_execz .LBB718_349
; %bb.348:
	v_sub_f32_e32 v1, v56, v107
	v_mul_f32_e32 v2, 0x3fb8aa3b, v1
	v_cmp_ngt_f32_e64 s4, 0xc2ce8ed0, v1
	v_fma_f32 v3, 0x3fb8aa3b, v1, -v2
	v_rndne_f32_e32 v4, v2
	v_fmamk_f32 v3, v1, 0x32a5705f, v3
	v_sub_f32_e32 v2, v2, v4
	v_add_f32_e32 v2, v2, v3
	v_cvt_i32_f32_e32 v3, v4
	v_exp_f32_e32 v2, v2
	v_ldexp_f32 v2, v2, v3
	v_cndmask_b32_e64 v2, 0, v2, s4
	v_cmp_nlt_f32_e64 s4, 0x42b17218, v1
	v_cndmask_b32_e64 v56, 0x7f800000, v2, s4
	v_mov_b32_e32 v1, v33
	v_mov_b32_e32 v2, v34
	;; [unrolled: 1-line block ×4, first 2 shown]
	v_add_f32_e32 v0, v0, v56
	v_mov_b32_e32 v5, v37
	v_mov_b32_e32 v6, v38
	v_mov_b32_e32 v7, v39
	v_mov_b32_e32 v8, v40
	v_mov_b32_e32 v9, v41
	v_mov_b32_e32 v10, v42
	v_mov_b32_e32 v11, v43
	v_mov_b32_e32 v12, v44
	v_mov_b32_e32 v13, v45
	v_mov_b32_e32 v14, v46
	v_mov_b32_e32 v15, v47
	v_mov_b32_e32 v16, v48
	v_mov_b32_e32 v17, v49
	v_mov_b32_e32 v18, v50
	v_mov_b32_e32 v19, v51
	v_mov_b32_e32 v20, v52
	v_mov_b32_e32 v21, v53
	v_mov_b32_e32 v22, v54
	v_mov_b32_e32 v23, v55
	v_mov_b32_e32 v24, v56
	v_mov_b32_e32 v25, v57
	v_mov_b32_e32 v26, v58
	v_mov_b32_e32 v27, v59
	v_mov_b32_e32 v28, v60
	v_mov_b32_e32 v29, v61
	v_mov_b32_e32 v30, v62
	v_mov_b32_e32 v31, v63
	v_mov_b32_e32 v32, v64
.LBB718_349:
	s_andn2_saveexec_b32 s4, s42
	s_or_b32 exec_lo, exec_lo, s4
	s_or_b32 exec_lo, exec_lo, s34
                                        ; implicit-def: $vgpr33_vgpr34_vgpr35_vgpr36_vgpr37_vgpr38_vgpr39_vgpr40_vgpr41_vgpr42_vgpr43_vgpr44_vgpr45_vgpr46_vgpr47_vgpr48_vgpr49_vgpr50_vgpr51_vgpr52_vgpr53_vgpr54_vgpr55_vgpr56_vgpr57_vgpr58_vgpr59_vgpr60_vgpr61_vgpr62_vgpr63_vgpr64
	s_and_saveexec_b32 s4, s5
	s_xor_b32 s4, exec_lo, s4
	s_cbranch_execnz .LBB718_243
.LBB718_350:
	s_or_saveexec_b32 s34, s4
	s_xor_b32 s5, s44, -1
	s_xor_b32 exec_lo, exec_lo, s34
	s_cbranch_execz .LBB718_244
.LBB718_351:
	global_load_ubyte v33, v[98:99], off offset:1536
	s_mov_b32 s42, 0
	s_waitcnt vmcnt(0)
	v_and_b32_e32 v33, 1, v33
	v_cmp_eq_u32_e64 s4, 1, v33
	v_mov_b32_e32 v64, v32
	v_mov_b32_e32 v57, v25
	;; [unrolled: 1-line block ×33, first 2 shown]
	s_xor_b32 s4, s4, -1
	s_and_saveexec_b32 s42, s4
	s_xor_b32 s42, exec_lo, s42
	s_cbranch_execz .LBB718_353
; %bb.352:
	v_sub_f32_e32 v25, v25, v107
	v_mul_f32_e32 v33, 0x3fb8aa3b, v25
	v_cmp_ngt_f32_e64 s4, 0xc2ce8ed0, v25
	v_fma_f32 v34, 0x3fb8aa3b, v25, -v33
	v_rndne_f32_e32 v35, v33
	v_fmamk_f32 v34, v25, 0x32a5705f, v34
	v_sub_f32_e32 v33, v33, v35
	v_add_f32_e32 v33, v33, v34
	v_cvt_i32_f32_e32 v34, v35
	v_exp_f32_e32 v33, v33
	v_ldexp_f32 v33, v33, v34
	v_cndmask_b32_e64 v33, 0, v33, s4
	v_cmp_nlt_f32_e64 s4, 0x42b17218, v25
	v_cndmask_b32_e64 v25, 0x7f800000, v33, s4
	v_mov_b32_e32 v64, v32
	v_mov_b32_e32 v63, v31
	v_mov_b32_e32 v62, v30
	v_mov_b32_e32 v61, v29
	v_add_f32_e32 v0, v0, v25
	v_mov_b32_e32 v60, v28
	v_mov_b32_e32 v59, v27
	;; [unrolled: 1-line block ×28, first 2 shown]
.LBB718_353:
	s_andn2_saveexec_b32 s4, s42
	s_or_b32 exec_lo, exec_lo, s4
	s_or_b32 exec_lo, exec_lo, s34
                                        ; implicit-def: $vgpr1_vgpr2_vgpr3_vgpr4_vgpr5_vgpr6_vgpr7_vgpr8_vgpr9_vgpr10_vgpr11_vgpr12_vgpr13_vgpr14_vgpr15_vgpr16_vgpr17_vgpr18_vgpr19_vgpr20_vgpr21_vgpr22_vgpr23_vgpr24_vgpr25_vgpr26_vgpr27_vgpr28_vgpr29_vgpr30_vgpr31_vgpr32
	s_and_saveexec_b32 s4, s5
	s_xor_b32 s4, exec_lo, s4
	s_cbranch_execnz .LBB718_245
.LBB718_354:
	s_or_saveexec_b32 s34, s4
	s_xor_b32 s5, s43, -1
	s_xor_b32 exec_lo, exec_lo, s34
	s_cbranch_execz .LBB718_246
.LBB718_355:
	global_load_ubyte v1, v[98:99], off offset:1600
	s_mov_b32 s42, 0
	s_waitcnt vmcnt(0)
	v_and_b32_e32 v1, 1, v1
	v_cmp_eq_u32_e64 s4, 1, v1
	v_mov_b32_e32 v1, v33
	v_mov_b32_e32 v26, v58
	;; [unrolled: 1-line block ×33, first 2 shown]
	s_xor_b32 s4, s4, -1
	s_and_saveexec_b32 s42, s4
	s_xor_b32 s42, exec_lo, s42
	s_cbranch_execz .LBB718_357
; %bb.356:
	v_sub_f32_e32 v1, v58, v107
	v_mul_f32_e32 v2, 0x3fb8aa3b, v1
	v_cmp_ngt_f32_e64 s4, 0xc2ce8ed0, v1
	v_fma_f32 v3, 0x3fb8aa3b, v1, -v2
	v_rndne_f32_e32 v4, v2
	v_fmamk_f32 v3, v1, 0x32a5705f, v3
	v_sub_f32_e32 v2, v2, v4
	v_add_f32_e32 v2, v2, v3
	v_cvt_i32_f32_e32 v3, v4
	v_exp_f32_e32 v2, v2
	v_ldexp_f32 v2, v2, v3
	v_cndmask_b32_e64 v2, 0, v2, s4
	v_cmp_nlt_f32_e64 s4, 0x42b17218, v1
	v_cndmask_b32_e64 v58, 0x7f800000, v2, s4
	v_mov_b32_e32 v1, v33
	v_mov_b32_e32 v2, v34
	;; [unrolled: 1-line block ×4, first 2 shown]
	v_add_f32_e32 v0, v0, v58
	v_mov_b32_e32 v5, v37
	v_mov_b32_e32 v6, v38
	;; [unrolled: 1-line block ×28, first 2 shown]
.LBB718_357:
	s_andn2_saveexec_b32 s4, s42
	s_or_b32 exec_lo, exec_lo, s4
	s_or_b32 exec_lo, exec_lo, s34
                                        ; implicit-def: $vgpr33_vgpr34_vgpr35_vgpr36_vgpr37_vgpr38_vgpr39_vgpr40_vgpr41_vgpr42_vgpr43_vgpr44_vgpr45_vgpr46_vgpr47_vgpr48_vgpr49_vgpr50_vgpr51_vgpr52_vgpr53_vgpr54_vgpr55_vgpr56_vgpr57_vgpr58_vgpr59_vgpr60_vgpr61_vgpr62_vgpr63_vgpr64
	s_and_saveexec_b32 s4, s5
	s_xor_b32 s4, exec_lo, s4
	s_cbranch_execnz .LBB718_247
.LBB718_358:
	s_or_saveexec_b32 s34, s4
	s_xor_b32 s5, s41, -1
	s_xor_b32 exec_lo, exec_lo, s34
	s_cbranch_execz .LBB718_248
.LBB718_359:
	global_load_ubyte v33, v[98:99], off offset:1664
	s_mov_b32 s41, 0
	s_waitcnt vmcnt(0)
	v_and_b32_e32 v33, 1, v33
	v_cmp_eq_u32_e64 s4, 1, v33
	v_mov_b32_e32 v64, v32
	v_mov_b32_e32 v59, v27
	;; [unrolled: 1-line block ×33, first 2 shown]
	s_xor_b32 s4, s4, -1
	s_and_saveexec_b32 s41, s4
	s_xor_b32 s41, exec_lo, s41
	s_cbranch_execz .LBB718_361
; %bb.360:
	v_sub_f32_e32 v27, v27, v107
	v_mul_f32_e32 v33, 0x3fb8aa3b, v27
	v_cmp_ngt_f32_e64 s4, 0xc2ce8ed0, v27
	v_fma_f32 v34, 0x3fb8aa3b, v27, -v33
	v_rndne_f32_e32 v35, v33
	v_fmamk_f32 v34, v27, 0x32a5705f, v34
	v_sub_f32_e32 v33, v33, v35
	v_add_f32_e32 v33, v33, v34
	v_cvt_i32_f32_e32 v34, v35
	v_exp_f32_e32 v33, v33
	v_ldexp_f32 v33, v33, v34
	v_cndmask_b32_e64 v33, 0, v33, s4
	v_cmp_nlt_f32_e64 s4, 0x42b17218, v27
	v_cndmask_b32_e64 v27, 0x7f800000, v33, s4
	v_mov_b32_e32 v64, v32
	v_mov_b32_e32 v63, v31
	v_mov_b32_e32 v62, v30
	v_mov_b32_e32 v61, v29
	v_add_f32_e32 v0, v0, v27
	v_mov_b32_e32 v60, v28
	v_mov_b32_e32 v59, v27
	;; [unrolled: 1-line block ×28, first 2 shown]
.LBB718_361:
	s_andn2_saveexec_b32 s4, s41
	s_or_b32 exec_lo, exec_lo, s4
	s_or_b32 exec_lo, exec_lo, s34
                                        ; implicit-def: $vgpr1_vgpr2_vgpr3_vgpr4_vgpr5_vgpr6_vgpr7_vgpr8_vgpr9_vgpr10_vgpr11_vgpr12_vgpr13_vgpr14_vgpr15_vgpr16_vgpr17_vgpr18_vgpr19_vgpr20_vgpr21_vgpr22_vgpr23_vgpr24_vgpr25_vgpr26_vgpr27_vgpr28_vgpr29_vgpr30_vgpr31_vgpr32
	s_and_saveexec_b32 s4, s5
	s_xor_b32 s4, exec_lo, s4
	s_cbranch_execnz .LBB718_249
.LBB718_362:
	s_or_saveexec_b32 s34, s4
	s_xor_b32 s5, s40, -1
	s_xor_b32 exec_lo, exec_lo, s34
	s_cbranch_execz .LBB718_250
.LBB718_363:
	global_load_ubyte v1, v[98:99], off offset:1728
	s_mov_b32 s40, 0
	s_waitcnt vmcnt(0)
	v_and_b32_e32 v1, 1, v1
	v_cmp_eq_u32_e64 s4, 1, v1
	v_mov_b32_e32 v1, v33
	v_mov_b32_e32 v28, v60
	;; [unrolled: 1-line block ×33, first 2 shown]
	s_xor_b32 s4, s4, -1
	s_and_saveexec_b32 s40, s4
	s_xor_b32 s40, exec_lo, s40
	s_cbranch_execz .LBB718_365
; %bb.364:
	v_sub_f32_e32 v1, v60, v107
	v_mul_f32_e32 v2, 0x3fb8aa3b, v1
	v_cmp_ngt_f32_e64 s4, 0xc2ce8ed0, v1
	v_fma_f32 v3, 0x3fb8aa3b, v1, -v2
	v_rndne_f32_e32 v4, v2
	v_fmamk_f32 v3, v1, 0x32a5705f, v3
	v_sub_f32_e32 v2, v2, v4
	v_add_f32_e32 v2, v2, v3
	v_cvt_i32_f32_e32 v3, v4
	v_exp_f32_e32 v2, v2
	v_ldexp_f32 v2, v2, v3
	v_cndmask_b32_e64 v2, 0, v2, s4
	v_cmp_nlt_f32_e64 s4, 0x42b17218, v1
	v_cndmask_b32_e64 v60, 0x7f800000, v2, s4
	v_mov_b32_e32 v1, v33
	v_mov_b32_e32 v2, v34
	;; [unrolled: 1-line block ×4, first 2 shown]
	v_add_f32_e32 v0, v0, v60
	v_mov_b32_e32 v5, v37
	v_mov_b32_e32 v6, v38
	;; [unrolled: 1-line block ×28, first 2 shown]
.LBB718_365:
	s_andn2_saveexec_b32 s4, s40
	s_or_b32 exec_lo, exec_lo, s4
	s_or_b32 exec_lo, exec_lo, s34
                                        ; implicit-def: $vgpr33_vgpr34_vgpr35_vgpr36_vgpr37_vgpr38_vgpr39_vgpr40_vgpr41_vgpr42_vgpr43_vgpr44_vgpr45_vgpr46_vgpr47_vgpr48_vgpr49_vgpr50_vgpr51_vgpr52_vgpr53_vgpr54_vgpr55_vgpr56_vgpr57_vgpr58_vgpr59_vgpr60_vgpr61_vgpr62_vgpr63_vgpr64
	s_and_saveexec_b32 s4, s5
	s_xor_b32 s4, exec_lo, s4
	s_cbranch_execnz .LBB718_251
.LBB718_366:
	s_or_saveexec_b32 s34, s4
	s_xor_b32 s5, s39, -1
	s_xor_b32 exec_lo, exec_lo, s34
	s_cbranch_execz .LBB718_252
.LBB718_367:
	global_load_ubyte v33, v[98:99], off offset:1792
	s_mov_b32 s39, 0
	s_waitcnt vmcnt(0)
	v_and_b32_e32 v33, 1, v33
	v_cmp_eq_u32_e64 s4, 1, v33
	v_mov_b32_e32 v64, v32
	v_mov_b32_e32 v61, v29
	;; [unrolled: 1-line block ×33, first 2 shown]
	s_xor_b32 s4, s4, -1
	s_and_saveexec_b32 s39, s4
	s_xor_b32 s39, exec_lo, s39
	s_cbranch_execz .LBB718_369
; %bb.368:
	v_sub_f32_e32 v29, v29, v107
	v_mul_f32_e32 v33, 0x3fb8aa3b, v29
	v_cmp_ngt_f32_e64 s4, 0xc2ce8ed0, v29
	v_fma_f32 v34, 0x3fb8aa3b, v29, -v33
	v_rndne_f32_e32 v35, v33
	v_fmamk_f32 v34, v29, 0x32a5705f, v34
	v_sub_f32_e32 v33, v33, v35
	v_add_f32_e32 v33, v33, v34
	v_cvt_i32_f32_e32 v34, v35
	v_exp_f32_e32 v33, v33
	v_ldexp_f32 v33, v33, v34
	v_cndmask_b32_e64 v33, 0, v33, s4
	v_cmp_nlt_f32_e64 s4, 0x42b17218, v29
	v_cndmask_b32_e64 v29, 0x7f800000, v33, s4
	v_mov_b32_e32 v64, v32
	v_mov_b32_e32 v63, v31
	v_mov_b32_e32 v62, v30
	v_mov_b32_e32 v60, v28
	v_add_f32_e32 v0, v0, v29
	v_mov_b32_e32 v61, v29
	v_mov_b32_e32 v59, v27
	;; [unrolled: 1-line block ×28, first 2 shown]
.LBB718_369:
	s_andn2_saveexec_b32 s4, s39
	s_or_b32 exec_lo, exec_lo, s4
	s_or_b32 exec_lo, exec_lo, s34
                                        ; implicit-def: $vgpr1_vgpr2_vgpr3_vgpr4_vgpr5_vgpr6_vgpr7_vgpr8_vgpr9_vgpr10_vgpr11_vgpr12_vgpr13_vgpr14_vgpr15_vgpr16_vgpr17_vgpr18_vgpr19_vgpr20_vgpr21_vgpr22_vgpr23_vgpr24_vgpr25_vgpr26_vgpr27_vgpr28_vgpr29_vgpr30_vgpr31_vgpr32
	s_and_saveexec_b32 s4, s5
	s_xor_b32 s4, exec_lo, s4
	s_cbranch_execnz .LBB718_253
.LBB718_370:
	s_or_saveexec_b32 s34, s4
	s_xor_b32 s5, s38, -1
	s_xor_b32 exec_lo, exec_lo, s34
	s_cbranch_execz .LBB718_254
.LBB718_371:
	global_load_ubyte v1, v[98:99], off offset:1856
	s_mov_b32 s38, 0
	s_waitcnt vmcnt(0)
	v_and_b32_e32 v1, 1, v1
	v_cmp_eq_u32_e64 s4, 1, v1
	v_mov_b32_e32 v1, v33
	v_mov_b32_e32 v30, v62
	v_mov_b32_e32 v2, v34
	v_mov_b32_e32 v3, v35
	v_mov_b32_e32 v4, v36
	v_mov_b32_e32 v5, v37
	v_mov_b32_e32 v6, v38
	v_mov_b32_e32 v7, v39
	v_mov_b32_e32 v8, v40
	v_mov_b32_e32 v9, v41
	v_mov_b32_e32 v10, v42
	v_mov_b32_e32 v11, v43
	v_mov_b32_e32 v12, v44
	v_mov_b32_e32 v13, v45
	v_mov_b32_e32 v14, v46
	v_mov_b32_e32 v15, v47
	v_mov_b32_e32 v16, v48
	v_mov_b32_e32 v17, v49
	v_mov_b32_e32 v18, v50
	v_mov_b32_e32 v19, v51
	v_mov_b32_e32 v20, v52
	v_mov_b32_e32 v21, v53
	v_mov_b32_e32 v22, v54
	v_mov_b32_e32 v23, v55
	v_mov_b32_e32 v24, v56
	v_mov_b32_e32 v25, v57
	v_mov_b32_e32 v26, v58
	v_mov_b32_e32 v27, v59
	v_mov_b32_e32 v28, v60
	v_mov_b32_e32 v29, v61
	v_mov_b32_e32 v31, v63
	v_mov_b32_e32 v32, v64
	v_mov_b32_e32 v30, s38
	s_xor_b32 s4, s4, -1
	s_and_saveexec_b32 s38, s4
	s_xor_b32 s38, exec_lo, s38
	s_cbranch_execz .LBB718_373
; %bb.372:
	v_sub_f32_e32 v1, v62, v107
	v_mul_f32_e32 v2, 0x3fb8aa3b, v1
	v_cmp_ngt_f32_e64 s4, 0xc2ce8ed0, v1
	v_fma_f32 v3, 0x3fb8aa3b, v1, -v2
	v_rndne_f32_e32 v4, v2
	v_fmamk_f32 v3, v1, 0x32a5705f, v3
	v_sub_f32_e32 v2, v2, v4
	v_add_f32_e32 v2, v2, v3
	v_cvt_i32_f32_e32 v3, v4
	v_exp_f32_e32 v2, v2
	v_ldexp_f32 v2, v2, v3
	v_cndmask_b32_e64 v2, 0, v2, s4
	v_cmp_nlt_f32_e64 s4, 0x42b17218, v1
	v_cndmask_b32_e64 v62, 0x7f800000, v2, s4
	v_mov_b32_e32 v1, v33
	v_mov_b32_e32 v2, v34
	;; [unrolled: 1-line block ×4, first 2 shown]
	v_add_f32_e32 v0, v0, v62
	v_mov_b32_e32 v5, v37
	v_mov_b32_e32 v6, v38
	;; [unrolled: 1-line block ×28, first 2 shown]
.LBB718_373:
	s_andn2_saveexec_b32 s4, s38
	s_or_b32 exec_lo, exec_lo, s4
	s_or_b32 exec_lo, exec_lo, s34
                                        ; implicit-def: $vgpr33_vgpr34_vgpr35_vgpr36_vgpr37_vgpr38_vgpr39_vgpr40_vgpr41_vgpr42_vgpr43_vgpr44_vgpr45_vgpr46_vgpr47_vgpr48_vgpr49_vgpr50_vgpr51_vgpr52_vgpr53_vgpr54_vgpr55_vgpr56_vgpr57_vgpr58_vgpr59_vgpr60_vgpr61_vgpr62_vgpr63_vgpr64
	s_and_saveexec_b32 s4, s5
	s_xor_b32 s4, exec_lo, s4
	s_cbranch_execnz .LBB718_255
.LBB718_374:
	s_or_saveexec_b32 s34, s4
	s_xor_b32 s5, s35, -1
	s_xor_b32 exec_lo, exec_lo, s34
	s_cbranch_execz .LBB718_256
.LBB718_375:
	global_load_ubyte v33, v[98:99], off offset:1920
	s_mov_b32 s35, 0
	s_waitcnt vmcnt(0)
	v_and_b32_e32 v33, 1, v33
	v_cmp_eq_u32_e64 s4, 1, v33
	v_mov_b32_e32 v64, v32
	v_mov_b32_e32 v63, v31
	v_mov_b32_e32 v62, v30
	v_mov_b32_e32 v61, v29
	v_mov_b32_e32 v60, v28
	v_mov_b32_e32 v59, v27
	v_mov_b32_e32 v58, v26
	v_mov_b32_e32 v57, v25
	v_mov_b32_e32 v56, v24
	v_mov_b32_e32 v55, v23
	v_mov_b32_e32 v54, v22
	v_mov_b32_e32 v53, v21
	v_mov_b32_e32 v52, v20
	v_mov_b32_e32 v51, v19
	v_mov_b32_e32 v50, v18
	v_mov_b32_e32 v49, v17
	v_mov_b32_e32 v48, v16
	v_mov_b32_e32 v47, v15
	v_mov_b32_e32 v46, v14
	v_mov_b32_e32 v45, v13
	v_mov_b32_e32 v44, v12
	v_mov_b32_e32 v43, v11
	v_mov_b32_e32 v42, v10
	v_mov_b32_e32 v41, v9
	v_mov_b32_e32 v40, v8
	v_mov_b32_e32 v39, v7
	v_mov_b32_e32 v38, v6
	v_mov_b32_e32 v37, v5
	v_mov_b32_e32 v36, v4
	v_mov_b32_e32 v35, v3
	v_mov_b32_e32 v34, v2
	v_mov_b32_e32 v33, v1
	v_mov_b32_e32 v63, s35
	s_xor_b32 s4, s4, -1
	s_and_saveexec_b32 s35, s4
	s_xor_b32 s35, exec_lo, s35
	s_cbranch_execz .LBB718_377
; %bb.376:
	v_sub_f32_e32 v31, v31, v107
	v_mul_f32_e32 v33, 0x3fb8aa3b, v31
	v_cmp_ngt_f32_e64 s4, 0xc2ce8ed0, v31
	v_fma_f32 v34, 0x3fb8aa3b, v31, -v33
	v_rndne_f32_e32 v35, v33
	v_fmamk_f32 v34, v31, 0x32a5705f, v34
	v_sub_f32_e32 v33, v33, v35
	v_add_f32_e32 v33, v33, v34
	v_cvt_i32_f32_e32 v34, v35
	v_exp_f32_e32 v33, v33
	v_ldexp_f32 v33, v33, v34
	v_cndmask_b32_e64 v33, 0, v33, s4
	v_cmp_nlt_f32_e64 s4, 0x42b17218, v31
	v_cndmask_b32_e64 v31, 0x7f800000, v33, s4
	v_mov_b32_e32 v64, v32
	v_mov_b32_e32 v62, v30
	;; [unrolled: 1-line block ×4, first 2 shown]
	v_add_f32_e32 v0, v0, v31
	v_mov_b32_e32 v63, v31
	v_mov_b32_e32 v59, v27
	;; [unrolled: 1-line block ×28, first 2 shown]
.LBB718_377:
	s_andn2_saveexec_b32 s4, s35
	s_or_b32 exec_lo, exec_lo, s4
	s_or_b32 exec_lo, exec_lo, s34
                                        ; implicit-def: $vgpr1_vgpr2_vgpr3_vgpr4_vgpr5_vgpr6_vgpr7_vgpr8_vgpr9_vgpr10_vgpr11_vgpr12_vgpr13_vgpr14_vgpr15_vgpr16_vgpr17_vgpr18_vgpr19_vgpr20_vgpr21_vgpr22_vgpr23_vgpr24_vgpr25_vgpr26_vgpr27_vgpr28_vgpr29_vgpr30_vgpr31_vgpr32
	s_and_saveexec_b32 s4, s5
	s_xor_b32 s4, exec_lo, s4
	s_cbranch_execnz .LBB718_257
.LBB718_378:
	s_andn2_saveexec_b32 s5, s4
	s_cbranch_execz .LBB718_382
.LBB718_379:
	global_load_ubyte v1, v[98:99], off offset:1984
	s_mov_b32 s34, 0
	s_waitcnt vmcnt(0)
	v_and_b32_e32 v1, 1, v1
	v_cmp_eq_u32_e64 s4, 1, v1
	v_mov_b32_e32 v1, v33
	v_mov_b32_e32 v32, v64
	;; [unrolled: 1-line block ×33, first 2 shown]
	s_xor_b32 s4, s4, -1
	s_and_saveexec_b32 s34, s4
	s_xor_b32 s34, exec_lo, s34
	s_cbranch_execz .LBB718_381
; %bb.380:
	v_sub_f32_e32 v1, v64, v107
	v_mul_f32_e32 v2, 0x3fb8aa3b, v1
	v_cmp_ngt_f32_e64 s4, 0xc2ce8ed0, v1
	v_fma_f32 v3, 0x3fb8aa3b, v1, -v2
	v_rndne_f32_e32 v4, v2
	v_fmamk_f32 v3, v1, 0x32a5705f, v3
	v_sub_f32_e32 v2, v2, v4
	v_add_f32_e32 v2, v2, v3
	v_cvt_i32_f32_e32 v3, v4
	v_exp_f32_e32 v2, v2
	v_ldexp_f32 v2, v2, v3
	v_cndmask_b32_e64 v2, 0, v2, s4
	v_cmp_nlt_f32_e64 s4, 0x42b17218, v1
	v_cndmask_b32_e64 v64, 0x7f800000, v2, s4
	v_mov_b32_e32 v1, v33
	v_mov_b32_e32 v2, v34
	;; [unrolled: 1-line block ×4, first 2 shown]
	v_add_f32_e32 v0, v0, v64
	v_mov_b32_e32 v5, v37
	v_mov_b32_e32 v6, v38
	;; [unrolled: 1-line block ×28, first 2 shown]
.LBB718_381:
	s_andn2_saveexec_b32 s4, s34
	s_or_b32 exec_lo, exec_lo, s4
.LBB718_382:
	s_or_b32 exec_lo, exec_lo, s5
	ds_bpermute_b32 v33, v101, v0
	s_mov_b32 s5, exec_lo
	s_waitcnt lgkmcnt(0)
	v_add_f32_e32 v0, v0, v33
	ds_bpermute_b32 v33, v102, v0
	s_waitcnt lgkmcnt(0)
	v_add_f32_e32 v0, v0, v33
	ds_bpermute_b32 v33, v103, v0
	;; [unrolled: 3-line block ×5, first 2 shown]
	v_cmpx_lt_i32_e32 0, v100
	s_cbranch_execz .LBB718_480
; %bb.383:
	s_and_b32 exec_lo, exec_lo, vcc_lo
	s_cbranch_execz .LBB718_480
; %bb.384:
	s_waitcnt lgkmcnt(0)
	v_add_f32_e32 v33, v0, v33
	v_mov_b32_e32 v34, 0x7fc00000
	v_cmp_neq_f32_e64 s4, 0, v33
	s_and_saveexec_b32 s5, s4
	s_cbranch_execz .LBB718_386
; %bb.385:
	v_div_scale_f32 v0, null, v33, v33, v1
	v_rcp_f32_e32 v34, v0
	v_fma_f32 v35, -v0, v34, 1.0
	v_fmac_f32_e32 v34, v35, v34
	v_div_scale_f32 v35, vcc_lo, v1, v33, v1
	v_mul_f32_e32 v36, v35, v34
	v_fma_f32 v37, -v0, v36, v35
	v_fmac_f32_e32 v36, v37, v34
	v_fma_f32 v0, -v0, v36, v35
	v_div_fmas_f32 v0, v0, v34, v36
	v_div_fixup_f32 v34, v0, v33, v1
.LBB718_386:
	s_or_b32 exec_lo, exec_lo, s5
	v_add_co_u32 v0, vcc_lo, s36, v96
	v_add_co_ci_u32_e64 v1, null, s37, v97, vcc_lo
	global_store_dword v[0:1], v34, off
	s_and_b32 exec_lo, exec_lo, s33
	s_cbranch_execz .LBB718_480
; %bb.387:
	v_mov_b32_e32 v34, 0x7fc00000
	s_and_saveexec_b32 s5, s4
	s_cbranch_execz .LBB718_389
; %bb.388:
	v_div_scale_f32 v34, null, v33, v33, v2
	v_rcp_f32_e32 v35, v34
	v_fma_f32 v36, -v34, v35, 1.0
	v_fmac_f32_e32 v35, v36, v35
	v_div_scale_f32 v36, vcc_lo, v2, v33, v2
	v_mul_f32_e32 v37, v36, v35
	v_fma_f32 v38, -v34, v37, v36
	v_fmac_f32_e32 v37, v38, v35
	v_fma_f32 v34, -v34, v37, v36
	v_div_fmas_f32 v34, v34, v35, v37
	v_div_fixup_f32 v34, v34, v33, v2
.LBB718_389:
	s_or_b32 exec_lo, exec_lo, s5
	global_store_dword v[0:1], v34, off offset:256
	s_and_b32 exec_lo, exec_lo, s31
	s_cbranch_execz .LBB718_480
; %bb.390:
	v_mov_b32_e32 v2, 0x7fc00000
	s_and_saveexec_b32 s5, s4
	s_cbranch_execz .LBB718_392
; %bb.391:
	v_div_scale_f32 v2, null, v33, v33, v3
	v_rcp_f32_e32 v34, v2
	v_fma_f32 v35, -v2, v34, 1.0
	v_fmac_f32_e32 v34, v35, v34
	v_div_scale_f32 v35, vcc_lo, v3, v33, v3
	v_mul_f32_e32 v36, v35, v34
	v_fma_f32 v37, -v2, v36, v35
	v_fmac_f32_e32 v36, v37, v34
	v_fma_f32 v2, -v2, v36, v35
	v_div_fmas_f32 v2, v2, v34, v36
	v_div_fixup_f32 v2, v2, v33, v3
.LBB718_392:
	s_or_b32 exec_lo, exec_lo, s5
	global_store_dword v[0:1], v2, off offset:512
	;; [unrolled: 21-line block ×7, first 2 shown]
	s_and_b32 exec_lo, exec_lo, s25
	s_cbranch_execz .LBB718_480
; %bb.408:
	v_mov_b32_e32 v4, 0x7fc00000
	s_and_saveexec_b32 s5, s4
	s_cbranch_execz .LBB718_410
; %bb.409:
	v_div_scale_f32 v2, null, v33, v33, v9
	v_rcp_f32_e32 v3, v2
	v_fma_f32 v4, -v2, v3, 1.0
	v_fmac_f32_e32 v3, v4, v3
	v_div_scale_f32 v4, vcc_lo, v9, v33, v9
	v_mul_f32_e32 v5, v4, v3
	v_fma_f32 v6, -v2, v5, v4
	v_fmac_f32_e32 v5, v6, v3
	v_fma_f32 v2, -v2, v5, v4
	v_div_fmas_f32 v2, v2, v3, v5
	v_div_fixup_f32 v4, v2, v33, v9
.LBB718_410:
	s_or_b32 exec_lo, exec_lo, s5
	v_add_co_u32 v2, vcc_lo, 0x800, v0
	v_add_co_ci_u32_e64 v3, null, 0, v1, vcc_lo
	global_store_dword v[2:3], v4, off
	s_and_b32 exec_lo, exec_lo, s24
	s_cbranch_execz .LBB718_480
; %bb.411:
	v_mov_b32_e32 v4, 0x7fc00000
	s_and_saveexec_b32 s5, s4
	s_cbranch_execz .LBB718_413
; %bb.412:
	v_div_scale_f32 v4, null, v33, v33, v10
	v_rcp_f32_e32 v5, v4
	v_fma_f32 v6, -v4, v5, 1.0
	v_fmac_f32_e32 v5, v6, v5
	v_div_scale_f32 v6, vcc_lo, v10, v33, v10
	v_mul_f32_e32 v7, v6, v5
	v_fma_f32 v8, -v4, v7, v6
	v_fmac_f32_e32 v7, v8, v5
	v_fma_f32 v4, -v4, v7, v6
	v_div_fmas_f32 v4, v4, v5, v7
	v_div_fixup_f32 v4, v4, v33, v10
.LBB718_413:
	s_or_b32 exec_lo, exec_lo, s5
	global_store_dword v[2:3], v4, off offset:256
	s_and_b32 exec_lo, exec_lo, s23
	s_cbranch_execz .LBB718_480
; %bb.414:
	v_mov_b32_e32 v4, 0x7fc00000
	s_and_saveexec_b32 s5, s4
	s_cbranch_execz .LBB718_416
; %bb.415:
	v_div_scale_f32 v4, null, v33, v33, v11
	v_rcp_f32_e32 v5, v4
	v_fma_f32 v6, -v4, v5, 1.0
	v_fmac_f32_e32 v5, v6, v5
	v_div_scale_f32 v6, vcc_lo, v11, v33, v11
	v_mul_f32_e32 v7, v6, v5
	v_fma_f32 v8, -v4, v7, v6
	v_fmac_f32_e32 v7, v8, v5
	v_fma_f32 v4, -v4, v7, v6
	v_div_fmas_f32 v4, v4, v5, v7
	v_div_fixup_f32 v4, v4, v33, v11
.LBB718_416:
	s_or_b32 exec_lo, exec_lo, s5
	global_store_dword v[2:3], v4, off offset:512
	;; [unrolled: 21-line block ×7, first 2 shown]
	s_and_b32 exec_lo, exec_lo, s17
	s_cbranch_execz .LBB718_480
; %bb.432:
	v_mov_b32_e32 v4, 0x7fc00000
	s_and_saveexec_b32 s5, s4
	s_cbranch_execz .LBB718_434
; %bb.433:
	v_div_scale_f32 v2, null, v33, v33, v17
	v_rcp_f32_e32 v3, v2
	v_fma_f32 v4, -v2, v3, 1.0
	v_fmac_f32_e32 v3, v4, v3
	v_div_scale_f32 v4, vcc_lo, v17, v33, v17
	v_mul_f32_e32 v5, v4, v3
	v_fma_f32 v6, -v2, v5, v4
	v_fmac_f32_e32 v5, v6, v3
	v_fma_f32 v2, -v2, v5, v4
	v_div_fmas_f32 v2, v2, v3, v5
	v_div_fixup_f32 v4, v2, v33, v17
.LBB718_434:
	s_or_b32 exec_lo, exec_lo, s5
	v_add_co_u32 v2, vcc_lo, 0x1000, v0
	v_add_co_ci_u32_e64 v3, null, 0, v1, vcc_lo
	global_store_dword v[2:3], v4, off
	s_and_b32 exec_lo, exec_lo, s16
	s_cbranch_execz .LBB718_480
; %bb.435:
	v_mov_b32_e32 v4, 0x7fc00000
	s_and_saveexec_b32 s5, s4
	s_cbranch_execz .LBB718_437
; %bb.436:
	v_div_scale_f32 v4, null, v33, v33, v18
	v_rcp_f32_e32 v5, v4
	v_fma_f32 v6, -v4, v5, 1.0
	v_fmac_f32_e32 v5, v6, v5
	v_div_scale_f32 v6, vcc_lo, v18, v33, v18
	v_mul_f32_e32 v7, v6, v5
	v_fma_f32 v8, -v4, v7, v6
	v_fmac_f32_e32 v7, v8, v5
	v_fma_f32 v4, -v4, v7, v6
	v_div_fmas_f32 v4, v4, v5, v7
	v_div_fixup_f32 v4, v4, v33, v18
.LBB718_437:
	s_or_b32 exec_lo, exec_lo, s5
	global_store_dword v[2:3], v4, off offset:256
	s_and_b32 exec_lo, exec_lo, s15
	s_cbranch_execz .LBB718_480
; %bb.438:
	v_mov_b32_e32 v4, 0x7fc00000
	s_and_saveexec_b32 s5, s4
	s_cbranch_execz .LBB718_440
; %bb.439:
	v_div_scale_f32 v4, null, v33, v33, v19
	v_rcp_f32_e32 v5, v4
	v_fma_f32 v6, -v4, v5, 1.0
	v_fmac_f32_e32 v5, v6, v5
	v_div_scale_f32 v6, vcc_lo, v19, v33, v19
	v_mul_f32_e32 v7, v6, v5
	v_fma_f32 v8, -v4, v7, v6
	v_fmac_f32_e32 v7, v8, v5
	v_fma_f32 v4, -v4, v7, v6
	v_div_fmas_f32 v4, v4, v5, v7
	v_div_fixup_f32 v4, v4, v33, v19
.LBB718_440:
	s_or_b32 exec_lo, exec_lo, s5
	global_store_dword v[2:3], v4, off offset:512
	;; [unrolled: 21-line block ×7, first 2 shown]
	s_and_b32 exec_lo, exec_lo, s9
	s_cbranch_execz .LBB718_480
; %bb.456:
	v_mov_b32_e32 v2, 0x7fc00000
	s_and_saveexec_b32 s5, s4
	s_cbranch_execz .LBB718_458
; %bb.457:
	v_div_scale_f32 v2, null, v33, v33, v25
	v_rcp_f32_e32 v3, v2
	v_fma_f32 v4, -v2, v3, 1.0
	v_fmac_f32_e32 v3, v4, v3
	v_div_scale_f32 v4, vcc_lo, v25, v33, v25
	v_mul_f32_e32 v5, v4, v3
	v_fma_f32 v6, -v2, v5, v4
	v_fmac_f32_e32 v5, v6, v3
	v_fma_f32 v2, -v2, v5, v4
	v_div_fmas_f32 v2, v2, v3, v5
	v_div_fixup_f32 v2, v2, v33, v25
.LBB718_458:
	s_or_b32 exec_lo, exec_lo, s5
	v_add_co_u32 v0, vcc_lo, 0x1800, v0
	v_add_co_ci_u32_e64 v1, null, 0, v1, vcc_lo
	global_store_dword v[0:1], v2, off
	s_and_b32 exec_lo, exec_lo, s8
	s_cbranch_execz .LBB718_480
; %bb.459:
	v_mov_b32_e32 v2, 0x7fc00000
	s_and_saveexec_b32 s5, s4
	s_cbranch_execz .LBB718_461
; %bb.460:
	v_div_scale_f32 v2, null, v33, v33, v26
	v_rcp_f32_e32 v3, v2
	v_fma_f32 v4, -v2, v3, 1.0
	v_fmac_f32_e32 v3, v4, v3
	v_div_scale_f32 v4, vcc_lo, v26, v33, v26
	v_mul_f32_e32 v5, v4, v3
	v_fma_f32 v6, -v2, v5, v4
	v_fmac_f32_e32 v5, v6, v3
	v_fma_f32 v2, -v2, v5, v4
	v_div_fmas_f32 v2, v2, v3, v5
	v_div_fixup_f32 v2, v2, v33, v26
.LBB718_461:
	s_or_b32 exec_lo, exec_lo, s5
	global_store_dword v[0:1], v2, off offset:256
	s_and_b32 exec_lo, exec_lo, s7
	s_cbranch_execz .LBB718_480
; %bb.462:
	v_mov_b32_e32 v2, 0x7fc00000
	s_and_saveexec_b32 s5, s4
	s_cbranch_execz .LBB718_464
; %bb.463:
	v_div_scale_f32 v2, null, v33, v33, v27
	v_rcp_f32_e32 v3, v2
	v_fma_f32 v4, -v2, v3, 1.0
	v_fmac_f32_e32 v3, v4, v3
	v_div_scale_f32 v4, vcc_lo, v27, v33, v27
	v_mul_f32_e32 v5, v4, v3
	v_fma_f32 v6, -v2, v5, v4
	v_fmac_f32_e32 v5, v6, v3
	v_fma_f32 v2, -v2, v5, v4
	v_div_fmas_f32 v2, v2, v3, v5
	v_div_fixup_f32 v2, v2, v33, v27
.LBB718_464:
	s_or_b32 exec_lo, exec_lo, s5
	global_store_dword v[0:1], v2, off offset:512
	;; [unrolled: 21-line block ×7, first 2 shown]
.LBB718_480:
	s_endpgm
	.section	.rodata,"a",@progbits
	.p2align	6, 0x0
	.amdhsa_kernel _ZN12_GLOBAL__N_120softmax_warp_forwardIfffLi11ELb0ELb1ELi64EEEvPT0_PKT_iiiPKbib
		.amdhsa_group_segment_fixed_size 0
		.amdhsa_private_segment_fixed_size 0
		.amdhsa_kernarg_size 304
		.amdhsa_user_sgpr_count 6
		.amdhsa_user_sgpr_private_segment_buffer 1
		.amdhsa_user_sgpr_dispatch_ptr 0
		.amdhsa_user_sgpr_queue_ptr 0
		.amdhsa_user_sgpr_kernarg_segment_ptr 1
		.amdhsa_user_sgpr_dispatch_id 0
		.amdhsa_user_sgpr_flat_scratch_init 0
		.amdhsa_user_sgpr_private_segment_size 0
		.amdhsa_wavefront_size32 1
		.amdhsa_uses_dynamic_stack 0
		.amdhsa_system_sgpr_private_segment_wavefront_offset 0
		.amdhsa_system_sgpr_workgroup_id_x 1
		.amdhsa_system_sgpr_workgroup_id_y 0
		.amdhsa_system_sgpr_workgroup_id_z 0
		.amdhsa_system_sgpr_workgroup_info 0
		.amdhsa_system_vgpr_workitem_id 1
		.amdhsa_next_free_vgpr 108
		.amdhsa_next_free_sgpr 71
		.amdhsa_reserve_vcc 1
		.amdhsa_reserve_flat_scratch 0
		.amdhsa_float_round_mode_32 0
		.amdhsa_float_round_mode_16_64 0
		.amdhsa_float_denorm_mode_32 3
		.amdhsa_float_denorm_mode_16_64 3
		.amdhsa_dx10_clamp 1
		.amdhsa_ieee_mode 1
		.amdhsa_fp16_overflow 0
		.amdhsa_workgroup_processor_mode 1
		.amdhsa_memory_ordered 1
		.amdhsa_forward_progress 1
		.amdhsa_shared_vgpr_count 0
		.amdhsa_exception_fp_ieee_invalid_op 0
		.amdhsa_exception_fp_denorm_src 0
		.amdhsa_exception_fp_ieee_div_zero 0
		.amdhsa_exception_fp_ieee_overflow 0
		.amdhsa_exception_fp_ieee_underflow 0
		.amdhsa_exception_fp_ieee_inexact 0
		.amdhsa_exception_int_div_zero 0
	.end_amdhsa_kernel
	.section	.text._ZN12_GLOBAL__N_120softmax_warp_forwardIfffLi11ELb0ELb1ELi64EEEvPT0_PKT_iiiPKbib,"axG",@progbits,_ZN12_GLOBAL__N_120softmax_warp_forwardIfffLi11ELb0ELb1ELi64EEEvPT0_PKT_iiiPKbib,comdat
.Lfunc_end718:
	.size	_ZN12_GLOBAL__N_120softmax_warp_forwardIfffLi11ELb0ELb1ELi64EEEvPT0_PKT_iiiPKbib, .Lfunc_end718-_ZN12_GLOBAL__N_120softmax_warp_forwardIfffLi11ELb0ELb1ELi64EEEvPT0_PKT_iiiPKbib
                                        ; -- End function
	.set _ZN12_GLOBAL__N_120softmax_warp_forwardIfffLi11ELb0ELb1ELi64EEEvPT0_PKT_iiiPKbib.num_vgpr, 108
	.set _ZN12_GLOBAL__N_120softmax_warp_forwardIfffLi11ELb0ELb1ELi64EEEvPT0_PKT_iiiPKbib.num_agpr, 0
	.set _ZN12_GLOBAL__N_120softmax_warp_forwardIfffLi11ELb0ELb1ELi64EEEvPT0_PKT_iiiPKbib.numbered_sgpr, 71
	.set _ZN12_GLOBAL__N_120softmax_warp_forwardIfffLi11ELb0ELb1ELi64EEEvPT0_PKT_iiiPKbib.num_named_barrier, 0
	.set _ZN12_GLOBAL__N_120softmax_warp_forwardIfffLi11ELb0ELb1ELi64EEEvPT0_PKT_iiiPKbib.private_seg_size, 0
	.set _ZN12_GLOBAL__N_120softmax_warp_forwardIfffLi11ELb0ELb1ELi64EEEvPT0_PKT_iiiPKbib.uses_vcc, 1
	.set _ZN12_GLOBAL__N_120softmax_warp_forwardIfffLi11ELb0ELb1ELi64EEEvPT0_PKT_iiiPKbib.uses_flat_scratch, 0
	.set _ZN12_GLOBAL__N_120softmax_warp_forwardIfffLi11ELb0ELb1ELi64EEEvPT0_PKT_iiiPKbib.has_dyn_sized_stack, 0
	.set _ZN12_GLOBAL__N_120softmax_warp_forwardIfffLi11ELb0ELb1ELi64EEEvPT0_PKT_iiiPKbib.has_recursion, 0
	.set _ZN12_GLOBAL__N_120softmax_warp_forwardIfffLi11ELb0ELb1ELi64EEEvPT0_PKT_iiiPKbib.has_indirect_call, 0
	.section	.AMDGPU.csdata,"",@progbits
; Kernel info:
; codeLenInByte = 28808
; TotalNumSgprs: 73
; NumVgprs: 108
; ScratchSize: 0
; MemoryBound: 0
; FloatMode: 240
; IeeeMode: 1
; LDSByteSize: 0 bytes/workgroup (compile time only)
; SGPRBlocks: 0
; VGPRBlocks: 13
; NumSGPRsForWavesPerEU: 73
; NumVGPRsForWavesPerEU: 108
; Occupancy: 9
; WaveLimiterHint : 0
; COMPUTE_PGM_RSRC2:SCRATCH_EN: 0
; COMPUTE_PGM_RSRC2:USER_SGPR: 6
; COMPUTE_PGM_RSRC2:TRAP_HANDLER: 0
; COMPUTE_PGM_RSRC2:TGID_X_EN: 1
; COMPUTE_PGM_RSRC2:TGID_Y_EN: 0
; COMPUTE_PGM_RSRC2:TGID_Z_EN: 0
; COMPUTE_PGM_RSRC2:TIDIG_COMP_CNT: 1
	.section	.text._ZN12_GLOBAL__N_120softmax_warp_forwardIfffLi11ELb0ELb1ELi32EEEvPT0_PKT_iiiPKbib,"axG",@progbits,_ZN12_GLOBAL__N_120softmax_warp_forwardIfffLi11ELb0ELb1ELi32EEEvPT0_PKT_iiiPKbib,comdat
	.globl	_ZN12_GLOBAL__N_120softmax_warp_forwardIfffLi11ELb0ELb1ELi32EEEvPT0_PKT_iiiPKbib ; -- Begin function _ZN12_GLOBAL__N_120softmax_warp_forwardIfffLi11ELb0ELb1ELi32EEEvPT0_PKT_iiiPKbib
	.p2align	8
	.type	_ZN12_GLOBAL__N_120softmax_warp_forwardIfffLi11ELb0ELb1ELi32EEEvPT0_PKT_iiiPKbib,@function
_ZN12_GLOBAL__N_120softmax_warp_forwardIfffLi11ELb0ELb1ELi32EEEvPT0_PKT_iiiPKbib: ; @_ZN12_GLOBAL__N_120softmax_warp_forwardIfffLi11ELb0ELb1ELi32EEEvPT0_PKT_iiiPKbib
; %bb.0:
	s_clause 0x1
	s_load_dword s0, s[4:5], 0x3c
	s_load_dwordx4 s[72:75], s[4:5], 0x10
	s_waitcnt lgkmcnt(0)
	s_lshr_b32 s0, s0, 16
	v_mad_u64_u32 v[1:2], null, s6, s0, v[1:2]
	s_load_dwordx2 s[0:1], s[4:5], 0x28
	v_mul_lo_u32 v2, v1, s73
	v_add_nc_u32_e32 v5, v2, v0
	v_ashrrev_i32_e32 v6, 31, v5
	v_mov_b32_e32 v3, v5
	s_waitcnt lgkmcnt(0)
	s_bitcmp0_b32 s1, 0
	v_mov_b32_e32 v4, v6
	s_cbranch_scc1 .LBB719_2
; %bb.1:
	s_abs_i32 s1, s0
	v_sub_nc_u32_e32 v7, 0, v2
	v_cvt_f32_u32_e32 v3, s1
	s_sub_i32 s2, 0, s1
	v_max_i32_e32 v7, v2, v7
	v_rcp_iflag_f32_e32 v3, v3
	v_xor_b32_e32 v2, s0, v2
	v_ashrrev_i32_e32 v2, 31, v2
	v_mul_f32_e32 v3, 0x4f7ffffe, v3
	v_cvt_u32_f32_e32 v3, v3
	v_mul_lo_u32 v4, s2, v3
	v_mul_hi_u32 v4, v3, v4
	v_add_nc_u32_e32 v3, v3, v4
	v_mul_hi_u32 v3, v7, v3
	v_mul_lo_u32 v4, v3, s1
	v_sub_nc_u32_e32 v4, v7, v4
	v_add_nc_u32_e32 v7, 1, v3
	v_subrev_nc_u32_e32 v8, s1, v4
	v_cmp_le_u32_e32 vcc_lo, s1, v4
	v_cndmask_b32_e32 v3, v3, v7, vcc_lo
	v_cndmask_b32_e32 v4, v4, v8, vcc_lo
	v_add_nc_u32_e32 v7, 1, v3
	v_cmp_le_u32_e32 vcc_lo, s1, v4
	v_cndmask_b32_e32 v3, v3, v7, vcc_lo
	v_xor_b32_e32 v3, v3, v2
	v_sub_nc_u32_e32 v2, v3, v2
	v_mad_u64_u32 v[3:4], null, v2, s73, v[0:1]
	v_ashrrev_i32_e32 v4, 31, v3
.LBB719_2:
	s_load_dwordx4 s[68:71], s[4:5], 0x0
	v_sub_nc_u32_e32 v7, s72, v1
	v_lshlrev_b64 v[1:2], 2, v[5:6]
	v_cmp_gt_i32_e32 vcc_lo, s74, v0
	v_mov_b32_e32 v70, 0xff800000
	v_mov_b32_e32 v71, 0xff800000
	v_cmp_lt_i32_e64 s66, 0, v7
	s_and_b32 s35, s66, vcc_lo
	s_waitcnt lgkmcnt(0)
	v_add_co_u32 v5, s0, s70, v1
	v_add_co_ci_u32_e64 v6, null, s71, v2, s0
	s_and_saveexec_b32 s0, s35
	s_cbranch_execz .LBB719_4
; %bb.3:
	global_load_dword v71, v[5:6], off
.LBB719_4:
	s_or_b32 exec_lo, exec_lo, s0
	v_add_nc_u32_e32 v8, 32, v0
	v_cmp_gt_i32_e64 s65, s74, v8
	s_and_b32 s34, s66, s65
	s_and_saveexec_b32 s0, s34
	s_cbranch_execz .LBB719_6
; %bb.5:
	global_load_dword v70, v[5:6], off offset:128
.LBB719_6:
	s_or_b32 exec_lo, exec_lo, s0
	v_add_nc_u32_e32 v8, 64, v0
	v_mov_b32_e32 v68, 0xff800000
	v_mov_b32_e32 v69, 0xff800000
	v_cmp_gt_i32_e64 s64, s74, v8
	s_and_b32 s33, s66, s64
	s_and_saveexec_b32 s0, s33
	s_cbranch_execz .LBB719_8
; %bb.7:
	global_load_dword v69, v[5:6], off offset:256
.LBB719_8:
	s_or_b32 exec_lo, exec_lo, s0
	v_add_nc_u32_e32 v8, 0x60, v0
	v_cmp_gt_i32_e64 s63, s74, v8
	s_and_b32 s31, s66, s63
	s_and_saveexec_b32 s0, s31
	s_cbranch_execz .LBB719_10
; %bb.9:
	global_load_dword v68, v[5:6], off offset:384
.LBB719_10:
	s_or_b32 exec_lo, exec_lo, s0
	v_add_nc_u32_e32 v8, 0x80, v0
	v_mov_b32_e32 v66, 0xff800000
	v_mov_b32_e32 v67, 0xff800000
	v_cmp_gt_i32_e64 s62, s74, v8
	s_and_b32 s30, s66, s62
	s_and_saveexec_b32 s0, s30
	s_cbranch_execz .LBB719_12
; %bb.11:
	global_load_dword v67, v[5:6], off offset:512
.LBB719_12:
	;; [unrolled: 20-line block ×7, first 2 shown]
	s_or_b32 exec_lo, exec_lo, s0
	v_add_nc_u32_e32 v8, 0x1e0, v0
	v_cmp_gt_i32_e64 s51, s74, v8
	s_and_b32 s19, s66, s51
	s_and_saveexec_b32 s0, s19
	s_cbranch_execz .LBB719_34
; %bb.33:
	global_load_dword v56, v[5:6], off offset:1920
.LBB719_34:
	s_or_b32 exec_lo, exec_lo, s0
	v_add_nc_u32_e32 v8, 0x200, v0
	v_mov_b32_e32 v54, 0xff800000
	v_mov_b32_e32 v55, 0xff800000
	v_cmp_gt_i32_e64 s50, s74, v8
	s_and_b32 s18, s66, s50
	s_and_saveexec_b32 s1, s18
	s_cbranch_execz .LBB719_36
; %bb.35:
	v_add_co_u32 v8, s0, 0x800, v5
	v_add_co_ci_u32_e64 v9, null, 0, v6, s0
	global_load_dword v55, v[8:9], off
.LBB719_36:
	s_or_b32 exec_lo, exec_lo, s1
	v_add_nc_u32_e32 v8, 0x220, v0
	v_cmp_gt_i32_e64 s49, s74, v8
	s_and_b32 s17, s66, s49
	s_and_saveexec_b32 s1, s17
	s_cbranch_execz .LBB719_38
; %bb.37:
	v_add_co_u32 v8, s0, 0x800, v5
	v_add_co_ci_u32_e64 v9, null, 0, v6, s0
	global_load_dword v54, v[8:9], off offset:128
.LBB719_38:
	s_or_b32 exec_lo, exec_lo, s1
	v_add_nc_u32_e32 v8, 0x240, v0
	v_mov_b32_e32 v52, 0xff800000
	v_mov_b32_e32 v53, 0xff800000
	v_cmp_gt_i32_e64 s48, s74, v8
	s_and_b32 s16, s66, s48
	s_and_saveexec_b32 s1, s16
	s_cbranch_execz .LBB719_40
; %bb.39:
	v_add_co_u32 v8, s0, 0x800, v5
	v_add_co_ci_u32_e64 v9, null, 0, v6, s0
	global_load_dword v53, v[8:9], off offset:256
.LBB719_40:
	s_or_b32 exec_lo, exec_lo, s1
	v_add_nc_u32_e32 v8, 0x260, v0
	v_cmp_gt_i32_e64 s47, s74, v8
	s_and_b32 s15, s66, s47
	s_and_saveexec_b32 s1, s15
	s_cbranch_execz .LBB719_42
; %bb.41:
	v_add_co_u32 v8, s0, 0x800, v5
	v_add_co_ci_u32_e64 v9, null, 0, v6, s0
	global_load_dword v52, v[8:9], off offset:384
.LBB719_42:
	s_or_b32 exec_lo, exec_lo, s1
	v_add_nc_u32_e32 v8, 0x280, v0
	v_mov_b32_e32 v50, 0xff800000
	v_mov_b32_e32 v51, 0xff800000
	v_cmp_gt_i32_e64 s46, s74, v8
	s_and_b32 s14, s66, s46
	s_and_saveexec_b32 s1, s14
	s_cbranch_execz .LBB719_44
; %bb.43:
	v_add_co_u32 v8, s0, 0x800, v5
	v_add_co_ci_u32_e64 v9, null, 0, v6, s0
	global_load_dword v51, v[8:9], off offset:512
.LBB719_44:
	;; [unrolled: 24-line block ×7, first 2 shown]
	s_or_b32 exec_lo, exec_lo, s1
	v_add_nc_u32_e32 v8, 0x3e0, v0
                                        ; implicit-def: $vgpr81 : SGPR spill to VGPR lane
	v_cmp_gt_i32_e64 s0, s74, v8
	s_and_b32 s1, s66, s0
	v_writelane_b32 v81, s0, 0
	s_and_saveexec_b32 s67, s1
	s_cbranch_execz .LBB719_66
; %bb.65:
	v_add_co_u32 v8, s0, 0x800, v5
	v_add_co_ci_u32_e64 v9, null, 0, v6, s0
	global_load_dword v40, v[8:9], off offset:1920
.LBB719_66:
	s_or_b32 exec_lo, exec_lo, s67
	v_or_b32_e32 v8, 0x400, v0
	v_mov_b32_e32 v38, 0xff800000
	v_mov_b32_e32 v39, 0xff800000
	v_cmp_gt_i32_e64 s0, s74, v8
	s_and_b32 vcc_hi, s66, s0
	v_writelane_b32 v81, s0, 1
	s_and_saveexec_b32 s67, vcc_hi
	s_cbranch_execz .LBB719_68
; %bb.67:
	v_add_co_u32 v8, s0, 0x1000, v5
	v_add_co_ci_u32_e64 v9, null, 0, v6, s0
	global_load_dword v39, v[8:9], off
.LBB719_68:
	s_or_b32 exec_lo, exec_lo, s67
	v_add_nc_u32_e32 v8, 0x420, v0
	v_cmp_gt_i32_e64 s0, s74, v8
	s_and_b32 s104, s66, s0
	v_writelane_b32 v81, s0, 2
	s_and_saveexec_b32 s67, s104
	s_cbranch_execz .LBB719_70
; %bb.69:
	v_add_co_u32 v8, s0, 0x1000, v5
	v_add_co_ci_u32_e64 v9, null, 0, v6, s0
	global_load_dword v38, v[8:9], off offset:128
.LBB719_70:
	s_or_b32 exec_lo, exec_lo, s67
	v_add_nc_u32_e32 v8, 0x440, v0
	v_mov_b32_e32 v36, 0xff800000
	v_mov_b32_e32 v37, 0xff800000
	v_cmp_gt_i32_e64 s0, s74, v8
	s_and_b32 s99, s66, s0
	v_writelane_b32 v81, s0, 3
	s_and_saveexec_b32 s67, s99
	s_cbranch_execz .LBB719_72
; %bb.71:
	v_add_co_u32 v8, s0, 0x1000, v5
	v_add_co_ci_u32_e64 v9, null, 0, v6, s0
	global_load_dword v37, v[8:9], off offset:256
.LBB719_72:
	s_or_b32 exec_lo, exec_lo, s67
	v_add_nc_u32_e32 v8, 0x460, v0
	v_cmp_gt_i32_e64 s0, s74, v8
	s_and_b32 s98, s66, s0
	v_writelane_b32 v81, s0, 4
	s_and_saveexec_b32 s67, s98
	s_cbranch_execz .LBB719_74
; %bb.73:
	v_add_co_u32 v8, s0, 0x1000, v5
	v_add_co_ci_u32_e64 v9, null, 0, v6, s0
	global_load_dword v36, v[8:9], off offset:384
.LBB719_74:
	s_or_b32 exec_lo, exec_lo, s67
	v_add_nc_u32_e32 v8, 0x480, v0
	v_mov_b32_e32 v34, 0xff800000
	v_mov_b32_e32 v35, 0xff800000
	v_cmp_gt_i32_e64 s0, s74, v8
	s_and_b32 s97, s66, s0
	v_writelane_b32 v81, s0, 5
	s_and_saveexec_b32 s67, s97
	s_cbranch_execz .LBB719_76
; %bb.75:
	v_add_co_u32 v8, s0, 0x1000, v5
	v_add_co_ci_u32_e64 v9, null, 0, v6, s0
	global_load_dword v35, v[8:9], off offset:512
.LBB719_76:
	;; [unrolled: 26-line block ×7, first 2 shown]
	s_or_b32 exec_lo, exec_lo, s67
	v_add_nc_u32_e32 v8, 0x5e0, v0
	v_cmp_gt_i32_e64 s0, s74, v8
	s_and_b32 s86, s66, s0
	v_writelane_b32 v81, s0, 16
	s_and_saveexec_b32 s67, s86
	s_cbranch_execz .LBB719_98
; %bb.97:
	v_add_co_u32 v8, s0, 0x1000, v5
	v_add_co_ci_u32_e64 v9, null, 0, v6, s0
	global_load_dword v24, v[8:9], off offset:1920
.LBB719_98:
	s_or_b32 exec_lo, exec_lo, s67
	v_add_nc_u32_e32 v8, 0x600, v0
	v_mov_b32_e32 v22, 0xff800000
	v_mov_b32_e32 v23, 0xff800000
	v_cmp_gt_i32_e64 s0, s74, v8
	s_and_b32 s85, s66, s0
	v_writelane_b32 v81, s0, 17
	s_and_saveexec_b32 s67, s85
	s_cbranch_execz .LBB719_100
; %bb.99:
	v_add_co_u32 v8, s0, 0x1800, v5
	v_add_co_ci_u32_e64 v9, null, 0, v6, s0
	global_load_dword v23, v[8:9], off
.LBB719_100:
	s_or_b32 exec_lo, exec_lo, s67
	v_add_nc_u32_e32 v8, 0x620, v0
	v_cmp_gt_i32_e64 s0, s74, v8
	s_and_b32 s84, s66, s0
	v_writelane_b32 v81, s0, 18
	s_and_saveexec_b32 s67, s84
	s_cbranch_execz .LBB719_102
; %bb.101:
	v_add_co_u32 v8, s0, 0x1800, v5
	v_add_co_ci_u32_e64 v9, null, 0, v6, s0
	global_load_dword v22, v[8:9], off offset:128
.LBB719_102:
	s_or_b32 exec_lo, exec_lo, s67
	v_add_nc_u32_e32 v8, 0x640, v0
	v_mov_b32_e32 v20, 0xff800000
	v_mov_b32_e32 v21, 0xff800000
	v_cmp_gt_i32_e64 s0, s74, v8
	s_and_b32 s83, s66, s0
	v_writelane_b32 v81, s0, 19
	s_and_saveexec_b32 s67, s83
	s_cbranch_execz .LBB719_104
; %bb.103:
	v_add_co_u32 v8, s0, 0x1800, v5
	v_add_co_ci_u32_e64 v9, null, 0, v6, s0
	global_load_dword v21, v[8:9], off offset:256
.LBB719_104:
	s_or_b32 exec_lo, exec_lo, s67
	v_add_nc_u32_e32 v8, 0x660, v0
	v_cmp_gt_i32_e64 s0, s74, v8
	s_and_b32 s82, s66, s0
	v_writelane_b32 v81, s0, 20
	s_and_saveexec_b32 s67, s82
	s_cbranch_execz .LBB719_106
; %bb.105:
	v_add_co_u32 v8, s0, 0x1800, v5
	v_add_co_ci_u32_e64 v9, null, 0, v6, s0
	global_load_dword v20, v[8:9], off offset:384
.LBB719_106:
	s_or_b32 exec_lo, exec_lo, s67
	v_add_nc_u32_e32 v8, 0x680, v0
	v_mov_b32_e32 v18, 0xff800000
	v_mov_b32_e32 v19, 0xff800000
	v_cmp_gt_i32_e64 s0, s74, v8
	s_and_b32 s81, s66, s0
	v_writelane_b32 v81, s0, 21
	s_and_saveexec_b32 s67, s81
	s_cbranch_execz .LBB719_108
; %bb.107:
	v_add_co_u32 v8, s0, 0x1800, v5
	v_add_co_ci_u32_e64 v9, null, 0, v6, s0
	global_load_dword v19, v[8:9], off offset:512
.LBB719_108:
	;; [unrolled: 26-line block ×6, first 2 shown]
	s_or_b32 exec_lo, exec_lo, s67
	v_add_nc_u32_e32 v8, 0x7a0, v0
	v_cmp_gt_i32_e64 s0, s74, v8
	s_and_b32 s71, s66, s0
	v_writelane_b32 v81, s0, 30
	s_and_saveexec_b32 s67, s71
	s_cbranch_execz .LBB719_126
; %bb.125:
	v_add_co_u32 v8, s0, 0x1800, v5
	v_add_co_ci_u32_e64 v9, null, 0, v6, s0
	global_load_dword v10, v[8:9], off offset:1664
.LBB719_126:
	s_or_b32 exec_lo, exec_lo, s67
	v_add_nc_u32_e32 v8, 0x7c0, v0
	v_mov_b32_e32 v9, 0xff800000
	v_cmp_gt_i32_e64 s0, s74, v8
	v_mov_b32_e32 v8, 0xff800000
	s_and_b32 s70, s66, s0
	v_writelane_b32 v81, s0, 31
	s_and_saveexec_b32 s67, s70
	s_cbranch_execz .LBB719_128
; %bb.127:
	v_add_co_u32 v72, s0, 0x1800, v5
	v_add_co_ci_u32_e64 v73, null, 0, v6, s0
	global_load_dword v9, v[72:73], off offset:1792
.LBB719_128:
	s_or_b32 exec_lo, exec_lo, s67
	v_add_nc_u32_e32 v0, 0x7e0, v0
                                        ; implicit-def: $vgpr80 : SGPR spill to VGPR lane
	v_cmp_gt_i32_e64 s0, s74, v0
	s_and_b32 s67, s66, s0
	v_writelane_b32 v80, s0, 0
	s_and_saveexec_b32 s74, s67
	s_cbranch_execz .LBB719_130
; %bb.129:
	v_add_co_u32 v5, s66, 0x1800, v5
	v_add_co_ci_u32_e64 v6, null, 0, v6, s66
	global_load_dword v8, v[5:6], off offset:1920
.LBB719_130:
	s_or_b32 exec_lo, exec_lo, s74
	s_load_dwordx2 s[4:5], s[4:5], 0x20
	s_waitcnt lgkmcnt(0)
	v_add_co_u32 v3, s4, s4, v3
	v_add_co_ci_u32_e64 v4, null, s5, v4, s4
	s_mov_b32 s5, 0
	s_and_saveexec_b32 s66, s35
	s_cbranch_execnz .LBB719_194
; %bb.131:
	s_or_b32 exec_lo, exec_lo, s66
	s_waitcnt vmcnt(0)
	v_mov_b32_e32 v0, v71
	s_and_saveexec_b32 s66, s34
	s_cbranch_execnz .LBB719_195
.LBB719_132:
	s_or_b32 exec_lo, exec_lo, s66
	s_and_saveexec_b32 s66, s33
	s_cbranch_execnz .LBB719_198
.LBB719_133:
	s_or_b32 exec_lo, exec_lo, s66
	s_and_saveexec_b32 s66, s31
	s_cbranch_execnz .LBB719_201
.LBB719_134:
	s_or_b32 exec_lo, exec_lo, s66
	s_and_saveexec_b32 s66, s30
	s_cbranch_execnz .LBB719_204
.LBB719_135:
	s_or_b32 exec_lo, exec_lo, s66
	s_and_saveexec_b32 s66, s29
	s_cbranch_execnz .LBB719_207
.LBB719_136:
	s_or_b32 exec_lo, exec_lo, s66
	s_and_saveexec_b32 s66, s28
	s_cbranch_execnz .LBB719_210
.LBB719_137:
	s_or_b32 exec_lo, exec_lo, s66
	s_and_saveexec_b32 s66, s27
	s_cbranch_execnz .LBB719_213
.LBB719_138:
	s_or_b32 exec_lo, exec_lo, s66
	s_and_saveexec_b32 s66, s26
	s_cbranch_execnz .LBB719_216
.LBB719_139:
	s_or_b32 exec_lo, exec_lo, s66
	s_and_saveexec_b32 s66, s25
	s_cbranch_execnz .LBB719_219
.LBB719_140:
	s_or_b32 exec_lo, exec_lo, s66
	s_and_saveexec_b32 s66, s24
	s_cbranch_execnz .LBB719_222
.LBB719_141:
	s_or_b32 exec_lo, exec_lo, s66
	s_and_saveexec_b32 s66, s23
	s_cbranch_execnz .LBB719_225
.LBB719_142:
	s_or_b32 exec_lo, exec_lo, s66
	s_and_saveexec_b32 s66, s22
	s_cbranch_execnz .LBB719_228
.LBB719_143:
	s_or_b32 exec_lo, exec_lo, s66
	s_and_saveexec_b32 s66, s21
	s_cbranch_execnz .LBB719_231
.LBB719_144:
	s_or_b32 exec_lo, exec_lo, s66
	s_and_saveexec_b32 s66, s20
	s_cbranch_execnz .LBB719_234
.LBB719_145:
	s_or_b32 exec_lo, exec_lo, s66
	s_and_saveexec_b32 s66, s19
	s_cbranch_execnz .LBB719_237
.LBB719_146:
	s_or_b32 exec_lo, exec_lo, s66
	s_and_saveexec_b32 s66, s18
	s_cbranch_execnz .LBB719_240
.LBB719_147:
	s_or_b32 exec_lo, exec_lo, s66
	s_and_saveexec_b32 s66, s17
	s_cbranch_execnz .LBB719_243
.LBB719_148:
	s_or_b32 exec_lo, exec_lo, s66
	s_and_saveexec_b32 s66, s16
	s_cbranch_execnz .LBB719_246
.LBB719_149:
	s_or_b32 exec_lo, exec_lo, s66
	s_and_saveexec_b32 s66, s15
	s_cbranch_execnz .LBB719_249
.LBB719_150:
	s_or_b32 exec_lo, exec_lo, s66
	s_and_saveexec_b32 s66, s14
	s_cbranch_execnz .LBB719_252
.LBB719_151:
	s_or_b32 exec_lo, exec_lo, s66
	s_and_saveexec_b32 s66, s13
	s_cbranch_execnz .LBB719_255
.LBB719_152:
	s_or_b32 exec_lo, exec_lo, s66
	s_and_saveexec_b32 s66, s12
	s_cbranch_execnz .LBB719_258
.LBB719_153:
	s_or_b32 exec_lo, exec_lo, s66
	s_and_saveexec_b32 s66, s11
	s_cbranch_execnz .LBB719_261
.LBB719_154:
	s_or_b32 exec_lo, exec_lo, s66
	s_and_saveexec_b32 s66, s10
	s_cbranch_execnz .LBB719_264
.LBB719_155:
	s_or_b32 exec_lo, exec_lo, s66
	s_and_saveexec_b32 s66, s9
	s_cbranch_execnz .LBB719_267
.LBB719_156:
	s_or_b32 exec_lo, exec_lo, s66
	s_and_saveexec_b32 s66, s8
	s_cbranch_execnz .LBB719_270
.LBB719_157:
	s_or_b32 exec_lo, exec_lo, s66
	s_and_saveexec_b32 s66, s7
	s_cbranch_execnz .LBB719_273
.LBB719_158:
	s_or_b32 exec_lo, exec_lo, s66
	s_and_saveexec_b32 s66, s6
	s_cbranch_execnz .LBB719_276
.LBB719_159:
	s_or_b32 exec_lo, exec_lo, s66
	s_and_saveexec_b32 s66, s3
	s_cbranch_execnz .LBB719_279
.LBB719_160:
	s_or_b32 exec_lo, exec_lo, s66
	s_and_saveexec_b32 s66, s2
	s_cbranch_execnz .LBB719_282
.LBB719_161:
	s_or_b32 exec_lo, exec_lo, s66
	s_and_saveexec_b32 s66, s1
	s_cbranch_execnz .LBB719_285
.LBB719_162:
	s_or_b32 exec_lo, exec_lo, s66
	s_and_saveexec_b32 s66, vcc_hi
	s_cbranch_execnz .LBB719_288
.LBB719_163:
	s_or_b32 exec_lo, exec_lo, s66
	s_and_saveexec_b32 s66, s104
	s_cbranch_execnz .LBB719_291
.LBB719_164:
	s_or_b32 exec_lo, exec_lo, s66
	s_and_saveexec_b32 s66, s99
	s_cbranch_execnz .LBB719_294
.LBB719_165:
	s_or_b32 exec_lo, exec_lo, s66
	s_and_saveexec_b32 s66, s98
	s_cbranch_execnz .LBB719_297
.LBB719_166:
	s_or_b32 exec_lo, exec_lo, s66
	s_and_saveexec_b32 s66, s97
	s_cbranch_execnz .LBB719_300
.LBB719_167:
	s_or_b32 exec_lo, exec_lo, s66
	s_and_saveexec_b32 s66, s96
	s_cbranch_execnz .LBB719_303
.LBB719_168:
	s_or_b32 exec_lo, exec_lo, s66
	s_and_saveexec_b32 s66, s95
	s_cbranch_execnz .LBB719_306
.LBB719_169:
	s_or_b32 exec_lo, exec_lo, s66
	s_and_saveexec_b32 s66, s94
	s_cbranch_execnz .LBB719_309
.LBB719_170:
	s_or_b32 exec_lo, exec_lo, s66
	s_and_saveexec_b32 s66, s93
	s_cbranch_execnz .LBB719_312
.LBB719_171:
	s_or_b32 exec_lo, exec_lo, s66
	s_and_saveexec_b32 s66, s92
	s_cbranch_execnz .LBB719_315
.LBB719_172:
	s_or_b32 exec_lo, exec_lo, s66
	s_and_saveexec_b32 s66, s91
	s_cbranch_execnz .LBB719_318
.LBB719_173:
	s_or_b32 exec_lo, exec_lo, s66
	s_and_saveexec_b32 s66, s90
	s_cbranch_execnz .LBB719_321
.LBB719_174:
	s_or_b32 exec_lo, exec_lo, s66
	s_and_saveexec_b32 s66, s89
	s_cbranch_execnz .LBB719_324
.LBB719_175:
	s_or_b32 exec_lo, exec_lo, s66
	s_and_saveexec_b32 s66, s88
	s_cbranch_execnz .LBB719_327
.LBB719_176:
	s_or_b32 exec_lo, exec_lo, s66
	s_and_saveexec_b32 s66, s87
	s_cbranch_execnz .LBB719_330
.LBB719_177:
	s_or_b32 exec_lo, exec_lo, s66
	s_and_saveexec_b32 s66, s86
	s_cbranch_execnz .LBB719_333
.LBB719_178:
	s_or_b32 exec_lo, exec_lo, s66
	s_and_saveexec_b32 s66, s85
	s_cbranch_execnz .LBB719_336
.LBB719_179:
	s_or_b32 exec_lo, exec_lo, s66
	s_and_saveexec_b32 s66, s84
	s_cbranch_execnz .LBB719_339
.LBB719_180:
	s_or_b32 exec_lo, exec_lo, s66
	s_and_saveexec_b32 s66, s83
	s_cbranch_execnz .LBB719_342
.LBB719_181:
	s_or_b32 exec_lo, exec_lo, s66
	s_and_saveexec_b32 s66, s82
	s_cbranch_execnz .LBB719_345
.LBB719_182:
	s_or_b32 exec_lo, exec_lo, s66
	s_and_saveexec_b32 s66, s81
	s_cbranch_execnz .LBB719_348
.LBB719_183:
	s_or_b32 exec_lo, exec_lo, s66
	s_and_saveexec_b32 s66, s80
	s_cbranch_execnz .LBB719_351
.LBB719_184:
	s_or_b32 exec_lo, exec_lo, s66
	s_and_saveexec_b32 s66, s79
	s_cbranch_execnz .LBB719_354
.LBB719_185:
	s_or_b32 exec_lo, exec_lo, s66
	s_and_saveexec_b32 s66, s78
	s_cbranch_execnz .LBB719_357
.LBB719_186:
	s_or_b32 exec_lo, exec_lo, s66
	s_and_saveexec_b32 s66, s77
	s_cbranch_execnz .LBB719_360
.LBB719_187:
	s_or_b32 exec_lo, exec_lo, s66
	s_and_saveexec_b32 s66, s76
	s_cbranch_execnz .LBB719_363
.LBB719_188:
	s_or_b32 exec_lo, exec_lo, s66
	s_and_saveexec_b32 s66, s75
	s_cbranch_execnz .LBB719_366
.LBB719_189:
	s_or_b32 exec_lo, exec_lo, s66
	s_and_saveexec_b32 s66, s73
	s_cbranch_execnz .LBB719_369
.LBB719_190:
	s_or_b32 exec_lo, exec_lo, s66
	s_and_saveexec_b32 s66, s72
	s_cbranch_execnz .LBB719_372
.LBB719_191:
	s_or_b32 exec_lo, exec_lo, s66
	s_and_saveexec_b32 s66, s71
	s_cbranch_execnz .LBB719_375
.LBB719_192:
	s_or_b32 exec_lo, exec_lo, s66
	s_and_saveexec_b32 s66, s70
	s_cbranch_execnz .LBB719_378
.LBB719_193:
	s_or_b32 exec_lo, exec_lo, s66
	s_and_saveexec_b32 s66, s67
	s_cbranch_execnz .LBB719_381
	s_branch .LBB719_384
.LBB719_194:
	global_load_ubyte v0, v[3:4], off
	s_waitcnt vmcnt(0)
	v_and_b32_e32 v0, 1, v0
	v_cmp_eq_u32_e64 s4, 1, v0
	s_xor_b32 s4, s4, -1
	s_and_b32 s5, s4, exec_lo
	s_or_b32 exec_lo, exec_lo, s66
	v_mov_b32_e32 v0, v71
	s_and_saveexec_b32 s66, s34
	s_cbranch_execz .LBB719_132
.LBB719_195:
	global_load_ubyte v0, v[3:4], off offset:32
	s_waitcnt vmcnt(0)
	v_and_b32_e32 v0, 1, v0
	v_cmp_eq_u32_e64 s4, 1, v0
	v_mov_b32_e32 v0, v71
	s_xor_b32 s0, s4, -1
	s_mov_b32 s4, s5
	s_and_saveexec_b32 s74, s0
; %bb.196:
	v_cmp_gt_f32_e64 s4, v71, v70
	s_and_b32 s4, s5, s4
	v_cndmask_b32_e64 v0, v70, v71, s4
	s_or_b32 s4, s5, exec_lo
; %bb.197:
	s_or_b32 exec_lo, exec_lo, s74
	s_andn2_b32 s0, s5, exec_lo
	s_and_b32 s4, s4, exec_lo
	s_or_b32 s5, s0, s4
	s_or_b32 exec_lo, exec_lo, s66
	s_and_saveexec_b32 s66, s33
	s_cbranch_execz .LBB719_133
.LBB719_198:
	global_load_ubyte v5, v[3:4], off offset:64
	s_waitcnt vmcnt(0)
	v_and_b32_e32 v5, 1, v5
	v_cmp_eq_u32_e64 s4, 1, v5
	s_xor_b32 s0, s4, -1
	s_mov_b32 s4, s5
	s_and_saveexec_b32 s74, s0
; %bb.199:
	v_cmp_gt_f32_e64 s4, v0, v69
	s_and_b32 s4, s5, s4
	v_cndmask_b32_e64 v0, v69, v0, s4
	s_or_b32 s4, s5, exec_lo
; %bb.200:
	s_or_b32 exec_lo, exec_lo, s74
	s_andn2_b32 s0, s5, exec_lo
	s_and_b32 s4, s4, exec_lo
	s_or_b32 s5, s0, s4
	s_or_b32 exec_lo, exec_lo, s66
	s_and_saveexec_b32 s66, s31
	s_cbranch_execz .LBB719_134
.LBB719_201:
	global_load_ubyte v5, v[3:4], off offset:96
	s_waitcnt vmcnt(0)
	v_and_b32_e32 v5, 1, v5
	v_cmp_eq_u32_e64 s4, 1, v5
	s_xor_b32 s0, s4, -1
	s_mov_b32 s4, s5
	s_and_saveexec_b32 s74, s0
; %bb.202:
	v_cmp_gt_f32_e64 s4, v0, v68
	s_and_b32 s4, s5, s4
	v_cndmask_b32_e64 v0, v68, v0, s4
	s_or_b32 s4, s5, exec_lo
; %bb.203:
	s_or_b32 exec_lo, exec_lo, s74
	s_andn2_b32 s0, s5, exec_lo
	s_and_b32 s4, s4, exec_lo
	s_or_b32 s5, s0, s4
	s_or_b32 exec_lo, exec_lo, s66
	s_and_saveexec_b32 s66, s30
	s_cbranch_execz .LBB719_135
.LBB719_204:
	global_load_ubyte v5, v[3:4], off offset:128
	s_waitcnt vmcnt(0)
	v_and_b32_e32 v5, 1, v5
	v_cmp_eq_u32_e64 s4, 1, v5
	s_xor_b32 s0, s4, -1
	s_mov_b32 s4, s5
	s_and_saveexec_b32 s74, s0
; %bb.205:
	v_cmp_gt_f32_e64 s4, v0, v67
	s_and_b32 s4, s5, s4
	v_cndmask_b32_e64 v0, v67, v0, s4
	s_or_b32 s4, s5, exec_lo
; %bb.206:
	s_or_b32 exec_lo, exec_lo, s74
	s_andn2_b32 s0, s5, exec_lo
	s_and_b32 s4, s4, exec_lo
	s_or_b32 s5, s0, s4
	s_or_b32 exec_lo, exec_lo, s66
	s_and_saveexec_b32 s66, s29
	s_cbranch_execz .LBB719_136
.LBB719_207:
	global_load_ubyte v5, v[3:4], off offset:160
	s_waitcnt vmcnt(0)
	v_and_b32_e32 v5, 1, v5
	v_cmp_eq_u32_e64 s4, 1, v5
	s_xor_b32 s0, s4, -1
	s_mov_b32 s4, s5
	s_and_saveexec_b32 s74, s0
; %bb.208:
	v_cmp_gt_f32_e64 s4, v0, v66
	s_and_b32 s4, s5, s4
	v_cndmask_b32_e64 v0, v66, v0, s4
	s_or_b32 s4, s5, exec_lo
; %bb.209:
	s_or_b32 exec_lo, exec_lo, s74
	s_andn2_b32 s0, s5, exec_lo
	s_and_b32 s4, s4, exec_lo
	s_or_b32 s5, s0, s4
	s_or_b32 exec_lo, exec_lo, s66
	s_and_saveexec_b32 s66, s28
	s_cbranch_execz .LBB719_137
.LBB719_210:
	global_load_ubyte v5, v[3:4], off offset:192
	s_waitcnt vmcnt(0)
	v_and_b32_e32 v5, 1, v5
	v_cmp_eq_u32_e64 s4, 1, v5
	s_xor_b32 s0, s4, -1
	s_mov_b32 s4, s5
	s_and_saveexec_b32 s74, s0
; %bb.211:
	v_cmp_gt_f32_e64 s4, v0, v65
	s_and_b32 s4, s5, s4
	v_cndmask_b32_e64 v0, v65, v0, s4
	s_or_b32 s4, s5, exec_lo
; %bb.212:
	s_or_b32 exec_lo, exec_lo, s74
	s_andn2_b32 s0, s5, exec_lo
	s_and_b32 s4, s4, exec_lo
	s_or_b32 s5, s0, s4
	s_or_b32 exec_lo, exec_lo, s66
	s_and_saveexec_b32 s66, s27
	s_cbranch_execz .LBB719_138
.LBB719_213:
	global_load_ubyte v5, v[3:4], off offset:224
	s_waitcnt vmcnt(0)
	v_and_b32_e32 v5, 1, v5
	v_cmp_eq_u32_e64 s4, 1, v5
	s_xor_b32 s0, s4, -1
	s_mov_b32 s4, s5
	s_and_saveexec_b32 s74, s0
; %bb.214:
	v_cmp_gt_f32_e64 s4, v0, v64
	s_and_b32 s4, s5, s4
	v_cndmask_b32_e64 v0, v64, v0, s4
	s_or_b32 s4, s5, exec_lo
; %bb.215:
	s_or_b32 exec_lo, exec_lo, s74
	s_andn2_b32 s0, s5, exec_lo
	s_and_b32 s4, s4, exec_lo
	s_or_b32 s5, s0, s4
	s_or_b32 exec_lo, exec_lo, s66
	s_and_saveexec_b32 s66, s26
	s_cbranch_execz .LBB719_139
.LBB719_216:
	global_load_ubyte v5, v[3:4], off offset:256
	s_waitcnt vmcnt(0)
	v_and_b32_e32 v5, 1, v5
	v_cmp_eq_u32_e64 s4, 1, v5
	s_xor_b32 s0, s4, -1
	s_mov_b32 s4, s5
	s_and_saveexec_b32 s74, s0
; %bb.217:
	v_cmp_gt_f32_e64 s4, v0, v63
	s_and_b32 s4, s5, s4
	v_cndmask_b32_e64 v0, v63, v0, s4
	s_or_b32 s4, s5, exec_lo
; %bb.218:
	s_or_b32 exec_lo, exec_lo, s74
	s_andn2_b32 s0, s5, exec_lo
	s_and_b32 s4, s4, exec_lo
	s_or_b32 s5, s0, s4
	s_or_b32 exec_lo, exec_lo, s66
	s_and_saveexec_b32 s66, s25
	s_cbranch_execz .LBB719_140
.LBB719_219:
	global_load_ubyte v5, v[3:4], off offset:288
	s_waitcnt vmcnt(0)
	v_and_b32_e32 v5, 1, v5
	v_cmp_eq_u32_e64 s4, 1, v5
	s_xor_b32 s0, s4, -1
	s_mov_b32 s4, s5
	s_and_saveexec_b32 s74, s0
; %bb.220:
	v_cmp_gt_f32_e64 s4, v0, v62
	s_and_b32 s4, s5, s4
	v_cndmask_b32_e64 v0, v62, v0, s4
	s_or_b32 s4, s5, exec_lo
; %bb.221:
	s_or_b32 exec_lo, exec_lo, s74
	s_andn2_b32 s0, s5, exec_lo
	s_and_b32 s4, s4, exec_lo
	s_or_b32 s5, s0, s4
	s_or_b32 exec_lo, exec_lo, s66
	s_and_saveexec_b32 s66, s24
	s_cbranch_execz .LBB719_141
.LBB719_222:
	global_load_ubyte v5, v[3:4], off offset:320
	s_waitcnt vmcnt(0)
	v_and_b32_e32 v5, 1, v5
	v_cmp_eq_u32_e64 s4, 1, v5
	s_xor_b32 s0, s4, -1
	s_mov_b32 s4, s5
	s_and_saveexec_b32 s74, s0
; %bb.223:
	v_cmp_gt_f32_e64 s4, v0, v61
	s_and_b32 s4, s5, s4
	v_cndmask_b32_e64 v0, v61, v0, s4
	s_or_b32 s4, s5, exec_lo
; %bb.224:
	s_or_b32 exec_lo, exec_lo, s74
	s_andn2_b32 s0, s5, exec_lo
	s_and_b32 s4, s4, exec_lo
	s_or_b32 s5, s0, s4
	s_or_b32 exec_lo, exec_lo, s66
	s_and_saveexec_b32 s66, s23
	s_cbranch_execz .LBB719_142
.LBB719_225:
	global_load_ubyte v5, v[3:4], off offset:352
	s_waitcnt vmcnt(0)
	v_and_b32_e32 v5, 1, v5
	v_cmp_eq_u32_e64 s4, 1, v5
	s_xor_b32 s0, s4, -1
	s_mov_b32 s4, s5
	s_and_saveexec_b32 s74, s0
; %bb.226:
	v_cmp_gt_f32_e64 s4, v0, v60
	s_and_b32 s4, s5, s4
	v_cndmask_b32_e64 v0, v60, v0, s4
	s_or_b32 s4, s5, exec_lo
; %bb.227:
	s_or_b32 exec_lo, exec_lo, s74
	s_andn2_b32 s0, s5, exec_lo
	s_and_b32 s4, s4, exec_lo
	s_or_b32 s5, s0, s4
	s_or_b32 exec_lo, exec_lo, s66
	s_and_saveexec_b32 s66, s22
	s_cbranch_execz .LBB719_143
.LBB719_228:
	global_load_ubyte v5, v[3:4], off offset:384
	s_waitcnt vmcnt(0)
	v_and_b32_e32 v5, 1, v5
	v_cmp_eq_u32_e64 s4, 1, v5
	s_xor_b32 s0, s4, -1
	s_mov_b32 s4, s5
	s_and_saveexec_b32 s74, s0
; %bb.229:
	v_cmp_gt_f32_e64 s4, v0, v59
	s_and_b32 s4, s5, s4
	v_cndmask_b32_e64 v0, v59, v0, s4
	s_or_b32 s4, s5, exec_lo
; %bb.230:
	s_or_b32 exec_lo, exec_lo, s74
	s_andn2_b32 s0, s5, exec_lo
	s_and_b32 s4, s4, exec_lo
	s_or_b32 s5, s0, s4
	s_or_b32 exec_lo, exec_lo, s66
	s_and_saveexec_b32 s66, s21
	s_cbranch_execz .LBB719_144
.LBB719_231:
	global_load_ubyte v5, v[3:4], off offset:416
	s_waitcnt vmcnt(0)
	v_and_b32_e32 v5, 1, v5
	v_cmp_eq_u32_e64 s4, 1, v5
	s_xor_b32 s0, s4, -1
	s_mov_b32 s4, s5
	s_and_saveexec_b32 s74, s0
; %bb.232:
	v_cmp_gt_f32_e64 s4, v0, v58
	s_and_b32 s4, s5, s4
	v_cndmask_b32_e64 v0, v58, v0, s4
	s_or_b32 s4, s5, exec_lo
; %bb.233:
	s_or_b32 exec_lo, exec_lo, s74
	s_andn2_b32 s0, s5, exec_lo
	s_and_b32 s4, s4, exec_lo
	s_or_b32 s5, s0, s4
	s_or_b32 exec_lo, exec_lo, s66
	s_and_saveexec_b32 s66, s20
	s_cbranch_execz .LBB719_145
.LBB719_234:
	global_load_ubyte v5, v[3:4], off offset:448
	s_waitcnt vmcnt(0)
	v_and_b32_e32 v5, 1, v5
	v_cmp_eq_u32_e64 s4, 1, v5
	s_xor_b32 s0, s4, -1
	s_mov_b32 s4, s5
	s_and_saveexec_b32 s74, s0
; %bb.235:
	v_cmp_gt_f32_e64 s4, v0, v57
	s_and_b32 s4, s5, s4
	v_cndmask_b32_e64 v0, v57, v0, s4
	s_or_b32 s4, s5, exec_lo
; %bb.236:
	s_or_b32 exec_lo, exec_lo, s74
	s_andn2_b32 s0, s5, exec_lo
	s_and_b32 s4, s4, exec_lo
	s_or_b32 s5, s0, s4
	s_or_b32 exec_lo, exec_lo, s66
	s_and_saveexec_b32 s66, s19
	s_cbranch_execz .LBB719_146
.LBB719_237:
	global_load_ubyte v5, v[3:4], off offset:480
	s_waitcnt vmcnt(0)
	v_and_b32_e32 v5, 1, v5
	v_cmp_eq_u32_e64 s4, 1, v5
	s_xor_b32 s0, s4, -1
	s_mov_b32 s4, s5
	s_and_saveexec_b32 s74, s0
; %bb.238:
	v_cmp_gt_f32_e64 s4, v0, v56
	s_and_b32 s4, s5, s4
	v_cndmask_b32_e64 v0, v56, v0, s4
	s_or_b32 s4, s5, exec_lo
; %bb.239:
	s_or_b32 exec_lo, exec_lo, s74
	s_andn2_b32 s0, s5, exec_lo
	s_and_b32 s4, s4, exec_lo
	s_or_b32 s5, s0, s4
	s_or_b32 exec_lo, exec_lo, s66
	s_and_saveexec_b32 s66, s18
	s_cbranch_execz .LBB719_147
.LBB719_240:
	global_load_ubyte v5, v[3:4], off offset:512
	s_waitcnt vmcnt(0)
	v_and_b32_e32 v5, 1, v5
	v_cmp_eq_u32_e64 s4, 1, v5
	s_xor_b32 s0, s4, -1
	s_mov_b32 s4, s5
	s_and_saveexec_b32 s74, s0
; %bb.241:
	v_cmp_gt_f32_e64 s4, v0, v55
	s_and_b32 s4, s5, s4
	v_cndmask_b32_e64 v0, v55, v0, s4
	s_or_b32 s4, s5, exec_lo
; %bb.242:
	s_or_b32 exec_lo, exec_lo, s74
	s_andn2_b32 s0, s5, exec_lo
	s_and_b32 s4, s4, exec_lo
	s_or_b32 s5, s0, s4
	s_or_b32 exec_lo, exec_lo, s66
	s_and_saveexec_b32 s66, s17
	s_cbranch_execz .LBB719_148
.LBB719_243:
	global_load_ubyte v5, v[3:4], off offset:544
	s_waitcnt vmcnt(0)
	v_and_b32_e32 v5, 1, v5
	v_cmp_eq_u32_e64 s4, 1, v5
	s_xor_b32 s0, s4, -1
	s_mov_b32 s4, s5
	s_and_saveexec_b32 s74, s0
; %bb.244:
	v_cmp_gt_f32_e64 s4, v0, v54
	s_and_b32 s4, s5, s4
	v_cndmask_b32_e64 v0, v54, v0, s4
	s_or_b32 s4, s5, exec_lo
; %bb.245:
	s_or_b32 exec_lo, exec_lo, s74
	s_andn2_b32 s0, s5, exec_lo
	s_and_b32 s4, s4, exec_lo
	s_or_b32 s5, s0, s4
	s_or_b32 exec_lo, exec_lo, s66
	s_and_saveexec_b32 s66, s16
	s_cbranch_execz .LBB719_149
.LBB719_246:
	global_load_ubyte v5, v[3:4], off offset:576
	s_waitcnt vmcnt(0)
	v_and_b32_e32 v5, 1, v5
	v_cmp_eq_u32_e64 s4, 1, v5
	s_xor_b32 s0, s4, -1
	s_mov_b32 s4, s5
	s_and_saveexec_b32 s74, s0
; %bb.247:
	v_cmp_gt_f32_e64 s4, v0, v53
	s_and_b32 s4, s5, s4
	v_cndmask_b32_e64 v0, v53, v0, s4
	s_or_b32 s4, s5, exec_lo
; %bb.248:
	s_or_b32 exec_lo, exec_lo, s74
	s_andn2_b32 s0, s5, exec_lo
	s_and_b32 s4, s4, exec_lo
	s_or_b32 s5, s0, s4
	s_or_b32 exec_lo, exec_lo, s66
	s_and_saveexec_b32 s66, s15
	s_cbranch_execz .LBB719_150
.LBB719_249:
	global_load_ubyte v5, v[3:4], off offset:608
	s_waitcnt vmcnt(0)
	v_and_b32_e32 v5, 1, v5
	v_cmp_eq_u32_e64 s4, 1, v5
	s_xor_b32 s0, s4, -1
	s_mov_b32 s4, s5
	s_and_saveexec_b32 s74, s0
; %bb.250:
	v_cmp_gt_f32_e64 s4, v0, v52
	s_and_b32 s4, s5, s4
	v_cndmask_b32_e64 v0, v52, v0, s4
	s_or_b32 s4, s5, exec_lo
; %bb.251:
	s_or_b32 exec_lo, exec_lo, s74
	s_andn2_b32 s0, s5, exec_lo
	s_and_b32 s4, s4, exec_lo
	s_or_b32 s5, s0, s4
	s_or_b32 exec_lo, exec_lo, s66
	s_and_saveexec_b32 s66, s14
	s_cbranch_execz .LBB719_151
.LBB719_252:
	global_load_ubyte v5, v[3:4], off offset:640
	s_waitcnt vmcnt(0)
	v_and_b32_e32 v5, 1, v5
	v_cmp_eq_u32_e64 s4, 1, v5
	s_xor_b32 s0, s4, -1
	s_mov_b32 s4, s5
	s_and_saveexec_b32 s74, s0
; %bb.253:
	v_cmp_gt_f32_e64 s4, v0, v51
	s_and_b32 s4, s5, s4
	v_cndmask_b32_e64 v0, v51, v0, s4
	s_or_b32 s4, s5, exec_lo
; %bb.254:
	s_or_b32 exec_lo, exec_lo, s74
	s_andn2_b32 s0, s5, exec_lo
	s_and_b32 s4, s4, exec_lo
	s_or_b32 s5, s0, s4
	s_or_b32 exec_lo, exec_lo, s66
	s_and_saveexec_b32 s66, s13
	s_cbranch_execz .LBB719_152
.LBB719_255:
	global_load_ubyte v5, v[3:4], off offset:672
	s_waitcnt vmcnt(0)
	v_and_b32_e32 v5, 1, v5
	v_cmp_eq_u32_e64 s4, 1, v5
	s_xor_b32 s0, s4, -1
	s_mov_b32 s4, s5
	s_and_saveexec_b32 s74, s0
; %bb.256:
	v_cmp_gt_f32_e64 s4, v0, v50
	s_and_b32 s4, s5, s4
	v_cndmask_b32_e64 v0, v50, v0, s4
	s_or_b32 s4, s5, exec_lo
; %bb.257:
	s_or_b32 exec_lo, exec_lo, s74
	s_andn2_b32 s0, s5, exec_lo
	s_and_b32 s4, s4, exec_lo
	s_or_b32 s5, s0, s4
	s_or_b32 exec_lo, exec_lo, s66
	s_and_saveexec_b32 s66, s12
	s_cbranch_execz .LBB719_153
.LBB719_258:
	global_load_ubyte v5, v[3:4], off offset:704
	s_waitcnt vmcnt(0)
	v_and_b32_e32 v5, 1, v5
	v_cmp_eq_u32_e64 s4, 1, v5
	s_xor_b32 s0, s4, -1
	s_mov_b32 s4, s5
	s_and_saveexec_b32 s74, s0
; %bb.259:
	v_cmp_gt_f32_e64 s4, v0, v49
	s_and_b32 s4, s5, s4
	v_cndmask_b32_e64 v0, v49, v0, s4
	s_or_b32 s4, s5, exec_lo
; %bb.260:
	s_or_b32 exec_lo, exec_lo, s74
	s_andn2_b32 s0, s5, exec_lo
	s_and_b32 s4, s4, exec_lo
	s_or_b32 s5, s0, s4
	s_or_b32 exec_lo, exec_lo, s66
	s_and_saveexec_b32 s66, s11
	s_cbranch_execz .LBB719_154
.LBB719_261:
	global_load_ubyte v5, v[3:4], off offset:736
	s_waitcnt vmcnt(0)
	v_and_b32_e32 v5, 1, v5
	v_cmp_eq_u32_e64 s4, 1, v5
	s_xor_b32 s0, s4, -1
	s_mov_b32 s4, s5
	s_and_saveexec_b32 s74, s0
; %bb.262:
	v_cmp_gt_f32_e64 s4, v0, v48
	s_and_b32 s4, s5, s4
	v_cndmask_b32_e64 v0, v48, v0, s4
	s_or_b32 s4, s5, exec_lo
; %bb.263:
	s_or_b32 exec_lo, exec_lo, s74
	s_andn2_b32 s0, s5, exec_lo
	s_and_b32 s4, s4, exec_lo
	s_or_b32 s5, s0, s4
	s_or_b32 exec_lo, exec_lo, s66
	s_and_saveexec_b32 s66, s10
	s_cbranch_execz .LBB719_155
.LBB719_264:
	global_load_ubyte v5, v[3:4], off offset:768
	s_waitcnt vmcnt(0)
	v_and_b32_e32 v5, 1, v5
	v_cmp_eq_u32_e64 s4, 1, v5
	s_xor_b32 s0, s4, -1
	s_mov_b32 s4, s5
	s_and_saveexec_b32 s74, s0
; %bb.265:
	v_cmp_gt_f32_e64 s4, v0, v47
	s_and_b32 s4, s5, s4
	v_cndmask_b32_e64 v0, v47, v0, s4
	s_or_b32 s4, s5, exec_lo
; %bb.266:
	s_or_b32 exec_lo, exec_lo, s74
	s_andn2_b32 s0, s5, exec_lo
	s_and_b32 s4, s4, exec_lo
	s_or_b32 s5, s0, s4
	s_or_b32 exec_lo, exec_lo, s66
	s_and_saveexec_b32 s66, s9
	s_cbranch_execz .LBB719_156
.LBB719_267:
	global_load_ubyte v5, v[3:4], off offset:800
	s_waitcnt vmcnt(0)
	v_and_b32_e32 v5, 1, v5
	v_cmp_eq_u32_e64 s4, 1, v5
	s_xor_b32 s0, s4, -1
	s_mov_b32 s4, s5
	s_and_saveexec_b32 s74, s0
; %bb.268:
	v_cmp_gt_f32_e64 s4, v0, v46
	s_and_b32 s4, s5, s4
	v_cndmask_b32_e64 v0, v46, v0, s4
	s_or_b32 s4, s5, exec_lo
; %bb.269:
	s_or_b32 exec_lo, exec_lo, s74
	s_andn2_b32 s0, s5, exec_lo
	s_and_b32 s4, s4, exec_lo
	s_or_b32 s5, s0, s4
	s_or_b32 exec_lo, exec_lo, s66
	s_and_saveexec_b32 s66, s8
	s_cbranch_execz .LBB719_157
.LBB719_270:
	global_load_ubyte v5, v[3:4], off offset:832
	s_waitcnt vmcnt(0)
	v_and_b32_e32 v5, 1, v5
	v_cmp_eq_u32_e64 s4, 1, v5
	s_xor_b32 s0, s4, -1
	s_mov_b32 s4, s5
	s_and_saveexec_b32 s74, s0
; %bb.271:
	v_cmp_gt_f32_e64 s4, v0, v45
	s_and_b32 s4, s5, s4
	v_cndmask_b32_e64 v0, v45, v0, s4
	s_or_b32 s4, s5, exec_lo
; %bb.272:
	s_or_b32 exec_lo, exec_lo, s74
	s_andn2_b32 s0, s5, exec_lo
	s_and_b32 s4, s4, exec_lo
	s_or_b32 s5, s0, s4
	s_or_b32 exec_lo, exec_lo, s66
	s_and_saveexec_b32 s66, s7
	s_cbranch_execz .LBB719_158
.LBB719_273:
	global_load_ubyte v5, v[3:4], off offset:864
	s_waitcnt vmcnt(0)
	v_and_b32_e32 v5, 1, v5
	v_cmp_eq_u32_e64 s4, 1, v5
	s_xor_b32 s0, s4, -1
	s_mov_b32 s4, s5
	s_and_saveexec_b32 s74, s0
; %bb.274:
	v_cmp_gt_f32_e64 s4, v0, v44
	s_and_b32 s4, s5, s4
	v_cndmask_b32_e64 v0, v44, v0, s4
	s_or_b32 s4, s5, exec_lo
; %bb.275:
	s_or_b32 exec_lo, exec_lo, s74
	s_andn2_b32 s0, s5, exec_lo
	s_and_b32 s4, s4, exec_lo
	s_or_b32 s5, s0, s4
	s_or_b32 exec_lo, exec_lo, s66
	s_and_saveexec_b32 s66, s6
	s_cbranch_execz .LBB719_159
.LBB719_276:
	global_load_ubyte v5, v[3:4], off offset:896
	s_waitcnt vmcnt(0)
	v_and_b32_e32 v5, 1, v5
	v_cmp_eq_u32_e64 s4, 1, v5
	s_xor_b32 s0, s4, -1
	s_mov_b32 s4, s5
	s_and_saveexec_b32 s74, s0
; %bb.277:
	v_cmp_gt_f32_e64 s4, v0, v43
	s_and_b32 s4, s5, s4
	v_cndmask_b32_e64 v0, v43, v0, s4
	s_or_b32 s4, s5, exec_lo
; %bb.278:
	s_or_b32 exec_lo, exec_lo, s74
	s_andn2_b32 s0, s5, exec_lo
	s_and_b32 s4, s4, exec_lo
	s_or_b32 s5, s0, s4
	s_or_b32 exec_lo, exec_lo, s66
	s_and_saveexec_b32 s66, s3
	s_cbranch_execz .LBB719_160
.LBB719_279:
	global_load_ubyte v5, v[3:4], off offset:928
	s_waitcnt vmcnt(0)
	v_and_b32_e32 v5, 1, v5
	v_cmp_eq_u32_e64 s4, 1, v5
	s_xor_b32 s0, s4, -1
	s_mov_b32 s4, s5
	s_and_saveexec_b32 s74, s0
; %bb.280:
	v_cmp_gt_f32_e64 s4, v0, v42
	s_and_b32 s4, s5, s4
	v_cndmask_b32_e64 v0, v42, v0, s4
	s_or_b32 s4, s5, exec_lo
; %bb.281:
	s_or_b32 exec_lo, exec_lo, s74
	s_andn2_b32 s0, s5, exec_lo
	s_and_b32 s4, s4, exec_lo
	s_or_b32 s5, s0, s4
	s_or_b32 exec_lo, exec_lo, s66
	s_and_saveexec_b32 s66, s2
	s_cbranch_execz .LBB719_161
.LBB719_282:
	global_load_ubyte v5, v[3:4], off offset:960
	s_waitcnt vmcnt(0)
	v_and_b32_e32 v5, 1, v5
	v_cmp_eq_u32_e64 s4, 1, v5
	s_xor_b32 s0, s4, -1
	s_mov_b32 s4, s5
	s_and_saveexec_b32 s74, s0
; %bb.283:
	v_cmp_gt_f32_e64 s4, v0, v41
	s_and_b32 s4, s5, s4
	v_cndmask_b32_e64 v0, v41, v0, s4
	s_or_b32 s4, s5, exec_lo
; %bb.284:
	s_or_b32 exec_lo, exec_lo, s74
	s_andn2_b32 s0, s5, exec_lo
	s_and_b32 s4, s4, exec_lo
	s_or_b32 s5, s0, s4
	s_or_b32 exec_lo, exec_lo, s66
	s_and_saveexec_b32 s66, s1
	s_cbranch_execz .LBB719_162
.LBB719_285:
	global_load_ubyte v5, v[3:4], off offset:992
	s_waitcnt vmcnt(0)
	v_and_b32_e32 v5, 1, v5
	v_cmp_eq_u32_e64 s4, 1, v5
	s_xor_b32 s0, s4, -1
	s_mov_b32 s4, s5
	s_and_saveexec_b32 s74, s0
; %bb.286:
	v_cmp_gt_f32_e64 s4, v0, v40
	s_and_b32 s4, s5, s4
	v_cndmask_b32_e64 v0, v40, v0, s4
	s_or_b32 s4, s5, exec_lo
; %bb.287:
	s_or_b32 exec_lo, exec_lo, s74
	s_andn2_b32 s0, s5, exec_lo
	s_and_b32 s4, s4, exec_lo
	s_or_b32 s5, s0, s4
	s_or_b32 exec_lo, exec_lo, s66
	s_and_saveexec_b32 s66, vcc_hi
	s_cbranch_execz .LBB719_163
.LBB719_288:
	global_load_ubyte v5, v[3:4], off offset:1024
	s_waitcnt vmcnt(0)
	v_and_b32_e32 v5, 1, v5
	v_cmp_eq_u32_e64 s4, 1, v5
	s_xor_b32 s0, s4, -1
	s_mov_b32 s4, s5
	s_and_saveexec_b32 s74, s0
; %bb.289:
	v_cmp_gt_f32_e64 s4, v0, v39
	s_and_b32 s4, s5, s4
	v_cndmask_b32_e64 v0, v39, v0, s4
	s_or_b32 s4, s5, exec_lo
; %bb.290:
	s_or_b32 exec_lo, exec_lo, s74
	s_andn2_b32 s0, s5, exec_lo
	s_and_b32 s4, s4, exec_lo
	s_or_b32 s5, s0, s4
	s_or_b32 exec_lo, exec_lo, s66
	s_and_saveexec_b32 s66, s104
	s_cbranch_execz .LBB719_164
.LBB719_291:
	global_load_ubyte v5, v[3:4], off offset:1056
	s_waitcnt vmcnt(0)
	v_and_b32_e32 v5, 1, v5
	v_cmp_eq_u32_e64 s4, 1, v5
	s_xor_b32 s0, s4, -1
	s_mov_b32 s4, s5
	s_and_saveexec_b32 s74, s0
; %bb.292:
	v_cmp_gt_f32_e64 s4, v0, v38
	s_and_b32 s4, s5, s4
	v_cndmask_b32_e64 v0, v38, v0, s4
	s_or_b32 s4, s5, exec_lo
; %bb.293:
	s_or_b32 exec_lo, exec_lo, s74
	s_andn2_b32 s0, s5, exec_lo
	s_and_b32 s4, s4, exec_lo
	s_or_b32 s5, s0, s4
	s_or_b32 exec_lo, exec_lo, s66
	s_and_saveexec_b32 s66, s99
	s_cbranch_execz .LBB719_165
.LBB719_294:
	global_load_ubyte v5, v[3:4], off offset:1088
	s_waitcnt vmcnt(0)
	v_and_b32_e32 v5, 1, v5
	v_cmp_eq_u32_e64 s4, 1, v5
	s_xor_b32 s0, s4, -1
	s_mov_b32 s4, s5
	s_and_saveexec_b32 s74, s0
; %bb.295:
	v_cmp_gt_f32_e64 s4, v0, v37
	s_and_b32 s4, s5, s4
	v_cndmask_b32_e64 v0, v37, v0, s4
	s_or_b32 s4, s5, exec_lo
; %bb.296:
	s_or_b32 exec_lo, exec_lo, s74
	s_andn2_b32 s0, s5, exec_lo
	s_and_b32 s4, s4, exec_lo
	s_or_b32 s5, s0, s4
	s_or_b32 exec_lo, exec_lo, s66
	s_and_saveexec_b32 s66, s98
	s_cbranch_execz .LBB719_166
.LBB719_297:
	global_load_ubyte v5, v[3:4], off offset:1120
	s_waitcnt vmcnt(0)
	v_and_b32_e32 v5, 1, v5
	v_cmp_eq_u32_e64 s4, 1, v5
	s_xor_b32 s0, s4, -1
	s_mov_b32 s4, s5
	s_and_saveexec_b32 s74, s0
; %bb.298:
	v_cmp_gt_f32_e64 s4, v0, v36
	s_and_b32 s4, s5, s4
	v_cndmask_b32_e64 v0, v36, v0, s4
	s_or_b32 s4, s5, exec_lo
; %bb.299:
	s_or_b32 exec_lo, exec_lo, s74
	s_andn2_b32 s0, s5, exec_lo
	s_and_b32 s4, s4, exec_lo
	s_or_b32 s5, s0, s4
	s_or_b32 exec_lo, exec_lo, s66
	s_and_saveexec_b32 s66, s97
	s_cbranch_execz .LBB719_167
.LBB719_300:
	global_load_ubyte v5, v[3:4], off offset:1152
	s_waitcnt vmcnt(0)
	v_and_b32_e32 v5, 1, v5
	v_cmp_eq_u32_e64 s4, 1, v5
	s_xor_b32 s0, s4, -1
	s_mov_b32 s4, s5
	s_and_saveexec_b32 s74, s0
; %bb.301:
	v_cmp_gt_f32_e64 s4, v0, v35
	s_and_b32 s4, s5, s4
	v_cndmask_b32_e64 v0, v35, v0, s4
	s_or_b32 s4, s5, exec_lo
; %bb.302:
	s_or_b32 exec_lo, exec_lo, s74
	s_andn2_b32 s0, s5, exec_lo
	s_and_b32 s4, s4, exec_lo
	s_or_b32 s5, s0, s4
	s_or_b32 exec_lo, exec_lo, s66
	s_and_saveexec_b32 s66, s96
	s_cbranch_execz .LBB719_168
.LBB719_303:
	global_load_ubyte v5, v[3:4], off offset:1184
	s_waitcnt vmcnt(0)
	v_and_b32_e32 v5, 1, v5
	v_cmp_eq_u32_e64 s4, 1, v5
	s_xor_b32 s0, s4, -1
	s_mov_b32 s4, s5
	s_and_saveexec_b32 s74, s0
; %bb.304:
	v_cmp_gt_f32_e64 s4, v0, v34
	s_and_b32 s4, s5, s4
	v_cndmask_b32_e64 v0, v34, v0, s4
	s_or_b32 s4, s5, exec_lo
; %bb.305:
	s_or_b32 exec_lo, exec_lo, s74
	s_andn2_b32 s0, s5, exec_lo
	s_and_b32 s4, s4, exec_lo
	s_or_b32 s5, s0, s4
	s_or_b32 exec_lo, exec_lo, s66
	s_and_saveexec_b32 s66, s95
	s_cbranch_execz .LBB719_169
.LBB719_306:
	global_load_ubyte v5, v[3:4], off offset:1216
	s_waitcnt vmcnt(0)
	v_and_b32_e32 v5, 1, v5
	v_cmp_eq_u32_e64 s4, 1, v5
	s_xor_b32 s0, s4, -1
	s_mov_b32 s4, s5
	s_and_saveexec_b32 s74, s0
; %bb.307:
	v_cmp_gt_f32_e64 s4, v0, v33
	s_and_b32 s4, s5, s4
	v_cndmask_b32_e64 v0, v33, v0, s4
	s_or_b32 s4, s5, exec_lo
; %bb.308:
	s_or_b32 exec_lo, exec_lo, s74
	s_andn2_b32 s0, s5, exec_lo
	s_and_b32 s4, s4, exec_lo
	s_or_b32 s5, s0, s4
	s_or_b32 exec_lo, exec_lo, s66
	s_and_saveexec_b32 s66, s94
	s_cbranch_execz .LBB719_170
.LBB719_309:
	global_load_ubyte v5, v[3:4], off offset:1248
	s_waitcnt vmcnt(0)
	v_and_b32_e32 v5, 1, v5
	v_cmp_eq_u32_e64 s4, 1, v5
	s_xor_b32 s0, s4, -1
	s_mov_b32 s4, s5
	s_and_saveexec_b32 s74, s0
; %bb.310:
	v_cmp_gt_f32_e64 s4, v0, v32
	s_and_b32 s4, s5, s4
	v_cndmask_b32_e64 v0, v32, v0, s4
	s_or_b32 s4, s5, exec_lo
; %bb.311:
	s_or_b32 exec_lo, exec_lo, s74
	s_andn2_b32 s0, s5, exec_lo
	s_and_b32 s4, s4, exec_lo
	s_or_b32 s5, s0, s4
	s_or_b32 exec_lo, exec_lo, s66
	s_and_saveexec_b32 s66, s93
	s_cbranch_execz .LBB719_171
.LBB719_312:
	global_load_ubyte v5, v[3:4], off offset:1280
	s_waitcnt vmcnt(0)
	v_and_b32_e32 v5, 1, v5
	v_cmp_eq_u32_e64 s4, 1, v5
	s_xor_b32 s0, s4, -1
	s_mov_b32 s4, s5
	s_and_saveexec_b32 s74, s0
; %bb.313:
	v_cmp_gt_f32_e64 s4, v0, v31
	s_and_b32 s4, s5, s4
	v_cndmask_b32_e64 v0, v31, v0, s4
	s_or_b32 s4, s5, exec_lo
; %bb.314:
	s_or_b32 exec_lo, exec_lo, s74
	s_andn2_b32 s0, s5, exec_lo
	s_and_b32 s4, s4, exec_lo
	s_or_b32 s5, s0, s4
	s_or_b32 exec_lo, exec_lo, s66
	s_and_saveexec_b32 s66, s92
	s_cbranch_execz .LBB719_172
.LBB719_315:
	global_load_ubyte v5, v[3:4], off offset:1312
	s_waitcnt vmcnt(0)
	v_and_b32_e32 v5, 1, v5
	v_cmp_eq_u32_e64 s4, 1, v5
	s_xor_b32 s0, s4, -1
	s_mov_b32 s4, s5
	s_and_saveexec_b32 s74, s0
; %bb.316:
	v_cmp_gt_f32_e64 s4, v0, v30
	s_and_b32 s4, s5, s4
	v_cndmask_b32_e64 v0, v30, v0, s4
	s_or_b32 s4, s5, exec_lo
; %bb.317:
	s_or_b32 exec_lo, exec_lo, s74
	s_andn2_b32 s0, s5, exec_lo
	s_and_b32 s4, s4, exec_lo
	s_or_b32 s5, s0, s4
	s_or_b32 exec_lo, exec_lo, s66
	s_and_saveexec_b32 s66, s91
	s_cbranch_execz .LBB719_173
.LBB719_318:
	global_load_ubyte v5, v[3:4], off offset:1344
	s_waitcnt vmcnt(0)
	v_and_b32_e32 v5, 1, v5
	v_cmp_eq_u32_e64 s4, 1, v5
	s_xor_b32 s0, s4, -1
	s_mov_b32 s4, s5
	s_and_saveexec_b32 s74, s0
; %bb.319:
	v_cmp_gt_f32_e64 s4, v0, v29
	s_and_b32 s4, s5, s4
	v_cndmask_b32_e64 v0, v29, v0, s4
	s_or_b32 s4, s5, exec_lo
; %bb.320:
	s_or_b32 exec_lo, exec_lo, s74
	s_andn2_b32 s0, s5, exec_lo
	s_and_b32 s4, s4, exec_lo
	s_or_b32 s5, s0, s4
	s_or_b32 exec_lo, exec_lo, s66
	s_and_saveexec_b32 s66, s90
	s_cbranch_execz .LBB719_174
.LBB719_321:
	global_load_ubyte v5, v[3:4], off offset:1376
	s_waitcnt vmcnt(0)
	v_and_b32_e32 v5, 1, v5
	v_cmp_eq_u32_e64 s4, 1, v5
	s_xor_b32 s0, s4, -1
	s_mov_b32 s4, s5
	s_and_saveexec_b32 s74, s0
; %bb.322:
	v_cmp_gt_f32_e64 s4, v0, v28
	s_and_b32 s4, s5, s4
	v_cndmask_b32_e64 v0, v28, v0, s4
	s_or_b32 s4, s5, exec_lo
; %bb.323:
	s_or_b32 exec_lo, exec_lo, s74
	s_andn2_b32 s0, s5, exec_lo
	s_and_b32 s4, s4, exec_lo
	s_or_b32 s5, s0, s4
	s_or_b32 exec_lo, exec_lo, s66
	s_and_saveexec_b32 s66, s89
	s_cbranch_execz .LBB719_175
.LBB719_324:
	global_load_ubyte v5, v[3:4], off offset:1408
	s_waitcnt vmcnt(0)
	v_and_b32_e32 v5, 1, v5
	v_cmp_eq_u32_e64 s4, 1, v5
	s_xor_b32 s0, s4, -1
	s_mov_b32 s4, s5
	s_and_saveexec_b32 s74, s0
; %bb.325:
	v_cmp_gt_f32_e64 s4, v0, v27
	s_and_b32 s4, s5, s4
	v_cndmask_b32_e64 v0, v27, v0, s4
	s_or_b32 s4, s5, exec_lo
; %bb.326:
	s_or_b32 exec_lo, exec_lo, s74
	s_andn2_b32 s0, s5, exec_lo
	s_and_b32 s4, s4, exec_lo
	s_or_b32 s5, s0, s4
	s_or_b32 exec_lo, exec_lo, s66
	s_and_saveexec_b32 s66, s88
	s_cbranch_execz .LBB719_176
.LBB719_327:
	global_load_ubyte v5, v[3:4], off offset:1440
	s_waitcnt vmcnt(0)
	v_and_b32_e32 v5, 1, v5
	v_cmp_eq_u32_e64 s4, 1, v5
	s_xor_b32 s0, s4, -1
	s_mov_b32 s4, s5
	s_and_saveexec_b32 s74, s0
; %bb.328:
	v_cmp_gt_f32_e64 s4, v0, v26
	s_and_b32 s4, s5, s4
	v_cndmask_b32_e64 v0, v26, v0, s4
	s_or_b32 s4, s5, exec_lo
; %bb.329:
	s_or_b32 exec_lo, exec_lo, s74
	s_andn2_b32 s0, s5, exec_lo
	s_and_b32 s4, s4, exec_lo
	s_or_b32 s5, s0, s4
	s_or_b32 exec_lo, exec_lo, s66
	s_and_saveexec_b32 s66, s87
	s_cbranch_execz .LBB719_177
.LBB719_330:
	global_load_ubyte v5, v[3:4], off offset:1472
	s_waitcnt vmcnt(0)
	v_and_b32_e32 v5, 1, v5
	v_cmp_eq_u32_e64 s4, 1, v5
	s_xor_b32 s0, s4, -1
	s_mov_b32 s4, s5
	s_and_saveexec_b32 s74, s0
; %bb.331:
	v_cmp_gt_f32_e64 s4, v0, v25
	s_and_b32 s4, s5, s4
	v_cndmask_b32_e64 v0, v25, v0, s4
	s_or_b32 s4, s5, exec_lo
; %bb.332:
	s_or_b32 exec_lo, exec_lo, s74
	s_andn2_b32 s0, s5, exec_lo
	s_and_b32 s4, s4, exec_lo
	s_or_b32 s5, s0, s4
	s_or_b32 exec_lo, exec_lo, s66
	s_and_saveexec_b32 s66, s86
	s_cbranch_execz .LBB719_178
.LBB719_333:
	global_load_ubyte v5, v[3:4], off offset:1504
	s_waitcnt vmcnt(0)
	v_and_b32_e32 v5, 1, v5
	v_cmp_eq_u32_e64 s4, 1, v5
	s_xor_b32 s0, s4, -1
	s_mov_b32 s4, s5
	s_and_saveexec_b32 s74, s0
; %bb.334:
	v_cmp_gt_f32_e64 s4, v0, v24
	s_and_b32 s4, s5, s4
	v_cndmask_b32_e64 v0, v24, v0, s4
	s_or_b32 s4, s5, exec_lo
; %bb.335:
	s_or_b32 exec_lo, exec_lo, s74
	s_andn2_b32 s0, s5, exec_lo
	s_and_b32 s4, s4, exec_lo
	s_or_b32 s5, s0, s4
	s_or_b32 exec_lo, exec_lo, s66
	s_and_saveexec_b32 s66, s85
	s_cbranch_execz .LBB719_179
.LBB719_336:
	global_load_ubyte v5, v[3:4], off offset:1536
	s_waitcnt vmcnt(0)
	v_and_b32_e32 v5, 1, v5
	v_cmp_eq_u32_e64 s4, 1, v5
	s_xor_b32 s0, s4, -1
	s_mov_b32 s4, s5
	s_and_saveexec_b32 s74, s0
; %bb.337:
	v_cmp_gt_f32_e64 s4, v0, v23
	s_and_b32 s4, s5, s4
	v_cndmask_b32_e64 v0, v23, v0, s4
	s_or_b32 s4, s5, exec_lo
; %bb.338:
	s_or_b32 exec_lo, exec_lo, s74
	s_andn2_b32 s0, s5, exec_lo
	s_and_b32 s4, s4, exec_lo
	s_or_b32 s5, s0, s4
	s_or_b32 exec_lo, exec_lo, s66
	s_and_saveexec_b32 s66, s84
	s_cbranch_execz .LBB719_180
.LBB719_339:
	global_load_ubyte v5, v[3:4], off offset:1568
	s_waitcnt vmcnt(0)
	v_and_b32_e32 v5, 1, v5
	v_cmp_eq_u32_e64 s4, 1, v5
	s_xor_b32 s0, s4, -1
	s_mov_b32 s4, s5
	s_and_saveexec_b32 s74, s0
; %bb.340:
	v_cmp_gt_f32_e64 s4, v0, v22
	s_and_b32 s4, s5, s4
	v_cndmask_b32_e64 v0, v22, v0, s4
	s_or_b32 s4, s5, exec_lo
; %bb.341:
	s_or_b32 exec_lo, exec_lo, s74
	s_andn2_b32 s0, s5, exec_lo
	s_and_b32 s4, s4, exec_lo
	s_or_b32 s5, s0, s4
	s_or_b32 exec_lo, exec_lo, s66
	s_and_saveexec_b32 s66, s83
	s_cbranch_execz .LBB719_181
.LBB719_342:
	global_load_ubyte v5, v[3:4], off offset:1600
	s_waitcnt vmcnt(0)
	v_and_b32_e32 v5, 1, v5
	v_cmp_eq_u32_e64 s4, 1, v5
	s_xor_b32 s0, s4, -1
	s_mov_b32 s4, s5
	s_and_saveexec_b32 s74, s0
; %bb.343:
	v_cmp_gt_f32_e64 s4, v0, v21
	s_and_b32 s4, s5, s4
	v_cndmask_b32_e64 v0, v21, v0, s4
	s_or_b32 s4, s5, exec_lo
; %bb.344:
	s_or_b32 exec_lo, exec_lo, s74
	s_andn2_b32 s0, s5, exec_lo
	s_and_b32 s4, s4, exec_lo
	s_or_b32 s5, s0, s4
	s_or_b32 exec_lo, exec_lo, s66
	s_and_saveexec_b32 s66, s82
	s_cbranch_execz .LBB719_182
.LBB719_345:
	global_load_ubyte v5, v[3:4], off offset:1632
	s_waitcnt vmcnt(0)
	v_and_b32_e32 v5, 1, v5
	v_cmp_eq_u32_e64 s4, 1, v5
	s_xor_b32 s0, s4, -1
	s_mov_b32 s4, s5
	s_and_saveexec_b32 s74, s0
; %bb.346:
	v_cmp_gt_f32_e64 s4, v0, v20
	s_and_b32 s4, s5, s4
	v_cndmask_b32_e64 v0, v20, v0, s4
	s_or_b32 s4, s5, exec_lo
; %bb.347:
	s_or_b32 exec_lo, exec_lo, s74
	s_andn2_b32 s0, s5, exec_lo
	s_and_b32 s4, s4, exec_lo
	s_or_b32 s5, s0, s4
	s_or_b32 exec_lo, exec_lo, s66
	s_and_saveexec_b32 s66, s81
	s_cbranch_execz .LBB719_183
.LBB719_348:
	global_load_ubyte v5, v[3:4], off offset:1664
	s_waitcnt vmcnt(0)
	v_and_b32_e32 v5, 1, v5
	v_cmp_eq_u32_e64 s4, 1, v5
	s_xor_b32 s0, s4, -1
	s_mov_b32 s4, s5
	s_and_saveexec_b32 s74, s0
; %bb.349:
	v_cmp_gt_f32_e64 s4, v0, v19
	s_and_b32 s4, s5, s4
	v_cndmask_b32_e64 v0, v19, v0, s4
	s_or_b32 s4, s5, exec_lo
; %bb.350:
	s_or_b32 exec_lo, exec_lo, s74
	s_andn2_b32 s0, s5, exec_lo
	s_and_b32 s4, s4, exec_lo
	s_or_b32 s5, s0, s4
	s_or_b32 exec_lo, exec_lo, s66
	s_and_saveexec_b32 s66, s80
	s_cbranch_execz .LBB719_184
.LBB719_351:
	global_load_ubyte v5, v[3:4], off offset:1696
	s_waitcnt vmcnt(0)
	v_and_b32_e32 v5, 1, v5
	v_cmp_eq_u32_e64 s4, 1, v5
	s_xor_b32 s0, s4, -1
	s_mov_b32 s4, s5
	s_and_saveexec_b32 s74, s0
; %bb.352:
	v_cmp_gt_f32_e64 s4, v0, v18
	s_and_b32 s4, s5, s4
	v_cndmask_b32_e64 v0, v18, v0, s4
	s_or_b32 s4, s5, exec_lo
; %bb.353:
	s_or_b32 exec_lo, exec_lo, s74
	s_andn2_b32 s0, s5, exec_lo
	s_and_b32 s4, s4, exec_lo
	s_or_b32 s5, s0, s4
	s_or_b32 exec_lo, exec_lo, s66
	s_and_saveexec_b32 s66, s79
	s_cbranch_execz .LBB719_185
.LBB719_354:
	global_load_ubyte v5, v[3:4], off offset:1728
	s_waitcnt vmcnt(0)
	v_and_b32_e32 v5, 1, v5
	v_cmp_eq_u32_e64 s4, 1, v5
	s_xor_b32 s0, s4, -1
	s_mov_b32 s4, s5
	s_and_saveexec_b32 s74, s0
; %bb.355:
	v_cmp_gt_f32_e64 s4, v0, v17
	s_and_b32 s4, s5, s4
	v_cndmask_b32_e64 v0, v17, v0, s4
	s_or_b32 s4, s5, exec_lo
; %bb.356:
	s_or_b32 exec_lo, exec_lo, s74
	s_andn2_b32 s0, s5, exec_lo
	s_and_b32 s4, s4, exec_lo
	s_or_b32 s5, s0, s4
	s_or_b32 exec_lo, exec_lo, s66
	s_and_saveexec_b32 s66, s78
	s_cbranch_execz .LBB719_186
.LBB719_357:
	global_load_ubyte v5, v[3:4], off offset:1760
	s_waitcnt vmcnt(0)
	v_and_b32_e32 v5, 1, v5
	v_cmp_eq_u32_e64 s4, 1, v5
	s_xor_b32 s0, s4, -1
	s_mov_b32 s4, s5
	s_and_saveexec_b32 s74, s0
; %bb.358:
	v_cmp_gt_f32_e64 s4, v0, v16
	s_and_b32 s4, s5, s4
	v_cndmask_b32_e64 v0, v16, v0, s4
	s_or_b32 s4, s5, exec_lo
; %bb.359:
	s_or_b32 exec_lo, exec_lo, s74
	s_andn2_b32 s0, s5, exec_lo
	s_and_b32 s4, s4, exec_lo
	s_or_b32 s5, s0, s4
	s_or_b32 exec_lo, exec_lo, s66
	s_and_saveexec_b32 s66, s77
	s_cbranch_execz .LBB719_187
.LBB719_360:
	global_load_ubyte v5, v[3:4], off offset:1792
	s_waitcnt vmcnt(0)
	v_and_b32_e32 v5, 1, v5
	v_cmp_eq_u32_e64 s4, 1, v5
	s_xor_b32 s0, s4, -1
	s_mov_b32 s4, s5
	s_and_saveexec_b32 s74, s0
; %bb.361:
	v_cmp_gt_f32_e64 s4, v0, v15
	s_and_b32 s4, s5, s4
	v_cndmask_b32_e64 v0, v15, v0, s4
	s_or_b32 s4, s5, exec_lo
; %bb.362:
	s_or_b32 exec_lo, exec_lo, s74
	s_andn2_b32 s0, s5, exec_lo
	s_and_b32 s4, s4, exec_lo
	s_or_b32 s5, s0, s4
	s_or_b32 exec_lo, exec_lo, s66
	s_and_saveexec_b32 s66, s76
	s_cbranch_execz .LBB719_188
.LBB719_363:
	global_load_ubyte v5, v[3:4], off offset:1824
	s_waitcnt vmcnt(0)
	v_and_b32_e32 v5, 1, v5
	v_cmp_eq_u32_e64 s4, 1, v5
	s_xor_b32 s0, s4, -1
	s_mov_b32 s4, s5
	s_and_saveexec_b32 s74, s0
; %bb.364:
	v_cmp_gt_f32_e64 s4, v0, v14
	s_and_b32 s4, s5, s4
	v_cndmask_b32_e64 v0, v14, v0, s4
	s_or_b32 s4, s5, exec_lo
; %bb.365:
	s_or_b32 exec_lo, exec_lo, s74
	s_andn2_b32 s0, s5, exec_lo
	s_and_b32 s4, s4, exec_lo
	s_or_b32 s5, s0, s4
	s_or_b32 exec_lo, exec_lo, s66
	s_and_saveexec_b32 s66, s75
	s_cbranch_execz .LBB719_189
.LBB719_366:
	global_load_ubyte v5, v[3:4], off offset:1856
	s_waitcnt vmcnt(0)
	v_and_b32_e32 v5, 1, v5
	v_cmp_eq_u32_e64 s4, 1, v5
	s_xor_b32 s0, s4, -1
	s_mov_b32 s4, s5
	s_and_saveexec_b32 s74, s0
; %bb.367:
	v_cmp_gt_f32_e64 s4, v0, v13
	s_and_b32 s4, s5, s4
	v_cndmask_b32_e64 v0, v13, v0, s4
	s_or_b32 s4, s5, exec_lo
; %bb.368:
	s_or_b32 exec_lo, exec_lo, s74
	s_andn2_b32 s0, s5, exec_lo
	s_and_b32 s4, s4, exec_lo
	s_or_b32 s5, s0, s4
	s_or_b32 exec_lo, exec_lo, s66
	s_and_saveexec_b32 s66, s73
	s_cbranch_execz .LBB719_190
.LBB719_369:
	global_load_ubyte v5, v[3:4], off offset:1888
	s_waitcnt vmcnt(0)
	v_and_b32_e32 v5, 1, v5
	v_cmp_eq_u32_e64 s4, 1, v5
	s_xor_b32 s0, s4, -1
	s_mov_b32 s4, s5
	s_and_saveexec_b32 s74, s0
; %bb.370:
	v_cmp_gt_f32_e64 s4, v0, v12
	s_and_b32 s4, s5, s4
	v_cndmask_b32_e64 v0, v12, v0, s4
	s_or_b32 s4, s5, exec_lo
; %bb.371:
	s_or_b32 exec_lo, exec_lo, s74
	s_andn2_b32 s0, s5, exec_lo
	s_and_b32 s4, s4, exec_lo
	s_or_b32 s5, s0, s4
	s_or_b32 exec_lo, exec_lo, s66
	s_and_saveexec_b32 s66, s72
	s_cbranch_execz .LBB719_191
.LBB719_372:
	global_load_ubyte v5, v[3:4], off offset:1920
	s_waitcnt vmcnt(0)
	v_and_b32_e32 v5, 1, v5
	v_cmp_eq_u32_e64 s4, 1, v5
	s_xor_b32 s0, s4, -1
	s_mov_b32 s4, s5
	s_and_saveexec_b32 s74, s0
; %bb.373:
	v_cmp_gt_f32_e64 s4, v0, v11
	s_and_b32 s4, s5, s4
	v_cndmask_b32_e64 v0, v11, v0, s4
	s_or_b32 s4, s5, exec_lo
; %bb.374:
	s_or_b32 exec_lo, exec_lo, s74
	s_andn2_b32 s0, s5, exec_lo
	s_and_b32 s4, s4, exec_lo
	s_or_b32 s5, s0, s4
	s_or_b32 exec_lo, exec_lo, s66
	s_and_saveexec_b32 s66, s71
	s_cbranch_execz .LBB719_192
.LBB719_375:
	global_load_ubyte v5, v[3:4], off offset:1952
	s_waitcnt vmcnt(0)
	v_and_b32_e32 v5, 1, v5
	v_cmp_eq_u32_e64 s4, 1, v5
	s_xor_b32 s0, s4, -1
	s_mov_b32 s4, s5
	s_and_saveexec_b32 s74, s0
; %bb.376:
	v_cmp_gt_f32_e64 s4, v0, v10
	s_and_b32 s4, s5, s4
	v_cndmask_b32_e64 v0, v10, v0, s4
	s_or_b32 s4, s5, exec_lo
; %bb.377:
	s_or_b32 exec_lo, exec_lo, s74
	s_andn2_b32 s0, s5, exec_lo
	s_and_b32 s4, s4, exec_lo
	s_or_b32 s5, s0, s4
	s_or_b32 exec_lo, exec_lo, s66
	s_and_saveexec_b32 s66, s70
	s_cbranch_execz .LBB719_193
.LBB719_378:
	global_load_ubyte v5, v[3:4], off offset:1984
	s_waitcnt vmcnt(0)
	v_and_b32_e32 v5, 1, v5
	v_cmp_eq_u32_e64 s4, 1, v5
	s_xor_b32 s0, s4, -1
	s_mov_b32 s4, s5
	s_and_saveexec_b32 s74, s0
; %bb.379:
	v_cmp_gt_f32_e64 s4, v0, v9
	s_and_b32 s4, s5, s4
	v_cndmask_b32_e64 v0, v9, v0, s4
	s_or_b32 s4, s5, exec_lo
; %bb.380:
	s_or_b32 exec_lo, exec_lo, s74
	s_andn2_b32 s0, s5, exec_lo
	s_and_b32 s4, s4, exec_lo
	s_or_b32 s5, s0, s4
	s_or_b32 exec_lo, exec_lo, s66
	s_and_saveexec_b32 s66, s67
	s_cbranch_execz .LBB719_384
.LBB719_381:
	global_load_ubyte v5, v[3:4], off offset:2016
	s_waitcnt vmcnt(0)
	v_and_b32_e32 v5, 1, v5
	v_cmp_eq_u32_e64 s4, 1, v5
	s_xor_b32 s0, s4, -1
	s_mov_b32 s4, s5
	s_and_saveexec_b32 s74, s0
; %bb.382:
	v_cmp_gt_f32_e64 s4, v0, v8
	s_and_b32 s4, s5, s4
	v_cndmask_b32_e64 v0, v8, v0, s4
	s_or_b32 s4, s5, exec_lo
; %bb.383:
	s_or_b32 exec_lo, exec_lo, s74
	s_andn2_b32 s0, s5, exec_lo
	s_and_b32 s4, s4, exec_lo
	s_or_b32 s5, s0, s4
.LBB719_384:
	s_or_b32 exec_lo, exec_lo, s66
	v_mbcnt_lo_u32_b32 v5, -1, 0
	v_cndmask_b32_e64 v72, 0xff800000, v0, s5
	v_xor_b32_e32 v6, 16, v5
	v_cmp_gt_i32_e64 s4, 32, v6
	v_cndmask_b32_e64 v6, v5, v6, s4
	v_lshlrev_b32_e32 v0, 2, v6
	v_xor_b32_e32 v6, 8, v5
	ds_bpermute_b32 v73, v0, v72
	v_cmp_gt_i32_e64 s4, 32, v6
	v_cndmask_b32_e64 v6, v5, v6, s4
	v_lshlrev_b32_e32 v6, 2, v6
	s_waitcnt lgkmcnt(0)
	v_cmp_lt_f32_e64 s4, v72, v73
	v_cndmask_b32_e64 v73, v72, v73, s4
	v_xor_b32_e32 v72, 4, v5
	ds_bpermute_b32 v74, v6, v73
	v_cmp_gt_i32_e64 s4, 32, v72
	v_cndmask_b32_e64 v72, v5, v72, s4
	v_lshlrev_b32_e32 v72, 2, v72
	s_waitcnt lgkmcnt(0)
	v_cmp_lt_f32_e64 s4, v73, v74
	v_cndmask_b32_e64 v74, v73, v74, s4
	;; [unrolled: 8-line block ×3, first 2 shown]
	v_xor_b32_e32 v74, 1, v5
	ds_bpermute_b32 v76, v73, v75
	v_cmp_gt_i32_e64 s4, 32, v74
	v_cndmask_b32_e64 v5, v5, v74, s4
	v_lshlrev_b32_e32 v74, 2, v5
	v_mov_b32_e32 v5, 0
	s_waitcnt lgkmcnt(0)
	v_cmp_lt_f32_e64 s4, v75, v76
	v_cndmask_b32_e64 v75, v75, v76, s4
	ds_bpermute_b32 v76, v74, v75
	s_waitcnt lgkmcnt(0)
	v_cmp_lt_f32_e64 s4, v75, v76
	v_cndmask_b32_e64 v76, v75, v76, s4
	v_mov_b32_e32 v75, 0
	s_and_saveexec_b32 s5, s35
	s_cbranch_execz .LBB719_388
; %bb.385:
	global_load_ubyte v75, v[3:4], off
	s_waitcnt vmcnt(0)
	v_and_b32_e32 v75, 1, v75
	v_cmp_eq_u32_e64 s4, 1, v75
	v_mov_b32_e32 v75, 0
	s_xor_b32 s0, s4, -1
	s_and_saveexec_b32 s35, s0
	s_cbranch_execz .LBB719_387
; %bb.386:
	v_sub_f32_e32 v71, v71, v76
	v_mul_f32_e32 v75, 0x3fb8aa3b, v71
	v_cmp_ngt_f32_e64 s4, 0xc2ce8ed0, v71
	v_fma_f32 v77, 0x3fb8aa3b, v71, -v75
	v_rndne_f32_e32 v78, v75
	v_fmamk_f32 v77, v71, 0x32a5705f, v77
	v_sub_f32_e32 v75, v75, v78
	v_add_f32_e32 v75, v75, v77
	v_cvt_i32_f32_e32 v77, v78
	v_exp_f32_e32 v75, v75
	v_ldexp_f32 v75, v75, v77
	v_cndmask_b32_e64 v75, 0, v75, s4
	v_cmp_nlt_f32_e64 s4, 0x42b17218, v71
	v_cndmask_b32_e64 v75, 0x7f800000, v75, s4
.LBB719_387:
	s_or_b32 exec_lo, exec_lo, s35
.LBB719_388:
	s_or_b32 exec_lo, exec_lo, s5
	v_mov_b32_e32 v77, v75
	s_and_saveexec_b32 s5, s34
	s_cbranch_execz .LBB719_392
; %bb.389:
	global_load_ubyte v5, v[3:4], off offset:32
	v_mov_b32_e32 v77, v75
	s_waitcnt vmcnt(0)
	v_and_b32_e32 v5, 1, v5
	v_cmp_eq_u32_e64 s4, 1, v5
	v_mov_b32_e32 v5, 0
	s_xor_b32 s0, s4, -1
	s_and_saveexec_b32 s34, s0
	s_cbranch_execz .LBB719_391
; %bb.390:
	v_sub_f32_e32 v5, v70, v76
	v_mul_f32_e32 v70, 0x3fb8aa3b, v5
	v_cmp_ngt_f32_e64 s4, 0xc2ce8ed0, v5
	v_fma_f32 v71, 0x3fb8aa3b, v5, -v70
	v_rndne_f32_e32 v77, v70
	v_fmamk_f32 v71, v5, 0x32a5705f, v71
	v_sub_f32_e32 v70, v70, v77
	v_add_f32_e32 v70, v70, v71
	v_cvt_i32_f32_e32 v71, v77
	v_exp_f32_e32 v70, v70
	v_ldexp_f32 v70, v70, v71
	v_cndmask_b32_e64 v70, 0, v70, s4
	v_cmp_nlt_f32_e64 s4, 0x42b17218, v5
	v_cndmask_b32_e64 v5, 0x7f800000, v70, s4
	v_add_f32_e32 v77, v75, v5
.LBB719_391:
	s_or_b32 exec_lo, exec_lo, s34
.LBB719_392:
	s_or_b32 exec_lo, exec_lo, s5
	v_mov_b32_e32 v70, 0
	v_mov_b32_e32 v71, 0
	s_and_saveexec_b32 s5, s33
	s_cbranch_execz .LBB719_396
; %bb.393:
	global_load_ubyte v71, v[3:4], off offset:64
	s_waitcnt vmcnt(0)
	v_and_b32_e32 v71, 1, v71
	v_cmp_eq_u32_e64 s4, 1, v71
	v_mov_b32_e32 v71, 0
	s_xor_b32 s0, s4, -1
	s_and_saveexec_b32 s33, s0
	s_cbranch_execz .LBB719_395
; %bb.394:
	v_sub_f32_e32 v69, v69, v76
	v_mul_f32_e32 v71, 0x3fb8aa3b, v69
	v_cmp_ngt_f32_e64 s4, 0xc2ce8ed0, v69
	v_fma_f32 v78, 0x3fb8aa3b, v69, -v71
	v_rndne_f32_e32 v79, v71
	v_fmamk_f32 v78, v69, 0x32a5705f, v78
	v_sub_f32_e32 v71, v71, v79
	v_add_f32_e32 v71, v71, v78
	v_cvt_i32_f32_e32 v78, v79
	v_exp_f32_e32 v71, v71
	v_ldexp_f32 v71, v71, v78
	v_cndmask_b32_e64 v71, 0, v71, s4
	v_cmp_nlt_f32_e64 s4, 0x42b17218, v69
	v_cndmask_b32_e64 v71, 0x7f800000, v71, s4
	v_add_f32_e32 v77, v77, v71
.LBB719_395:
	s_or_b32 exec_lo, exec_lo, s33
.LBB719_396:
	s_or_b32 exec_lo, exec_lo, s5
	s_and_saveexec_b32 s5, s31
	s_cbranch_execz .LBB719_400
; %bb.397:
	global_load_ubyte v69, v[3:4], off offset:96
	v_mov_b32_e32 v70, 0
	s_waitcnt vmcnt(0)
	v_and_b32_e32 v69, 1, v69
	v_cmp_eq_u32_e64 s4, 1, v69
	s_xor_b32 s0, s4, -1
	s_and_saveexec_b32 s31, s0
	s_cbranch_execz .LBB719_399
; %bb.398:
	v_sub_f32_e32 v68, v68, v76
	v_mul_f32_e32 v69, 0x3fb8aa3b, v68
	v_cmp_ngt_f32_e64 s4, 0xc2ce8ed0, v68
	v_fma_f32 v70, 0x3fb8aa3b, v68, -v69
	v_rndne_f32_e32 v78, v69
	v_fmamk_f32 v70, v68, 0x32a5705f, v70
	v_sub_f32_e32 v69, v69, v78
	v_add_f32_e32 v69, v69, v70
	v_cvt_i32_f32_e32 v70, v78
	v_exp_f32_e32 v69, v69
	v_ldexp_f32 v69, v69, v70
	v_cndmask_b32_e64 v69, 0, v69, s4
	v_cmp_nlt_f32_e64 s4, 0x42b17218, v68
	v_cndmask_b32_e64 v70, 0x7f800000, v69, s4
	v_add_f32_e32 v77, v77, v70
.LBB719_399:
	s_or_b32 exec_lo, exec_lo, s31
.LBB719_400:
	s_or_b32 exec_lo, exec_lo, s5
	v_mov_b32_e32 v68, 0
	v_mov_b32_e32 v69, 0
	s_and_saveexec_b32 s5, s30
	s_cbranch_execz .LBB719_404
; %bb.401:
	global_load_ubyte v69, v[3:4], off offset:128
	s_waitcnt vmcnt(0)
	v_and_b32_e32 v69, 1, v69
	v_cmp_eq_u32_e64 s4, 1, v69
	v_mov_b32_e32 v69, 0
	s_xor_b32 s0, s4, -1
	s_and_saveexec_b32 s30, s0
	s_cbranch_execz .LBB719_403
; %bb.402:
	v_sub_f32_e32 v67, v67, v76
	v_mul_f32_e32 v69, 0x3fb8aa3b, v67
	v_cmp_ngt_f32_e64 s4, 0xc2ce8ed0, v67
	v_fma_f32 v78, 0x3fb8aa3b, v67, -v69
	v_rndne_f32_e32 v79, v69
	v_fmamk_f32 v78, v67, 0x32a5705f, v78
	v_sub_f32_e32 v69, v69, v79
	v_add_f32_e32 v69, v69, v78
	v_cvt_i32_f32_e32 v78, v79
	v_exp_f32_e32 v69, v69
	v_ldexp_f32 v69, v69, v78
	v_cndmask_b32_e64 v69, 0, v69, s4
	v_cmp_nlt_f32_e64 s4, 0x42b17218, v67
	v_cndmask_b32_e64 v69, 0x7f800000, v69, s4
	v_add_f32_e32 v77, v77, v69
.LBB719_403:
	s_or_b32 exec_lo, exec_lo, s30
.LBB719_404:
	s_or_b32 exec_lo, exec_lo, s5
	s_and_saveexec_b32 s5, s29
	s_cbranch_execz .LBB719_408
; %bb.405:
	global_load_ubyte v67, v[3:4], off offset:160
	v_mov_b32_e32 v68, 0
	s_waitcnt vmcnt(0)
	v_and_b32_e32 v67, 1, v67
	v_cmp_eq_u32_e64 s4, 1, v67
	s_xor_b32 s0, s4, -1
	s_and_saveexec_b32 s29, s0
	s_cbranch_execz .LBB719_407
; %bb.406:
	v_sub_f32_e32 v66, v66, v76
	v_mul_f32_e32 v67, 0x3fb8aa3b, v66
	v_cmp_ngt_f32_e64 s4, 0xc2ce8ed0, v66
	v_fma_f32 v68, 0x3fb8aa3b, v66, -v67
	v_rndne_f32_e32 v78, v67
	v_fmamk_f32 v68, v66, 0x32a5705f, v68
	v_sub_f32_e32 v67, v67, v78
	v_add_f32_e32 v67, v67, v68
	v_cvt_i32_f32_e32 v68, v78
	v_exp_f32_e32 v67, v67
	v_ldexp_f32 v67, v67, v68
	v_cndmask_b32_e64 v67, 0, v67, s4
	v_cmp_nlt_f32_e64 s4, 0x42b17218, v66
	v_cndmask_b32_e64 v68, 0x7f800000, v67, s4
	v_add_f32_e32 v77, v77, v68
.LBB719_407:
	s_or_b32 exec_lo, exec_lo, s29
.LBB719_408:
	s_or_b32 exec_lo, exec_lo, s5
	v_mov_b32_e32 v66, 0
	v_mov_b32_e32 v67, 0
	s_and_saveexec_b32 s5, s28
	s_cbranch_execz .LBB719_412
; %bb.409:
	global_load_ubyte v67, v[3:4], off offset:192
	s_waitcnt vmcnt(0)
	v_and_b32_e32 v67, 1, v67
	v_cmp_eq_u32_e64 s4, 1, v67
	v_mov_b32_e32 v67, 0
	s_xor_b32 s0, s4, -1
	s_and_saveexec_b32 s28, s0
	s_cbranch_execz .LBB719_411
; %bb.410:
	v_sub_f32_e32 v65, v65, v76
	v_mul_f32_e32 v67, 0x3fb8aa3b, v65
	v_cmp_ngt_f32_e64 s4, 0xc2ce8ed0, v65
	v_fma_f32 v78, 0x3fb8aa3b, v65, -v67
	v_rndne_f32_e32 v79, v67
	v_fmamk_f32 v78, v65, 0x32a5705f, v78
	v_sub_f32_e32 v67, v67, v79
	v_add_f32_e32 v67, v67, v78
	v_cvt_i32_f32_e32 v78, v79
	v_exp_f32_e32 v67, v67
	v_ldexp_f32 v67, v67, v78
	v_cndmask_b32_e64 v67, 0, v67, s4
	v_cmp_nlt_f32_e64 s4, 0x42b17218, v65
	v_cndmask_b32_e64 v67, 0x7f800000, v67, s4
	v_add_f32_e32 v77, v77, v67
.LBB719_411:
	s_or_b32 exec_lo, exec_lo, s28
.LBB719_412:
	s_or_b32 exec_lo, exec_lo, s5
	s_and_saveexec_b32 s5, s27
	s_cbranch_execz .LBB719_416
; %bb.413:
	global_load_ubyte v65, v[3:4], off offset:224
	v_mov_b32_e32 v66, 0
	s_waitcnt vmcnt(0)
	v_and_b32_e32 v65, 1, v65
	v_cmp_eq_u32_e64 s4, 1, v65
	s_xor_b32 s0, s4, -1
	s_and_saveexec_b32 s27, s0
	s_cbranch_execz .LBB719_415
; %bb.414:
	v_sub_f32_e32 v64, v64, v76
	v_mul_f32_e32 v65, 0x3fb8aa3b, v64
	v_cmp_ngt_f32_e64 s4, 0xc2ce8ed0, v64
	v_fma_f32 v66, 0x3fb8aa3b, v64, -v65
	v_rndne_f32_e32 v78, v65
	v_fmamk_f32 v66, v64, 0x32a5705f, v66
	v_sub_f32_e32 v65, v65, v78
	v_add_f32_e32 v65, v65, v66
	v_cvt_i32_f32_e32 v66, v78
	v_exp_f32_e32 v65, v65
	v_ldexp_f32 v65, v65, v66
	v_cndmask_b32_e64 v65, 0, v65, s4
	v_cmp_nlt_f32_e64 s4, 0x42b17218, v64
	v_cndmask_b32_e64 v66, 0x7f800000, v65, s4
	v_add_f32_e32 v77, v77, v66
.LBB719_415:
	s_or_b32 exec_lo, exec_lo, s27
.LBB719_416:
	s_or_b32 exec_lo, exec_lo, s5
	v_mov_b32_e32 v64, 0
	v_mov_b32_e32 v65, 0
	s_and_saveexec_b32 s5, s26
	s_cbranch_execz .LBB719_420
; %bb.417:
	global_load_ubyte v65, v[3:4], off offset:256
	s_waitcnt vmcnt(0)
	v_and_b32_e32 v65, 1, v65
	v_cmp_eq_u32_e64 s4, 1, v65
	v_mov_b32_e32 v65, 0
	s_xor_b32 s0, s4, -1
	s_and_saveexec_b32 s26, s0
	s_cbranch_execz .LBB719_419
; %bb.418:
	v_sub_f32_e32 v63, v63, v76
	v_mul_f32_e32 v65, 0x3fb8aa3b, v63
	v_cmp_ngt_f32_e64 s4, 0xc2ce8ed0, v63
	v_fma_f32 v78, 0x3fb8aa3b, v63, -v65
	v_rndne_f32_e32 v79, v65
	v_fmamk_f32 v78, v63, 0x32a5705f, v78
	v_sub_f32_e32 v65, v65, v79
	v_add_f32_e32 v65, v65, v78
	v_cvt_i32_f32_e32 v78, v79
	v_exp_f32_e32 v65, v65
	v_ldexp_f32 v65, v65, v78
	v_cndmask_b32_e64 v65, 0, v65, s4
	v_cmp_nlt_f32_e64 s4, 0x42b17218, v63
	v_cndmask_b32_e64 v65, 0x7f800000, v65, s4
	v_add_f32_e32 v77, v77, v65
.LBB719_419:
	s_or_b32 exec_lo, exec_lo, s26
.LBB719_420:
	s_or_b32 exec_lo, exec_lo, s5
	s_and_saveexec_b32 s5, s25
	s_cbranch_execz .LBB719_424
; %bb.421:
	global_load_ubyte v63, v[3:4], off offset:288
	v_mov_b32_e32 v64, 0
	s_waitcnt vmcnt(0)
	v_and_b32_e32 v63, 1, v63
	v_cmp_eq_u32_e64 s4, 1, v63
	s_xor_b32 s0, s4, -1
	s_and_saveexec_b32 s25, s0
	s_cbranch_execz .LBB719_423
; %bb.422:
	v_sub_f32_e32 v62, v62, v76
	v_mul_f32_e32 v63, 0x3fb8aa3b, v62
	v_cmp_ngt_f32_e64 s4, 0xc2ce8ed0, v62
	v_fma_f32 v64, 0x3fb8aa3b, v62, -v63
	v_rndne_f32_e32 v78, v63
	v_fmamk_f32 v64, v62, 0x32a5705f, v64
	v_sub_f32_e32 v63, v63, v78
	v_add_f32_e32 v63, v63, v64
	v_cvt_i32_f32_e32 v64, v78
	v_exp_f32_e32 v63, v63
	v_ldexp_f32 v63, v63, v64
	v_cndmask_b32_e64 v63, 0, v63, s4
	v_cmp_nlt_f32_e64 s4, 0x42b17218, v62
	v_cndmask_b32_e64 v64, 0x7f800000, v63, s4
	v_add_f32_e32 v77, v77, v64
.LBB719_423:
	s_or_b32 exec_lo, exec_lo, s25
.LBB719_424:
	s_or_b32 exec_lo, exec_lo, s5
	v_mov_b32_e32 v62, 0
	v_mov_b32_e32 v63, 0
	s_and_saveexec_b32 s5, s24
	s_cbranch_execz .LBB719_428
; %bb.425:
	global_load_ubyte v63, v[3:4], off offset:320
	s_waitcnt vmcnt(0)
	v_and_b32_e32 v63, 1, v63
	v_cmp_eq_u32_e64 s4, 1, v63
	v_mov_b32_e32 v63, 0
	s_xor_b32 s0, s4, -1
	s_and_saveexec_b32 s24, s0
	s_cbranch_execz .LBB719_427
; %bb.426:
	v_sub_f32_e32 v61, v61, v76
	v_mul_f32_e32 v63, 0x3fb8aa3b, v61
	v_cmp_ngt_f32_e64 s4, 0xc2ce8ed0, v61
	v_fma_f32 v78, 0x3fb8aa3b, v61, -v63
	v_rndne_f32_e32 v79, v63
	v_fmamk_f32 v78, v61, 0x32a5705f, v78
	v_sub_f32_e32 v63, v63, v79
	v_add_f32_e32 v63, v63, v78
	v_cvt_i32_f32_e32 v78, v79
	v_exp_f32_e32 v63, v63
	v_ldexp_f32 v63, v63, v78
	v_cndmask_b32_e64 v63, 0, v63, s4
	v_cmp_nlt_f32_e64 s4, 0x42b17218, v61
	v_cndmask_b32_e64 v63, 0x7f800000, v63, s4
	v_add_f32_e32 v77, v77, v63
.LBB719_427:
	s_or_b32 exec_lo, exec_lo, s24
.LBB719_428:
	s_or_b32 exec_lo, exec_lo, s5
	s_and_saveexec_b32 s5, s23
	s_cbranch_execz .LBB719_432
; %bb.429:
	global_load_ubyte v61, v[3:4], off offset:352
	v_mov_b32_e32 v62, 0
	s_waitcnt vmcnt(0)
	v_and_b32_e32 v61, 1, v61
	v_cmp_eq_u32_e64 s4, 1, v61
	s_xor_b32 s0, s4, -1
	s_and_saveexec_b32 s23, s0
	s_cbranch_execz .LBB719_431
; %bb.430:
	v_sub_f32_e32 v60, v60, v76
	v_mul_f32_e32 v61, 0x3fb8aa3b, v60
	v_cmp_ngt_f32_e64 s4, 0xc2ce8ed0, v60
	v_fma_f32 v62, 0x3fb8aa3b, v60, -v61
	v_rndne_f32_e32 v78, v61
	v_fmamk_f32 v62, v60, 0x32a5705f, v62
	v_sub_f32_e32 v61, v61, v78
	v_add_f32_e32 v61, v61, v62
	v_cvt_i32_f32_e32 v62, v78
	v_exp_f32_e32 v61, v61
	v_ldexp_f32 v61, v61, v62
	v_cndmask_b32_e64 v61, 0, v61, s4
	v_cmp_nlt_f32_e64 s4, 0x42b17218, v60
	v_cndmask_b32_e64 v62, 0x7f800000, v61, s4
	v_add_f32_e32 v77, v77, v62
.LBB719_431:
	s_or_b32 exec_lo, exec_lo, s23
.LBB719_432:
	s_or_b32 exec_lo, exec_lo, s5
	v_mov_b32_e32 v60, 0
	v_mov_b32_e32 v61, 0
	s_and_saveexec_b32 s5, s22
	s_cbranch_execz .LBB719_436
; %bb.433:
	global_load_ubyte v61, v[3:4], off offset:384
	s_waitcnt vmcnt(0)
	v_and_b32_e32 v61, 1, v61
	v_cmp_eq_u32_e64 s4, 1, v61
	v_mov_b32_e32 v61, 0
	s_xor_b32 s0, s4, -1
	s_and_saveexec_b32 s22, s0
	s_cbranch_execz .LBB719_435
; %bb.434:
	v_sub_f32_e32 v59, v59, v76
	v_mul_f32_e32 v61, 0x3fb8aa3b, v59
	v_cmp_ngt_f32_e64 s4, 0xc2ce8ed0, v59
	v_fma_f32 v78, 0x3fb8aa3b, v59, -v61
	v_rndne_f32_e32 v79, v61
	v_fmamk_f32 v78, v59, 0x32a5705f, v78
	v_sub_f32_e32 v61, v61, v79
	v_add_f32_e32 v61, v61, v78
	v_cvt_i32_f32_e32 v78, v79
	v_exp_f32_e32 v61, v61
	v_ldexp_f32 v61, v61, v78
	v_cndmask_b32_e64 v61, 0, v61, s4
	v_cmp_nlt_f32_e64 s4, 0x42b17218, v59
	v_cndmask_b32_e64 v61, 0x7f800000, v61, s4
	v_add_f32_e32 v77, v77, v61
.LBB719_435:
	s_or_b32 exec_lo, exec_lo, s22
.LBB719_436:
	s_or_b32 exec_lo, exec_lo, s5
	s_and_saveexec_b32 s5, s21
	s_cbranch_execz .LBB719_440
; %bb.437:
	global_load_ubyte v59, v[3:4], off offset:416
	v_mov_b32_e32 v60, 0
	s_waitcnt vmcnt(0)
	v_and_b32_e32 v59, 1, v59
	v_cmp_eq_u32_e64 s4, 1, v59
	s_xor_b32 s0, s4, -1
	s_and_saveexec_b32 s21, s0
	s_cbranch_execz .LBB719_439
; %bb.438:
	v_sub_f32_e32 v58, v58, v76
	v_mul_f32_e32 v59, 0x3fb8aa3b, v58
	v_cmp_ngt_f32_e64 s4, 0xc2ce8ed0, v58
	v_fma_f32 v60, 0x3fb8aa3b, v58, -v59
	v_rndne_f32_e32 v78, v59
	v_fmamk_f32 v60, v58, 0x32a5705f, v60
	v_sub_f32_e32 v59, v59, v78
	v_add_f32_e32 v59, v59, v60
	v_cvt_i32_f32_e32 v60, v78
	v_exp_f32_e32 v59, v59
	v_ldexp_f32 v59, v59, v60
	v_cndmask_b32_e64 v59, 0, v59, s4
	v_cmp_nlt_f32_e64 s4, 0x42b17218, v58
	v_cndmask_b32_e64 v60, 0x7f800000, v59, s4
	v_add_f32_e32 v77, v77, v60
.LBB719_439:
	s_or_b32 exec_lo, exec_lo, s21
.LBB719_440:
	s_or_b32 exec_lo, exec_lo, s5
	v_mov_b32_e32 v58, 0
	v_mov_b32_e32 v59, 0
	s_and_saveexec_b32 s5, s20
	s_cbranch_execz .LBB719_444
; %bb.441:
	global_load_ubyte v59, v[3:4], off offset:448
	s_waitcnt vmcnt(0)
	v_and_b32_e32 v59, 1, v59
	v_cmp_eq_u32_e64 s4, 1, v59
	v_mov_b32_e32 v59, 0
	s_xor_b32 s0, s4, -1
	s_and_saveexec_b32 s20, s0
	s_cbranch_execz .LBB719_443
; %bb.442:
	v_sub_f32_e32 v57, v57, v76
	v_mul_f32_e32 v59, 0x3fb8aa3b, v57
	v_cmp_ngt_f32_e64 s4, 0xc2ce8ed0, v57
	v_fma_f32 v78, 0x3fb8aa3b, v57, -v59
	v_rndne_f32_e32 v79, v59
	v_fmamk_f32 v78, v57, 0x32a5705f, v78
	v_sub_f32_e32 v59, v59, v79
	v_add_f32_e32 v59, v59, v78
	v_cvt_i32_f32_e32 v78, v79
	v_exp_f32_e32 v59, v59
	v_ldexp_f32 v59, v59, v78
	v_cndmask_b32_e64 v59, 0, v59, s4
	v_cmp_nlt_f32_e64 s4, 0x42b17218, v57
	v_cndmask_b32_e64 v59, 0x7f800000, v59, s4
	v_add_f32_e32 v77, v77, v59
.LBB719_443:
	s_or_b32 exec_lo, exec_lo, s20
.LBB719_444:
	s_or_b32 exec_lo, exec_lo, s5
	s_and_saveexec_b32 s5, s19
	s_cbranch_execz .LBB719_448
; %bb.445:
	global_load_ubyte v57, v[3:4], off offset:480
	v_mov_b32_e32 v58, 0
	s_waitcnt vmcnt(0)
	v_and_b32_e32 v57, 1, v57
	v_cmp_eq_u32_e64 s4, 1, v57
	s_xor_b32 s0, s4, -1
	s_and_saveexec_b32 s19, s0
	s_cbranch_execz .LBB719_447
; %bb.446:
	v_sub_f32_e32 v56, v56, v76
	v_mul_f32_e32 v57, 0x3fb8aa3b, v56
	v_cmp_ngt_f32_e64 s4, 0xc2ce8ed0, v56
	v_fma_f32 v58, 0x3fb8aa3b, v56, -v57
	v_rndne_f32_e32 v78, v57
	v_fmamk_f32 v58, v56, 0x32a5705f, v58
	v_sub_f32_e32 v57, v57, v78
	v_add_f32_e32 v57, v57, v58
	v_cvt_i32_f32_e32 v58, v78
	v_exp_f32_e32 v57, v57
	v_ldexp_f32 v57, v57, v58
	v_cndmask_b32_e64 v57, 0, v57, s4
	v_cmp_nlt_f32_e64 s4, 0x42b17218, v56
	v_cndmask_b32_e64 v58, 0x7f800000, v57, s4
	v_add_f32_e32 v77, v77, v58
.LBB719_447:
	s_or_b32 exec_lo, exec_lo, s19
.LBB719_448:
	s_or_b32 exec_lo, exec_lo, s5
	v_mov_b32_e32 v56, 0
	v_mov_b32_e32 v57, 0
	s_and_saveexec_b32 s5, s18
	s_cbranch_execz .LBB719_452
; %bb.449:
	global_load_ubyte v57, v[3:4], off offset:512
	s_waitcnt vmcnt(0)
	v_and_b32_e32 v57, 1, v57
	v_cmp_eq_u32_e64 s4, 1, v57
	v_mov_b32_e32 v57, 0
	s_xor_b32 s0, s4, -1
	s_and_saveexec_b32 s18, s0
	s_cbranch_execz .LBB719_451
; %bb.450:
	v_sub_f32_e32 v55, v55, v76
	v_mul_f32_e32 v57, 0x3fb8aa3b, v55
	v_cmp_ngt_f32_e64 s4, 0xc2ce8ed0, v55
	v_fma_f32 v78, 0x3fb8aa3b, v55, -v57
	v_rndne_f32_e32 v79, v57
	v_fmamk_f32 v78, v55, 0x32a5705f, v78
	v_sub_f32_e32 v57, v57, v79
	v_add_f32_e32 v57, v57, v78
	v_cvt_i32_f32_e32 v78, v79
	v_exp_f32_e32 v57, v57
	v_ldexp_f32 v57, v57, v78
	v_cndmask_b32_e64 v57, 0, v57, s4
	v_cmp_nlt_f32_e64 s4, 0x42b17218, v55
	v_cndmask_b32_e64 v57, 0x7f800000, v57, s4
	v_add_f32_e32 v77, v77, v57
.LBB719_451:
	s_or_b32 exec_lo, exec_lo, s18
.LBB719_452:
	s_or_b32 exec_lo, exec_lo, s5
	s_and_saveexec_b32 s5, s17
	s_cbranch_execz .LBB719_456
; %bb.453:
	global_load_ubyte v55, v[3:4], off offset:544
	v_mov_b32_e32 v56, 0
	s_waitcnt vmcnt(0)
	v_and_b32_e32 v55, 1, v55
	v_cmp_eq_u32_e64 s4, 1, v55
	s_xor_b32 s0, s4, -1
	s_and_saveexec_b32 s17, s0
	s_cbranch_execz .LBB719_455
; %bb.454:
	v_sub_f32_e32 v54, v54, v76
	v_mul_f32_e32 v55, 0x3fb8aa3b, v54
	v_cmp_ngt_f32_e64 s4, 0xc2ce8ed0, v54
	v_fma_f32 v56, 0x3fb8aa3b, v54, -v55
	v_rndne_f32_e32 v78, v55
	v_fmamk_f32 v56, v54, 0x32a5705f, v56
	v_sub_f32_e32 v55, v55, v78
	v_add_f32_e32 v55, v55, v56
	v_cvt_i32_f32_e32 v56, v78
	v_exp_f32_e32 v55, v55
	v_ldexp_f32 v55, v55, v56
	v_cndmask_b32_e64 v55, 0, v55, s4
	v_cmp_nlt_f32_e64 s4, 0x42b17218, v54
	v_cndmask_b32_e64 v56, 0x7f800000, v55, s4
	v_add_f32_e32 v77, v77, v56
.LBB719_455:
	s_or_b32 exec_lo, exec_lo, s17
.LBB719_456:
	s_or_b32 exec_lo, exec_lo, s5
	v_mov_b32_e32 v54, 0
	v_mov_b32_e32 v55, 0
	s_and_saveexec_b32 s5, s16
	s_cbranch_execz .LBB719_460
; %bb.457:
	global_load_ubyte v55, v[3:4], off offset:576
	s_waitcnt vmcnt(0)
	v_and_b32_e32 v55, 1, v55
	v_cmp_eq_u32_e64 s4, 1, v55
	v_mov_b32_e32 v55, 0
	s_xor_b32 s0, s4, -1
	s_and_saveexec_b32 s16, s0
	s_cbranch_execz .LBB719_459
; %bb.458:
	v_sub_f32_e32 v53, v53, v76
	v_mul_f32_e32 v55, 0x3fb8aa3b, v53
	v_cmp_ngt_f32_e64 s4, 0xc2ce8ed0, v53
	v_fma_f32 v78, 0x3fb8aa3b, v53, -v55
	v_rndne_f32_e32 v79, v55
	v_fmamk_f32 v78, v53, 0x32a5705f, v78
	v_sub_f32_e32 v55, v55, v79
	v_add_f32_e32 v55, v55, v78
	v_cvt_i32_f32_e32 v78, v79
	v_exp_f32_e32 v55, v55
	v_ldexp_f32 v55, v55, v78
	v_cndmask_b32_e64 v55, 0, v55, s4
	v_cmp_nlt_f32_e64 s4, 0x42b17218, v53
	v_cndmask_b32_e64 v55, 0x7f800000, v55, s4
	v_add_f32_e32 v77, v77, v55
.LBB719_459:
	s_or_b32 exec_lo, exec_lo, s16
.LBB719_460:
	s_or_b32 exec_lo, exec_lo, s5
	s_and_saveexec_b32 s5, s15
	s_cbranch_execz .LBB719_464
; %bb.461:
	global_load_ubyte v53, v[3:4], off offset:608
	v_mov_b32_e32 v54, 0
	s_waitcnt vmcnt(0)
	v_and_b32_e32 v53, 1, v53
	v_cmp_eq_u32_e64 s4, 1, v53
	s_xor_b32 s0, s4, -1
	s_and_saveexec_b32 s15, s0
	s_cbranch_execz .LBB719_463
; %bb.462:
	v_sub_f32_e32 v52, v52, v76
	v_mul_f32_e32 v53, 0x3fb8aa3b, v52
	v_cmp_ngt_f32_e64 s4, 0xc2ce8ed0, v52
	v_fma_f32 v54, 0x3fb8aa3b, v52, -v53
	v_rndne_f32_e32 v78, v53
	v_fmamk_f32 v54, v52, 0x32a5705f, v54
	v_sub_f32_e32 v53, v53, v78
	v_add_f32_e32 v53, v53, v54
	v_cvt_i32_f32_e32 v54, v78
	v_exp_f32_e32 v53, v53
	v_ldexp_f32 v53, v53, v54
	v_cndmask_b32_e64 v53, 0, v53, s4
	v_cmp_nlt_f32_e64 s4, 0x42b17218, v52
	v_cndmask_b32_e64 v54, 0x7f800000, v53, s4
	v_add_f32_e32 v77, v77, v54
.LBB719_463:
	s_or_b32 exec_lo, exec_lo, s15
.LBB719_464:
	s_or_b32 exec_lo, exec_lo, s5
	v_mov_b32_e32 v52, 0
	v_mov_b32_e32 v53, 0
	s_and_saveexec_b32 s5, s14
	s_cbranch_execz .LBB719_468
; %bb.465:
	global_load_ubyte v53, v[3:4], off offset:640
	s_waitcnt vmcnt(0)
	v_and_b32_e32 v53, 1, v53
	v_cmp_eq_u32_e64 s4, 1, v53
	v_mov_b32_e32 v53, 0
	s_xor_b32 s0, s4, -1
	s_and_saveexec_b32 s14, s0
	s_cbranch_execz .LBB719_467
; %bb.466:
	v_sub_f32_e32 v51, v51, v76
	v_mul_f32_e32 v53, 0x3fb8aa3b, v51
	v_cmp_ngt_f32_e64 s4, 0xc2ce8ed0, v51
	v_fma_f32 v78, 0x3fb8aa3b, v51, -v53
	v_rndne_f32_e32 v79, v53
	v_fmamk_f32 v78, v51, 0x32a5705f, v78
	v_sub_f32_e32 v53, v53, v79
	v_add_f32_e32 v53, v53, v78
	v_cvt_i32_f32_e32 v78, v79
	v_exp_f32_e32 v53, v53
	v_ldexp_f32 v53, v53, v78
	v_cndmask_b32_e64 v53, 0, v53, s4
	v_cmp_nlt_f32_e64 s4, 0x42b17218, v51
	v_cndmask_b32_e64 v53, 0x7f800000, v53, s4
	v_add_f32_e32 v77, v77, v53
.LBB719_467:
	s_or_b32 exec_lo, exec_lo, s14
.LBB719_468:
	s_or_b32 exec_lo, exec_lo, s5
	s_and_saveexec_b32 s5, s13
	s_cbranch_execz .LBB719_472
; %bb.469:
	global_load_ubyte v51, v[3:4], off offset:672
	v_mov_b32_e32 v52, 0
	s_waitcnt vmcnt(0)
	v_and_b32_e32 v51, 1, v51
	v_cmp_eq_u32_e64 s4, 1, v51
	s_xor_b32 s0, s4, -1
	s_and_saveexec_b32 s13, s0
	s_cbranch_execz .LBB719_471
; %bb.470:
	v_sub_f32_e32 v50, v50, v76
	v_mul_f32_e32 v51, 0x3fb8aa3b, v50
	v_cmp_ngt_f32_e64 s4, 0xc2ce8ed0, v50
	v_fma_f32 v52, 0x3fb8aa3b, v50, -v51
	v_rndne_f32_e32 v78, v51
	v_fmamk_f32 v52, v50, 0x32a5705f, v52
	v_sub_f32_e32 v51, v51, v78
	v_add_f32_e32 v51, v51, v52
	v_cvt_i32_f32_e32 v52, v78
	v_exp_f32_e32 v51, v51
	v_ldexp_f32 v51, v51, v52
	v_cndmask_b32_e64 v51, 0, v51, s4
	v_cmp_nlt_f32_e64 s4, 0x42b17218, v50
	v_cndmask_b32_e64 v52, 0x7f800000, v51, s4
	v_add_f32_e32 v77, v77, v52
.LBB719_471:
	s_or_b32 exec_lo, exec_lo, s13
.LBB719_472:
	s_or_b32 exec_lo, exec_lo, s5
	v_mov_b32_e32 v50, 0
	v_mov_b32_e32 v51, 0
	s_and_saveexec_b32 s5, s12
	s_cbranch_execz .LBB719_476
; %bb.473:
	global_load_ubyte v51, v[3:4], off offset:704
	s_waitcnt vmcnt(0)
	v_and_b32_e32 v51, 1, v51
	v_cmp_eq_u32_e64 s4, 1, v51
	v_mov_b32_e32 v51, 0
	s_xor_b32 s0, s4, -1
	s_and_saveexec_b32 s12, s0
	s_cbranch_execz .LBB719_475
; %bb.474:
	v_sub_f32_e32 v49, v49, v76
	v_mul_f32_e32 v51, 0x3fb8aa3b, v49
	v_cmp_ngt_f32_e64 s4, 0xc2ce8ed0, v49
	v_fma_f32 v78, 0x3fb8aa3b, v49, -v51
	v_rndne_f32_e32 v79, v51
	v_fmamk_f32 v78, v49, 0x32a5705f, v78
	v_sub_f32_e32 v51, v51, v79
	v_add_f32_e32 v51, v51, v78
	v_cvt_i32_f32_e32 v78, v79
	v_exp_f32_e32 v51, v51
	v_ldexp_f32 v51, v51, v78
	v_cndmask_b32_e64 v51, 0, v51, s4
	v_cmp_nlt_f32_e64 s4, 0x42b17218, v49
	v_cndmask_b32_e64 v51, 0x7f800000, v51, s4
	v_add_f32_e32 v77, v77, v51
.LBB719_475:
	s_or_b32 exec_lo, exec_lo, s12
.LBB719_476:
	s_or_b32 exec_lo, exec_lo, s5
	s_and_saveexec_b32 s5, s11
	s_cbranch_execz .LBB719_480
; %bb.477:
	global_load_ubyte v49, v[3:4], off offset:736
	v_mov_b32_e32 v50, 0
	s_waitcnt vmcnt(0)
	v_and_b32_e32 v49, 1, v49
	v_cmp_eq_u32_e64 s4, 1, v49
	s_xor_b32 s0, s4, -1
	s_and_saveexec_b32 s11, s0
	s_cbranch_execz .LBB719_479
; %bb.478:
	v_sub_f32_e32 v48, v48, v76
	v_mul_f32_e32 v49, 0x3fb8aa3b, v48
	v_cmp_ngt_f32_e64 s4, 0xc2ce8ed0, v48
	v_fma_f32 v50, 0x3fb8aa3b, v48, -v49
	v_rndne_f32_e32 v78, v49
	v_fmamk_f32 v50, v48, 0x32a5705f, v50
	v_sub_f32_e32 v49, v49, v78
	v_add_f32_e32 v49, v49, v50
	v_cvt_i32_f32_e32 v50, v78
	v_exp_f32_e32 v49, v49
	v_ldexp_f32 v49, v49, v50
	v_cndmask_b32_e64 v49, 0, v49, s4
	v_cmp_nlt_f32_e64 s4, 0x42b17218, v48
	v_cndmask_b32_e64 v50, 0x7f800000, v49, s4
	v_add_f32_e32 v77, v77, v50
.LBB719_479:
	s_or_b32 exec_lo, exec_lo, s11
.LBB719_480:
	s_or_b32 exec_lo, exec_lo, s5
	v_mov_b32_e32 v48, 0
	v_mov_b32_e32 v49, 0
	s_and_saveexec_b32 s5, s10
	s_cbranch_execz .LBB719_484
; %bb.481:
	global_load_ubyte v49, v[3:4], off offset:768
	s_waitcnt vmcnt(0)
	v_and_b32_e32 v49, 1, v49
	v_cmp_eq_u32_e64 s4, 1, v49
	v_mov_b32_e32 v49, 0
	s_xor_b32 s0, s4, -1
	s_and_saveexec_b32 s10, s0
	s_cbranch_execz .LBB719_483
; %bb.482:
	v_sub_f32_e32 v47, v47, v76
	v_mul_f32_e32 v49, 0x3fb8aa3b, v47
	v_cmp_ngt_f32_e64 s4, 0xc2ce8ed0, v47
	v_fma_f32 v78, 0x3fb8aa3b, v47, -v49
	v_rndne_f32_e32 v79, v49
	v_fmamk_f32 v78, v47, 0x32a5705f, v78
	v_sub_f32_e32 v49, v49, v79
	v_add_f32_e32 v49, v49, v78
	v_cvt_i32_f32_e32 v78, v79
	v_exp_f32_e32 v49, v49
	v_ldexp_f32 v49, v49, v78
	v_cndmask_b32_e64 v49, 0, v49, s4
	v_cmp_nlt_f32_e64 s4, 0x42b17218, v47
	v_cndmask_b32_e64 v49, 0x7f800000, v49, s4
	v_add_f32_e32 v77, v77, v49
.LBB719_483:
	s_or_b32 exec_lo, exec_lo, s10
.LBB719_484:
	s_or_b32 exec_lo, exec_lo, s5
	s_and_saveexec_b32 s5, s9
	s_cbranch_execz .LBB719_488
; %bb.485:
	global_load_ubyte v47, v[3:4], off offset:800
	v_mov_b32_e32 v48, 0
	s_waitcnt vmcnt(0)
	v_and_b32_e32 v47, 1, v47
	v_cmp_eq_u32_e64 s4, 1, v47
	s_xor_b32 s0, s4, -1
	s_and_saveexec_b32 s9, s0
	s_cbranch_execz .LBB719_487
; %bb.486:
	v_sub_f32_e32 v46, v46, v76
	v_mul_f32_e32 v47, 0x3fb8aa3b, v46
	v_cmp_ngt_f32_e64 s4, 0xc2ce8ed0, v46
	v_fma_f32 v48, 0x3fb8aa3b, v46, -v47
	v_rndne_f32_e32 v78, v47
	v_fmamk_f32 v48, v46, 0x32a5705f, v48
	v_sub_f32_e32 v47, v47, v78
	v_add_f32_e32 v47, v47, v48
	v_cvt_i32_f32_e32 v48, v78
	v_exp_f32_e32 v47, v47
	v_ldexp_f32 v47, v47, v48
	v_cndmask_b32_e64 v47, 0, v47, s4
	v_cmp_nlt_f32_e64 s4, 0x42b17218, v46
	v_cndmask_b32_e64 v48, 0x7f800000, v47, s4
	v_add_f32_e32 v77, v77, v48
.LBB719_487:
	s_or_b32 exec_lo, exec_lo, s9
.LBB719_488:
	s_or_b32 exec_lo, exec_lo, s5
	v_mov_b32_e32 v46, 0
	v_mov_b32_e32 v47, 0
	s_and_saveexec_b32 s5, s8
	s_cbranch_execz .LBB719_492
; %bb.489:
	global_load_ubyte v47, v[3:4], off offset:832
	s_waitcnt vmcnt(0)
	v_and_b32_e32 v47, 1, v47
	v_cmp_eq_u32_e64 s4, 1, v47
	v_mov_b32_e32 v47, 0
	s_xor_b32 s0, s4, -1
	s_and_saveexec_b32 s8, s0
	s_cbranch_execz .LBB719_491
; %bb.490:
	v_sub_f32_e32 v45, v45, v76
	v_mul_f32_e32 v47, 0x3fb8aa3b, v45
	v_cmp_ngt_f32_e64 s4, 0xc2ce8ed0, v45
	v_fma_f32 v78, 0x3fb8aa3b, v45, -v47
	v_rndne_f32_e32 v79, v47
	v_fmamk_f32 v78, v45, 0x32a5705f, v78
	v_sub_f32_e32 v47, v47, v79
	v_add_f32_e32 v47, v47, v78
	v_cvt_i32_f32_e32 v78, v79
	v_exp_f32_e32 v47, v47
	v_ldexp_f32 v47, v47, v78
	v_cndmask_b32_e64 v47, 0, v47, s4
	v_cmp_nlt_f32_e64 s4, 0x42b17218, v45
	v_cndmask_b32_e64 v47, 0x7f800000, v47, s4
	v_add_f32_e32 v77, v77, v47
.LBB719_491:
	s_or_b32 exec_lo, exec_lo, s8
.LBB719_492:
	s_or_b32 exec_lo, exec_lo, s5
	s_and_saveexec_b32 s5, s7
	s_cbranch_execz .LBB719_496
; %bb.493:
	global_load_ubyte v45, v[3:4], off offset:864
	v_mov_b32_e32 v46, 0
	s_waitcnt vmcnt(0)
	v_and_b32_e32 v45, 1, v45
	v_cmp_eq_u32_e64 s4, 1, v45
	s_xor_b32 s0, s4, -1
	s_and_saveexec_b32 s7, s0
	s_cbranch_execz .LBB719_495
; %bb.494:
	v_sub_f32_e32 v44, v44, v76
	v_mul_f32_e32 v45, 0x3fb8aa3b, v44
	v_cmp_ngt_f32_e64 s4, 0xc2ce8ed0, v44
	v_fma_f32 v46, 0x3fb8aa3b, v44, -v45
	v_rndne_f32_e32 v78, v45
	v_fmamk_f32 v46, v44, 0x32a5705f, v46
	v_sub_f32_e32 v45, v45, v78
	v_add_f32_e32 v45, v45, v46
	v_cvt_i32_f32_e32 v46, v78
	v_exp_f32_e32 v45, v45
	v_ldexp_f32 v45, v45, v46
	v_cndmask_b32_e64 v45, 0, v45, s4
	v_cmp_nlt_f32_e64 s4, 0x42b17218, v44
	v_cndmask_b32_e64 v46, 0x7f800000, v45, s4
	v_add_f32_e32 v77, v77, v46
.LBB719_495:
	s_or_b32 exec_lo, exec_lo, s7
.LBB719_496:
	s_or_b32 exec_lo, exec_lo, s5
	v_mov_b32_e32 v44, 0
	v_mov_b32_e32 v45, 0
	s_and_saveexec_b32 s5, s6
	s_cbranch_execz .LBB719_500
; %bb.497:
	global_load_ubyte v45, v[3:4], off offset:896
	s_waitcnt vmcnt(0)
	v_and_b32_e32 v45, 1, v45
	v_cmp_eq_u32_e64 s4, 1, v45
	v_mov_b32_e32 v45, 0
	s_xor_b32 s0, s4, -1
	s_and_saveexec_b32 s6, s0
	s_cbranch_execz .LBB719_499
; %bb.498:
	v_sub_f32_e32 v43, v43, v76
	v_mul_f32_e32 v45, 0x3fb8aa3b, v43
	v_cmp_ngt_f32_e64 s4, 0xc2ce8ed0, v43
	v_fma_f32 v78, 0x3fb8aa3b, v43, -v45
	v_rndne_f32_e32 v79, v45
	v_fmamk_f32 v78, v43, 0x32a5705f, v78
	v_sub_f32_e32 v45, v45, v79
	v_add_f32_e32 v45, v45, v78
	v_cvt_i32_f32_e32 v78, v79
	v_exp_f32_e32 v45, v45
	v_ldexp_f32 v45, v45, v78
	v_cndmask_b32_e64 v45, 0, v45, s4
	v_cmp_nlt_f32_e64 s4, 0x42b17218, v43
	v_cndmask_b32_e64 v45, 0x7f800000, v45, s4
	v_add_f32_e32 v77, v77, v45
.LBB719_499:
	s_or_b32 exec_lo, exec_lo, s6
.LBB719_500:
	s_or_b32 exec_lo, exec_lo, s5
	s_and_saveexec_b32 s5, s3
	s_cbranch_execz .LBB719_504
; %bb.501:
	global_load_ubyte v43, v[3:4], off offset:928
	v_mov_b32_e32 v44, 0
	s_waitcnt vmcnt(0)
	v_and_b32_e32 v43, 1, v43
	v_cmp_eq_u32_e64 s4, 1, v43
	s_xor_b32 s0, s4, -1
	s_and_saveexec_b32 s3, s0
	s_cbranch_execz .LBB719_503
; %bb.502:
	v_sub_f32_e32 v42, v42, v76
	v_mul_f32_e32 v43, 0x3fb8aa3b, v42
	v_cmp_ngt_f32_e64 s4, 0xc2ce8ed0, v42
	v_fma_f32 v44, 0x3fb8aa3b, v42, -v43
	v_rndne_f32_e32 v78, v43
	v_fmamk_f32 v44, v42, 0x32a5705f, v44
	v_sub_f32_e32 v43, v43, v78
	v_add_f32_e32 v43, v43, v44
	v_cvt_i32_f32_e32 v44, v78
	v_exp_f32_e32 v43, v43
	v_ldexp_f32 v43, v43, v44
	v_cndmask_b32_e64 v43, 0, v43, s4
	v_cmp_nlt_f32_e64 s4, 0x42b17218, v42
	v_cndmask_b32_e64 v44, 0x7f800000, v43, s4
	v_add_f32_e32 v77, v77, v44
.LBB719_503:
	s_or_b32 exec_lo, exec_lo, s3
.LBB719_504:
	s_or_b32 exec_lo, exec_lo, s5
	v_mov_b32_e32 v42, 0
	v_mov_b32_e32 v43, 0
	s_and_saveexec_b32 s3, s2
	s_cbranch_execz .LBB719_508
; %bb.505:
	global_load_ubyte v43, v[3:4], off offset:960
	s_waitcnt vmcnt(0)
	v_and_b32_e32 v43, 1, v43
	v_cmp_eq_u32_e64 s4, 1, v43
	v_mov_b32_e32 v43, 0
	s_xor_b32 s0, s4, -1
	s_and_saveexec_b32 s2, s0
	s_cbranch_execz .LBB719_507
; %bb.506:
	v_sub_f32_e32 v41, v41, v76
	v_mul_f32_e32 v43, 0x3fb8aa3b, v41
	v_cmp_ngt_f32_e64 s4, 0xc2ce8ed0, v41
	v_fma_f32 v78, 0x3fb8aa3b, v41, -v43
	v_rndne_f32_e32 v79, v43
	v_fmamk_f32 v78, v41, 0x32a5705f, v78
	v_sub_f32_e32 v43, v43, v79
	v_add_f32_e32 v43, v43, v78
	v_cvt_i32_f32_e32 v78, v79
	v_exp_f32_e32 v43, v43
	v_ldexp_f32 v43, v43, v78
	v_cndmask_b32_e64 v43, 0, v43, s4
	v_cmp_nlt_f32_e64 s4, 0x42b17218, v41
	v_cndmask_b32_e64 v43, 0x7f800000, v43, s4
	v_add_f32_e32 v77, v77, v43
.LBB719_507:
	s_or_b32 exec_lo, exec_lo, s2
.LBB719_508:
	s_or_b32 exec_lo, exec_lo, s3
	s_and_saveexec_b32 s2, s1
	s_cbranch_execz .LBB719_512
; %bb.509:
	global_load_ubyte v41, v[3:4], off offset:992
	v_mov_b32_e32 v42, 0
	s_waitcnt vmcnt(0)
	v_and_b32_e32 v41, 1, v41
	v_cmp_eq_u32_e64 s4, 1, v41
	s_xor_b32 s0, s4, -1
	s_and_saveexec_b32 s1, s0
	s_cbranch_execz .LBB719_511
; %bb.510:
	v_sub_f32_e32 v40, v40, v76
	v_mul_f32_e32 v41, 0x3fb8aa3b, v40
	v_cmp_ngt_f32_e64 s4, 0xc2ce8ed0, v40
	v_fma_f32 v42, 0x3fb8aa3b, v40, -v41
	v_rndne_f32_e32 v78, v41
	v_fmamk_f32 v42, v40, 0x32a5705f, v42
	v_sub_f32_e32 v41, v41, v78
	v_add_f32_e32 v41, v41, v42
	v_cvt_i32_f32_e32 v42, v78
	v_exp_f32_e32 v41, v41
	v_ldexp_f32 v41, v41, v42
	v_cndmask_b32_e64 v41, 0, v41, s4
	v_cmp_nlt_f32_e64 s4, 0x42b17218, v40
	v_cndmask_b32_e64 v42, 0x7f800000, v41, s4
	v_add_f32_e32 v77, v77, v42
.LBB719_511:
	s_or_b32 exec_lo, exec_lo, s1
.LBB719_512:
	s_or_b32 exec_lo, exec_lo, s2
	v_mov_b32_e32 v40, 0
	v_mov_b32_e32 v41, 0
	s_and_saveexec_b32 s1, vcc_hi
	s_cbranch_execz .LBB719_516
; %bb.513:
	global_load_ubyte v41, v[3:4], off offset:1024
	s_waitcnt vmcnt(0)
	v_and_b32_e32 v41, 1, v41
	v_cmp_eq_u32_e64 s4, 1, v41
	v_mov_b32_e32 v41, 0
	s_xor_b32 s0, s4, -1
	s_and_saveexec_b32 s2, s0
	s_cbranch_execz .LBB719_515
; %bb.514:
	v_sub_f32_e32 v39, v39, v76
	v_mul_f32_e32 v41, 0x3fb8aa3b, v39
	v_cmp_ngt_f32_e64 s4, 0xc2ce8ed0, v39
	v_fma_f32 v78, 0x3fb8aa3b, v39, -v41
	v_rndne_f32_e32 v79, v41
	v_fmamk_f32 v78, v39, 0x32a5705f, v78
	v_sub_f32_e32 v41, v41, v79
	v_add_f32_e32 v41, v41, v78
	v_cvt_i32_f32_e32 v78, v79
	v_exp_f32_e32 v41, v41
	v_ldexp_f32 v41, v41, v78
	v_cndmask_b32_e64 v41, 0, v41, s4
	v_cmp_nlt_f32_e64 s4, 0x42b17218, v39
	v_cndmask_b32_e64 v41, 0x7f800000, v41, s4
	v_add_f32_e32 v77, v77, v41
.LBB719_515:
	s_or_b32 exec_lo, exec_lo, s2
.LBB719_516:
	s_or_b32 exec_lo, exec_lo, s1
	s_and_saveexec_b32 s1, s104
	s_cbranch_execz .LBB719_520
; %bb.517:
	global_load_ubyte v39, v[3:4], off offset:1056
	v_mov_b32_e32 v40, 0
	s_waitcnt vmcnt(0)
	v_and_b32_e32 v39, 1, v39
	v_cmp_eq_u32_e64 s4, 1, v39
	s_xor_b32 s0, s4, -1
	s_and_saveexec_b32 s2, s0
	s_cbranch_execz .LBB719_519
; %bb.518:
	v_sub_f32_e32 v38, v38, v76
	v_mul_f32_e32 v39, 0x3fb8aa3b, v38
	v_cmp_ngt_f32_e64 s4, 0xc2ce8ed0, v38
	v_fma_f32 v40, 0x3fb8aa3b, v38, -v39
	v_rndne_f32_e32 v78, v39
	v_fmamk_f32 v40, v38, 0x32a5705f, v40
	v_sub_f32_e32 v39, v39, v78
	v_add_f32_e32 v39, v39, v40
	v_cvt_i32_f32_e32 v40, v78
	v_exp_f32_e32 v39, v39
	v_ldexp_f32 v39, v39, v40
	v_cndmask_b32_e64 v39, 0, v39, s4
	v_cmp_nlt_f32_e64 s4, 0x42b17218, v38
	v_cndmask_b32_e64 v40, 0x7f800000, v39, s4
	v_add_f32_e32 v77, v77, v40
.LBB719_519:
	s_or_b32 exec_lo, exec_lo, s2
.LBB719_520:
	s_or_b32 exec_lo, exec_lo, s1
	v_mov_b32_e32 v38, 0
	v_mov_b32_e32 v39, 0
	s_and_saveexec_b32 s1, s99
	s_cbranch_execz .LBB719_524
; %bb.521:
	global_load_ubyte v39, v[3:4], off offset:1088
	s_waitcnt vmcnt(0)
	v_and_b32_e32 v39, 1, v39
	v_cmp_eq_u32_e64 s4, 1, v39
	v_mov_b32_e32 v39, 0
	s_xor_b32 s0, s4, -1
	s_and_saveexec_b32 s2, s0
	s_cbranch_execz .LBB719_523
; %bb.522:
	v_sub_f32_e32 v37, v37, v76
	v_mul_f32_e32 v39, 0x3fb8aa3b, v37
	v_cmp_ngt_f32_e64 s4, 0xc2ce8ed0, v37
	v_fma_f32 v78, 0x3fb8aa3b, v37, -v39
	v_rndne_f32_e32 v79, v39
	v_fmamk_f32 v78, v37, 0x32a5705f, v78
	v_sub_f32_e32 v39, v39, v79
	v_add_f32_e32 v39, v39, v78
	v_cvt_i32_f32_e32 v78, v79
	v_exp_f32_e32 v39, v39
	v_ldexp_f32 v39, v39, v78
	v_cndmask_b32_e64 v39, 0, v39, s4
	v_cmp_nlt_f32_e64 s4, 0x42b17218, v37
	v_cndmask_b32_e64 v39, 0x7f800000, v39, s4
	v_add_f32_e32 v77, v77, v39
.LBB719_523:
	s_or_b32 exec_lo, exec_lo, s2
.LBB719_524:
	s_or_b32 exec_lo, exec_lo, s1
	s_and_saveexec_b32 s1, s98
	s_cbranch_execz .LBB719_528
; %bb.525:
	global_load_ubyte v37, v[3:4], off offset:1120
	v_mov_b32_e32 v38, 0
	s_waitcnt vmcnt(0)
	v_and_b32_e32 v37, 1, v37
	v_cmp_eq_u32_e64 s4, 1, v37
	s_xor_b32 s0, s4, -1
	s_and_saveexec_b32 s2, s0
	s_cbranch_execz .LBB719_527
; %bb.526:
	v_sub_f32_e32 v36, v36, v76
	v_mul_f32_e32 v37, 0x3fb8aa3b, v36
	v_cmp_ngt_f32_e64 s4, 0xc2ce8ed0, v36
	v_fma_f32 v38, 0x3fb8aa3b, v36, -v37
	v_rndne_f32_e32 v78, v37
	v_fmamk_f32 v38, v36, 0x32a5705f, v38
	v_sub_f32_e32 v37, v37, v78
	v_add_f32_e32 v37, v37, v38
	v_cvt_i32_f32_e32 v38, v78
	v_exp_f32_e32 v37, v37
	v_ldexp_f32 v37, v37, v38
	v_cndmask_b32_e64 v37, 0, v37, s4
	v_cmp_nlt_f32_e64 s4, 0x42b17218, v36
	v_cndmask_b32_e64 v38, 0x7f800000, v37, s4
	v_add_f32_e32 v77, v77, v38
.LBB719_527:
	s_or_b32 exec_lo, exec_lo, s2
.LBB719_528:
	s_or_b32 exec_lo, exec_lo, s1
	v_mov_b32_e32 v36, 0
	v_mov_b32_e32 v37, 0
	s_and_saveexec_b32 s1, s97
	;; [unrolled: 64-line block ×15, first 2 shown]
	s_cbranch_execz .LBB719_636
; %bb.633:
	global_load_ubyte v11, v[3:4], off offset:1984
	s_waitcnt vmcnt(0)
	v_and_b32_e32 v11, 1, v11
	v_cmp_eq_u32_e64 s4, 1, v11
	v_mov_b32_e32 v11, 0
	s_xor_b32 s0, s4, -1
	s_and_saveexec_b32 s2, s0
	s_cbranch_execz .LBB719_635
; %bb.634:
	v_sub_f32_e32 v9, v9, v76
	v_mul_f32_e32 v11, 0x3fb8aa3b, v9
	v_cmp_ngt_f32_e64 s4, 0xc2ce8ed0, v9
	v_fma_f32 v78, 0x3fb8aa3b, v9, -v11
	v_rndne_f32_e32 v79, v11
	v_fmamk_f32 v78, v9, 0x32a5705f, v78
	v_sub_f32_e32 v11, v11, v79
	v_add_f32_e32 v11, v11, v78
	v_cvt_i32_f32_e32 v78, v79
	v_exp_f32_e32 v11, v11
	v_ldexp_f32 v11, v11, v78
	v_cndmask_b32_e64 v11, 0, v11, s4
	v_cmp_nlt_f32_e64 s4, 0x42b17218, v9
	v_cndmask_b32_e64 v11, 0x7f800000, v11, s4
	v_add_f32_e32 v77, v77, v11
.LBB719_635:
	s_or_b32 exec_lo, exec_lo, s2
.LBB719_636:
	s_or_b32 exec_lo, exec_lo, s1
	s_and_saveexec_b32 s1, s67
	s_cbranch_execz .LBB719_640
; %bb.637:
	global_load_ubyte v3, v[3:4], off offset:2016
	v_mov_b32_e32 v10, 0
	s_waitcnt vmcnt(0)
	v_and_b32_e32 v3, 1, v3
	v_cmp_eq_u32_e64 s4, 1, v3
	s_xor_b32 s0, s4, -1
	s_and_saveexec_b32 s2, s0
	s_cbranch_execz .LBB719_639
; %bb.638:
	v_sub_f32_e32 v3, v8, v76
	v_mul_f32_e32 v4, 0x3fb8aa3b, v3
	v_cmp_ngt_f32_e64 s4, 0xc2ce8ed0, v3
	v_fma_f32 v8, 0x3fb8aa3b, v3, -v4
	v_rndne_f32_e32 v9, v4
	v_fmamk_f32 v8, v3, 0x32a5705f, v8
	v_sub_f32_e32 v4, v4, v9
	v_add_f32_e32 v4, v4, v8
	v_cvt_i32_f32_e32 v8, v9
	v_exp_f32_e32 v4, v4
	v_ldexp_f32 v4, v4, v8
	v_cndmask_b32_e64 v4, 0, v4, s4
	v_cmp_nlt_f32_e64 s4, 0x42b17218, v3
	v_cndmask_b32_e64 v10, 0x7f800000, v4, s4
	v_add_f32_e32 v77, v77, v10
.LBB719_639:
	s_or_b32 exec_lo, exec_lo, s2
.LBB719_640:
	s_or_b32 exec_lo, exec_lo, s1
	ds_bpermute_b32 v0, v0, v77
	s_mov_b32 s0, exec_lo
	s_waitcnt lgkmcnt(0)
	v_add_f32_e32 v0, v77, v0
	ds_bpermute_b32 v3, v6, v0
	s_waitcnt lgkmcnt(0)
	v_add_f32_e32 v0, v0, v3
	ds_bpermute_b32 v3, v72, v0
	;; [unrolled: 3-line block ×4, first 2 shown]
	v_cmpx_lt_i32_e32 0, v7
	s_cbranch_execz .LBB719_706
; %bb.641:
	s_and_b32 exec_lo, exec_lo, vcc_lo
	s_cbranch_execz .LBB719_706
; %bb.642:
	s_waitcnt lgkmcnt(0)
	v_add_f32_e32 v4, v0, v3
	v_div_scale_f32 v0, null, v4, v4, v75
	v_div_scale_f32 v7, vcc_lo, v75, v4, v75
	v_cmp_eq_f32_e64 s4, 0, v4
	v_rcp_f32_e32 v3, v0
	v_fma_f32 v6, -v0, v3, 1.0
	v_fmac_f32_e32 v3, v6, v3
	v_mul_f32_e32 v6, v7, v3
	v_fma_f32 v8, -v0, v6, v7
	v_fmac_f32_e32 v6, v8, v3
	v_fma_f32 v0, -v0, v6, v7
	v_div_fmas_f32 v0, v0, v3, v6
	v_div_fixup_f32 v3, v0, v4, v75
	v_add_co_u32 v0, vcc_lo, s68, v1
	v_add_co_ci_u32_e64 v1, null, s69, v2, vcc_lo
	v_cndmask_b32_e64 v2, v3, 0x7fc00000, s4
	global_store_dword v[0:1], v2, off
	s_and_b32 exec_lo, exec_lo, s65
	s_cbranch_execz .LBB719_706
; %bb.643:
	v_div_scale_f32 v2, null, v4, v4, v5
	v_rcp_f32_e32 v3, v2
	v_fma_f32 v6, -v2, v3, 1.0
	v_fmac_f32_e32 v3, v6, v3
	v_div_scale_f32 v6, vcc_lo, v5, v4, v5
	v_mul_f32_e32 v7, v6, v3
	v_fma_f32 v8, -v2, v7, v6
	v_fmac_f32_e32 v7, v8, v3
	v_fma_f32 v2, -v2, v7, v6
	v_div_fmas_f32 v2, v2, v3, v7
	v_div_fixup_f32 v2, v2, v4, v5
	v_cndmask_b32_e64 v2, v2, 0x7fc00000, s4
	global_store_dword v[0:1], v2, off offset:128
	s_and_b32 exec_lo, exec_lo, s64
	s_cbranch_execz .LBB719_706
; %bb.644:
	v_div_scale_f32 v2, null, v4, v4, v71
	v_rcp_f32_e32 v3, v2
	v_fma_f32 v5, -v2, v3, 1.0
	v_fmac_f32_e32 v3, v5, v3
	v_div_scale_f32 v5, vcc_lo, v71, v4, v71
	v_mul_f32_e32 v6, v5, v3
	v_fma_f32 v7, -v2, v6, v5
	v_fmac_f32_e32 v6, v7, v3
	v_fma_f32 v2, -v2, v6, v5
	v_div_fmas_f32 v2, v2, v3, v6
	v_div_fixup_f32 v2, v2, v4, v71
	v_cndmask_b32_e64 v2, v2, 0x7fc00000, s4
	global_store_dword v[0:1], v2, off offset:256
	;; [unrolled: 16-line block ×15, first 2 shown]
	s_and_b32 exec_lo, exec_lo, s50
	s_cbranch_execz .LBB719_706
; %bb.658:
	v_div_scale_f32 v2, null, v4, v4, v57
	v_div_scale_f32 v6, vcc_lo, v57, v4, v57
	v_rcp_f32_e32 v3, v2
	v_fma_f32 v5, -v2, v3, 1.0
	v_fmac_f32_e32 v3, v5, v3
	v_mul_f32_e32 v5, v6, v3
	v_fma_f32 v7, -v2, v5, v6
	v_fmac_f32_e32 v5, v7, v3
	v_fma_f32 v2, -v2, v5, v6
	v_div_fmas_f32 v2, v2, v3, v5
	v_div_fixup_f32 v2, v2, v4, v57
	v_cndmask_b32_e64 v5, v2, 0x7fc00000, s4
	v_add_co_u32 v2, vcc_lo, 0x800, v0
	v_add_co_ci_u32_e64 v3, null, 0, v1, vcc_lo
	global_store_dword v[2:3], v5, off
	s_and_b32 exec_lo, exec_lo, s49
	s_cbranch_execz .LBB719_706
; %bb.659:
	v_div_scale_f32 v5, null, v4, v4, v56
	v_rcp_f32_e32 v6, v5
	v_fma_f32 v7, -v5, v6, 1.0
	v_fmac_f32_e32 v6, v7, v6
	v_div_scale_f32 v7, vcc_lo, v56, v4, v56
	v_mul_f32_e32 v8, v7, v6
	v_fma_f32 v9, -v5, v8, v7
	v_fmac_f32_e32 v8, v9, v6
	v_fma_f32 v5, -v5, v8, v7
	v_div_fmas_f32 v5, v5, v6, v8
	v_div_fixup_f32 v5, v5, v4, v56
	v_cndmask_b32_e64 v5, v5, 0x7fc00000, s4
	global_store_dword v[2:3], v5, off offset:128
	s_and_b32 exec_lo, exec_lo, s48
	s_cbranch_execz .LBB719_706
; %bb.660:
	v_div_scale_f32 v5, null, v4, v4, v55
	v_rcp_f32_e32 v6, v5
	v_fma_f32 v7, -v5, v6, 1.0
	v_fmac_f32_e32 v6, v7, v6
	v_div_scale_f32 v7, vcc_lo, v55, v4, v55
	v_mul_f32_e32 v8, v7, v6
	v_fma_f32 v9, -v5, v8, v7
	v_fmac_f32_e32 v8, v9, v6
	v_fma_f32 v5, -v5, v8, v7
	v_div_fmas_f32 v5, v5, v6, v8
	v_div_fixup_f32 v5, v5, v4, v55
	v_cndmask_b32_e64 v5, v5, 0x7fc00000, s4
	global_store_dword v[2:3], v5, off offset:256
	;; [unrolled: 16-line block ×13, first 2 shown]
	s_and_b32 exec_lo, exec_lo, s36
	s_cbranch_execz .LBB719_706
; %bb.672:
	v_div_scale_f32 v5, null, v4, v4, v43
	v_readlane_b32 s0, v81, 0
	v_rcp_f32_e32 v6, v5
	v_fma_f32 v7, -v5, v6, 1.0
	v_fmac_f32_e32 v6, v7, v6
	v_div_scale_f32 v7, vcc_lo, v43, v4, v43
	v_mul_f32_e32 v8, v7, v6
	v_fma_f32 v9, -v5, v8, v7
	v_fmac_f32_e32 v8, v9, v6
	v_fma_f32 v5, -v5, v8, v7
	v_div_fmas_f32 v5, v5, v6, v8
	v_div_fixup_f32 v5, v5, v4, v43
	v_cndmask_b32_e64 v5, v5, 0x7fc00000, s4
	global_store_dword v[2:3], v5, off offset:1792
	s_and_b32 exec_lo, exec_lo, s0
	s_cbranch_execz .LBB719_706
; %bb.673:
	v_div_scale_f32 v5, null, v4, v4, v42
	v_readlane_b32 s0, v81, 1
	v_rcp_f32_e32 v6, v5
	v_fma_f32 v7, -v5, v6, 1.0
	v_fmac_f32_e32 v6, v7, v6
	v_div_scale_f32 v7, vcc_lo, v42, v4, v42
	v_mul_f32_e32 v8, v7, v6
	v_fma_f32 v9, -v5, v8, v7
	v_fmac_f32_e32 v8, v9, v6
	v_fma_f32 v5, -v5, v8, v7
	v_div_fmas_f32 v5, v5, v6, v8
	v_div_fixup_f32 v5, v5, v4, v42
	v_cndmask_b32_e64 v5, v5, 0x7fc00000, s4
	global_store_dword v[2:3], v5, off offset:1920
	s_and_b32 exec_lo, exec_lo, s0
	s_cbranch_execz .LBB719_706
; %bb.674:
	v_div_scale_f32 v2, null, v4, v4, v41
	v_div_scale_f32 v6, vcc_lo, v41, v4, v41
	v_readlane_b32 s0, v81, 2
	v_rcp_f32_e32 v3, v2
	v_fma_f32 v5, -v2, v3, 1.0
	v_fmac_f32_e32 v3, v5, v3
	v_mul_f32_e32 v5, v6, v3
	v_fma_f32 v7, -v2, v5, v6
	v_fmac_f32_e32 v5, v7, v3
	v_fma_f32 v2, -v2, v5, v6
	v_div_fmas_f32 v2, v2, v3, v5
	v_div_fixup_f32 v2, v2, v4, v41
	v_cndmask_b32_e64 v5, v2, 0x7fc00000, s4
	v_add_co_u32 v2, vcc_lo, 0x1000, v0
	v_add_co_ci_u32_e64 v3, null, 0, v1, vcc_lo
	global_store_dword v[2:3], v5, off
	s_and_b32 exec_lo, exec_lo, s0
	s_cbranch_execz .LBB719_706
; %bb.675:
	v_div_scale_f32 v5, null, v4, v4, v40
	v_readlane_b32 s0, v81, 3
	v_rcp_f32_e32 v6, v5
	v_fma_f32 v7, -v5, v6, 1.0
	v_fmac_f32_e32 v6, v7, v6
	v_div_scale_f32 v7, vcc_lo, v40, v4, v40
	v_mul_f32_e32 v8, v7, v6
	v_fma_f32 v9, -v5, v8, v7
	v_fmac_f32_e32 v8, v9, v6
	v_fma_f32 v5, -v5, v8, v7
	v_div_fmas_f32 v5, v5, v6, v8
	v_div_fixup_f32 v5, v5, v4, v40
	v_cndmask_b32_e64 v5, v5, 0x7fc00000, s4
	global_store_dword v[2:3], v5, off offset:128
	s_and_b32 exec_lo, exec_lo, s0
	s_cbranch_execz .LBB719_706
; %bb.676:
	v_div_scale_f32 v5, null, v4, v4, v39
	v_readlane_b32 s0, v81, 4
	v_rcp_f32_e32 v6, v5
	v_fma_f32 v7, -v5, v6, 1.0
	v_fmac_f32_e32 v6, v7, v6
	v_div_scale_f32 v7, vcc_lo, v39, v4, v39
	v_mul_f32_e32 v8, v7, v6
	v_fma_f32 v9, -v5, v8, v7
	v_fmac_f32_e32 v8, v9, v6
	v_fma_f32 v5, -v5, v8, v7
	v_div_fmas_f32 v5, v5, v6, v8
	v_div_fixup_f32 v5, v5, v4, v39
	v_cndmask_b32_e64 v5, v5, 0x7fc00000, s4
	global_store_dword v[2:3], v5, off offset:256
	;; [unrolled: 17-line block ×15, first 2 shown]
	s_and_b32 exec_lo, exec_lo, s0
	s_cbranch_execz .LBB719_706
; %bb.690:
	v_div_scale_f32 v2, null, v4, v4, v25
	v_div_scale_f32 v6, vcc_lo, v25, v4, v25
	v_readlane_b32 s0, v81, 18
	v_rcp_f32_e32 v3, v2
	v_fma_f32 v5, -v2, v3, 1.0
	v_fmac_f32_e32 v3, v5, v3
	v_mul_f32_e32 v5, v6, v3
	v_fma_f32 v7, -v2, v5, v6
	v_fmac_f32_e32 v5, v7, v3
	v_fma_f32 v2, -v2, v5, v6
	v_div_fmas_f32 v2, v2, v3, v5
	v_add_co_u32 v0, vcc_lo, 0x1800, v0
	v_add_co_ci_u32_e64 v1, null, 0, v1, vcc_lo
	v_div_fixup_f32 v2, v2, v4, v25
	v_cndmask_b32_e64 v2, v2, 0x7fc00000, s4
	global_store_dword v[0:1], v2, off
	s_and_b32 exec_lo, exec_lo, s0
	s_cbranch_execz .LBB719_706
; %bb.691:
	v_div_scale_f32 v2, null, v4, v4, v24
	v_readlane_b32 s0, v81, 19
	v_rcp_f32_e32 v3, v2
	v_fma_f32 v5, -v2, v3, 1.0
	v_fmac_f32_e32 v3, v5, v3
	v_div_scale_f32 v5, vcc_lo, v24, v4, v24
	v_mul_f32_e32 v6, v5, v3
	v_fma_f32 v7, -v2, v6, v5
	v_fmac_f32_e32 v6, v7, v3
	v_fma_f32 v2, -v2, v6, v5
	v_div_fmas_f32 v2, v2, v3, v6
	v_div_fixup_f32 v2, v2, v4, v24
	v_cndmask_b32_e64 v2, v2, 0x7fc00000, s4
	global_store_dword v[0:1], v2, off offset:128
	s_and_b32 exec_lo, exec_lo, s0
	s_cbranch_execz .LBB719_706
; %bb.692:
	v_div_scale_f32 v2, null, v4, v4, v23
	v_readlane_b32 s0, v81, 20
	v_rcp_f32_e32 v3, v2
	v_fma_f32 v5, -v2, v3, 1.0
	v_fmac_f32_e32 v3, v5, v3
	v_div_scale_f32 v5, vcc_lo, v23, v4, v23
	v_mul_f32_e32 v6, v5, v3
	v_fma_f32 v7, -v2, v6, v5
	v_fmac_f32_e32 v6, v7, v3
	v_fma_f32 v2, -v2, v6, v5
	v_div_fmas_f32 v2, v2, v3, v6
	v_div_fixup_f32 v2, v2, v4, v23
	v_cndmask_b32_e64 v2, v2, 0x7fc00000, s4
	global_store_dword v[0:1], v2, off offset:256
	s_and_b32 exec_lo, exec_lo, s0
	s_cbranch_execz .LBB719_706
; %bb.693:
	v_div_scale_f32 v2, null, v4, v4, v22
	v_readlane_b32 s0, v81, 21
	v_rcp_f32_e32 v3, v2
	v_fma_f32 v5, -v2, v3, 1.0
	v_fmac_f32_e32 v3, v5, v3
	v_div_scale_f32 v5, vcc_lo, v22, v4, v22
	v_mul_f32_e32 v6, v5, v3
	v_fma_f32 v7, -v2, v6, v5
	v_fmac_f32_e32 v6, v7, v3
	v_fma_f32 v2, -v2, v6, v5
	v_div_fmas_f32 v2, v2, v3, v6
	v_div_fixup_f32 v2, v2, v4, v22
	v_cndmask_b32_e64 v2, v2, 0x7fc00000, s4
	global_store_dword v[0:1], v2, off offset:384
	s_and_b32 exec_lo, exec_lo, s0
	s_cbranch_execz .LBB719_706
; %bb.694:
	v_div_scale_f32 v2, null, v4, v4, v21
	v_readlane_b32 s0, v81, 22
	v_rcp_f32_e32 v3, v2
	v_fma_f32 v5, -v2, v3, 1.0
	v_fmac_f32_e32 v3, v5, v3
	v_div_scale_f32 v5, vcc_lo, v21, v4, v21
	v_mul_f32_e32 v6, v5, v3
	v_fma_f32 v7, -v2, v6, v5
	v_fmac_f32_e32 v6, v7, v3
	v_fma_f32 v2, -v2, v6, v5
	v_div_fmas_f32 v2, v2, v3, v6
	v_div_fixup_f32 v2, v2, v4, v21
	v_cndmask_b32_e64 v2, v2, 0x7fc00000, s4
	global_store_dword v[0:1], v2, off offset:512
	s_and_b32 exec_lo, exec_lo, s0
	s_cbranch_execz .LBB719_706
; %bb.695:
	v_div_scale_f32 v2, null, v4, v4, v20
	v_readlane_b32 s0, v81, 23
	v_rcp_f32_e32 v3, v2
	v_fma_f32 v5, -v2, v3, 1.0
	v_fmac_f32_e32 v3, v5, v3
	v_div_scale_f32 v5, vcc_lo, v20, v4, v20
	v_mul_f32_e32 v6, v5, v3
	v_fma_f32 v7, -v2, v6, v5
	v_fmac_f32_e32 v6, v7, v3
	v_fma_f32 v2, -v2, v6, v5
	v_div_fmas_f32 v2, v2, v3, v6
	v_div_fixup_f32 v2, v2, v4, v20
	v_cndmask_b32_e64 v2, v2, 0x7fc00000, s4
	global_store_dword v[0:1], v2, off offset:640
	s_and_b32 exec_lo, exec_lo, s0
	s_cbranch_execz .LBB719_706
; %bb.696:
	v_div_scale_f32 v2, null, v4, v4, v19
	v_readlane_b32 s0, v81, 24
	v_rcp_f32_e32 v3, v2
	v_fma_f32 v5, -v2, v3, 1.0
	v_fmac_f32_e32 v3, v5, v3
	v_div_scale_f32 v5, vcc_lo, v19, v4, v19
	v_mul_f32_e32 v6, v5, v3
	v_fma_f32 v7, -v2, v6, v5
	v_fmac_f32_e32 v6, v7, v3
	v_fma_f32 v2, -v2, v6, v5
	v_div_fmas_f32 v2, v2, v3, v6
	v_div_fixup_f32 v2, v2, v4, v19
	v_cndmask_b32_e64 v2, v2, 0x7fc00000, s4
	global_store_dword v[0:1], v2, off offset:768
	s_and_b32 exec_lo, exec_lo, s0
	s_cbranch_execz .LBB719_706
; %bb.697:
	v_div_scale_f32 v2, null, v4, v4, v18
	v_readlane_b32 s0, v81, 25
	v_rcp_f32_e32 v3, v2
	v_fma_f32 v5, -v2, v3, 1.0
	v_fmac_f32_e32 v3, v5, v3
	v_div_scale_f32 v5, vcc_lo, v18, v4, v18
	v_mul_f32_e32 v6, v5, v3
	v_fma_f32 v7, -v2, v6, v5
	v_fmac_f32_e32 v6, v7, v3
	v_fma_f32 v2, -v2, v6, v5
	v_div_fmas_f32 v2, v2, v3, v6
	v_div_fixup_f32 v2, v2, v4, v18
	v_cndmask_b32_e64 v2, v2, 0x7fc00000, s4
	global_store_dword v[0:1], v2, off offset:896
	s_and_b32 exec_lo, exec_lo, s0
	s_cbranch_execz .LBB719_706
; %bb.698:
	v_div_scale_f32 v2, null, v4, v4, v17
	v_readlane_b32 s0, v81, 26
	v_rcp_f32_e32 v3, v2
	v_fma_f32 v5, -v2, v3, 1.0
	v_fmac_f32_e32 v3, v5, v3
	v_div_scale_f32 v5, vcc_lo, v17, v4, v17
	v_mul_f32_e32 v6, v5, v3
	v_fma_f32 v7, -v2, v6, v5
	v_fmac_f32_e32 v6, v7, v3
	v_fma_f32 v2, -v2, v6, v5
	v_div_fmas_f32 v2, v2, v3, v6
	v_div_fixup_f32 v2, v2, v4, v17
	v_cndmask_b32_e64 v2, v2, 0x7fc00000, s4
	global_store_dword v[0:1], v2, off offset:1024
	s_and_b32 exec_lo, exec_lo, s0
	s_cbranch_execz .LBB719_706
; %bb.699:
	v_div_scale_f32 v2, null, v4, v4, v16
	v_readlane_b32 s0, v81, 27
	v_rcp_f32_e32 v3, v2
	v_fma_f32 v5, -v2, v3, 1.0
	v_fmac_f32_e32 v3, v5, v3
	v_div_scale_f32 v5, vcc_lo, v16, v4, v16
	v_mul_f32_e32 v6, v5, v3
	v_fma_f32 v7, -v2, v6, v5
	v_fmac_f32_e32 v6, v7, v3
	v_fma_f32 v2, -v2, v6, v5
	v_div_fmas_f32 v2, v2, v3, v6
	v_div_fixup_f32 v2, v2, v4, v16
	v_cndmask_b32_e64 v2, v2, 0x7fc00000, s4
	global_store_dword v[0:1], v2, off offset:1152
	s_and_b32 exec_lo, exec_lo, s0
	s_cbranch_execz .LBB719_706
; %bb.700:
	v_div_scale_f32 v2, null, v4, v4, v15
	v_readlane_b32 s0, v81, 28
	v_rcp_f32_e32 v3, v2
	v_fma_f32 v5, -v2, v3, 1.0
	v_fmac_f32_e32 v3, v5, v3
	v_div_scale_f32 v5, vcc_lo, v15, v4, v15
	v_mul_f32_e32 v6, v5, v3
	v_fma_f32 v7, -v2, v6, v5
	v_fmac_f32_e32 v6, v7, v3
	v_fma_f32 v2, -v2, v6, v5
	v_div_fmas_f32 v2, v2, v3, v6
	v_div_fixup_f32 v2, v2, v4, v15
	v_cndmask_b32_e64 v2, v2, 0x7fc00000, s4
	global_store_dword v[0:1], v2, off offset:1280
	s_and_b32 exec_lo, exec_lo, s0
	s_cbranch_execz .LBB719_706
; %bb.701:
	v_div_scale_f32 v2, null, v4, v4, v14
	v_readlane_b32 s0, v81, 29
	v_rcp_f32_e32 v3, v2
	v_fma_f32 v5, -v2, v3, 1.0
	v_fmac_f32_e32 v3, v5, v3
	v_div_scale_f32 v5, vcc_lo, v14, v4, v14
	v_mul_f32_e32 v6, v5, v3
	v_fma_f32 v7, -v2, v6, v5
	v_fmac_f32_e32 v6, v7, v3
	v_fma_f32 v2, -v2, v6, v5
	v_div_fmas_f32 v2, v2, v3, v6
	v_div_fixup_f32 v2, v2, v4, v14
	v_cndmask_b32_e64 v2, v2, 0x7fc00000, s4
	global_store_dword v[0:1], v2, off offset:1408
	s_and_b32 exec_lo, exec_lo, s0
	s_cbranch_execz .LBB719_706
; %bb.702:
	v_div_scale_f32 v2, null, v4, v4, v13
	v_readlane_b32 s0, v81, 30
	v_rcp_f32_e32 v3, v2
	v_fma_f32 v5, -v2, v3, 1.0
	v_fmac_f32_e32 v3, v5, v3
	v_div_scale_f32 v5, vcc_lo, v13, v4, v13
	v_mul_f32_e32 v6, v5, v3
	v_fma_f32 v7, -v2, v6, v5
	v_fmac_f32_e32 v6, v7, v3
	v_fma_f32 v2, -v2, v6, v5
	v_div_fmas_f32 v2, v2, v3, v6
	v_div_fixup_f32 v2, v2, v4, v13
	v_cndmask_b32_e64 v2, v2, 0x7fc00000, s4
	global_store_dword v[0:1], v2, off offset:1536
	s_and_b32 exec_lo, exec_lo, s0
	s_cbranch_execz .LBB719_706
; %bb.703:
	v_div_scale_f32 v2, null, v4, v4, v12
	v_readlane_b32 s0, v81, 31
	v_rcp_f32_e32 v3, v2
	v_fma_f32 v5, -v2, v3, 1.0
	v_fmac_f32_e32 v3, v5, v3
	v_div_scale_f32 v5, vcc_lo, v12, v4, v12
	v_mul_f32_e32 v6, v5, v3
	v_fma_f32 v7, -v2, v6, v5
	v_fmac_f32_e32 v6, v7, v3
	v_fma_f32 v2, -v2, v6, v5
	v_div_fmas_f32 v2, v2, v3, v6
	v_div_fixup_f32 v2, v2, v4, v12
	v_cndmask_b32_e64 v2, v2, 0x7fc00000, s4
	global_store_dword v[0:1], v2, off offset:1664
	s_and_b32 exec_lo, exec_lo, s0
	s_cbranch_execz .LBB719_706
; %bb.704:
	v_div_scale_f32 v2, null, v4, v4, v11
	v_readlane_b32 s0, v80, 0
	v_rcp_f32_e32 v3, v2
	v_fma_f32 v5, -v2, v3, 1.0
	v_fmac_f32_e32 v3, v5, v3
	v_div_scale_f32 v5, vcc_lo, v11, v4, v11
	v_mul_f32_e32 v6, v5, v3
	v_fma_f32 v7, -v2, v6, v5
	v_fmac_f32_e32 v6, v7, v3
	v_fma_f32 v2, -v2, v6, v5
	v_div_fmas_f32 v2, v2, v3, v6
	v_div_fixup_f32 v2, v2, v4, v11
	v_cndmask_b32_e64 v2, v2, 0x7fc00000, s4
	global_store_dword v[0:1], v2, off offset:1792
	s_and_b32 exec_lo, exec_lo, s0
	s_cbranch_execz .LBB719_706
; %bb.705:
	v_div_scale_f32 v2, null, v4, v4, v10
	v_rcp_f32_e32 v3, v2
	v_fma_f32 v5, -v2, v3, 1.0
	v_fmac_f32_e32 v3, v5, v3
	v_div_scale_f32 v5, vcc_lo, v10, v4, v10
	v_mul_f32_e32 v6, v5, v3
	v_fma_f32 v7, -v2, v6, v5
	v_fmac_f32_e32 v6, v7, v3
	v_fma_f32 v2, -v2, v6, v5
	v_div_fmas_f32 v2, v2, v3, v6
	v_div_fixup_f32 v2, v2, v4, v10
	v_cndmask_b32_e64 v2, v2, 0x7fc00000, s4
	global_store_dword v[0:1], v2, off offset:1920
.LBB719_706:
	s_endpgm
	.section	.rodata,"a",@progbits
	.p2align	6, 0x0
	.amdhsa_kernel _ZN12_GLOBAL__N_120softmax_warp_forwardIfffLi11ELb0ELb1ELi32EEEvPT0_PKT_iiiPKbib
		.amdhsa_group_segment_fixed_size 0
		.amdhsa_private_segment_fixed_size 0
		.amdhsa_kernarg_size 304
		.amdhsa_user_sgpr_count 6
		.amdhsa_user_sgpr_private_segment_buffer 1
		.amdhsa_user_sgpr_dispatch_ptr 0
		.amdhsa_user_sgpr_queue_ptr 0
		.amdhsa_user_sgpr_kernarg_segment_ptr 1
		.amdhsa_user_sgpr_dispatch_id 0
		.amdhsa_user_sgpr_flat_scratch_init 0
		.amdhsa_user_sgpr_private_segment_size 0
		.amdhsa_wavefront_size32 1
		.amdhsa_uses_dynamic_stack 0
		.amdhsa_system_sgpr_private_segment_wavefront_offset 0
		.amdhsa_system_sgpr_workgroup_id_x 1
		.amdhsa_system_sgpr_workgroup_id_y 0
		.amdhsa_system_sgpr_workgroup_id_z 0
		.amdhsa_system_sgpr_workgroup_info 0
		.amdhsa_system_vgpr_workitem_id 1
		.amdhsa_next_free_vgpr 82
		.amdhsa_next_free_sgpr 105
		.amdhsa_reserve_vcc 1
		.amdhsa_reserve_flat_scratch 0
		.amdhsa_float_round_mode_32 0
		.amdhsa_float_round_mode_16_64 0
		.amdhsa_float_denorm_mode_32 3
		.amdhsa_float_denorm_mode_16_64 3
		.amdhsa_dx10_clamp 1
		.amdhsa_ieee_mode 1
		.amdhsa_fp16_overflow 0
		.amdhsa_workgroup_processor_mode 1
		.amdhsa_memory_ordered 1
		.amdhsa_forward_progress 1
		.amdhsa_shared_vgpr_count 0
		.amdhsa_exception_fp_ieee_invalid_op 0
		.amdhsa_exception_fp_denorm_src 0
		.amdhsa_exception_fp_ieee_div_zero 0
		.amdhsa_exception_fp_ieee_overflow 0
		.amdhsa_exception_fp_ieee_underflow 0
		.amdhsa_exception_fp_ieee_inexact 0
		.amdhsa_exception_int_div_zero 0
	.end_amdhsa_kernel
	.section	.text._ZN12_GLOBAL__N_120softmax_warp_forwardIfffLi11ELb0ELb1ELi32EEEvPT0_PKT_iiiPKbib,"axG",@progbits,_ZN12_GLOBAL__N_120softmax_warp_forwardIfffLi11ELb0ELb1ELi32EEEvPT0_PKT_iiiPKbib,comdat
.Lfunc_end719:
	.size	_ZN12_GLOBAL__N_120softmax_warp_forwardIfffLi11ELb0ELb1ELi32EEEvPT0_PKT_iiiPKbib, .Lfunc_end719-_ZN12_GLOBAL__N_120softmax_warp_forwardIfffLi11ELb0ELb1ELi32EEEvPT0_PKT_iiiPKbib
                                        ; -- End function
	.set _ZN12_GLOBAL__N_120softmax_warp_forwardIfffLi11ELb0ELb1ELi32EEEvPT0_PKT_iiiPKbib.num_vgpr, 82
	.set _ZN12_GLOBAL__N_120softmax_warp_forwardIfffLi11ELb0ELb1ELi32EEEvPT0_PKT_iiiPKbib.num_agpr, 0
	.set _ZN12_GLOBAL__N_120softmax_warp_forwardIfffLi11ELb0ELb1ELi32EEEvPT0_PKT_iiiPKbib.numbered_sgpr, 105
	.set _ZN12_GLOBAL__N_120softmax_warp_forwardIfffLi11ELb0ELb1ELi32EEEvPT0_PKT_iiiPKbib.num_named_barrier, 0
	.set _ZN12_GLOBAL__N_120softmax_warp_forwardIfffLi11ELb0ELb1ELi32EEEvPT0_PKT_iiiPKbib.private_seg_size, 0
	.set _ZN12_GLOBAL__N_120softmax_warp_forwardIfffLi11ELb0ELb1ELi32EEEvPT0_PKT_iiiPKbib.uses_vcc, 1
	.set _ZN12_GLOBAL__N_120softmax_warp_forwardIfffLi11ELb0ELb1ELi32EEEvPT0_PKT_iiiPKbib.uses_flat_scratch, 0
	.set _ZN12_GLOBAL__N_120softmax_warp_forwardIfffLi11ELb0ELb1ELi32EEEvPT0_PKT_iiiPKbib.has_dyn_sized_stack, 0
	.set _ZN12_GLOBAL__N_120softmax_warp_forwardIfffLi11ELb0ELb1ELi32EEEvPT0_PKT_iiiPKbib.has_recursion, 0
	.set _ZN12_GLOBAL__N_120softmax_warp_forwardIfffLi11ELb0ELb1ELi32EEEvPT0_PKT_iiiPKbib.has_indirect_call, 0
	.section	.AMDGPU.csdata,"",@progbits
; Kernel info:
; codeLenInByte = 28816
; TotalNumSgprs: 107
; NumVgprs: 82
; ScratchSize: 0
; MemoryBound: 0
; FloatMode: 240
; IeeeMode: 1
; LDSByteSize: 0 bytes/workgroup (compile time only)
; SGPRBlocks: 0
; VGPRBlocks: 10
; NumSGPRsForWavesPerEU: 107
; NumVGPRsForWavesPerEU: 82
; Occupancy: 10
; WaveLimiterHint : 0
; COMPUTE_PGM_RSRC2:SCRATCH_EN: 0
; COMPUTE_PGM_RSRC2:USER_SGPR: 6
; COMPUTE_PGM_RSRC2:TRAP_HANDLER: 0
; COMPUTE_PGM_RSRC2:TGID_X_EN: 1
; COMPUTE_PGM_RSRC2:TGID_Y_EN: 0
; COMPUTE_PGM_RSRC2:TGID_Z_EN: 0
; COMPUTE_PGM_RSRC2:TIDIG_COMP_CNT: 1
	.section	.text._ZN12_GLOBAL__N_120softmax_warp_forwardIN3c104HalfES2_fLi0ELb0ELb1ELi64EEEvPT0_PKT_iiiPKbib,"axG",@progbits,_ZN12_GLOBAL__N_120softmax_warp_forwardIN3c104HalfES2_fLi0ELb0ELb1ELi64EEEvPT0_PKT_iiiPKbib,comdat
	.globl	_ZN12_GLOBAL__N_120softmax_warp_forwardIN3c104HalfES2_fLi0ELb0ELb1ELi64EEEvPT0_PKT_iiiPKbib ; -- Begin function _ZN12_GLOBAL__N_120softmax_warp_forwardIN3c104HalfES2_fLi0ELb0ELb1ELi64EEEvPT0_PKT_iiiPKbib
	.p2align	8
	.type	_ZN12_GLOBAL__N_120softmax_warp_forwardIN3c104HalfES2_fLi0ELb0ELb1ELi64EEEvPT0_PKT_iiiPKbib,@function
_ZN12_GLOBAL__N_120softmax_warp_forwardIN3c104HalfES2_fLi0ELb0ELb1ELi64EEEvPT0_PKT_iiiPKbib: ; @_ZN12_GLOBAL__N_120softmax_warp_forwardIN3c104HalfES2_fLi0ELb0ELb1ELi64EEEvPT0_PKT_iiiPKbib
; %bb.0:
	s_clause 0x2
	s_load_dwordx2 s[8:9], s[4:5], 0x28
	s_load_dword s10, s[4:5], 0x3c
	s_load_dwordx4 s[0:3], s[4:5], 0x10
	s_waitcnt lgkmcnt(0)
	s_bitcmp1_b32 s9, 0
	s_cselect_b32 s7, -1, 0
	s_lshr_b32 s3, s10, 16
	s_and_b32 s3, s3, 0xffff
	s_bitcmp0_b32 s9, 0
	s_mul_i32 s6, s6, s3
	v_add_lshl_u32 v5, s6, v1, 1
	v_mul_lo_u32 v6, v5, s1
	v_add_nc_u32_e32 v1, v6, v0
	v_ashrrev_i32_e32 v2, 31, v1
	v_mov_b32_e32 v4, v2
	v_mov_b32_e32 v3, v1
	s_cbranch_scc1 .LBB720_2
; %bb.1:
	s_abs_i32 s3, s8
	v_sub_nc_u32_e32 v7, 0, v6
	v_cvt_f32_u32_e32 v3, s3
	s_sub_i32 s6, 0, s3
	v_max_i32_e32 v7, v6, v7
	v_rcp_iflag_f32_e32 v3, v3
	v_xor_b32_e32 v6, s8, v6
	v_ashrrev_i32_e32 v6, 31, v6
	v_mul_f32_e32 v3, 0x4f7ffffe, v3
	v_cvt_u32_f32_e32 v3, v3
	v_mul_lo_u32 v4, s6, v3
	v_mul_hi_u32 v4, v3, v4
	v_add_nc_u32_e32 v3, v3, v4
	v_mul_hi_u32 v3, v7, v3
	v_mul_lo_u32 v4, v3, s3
	v_sub_nc_u32_e32 v4, v7, v4
	v_add_nc_u32_e32 v7, 1, v3
	v_subrev_nc_u32_e32 v8, s3, v4
	v_cmp_le_u32_e32 vcc_lo, s3, v4
	v_cndmask_b32_e32 v3, v3, v7, vcc_lo
	v_cndmask_b32_e32 v4, v4, v8, vcc_lo
	v_add_nc_u32_e32 v7, 1, v3
	v_cmp_le_u32_e32 vcc_lo, s3, v4
	v_cndmask_b32_e32 v3, v3, v7, vcc_lo
	v_xor_b32_e32 v3, v3, v6
	v_sub_nc_u32_e32 v3, v3, v6
	v_mad_u64_u32 v[3:4], null, v3, s1, v[0:1]
	v_ashrrev_i32_e32 v4, 31, v3
.LBB720_2:
	s_load_dwordx4 s[8:11], s[4:5], 0x0
	v_lshlrev_b64 v[1:2], 1, v[1:2]
	v_sub_nc_u32_e32 v11, s0, v5
	v_cmp_gt_i32_e64 s0, s2, v0
	v_mov_b32_e32 v8, 0xff800000
	v_mov_b32_e32 v7, 0xff800000
	v_cmp_lt_i32_e32 vcc_lo, 0, v11
	s_waitcnt lgkmcnt(0)
	v_add_co_u32 v5, s1, s10, v1
	v_add_co_ci_u32_e64 v6, null, s11, v2, s1
	s_and_b32 s10, s0, vcc_lo
	s_and_saveexec_b32 s1, s10
	s_cbranch_execz .LBB720_4
; %bb.3:
	global_load_ushort v0, v[5:6], off
	s_waitcnt vmcnt(0)
	v_cvt_f32_f16_e32 v7, v0
.LBB720_4:
	s_or_b32 exec_lo, exec_lo, s1
	v_cmp_lt_i32_e64 s1, 1, v11
	s_and_b32 s6, s0, s1
	s_and_saveexec_b32 s11, s6
	s_cbranch_execz .LBB720_6
; %bb.5:
	s_mov_b32 s3, 0
	s_lshl_b64 s[12:13], s[2:3], 1
	v_add_co_u32 v5, s1, v5, s12
	v_add_co_ci_u32_e64 v6, null, s13, v6, s1
	global_load_ushort v0, v[5:6], off
	s_waitcnt vmcnt(0)
	v_cvt_f32_f16_e32 v8, v0
.LBB720_6:
	s_or_b32 exec_lo, exec_lo, s11
	s_load_dwordx2 s[4:5], s[4:5], 0x20
	v_mov_b32_e32 v12, 0xff800000
	s_waitcnt lgkmcnt(0)
	v_add_co_u32 v5, s1, s4, v3
	v_add_co_ci_u32_e64 v6, null, s5, v4, s1
	s_and_saveexec_b32 s3, s10
	s_cbranch_execz .LBB720_8
; %bb.7:
	global_load_ubyte v0, v[5:6], off
	s_waitcnt vmcnt(0)
	v_and_b32_e32 v0, 1, v0
	v_cmp_eq_u32_e64 s1, 1, v0
	v_cndmask_b32_e64 v12, v7, 0xff800000, s1
.LBB720_8:
	s_or_b32 exec_lo, exec_lo, s3
	s_xor_b32 s3, s10, -1
	s_mov_b32 s1, 0
	s_and_saveexec_b32 s4, s6
	s_cbranch_execz .LBB720_12
; %bb.9:
	s_and_b32 s1, s7, exec_lo
	s_cselect_b32 s1, 0, s2
	s_cselect_b32 s5, 0, 0
	v_add_co_u32 v3, s1, v5, s1
	v_add_co_ci_u32_e64 v4, null, s5, v6, s1
	s_mov_b32 s5, 0
	global_load_ubyte v0, v[3:4], off
	s_waitcnt vmcnt(0)
	v_and_b32_e32 v0, 1, v0
	v_cmp_eq_u32_e64 s1, 1, v0
	s_xor_b32 s10, s1, -1
	s_and_saveexec_b32 s1, s10
; %bb.10:
	s_mov_b32 s5, exec_lo
; %bb.11:
	s_or_b32 exec_lo, exec_lo, s1
	s_and_b32 s1, s5, exec_lo
.LBB720_12:
	s_or_b32 exec_lo, exec_lo, s4
	v_cndmask_b32_e64 v0, 0xff800000, v8, s1
                                        ; implicit-def: $vgpr9_vgpr10
	s_and_saveexec_b32 s1, s3
	s_xor_b32 s1, exec_lo, s1
; %bb.13:
	v_mov_b32_e32 v7, 0
	v_mov_b32_e32 v10, v8
                                        ; implicit-def: $vgpr12
	v_mov_b32_e32 v9, v7
                                        ; implicit-def: $vgpr8
                                        ; implicit-def: $vgpr7
; %bb.14:
	s_or_saveexec_b32 s3, s1
	v_mov_b32_e32 v3, 0
	s_xor_b32 s4, s6, -1
	v_mov_b32_e32 v4, v3
	s_xor_b32 exec_lo, exec_lo, s3
	s_cbranch_execz .LBB720_20
; %bb.15:
	global_load_ubyte v4, v[5:6], off
	s_waitcnt vmcnt(0)
	v_and_b32_e32 v9, 1, v4
	v_mov_b32_e32 v4, v8
	v_cmp_eq_u32_e64 s1, 1, v9
	v_mov_b32_e32 v10, v4
	v_mov_b32_e32 v9, v3
	s_xor_b32 s1, s1, -1
	s_and_saveexec_b32 s5, s1
	s_xor_b32 s5, exec_lo, s5
	s_cbranch_execz .LBB720_17
; %bb.16:
	v_sub_f32_e32 v4, v7, v12
	v_mov_b32_e32 v13, v3
	v_mul_f32_e32 v7, 0x3fb8aa3b, v4
	v_cmp_ngt_f32_e64 s1, 0xc2ce8ed0, v4
	v_fma_f32 v9, 0x3fb8aa3b, v4, -v7
	v_rndne_f32_e32 v10, v7
	v_fmamk_f32 v9, v4, 0x32a5705f, v9
	v_sub_f32_e32 v7, v7, v10
	v_add_f32_e32 v7, v7, v9
	v_cvt_i32_f32_e32 v9, v10
	v_exp_f32_e32 v7, v7
	v_ldexp_f32 v7, v7, v9
	v_cndmask_b32_e64 v7, 0, v7, s1
	v_cmp_nlt_f32_e64 s1, 0x42b17218, v4
	v_cndmask_b32_e64 v7, 0x7f800000, v7, s1
	v_mov_b32_e32 v10, v8
	v_mov_b32_e32 v12, v7
	;; [unrolled: 1-line block ×5, first 2 shown]
.LBB720_17:
	s_andn2_saveexec_b32 s1, s5
; %bb.18:
	v_mov_b32_e32 v3, 0
	v_mov_b32_e32 v4, v3
; %bb.19:
	s_or_b32 exec_lo, exec_lo, s1
.LBB720_20:
	s_or_b32 exec_lo, exec_lo, s3
                                        ; implicit-def: $vgpr7_vgpr8
	s_and_saveexec_b32 s1, s4
	s_xor_b32 s1, exec_lo, s1
	s_cbranch_execz .LBB720_23
; %bb.21:
	v_mov_b32_e32 v10, 0
	v_mov_b32_e32 v7, v9
                                        ; implicit-def: $vgpr5
                                        ; implicit-def: $vgpr0
	v_mov_b32_e32 v8, v10
                                        ; implicit-def: $vgpr9_vgpr10
	s_andn2_saveexec_b32 s3, s1
	s_cbranch_execnz .LBB720_24
.LBB720_22:
	s_or_b32 exec_lo, exec_lo, s3
	s_and_saveexec_b32 s1, vcc_lo
	s_cbranch_execnz .LBB720_27
	s_branch .LBB720_37
.LBB720_23:
	s_andn2_saveexec_b32 s3, s1
	s_cbranch_execz .LBB720_22
.LBB720_24:
	s_and_b32 s1, s7, exec_lo
	s_cselect_b32 s1, 0, s2
	s_cselect_b32 s4, 0, 0
	v_add_co_u32 v5, s1, v5, s1
	v_add_co_ci_u32_e64 v6, null, s4, v6, s1
	v_mov_b32_e32 v8, 0
	v_mov_b32_e32 v7, v9
	global_load_ubyte v5, v[5:6], off
	s_waitcnt vmcnt(0)
	v_and_b32_e32 v5, 1, v5
	v_cmp_eq_u32_e64 s1, 1, v5
	s_xor_b32 s1, s1, -1
	s_and_saveexec_b32 s4, s1
	s_xor_b32 s4, exec_lo, s4
	s_cbranch_execz .LBB720_26
; %bb.25:
	v_sub_f32_e32 v0, v10, v0
	v_mul_f32_e32 v5, 0x3fb8aa3b, v0
	v_cmp_ngt_f32_e64 s1, 0xc2ce8ed0, v0
	v_fma_f32 v6, 0x3fb8aa3b, v0, -v5
	v_rndne_f32_e32 v7, v5
	v_fmamk_f32 v6, v0, 0x32a5705f, v6
	v_sub_f32_e32 v5, v5, v7
	v_add_f32_e32 v5, v5, v6
	v_cvt_i32_f32_e32 v6, v7
	v_exp_f32_e32 v5, v5
	v_ldexp_f32 v5, v5, v6
	v_cndmask_b32_e64 v5, 0, v5, s1
	v_cmp_nlt_f32_e64 s1, 0x42b17218, v0
	v_cndmask_b32_e64 v10, 0x7f800000, v5, s1
	v_mov_b32_e32 v7, v9
	v_add_f32_e32 v4, v4, v10
	v_mov_b32_e32 v8, v10
.LBB720_26:
	s_andn2_saveexec_b32 s1, s4
	s_or_b32 exec_lo, exec_lo, s1
	s_or_b32 exec_lo, exec_lo, s3
	s_and_saveexec_b32 s1, vcc_lo
	s_cbranch_execz .LBB720_37
.LBB720_27:
	v_add_co_u32 v0, vcc_lo, s8, v1
	v_add_co_ci_u32_e64 v1, null, s9, v2, vcc_lo
	s_and_saveexec_b32 s1, s0
	s_cbranch_execz .LBB720_32
; %bb.28:
	s_mov_b32 s3, exec_lo
	v_cmpx_neq_f32_e32 0, v3
	s_xor_b32 s3, exec_lo, s3
	s_cbranch_execz .LBB720_30
; %bb.29:
	v_div_scale_f32 v2, null, v3, v3, v7
	v_rcp_f32_e32 v5, v2
	v_fma_f32 v6, -v2, v5, 1.0
	v_fmac_f32_e32 v5, v6, v5
	v_div_scale_f32 v6, vcc_lo, v7, v3, v7
	v_mul_f32_e32 v9, v6, v5
	v_fma_f32 v10, -v2, v9, v6
	v_fmac_f32_e32 v9, v10, v5
	v_fma_f32 v2, -v2, v9, v6
	v_div_fmas_f32 v2, v2, v5, v9
	v_div_fixup_f32 v2, v2, v3, v7
	v_cvt_f16_f32_e32 v2, v2
	global_store_short v[0:1], v2, off
.LBB720_30:
	s_andn2_saveexec_b32 s3, s3
	s_cbranch_execz .LBB720_32
; %bb.31:
	v_mov_b32_e32 v2, 0x7e00
	global_store_short v[0:1], v2, off
.LBB720_32:
	s_or_b32 exec_lo, exec_lo, s1
	v_cmp_ne_u32_e32 vcc_lo, 1, v11
	s_and_b32 s0, vcc_lo, s0
	s_and_b32 exec_lo, exec_lo, s0
	s_cbranch_execz .LBB720_37
; %bb.33:
	s_mov_b32 s3, 0
	s_lshl_b64 s[0:1], s[2:3], 1
	v_add_co_u32 v0, s0, v0, s0
	v_add_co_ci_u32_e64 v1, null, s1, v1, s0
	s_mov_b32 s0, exec_lo
	v_cmpx_neq_f32_e32 0, v4
	s_xor_b32 s0, exec_lo, s0
	s_cbranch_execz .LBB720_35
; %bb.34:
	v_div_scale_f32 v2, null, v4, v4, v8
	v_rcp_f32_e32 v3, v2
	v_fma_f32 v5, -v2, v3, 1.0
	v_fmac_f32_e32 v3, v5, v3
	v_div_scale_f32 v5, vcc_lo, v8, v4, v8
	v_mul_f32_e32 v6, v5, v3
	v_fma_f32 v7, -v2, v6, v5
	v_fmac_f32_e32 v6, v7, v3
	v_fma_f32 v2, -v2, v6, v5
	v_div_fmas_f32 v2, v2, v3, v6
	v_div_fixup_f32 v2, v2, v4, v8
	v_cvt_f16_f32_e32 v2, v2
	global_store_short v[0:1], v2, off
                                        ; implicit-def: $vgpr0_vgpr1
.LBB720_35:
	s_andn2_saveexec_b32 s0, s0
	s_cbranch_execz .LBB720_37
; %bb.36:
	v_mov_b32_e32 v2, 0x7e00
	global_store_short v[0:1], v2, off
	s_endpgm
.LBB720_37:
	s_endpgm
	.section	.rodata,"a",@progbits
	.p2align	6, 0x0
	.amdhsa_kernel _ZN12_GLOBAL__N_120softmax_warp_forwardIN3c104HalfES2_fLi0ELb0ELb1ELi64EEEvPT0_PKT_iiiPKbib
		.amdhsa_group_segment_fixed_size 0
		.amdhsa_private_segment_fixed_size 0
		.amdhsa_kernarg_size 304
		.amdhsa_user_sgpr_count 6
		.amdhsa_user_sgpr_private_segment_buffer 1
		.amdhsa_user_sgpr_dispatch_ptr 0
		.amdhsa_user_sgpr_queue_ptr 0
		.amdhsa_user_sgpr_kernarg_segment_ptr 1
		.amdhsa_user_sgpr_dispatch_id 0
		.amdhsa_user_sgpr_flat_scratch_init 0
		.amdhsa_user_sgpr_private_segment_size 0
		.amdhsa_wavefront_size32 1
		.amdhsa_uses_dynamic_stack 0
		.amdhsa_system_sgpr_private_segment_wavefront_offset 0
		.amdhsa_system_sgpr_workgroup_id_x 1
		.amdhsa_system_sgpr_workgroup_id_y 0
		.amdhsa_system_sgpr_workgroup_id_z 0
		.amdhsa_system_sgpr_workgroup_info 0
		.amdhsa_system_vgpr_workitem_id 1
		.amdhsa_next_free_vgpr 14
		.amdhsa_next_free_sgpr 14
		.amdhsa_reserve_vcc 1
		.amdhsa_reserve_flat_scratch 0
		.amdhsa_float_round_mode_32 0
		.amdhsa_float_round_mode_16_64 0
		.amdhsa_float_denorm_mode_32 3
		.amdhsa_float_denorm_mode_16_64 3
		.amdhsa_dx10_clamp 1
		.amdhsa_ieee_mode 1
		.amdhsa_fp16_overflow 0
		.amdhsa_workgroup_processor_mode 1
		.amdhsa_memory_ordered 1
		.amdhsa_forward_progress 1
		.amdhsa_shared_vgpr_count 0
		.amdhsa_exception_fp_ieee_invalid_op 0
		.amdhsa_exception_fp_denorm_src 0
		.amdhsa_exception_fp_ieee_div_zero 0
		.amdhsa_exception_fp_ieee_overflow 0
		.amdhsa_exception_fp_ieee_underflow 0
		.amdhsa_exception_fp_ieee_inexact 0
		.amdhsa_exception_int_div_zero 0
	.end_amdhsa_kernel
	.section	.text._ZN12_GLOBAL__N_120softmax_warp_forwardIN3c104HalfES2_fLi0ELb0ELb1ELi64EEEvPT0_PKT_iiiPKbib,"axG",@progbits,_ZN12_GLOBAL__N_120softmax_warp_forwardIN3c104HalfES2_fLi0ELb0ELb1ELi64EEEvPT0_PKT_iiiPKbib,comdat
.Lfunc_end720:
	.size	_ZN12_GLOBAL__N_120softmax_warp_forwardIN3c104HalfES2_fLi0ELb0ELb1ELi64EEEvPT0_PKT_iiiPKbib, .Lfunc_end720-_ZN12_GLOBAL__N_120softmax_warp_forwardIN3c104HalfES2_fLi0ELb0ELb1ELi64EEEvPT0_PKT_iiiPKbib
                                        ; -- End function
	.set _ZN12_GLOBAL__N_120softmax_warp_forwardIN3c104HalfES2_fLi0ELb0ELb1ELi64EEEvPT0_PKT_iiiPKbib.num_vgpr, 14
	.set _ZN12_GLOBAL__N_120softmax_warp_forwardIN3c104HalfES2_fLi0ELb0ELb1ELi64EEEvPT0_PKT_iiiPKbib.num_agpr, 0
	.set _ZN12_GLOBAL__N_120softmax_warp_forwardIN3c104HalfES2_fLi0ELb0ELb1ELi64EEEvPT0_PKT_iiiPKbib.numbered_sgpr, 14
	.set _ZN12_GLOBAL__N_120softmax_warp_forwardIN3c104HalfES2_fLi0ELb0ELb1ELi64EEEvPT0_PKT_iiiPKbib.num_named_barrier, 0
	.set _ZN12_GLOBAL__N_120softmax_warp_forwardIN3c104HalfES2_fLi0ELb0ELb1ELi64EEEvPT0_PKT_iiiPKbib.private_seg_size, 0
	.set _ZN12_GLOBAL__N_120softmax_warp_forwardIN3c104HalfES2_fLi0ELb0ELb1ELi64EEEvPT0_PKT_iiiPKbib.uses_vcc, 1
	.set _ZN12_GLOBAL__N_120softmax_warp_forwardIN3c104HalfES2_fLi0ELb0ELb1ELi64EEEvPT0_PKT_iiiPKbib.uses_flat_scratch, 0
	.set _ZN12_GLOBAL__N_120softmax_warp_forwardIN3c104HalfES2_fLi0ELb0ELb1ELi64EEEvPT0_PKT_iiiPKbib.has_dyn_sized_stack, 0
	.set _ZN12_GLOBAL__N_120softmax_warp_forwardIN3c104HalfES2_fLi0ELb0ELb1ELi64EEEvPT0_PKT_iiiPKbib.has_recursion, 0
	.set _ZN12_GLOBAL__N_120softmax_warp_forwardIN3c104HalfES2_fLi0ELb0ELb1ELi64EEEvPT0_PKT_iiiPKbib.has_indirect_call, 0
	.section	.AMDGPU.csdata,"",@progbits
; Kernel info:
; codeLenInByte = 1424
; TotalNumSgprs: 16
; NumVgprs: 14
; ScratchSize: 0
; MemoryBound: 0
; FloatMode: 240
; IeeeMode: 1
; LDSByteSize: 0 bytes/workgroup (compile time only)
; SGPRBlocks: 0
; VGPRBlocks: 1
; NumSGPRsForWavesPerEU: 16
; NumVGPRsForWavesPerEU: 14
; Occupancy: 16
; WaveLimiterHint : 0
; COMPUTE_PGM_RSRC2:SCRATCH_EN: 0
; COMPUTE_PGM_RSRC2:USER_SGPR: 6
; COMPUTE_PGM_RSRC2:TRAP_HANDLER: 0
; COMPUTE_PGM_RSRC2:TGID_X_EN: 1
; COMPUTE_PGM_RSRC2:TGID_Y_EN: 0
; COMPUTE_PGM_RSRC2:TGID_Z_EN: 0
; COMPUTE_PGM_RSRC2:TIDIG_COMP_CNT: 1
	.section	.text._ZN12_GLOBAL__N_120softmax_warp_forwardIN3c104HalfES2_fLi0ELb0ELb1ELi32EEEvPT0_PKT_iiiPKbib,"axG",@progbits,_ZN12_GLOBAL__N_120softmax_warp_forwardIN3c104HalfES2_fLi0ELb0ELb1ELi32EEEvPT0_PKT_iiiPKbib,comdat
	.globl	_ZN12_GLOBAL__N_120softmax_warp_forwardIN3c104HalfES2_fLi0ELb0ELb1ELi32EEEvPT0_PKT_iiiPKbib ; -- Begin function _ZN12_GLOBAL__N_120softmax_warp_forwardIN3c104HalfES2_fLi0ELb0ELb1ELi32EEEvPT0_PKT_iiiPKbib
	.p2align	8
	.type	_ZN12_GLOBAL__N_120softmax_warp_forwardIN3c104HalfES2_fLi0ELb0ELb1ELi32EEEvPT0_PKT_iiiPKbib,@function
_ZN12_GLOBAL__N_120softmax_warp_forwardIN3c104HalfES2_fLi0ELb0ELb1ELi32EEEvPT0_PKT_iiiPKbib: ; @_ZN12_GLOBAL__N_120softmax_warp_forwardIN3c104HalfES2_fLi0ELb0ELb1ELi32EEEvPT0_PKT_iiiPKbib
; %bb.0:
	s_clause 0x2
	s_load_dwordx2 s[8:9], s[4:5], 0x28
	s_load_dword s10, s[4:5], 0x3c
	s_load_dwordx4 s[0:3], s[4:5], 0x10
	s_waitcnt lgkmcnt(0)
	s_bitcmp1_b32 s9, 0
	s_cselect_b32 s7, -1, 0
	s_lshr_b32 s3, s10, 16
	s_and_b32 s3, s3, 0xffff
	s_bitcmp0_b32 s9, 0
	s_mul_i32 s6, s6, s3
	v_add_lshl_u32 v5, s6, v1, 1
	v_mul_lo_u32 v6, v5, s1
	v_add_nc_u32_e32 v1, v6, v0
	v_ashrrev_i32_e32 v2, 31, v1
	v_mov_b32_e32 v4, v2
	v_mov_b32_e32 v3, v1
	s_cbranch_scc1 .LBB721_2
; %bb.1:
	s_abs_i32 s3, s8
	v_sub_nc_u32_e32 v7, 0, v6
	v_cvt_f32_u32_e32 v3, s3
	s_sub_i32 s6, 0, s3
	v_max_i32_e32 v7, v6, v7
	v_rcp_iflag_f32_e32 v3, v3
	v_xor_b32_e32 v6, s8, v6
	v_ashrrev_i32_e32 v6, 31, v6
	v_mul_f32_e32 v3, 0x4f7ffffe, v3
	v_cvt_u32_f32_e32 v3, v3
	v_mul_lo_u32 v4, s6, v3
	v_mul_hi_u32 v4, v3, v4
	v_add_nc_u32_e32 v3, v3, v4
	v_mul_hi_u32 v3, v7, v3
	v_mul_lo_u32 v4, v3, s3
	v_sub_nc_u32_e32 v4, v7, v4
	v_add_nc_u32_e32 v7, 1, v3
	v_subrev_nc_u32_e32 v8, s3, v4
	v_cmp_le_u32_e32 vcc_lo, s3, v4
	v_cndmask_b32_e32 v3, v3, v7, vcc_lo
	v_cndmask_b32_e32 v4, v4, v8, vcc_lo
	v_add_nc_u32_e32 v7, 1, v3
	v_cmp_le_u32_e32 vcc_lo, s3, v4
	v_cndmask_b32_e32 v3, v3, v7, vcc_lo
	v_xor_b32_e32 v3, v3, v6
	v_sub_nc_u32_e32 v3, v3, v6
	v_mad_u64_u32 v[3:4], null, v3, s1, v[0:1]
	v_ashrrev_i32_e32 v4, 31, v3
.LBB721_2:
	s_load_dwordx4 s[8:11], s[4:5], 0x0
	v_lshlrev_b64 v[1:2], 1, v[1:2]
	v_sub_nc_u32_e32 v11, s0, v5
	v_cmp_gt_i32_e64 s0, s2, v0
	v_mov_b32_e32 v8, 0xff800000
	v_mov_b32_e32 v7, 0xff800000
	v_cmp_lt_i32_e32 vcc_lo, 0, v11
	s_waitcnt lgkmcnt(0)
	v_add_co_u32 v5, s1, s10, v1
	v_add_co_ci_u32_e64 v6, null, s11, v2, s1
	s_and_b32 s10, s0, vcc_lo
	s_and_saveexec_b32 s1, s10
	s_cbranch_execz .LBB721_4
; %bb.3:
	global_load_ushort v0, v[5:6], off
	s_waitcnt vmcnt(0)
	v_cvt_f32_f16_e32 v7, v0
.LBB721_4:
	s_or_b32 exec_lo, exec_lo, s1
	v_cmp_lt_i32_e64 s1, 1, v11
	s_and_b32 s6, s0, s1
	s_and_saveexec_b32 s11, s6
	s_cbranch_execz .LBB721_6
; %bb.5:
	s_mov_b32 s3, 0
	s_lshl_b64 s[12:13], s[2:3], 1
	v_add_co_u32 v5, s1, v5, s12
	v_add_co_ci_u32_e64 v6, null, s13, v6, s1
	global_load_ushort v0, v[5:6], off
	s_waitcnt vmcnt(0)
	v_cvt_f32_f16_e32 v8, v0
.LBB721_6:
	s_or_b32 exec_lo, exec_lo, s11
	s_load_dwordx2 s[4:5], s[4:5], 0x20
	v_mov_b32_e32 v12, 0xff800000
	s_waitcnt lgkmcnt(0)
	v_add_co_u32 v5, s1, s4, v3
	v_add_co_ci_u32_e64 v6, null, s5, v4, s1
	s_and_saveexec_b32 s3, s10
	s_cbranch_execz .LBB721_8
; %bb.7:
	global_load_ubyte v0, v[5:6], off
	s_waitcnt vmcnt(0)
	v_and_b32_e32 v0, 1, v0
	v_cmp_eq_u32_e64 s1, 1, v0
	v_cndmask_b32_e64 v12, v7, 0xff800000, s1
.LBB721_8:
	s_or_b32 exec_lo, exec_lo, s3
	s_xor_b32 s3, s10, -1
	s_mov_b32 s1, 0
	s_and_saveexec_b32 s4, s6
	s_cbranch_execz .LBB721_12
; %bb.9:
	s_and_b32 s1, s7, exec_lo
	s_cselect_b32 s1, 0, s2
	s_cselect_b32 s5, 0, 0
	v_add_co_u32 v3, s1, v5, s1
	v_add_co_ci_u32_e64 v4, null, s5, v6, s1
	s_mov_b32 s5, 0
	global_load_ubyte v0, v[3:4], off
	s_waitcnt vmcnt(0)
	v_and_b32_e32 v0, 1, v0
	v_cmp_eq_u32_e64 s1, 1, v0
	s_xor_b32 s10, s1, -1
	s_and_saveexec_b32 s1, s10
; %bb.10:
	s_mov_b32 s5, exec_lo
; %bb.11:
	s_or_b32 exec_lo, exec_lo, s1
	s_and_b32 s1, s5, exec_lo
.LBB721_12:
	s_or_b32 exec_lo, exec_lo, s4
	v_cndmask_b32_e64 v0, 0xff800000, v8, s1
                                        ; implicit-def: $vgpr9_vgpr10
	s_and_saveexec_b32 s1, s3
	s_xor_b32 s1, exec_lo, s1
; %bb.13:
	v_mov_b32_e32 v7, 0
	v_mov_b32_e32 v10, v8
                                        ; implicit-def: $vgpr12
	v_mov_b32_e32 v9, v7
                                        ; implicit-def: $vgpr8
                                        ; implicit-def: $vgpr7
; %bb.14:
	s_or_saveexec_b32 s3, s1
	v_mov_b32_e32 v3, 0
	s_xor_b32 s4, s6, -1
	v_mov_b32_e32 v4, v3
	s_xor_b32 exec_lo, exec_lo, s3
	s_cbranch_execz .LBB721_20
; %bb.15:
	global_load_ubyte v4, v[5:6], off
	s_waitcnt vmcnt(0)
	v_and_b32_e32 v9, 1, v4
	v_mov_b32_e32 v4, v8
	v_cmp_eq_u32_e64 s1, 1, v9
	v_mov_b32_e32 v10, v4
	v_mov_b32_e32 v9, v3
	s_xor_b32 s1, s1, -1
	s_and_saveexec_b32 s5, s1
	s_xor_b32 s5, exec_lo, s5
	s_cbranch_execz .LBB721_17
; %bb.16:
	v_sub_f32_e32 v4, v7, v12
	v_mov_b32_e32 v13, v3
	v_mul_f32_e32 v7, 0x3fb8aa3b, v4
	v_cmp_ngt_f32_e64 s1, 0xc2ce8ed0, v4
	v_fma_f32 v9, 0x3fb8aa3b, v4, -v7
	v_rndne_f32_e32 v10, v7
	v_fmamk_f32 v9, v4, 0x32a5705f, v9
	v_sub_f32_e32 v7, v7, v10
	v_add_f32_e32 v7, v7, v9
	v_cvt_i32_f32_e32 v9, v10
	v_exp_f32_e32 v7, v7
	v_ldexp_f32 v7, v7, v9
	v_cndmask_b32_e64 v7, 0, v7, s1
	v_cmp_nlt_f32_e64 s1, 0x42b17218, v4
	v_cndmask_b32_e64 v7, 0x7f800000, v7, s1
	v_mov_b32_e32 v10, v8
	v_mov_b32_e32 v12, v7
	;; [unrolled: 1-line block ×5, first 2 shown]
.LBB721_17:
	s_andn2_saveexec_b32 s1, s5
; %bb.18:
	v_mov_b32_e32 v3, 0
	v_mov_b32_e32 v4, v3
; %bb.19:
	s_or_b32 exec_lo, exec_lo, s1
.LBB721_20:
	s_or_b32 exec_lo, exec_lo, s3
                                        ; implicit-def: $vgpr7_vgpr8
	s_and_saveexec_b32 s1, s4
	s_xor_b32 s1, exec_lo, s1
	s_cbranch_execz .LBB721_23
; %bb.21:
	v_mov_b32_e32 v10, 0
	v_mov_b32_e32 v7, v9
                                        ; implicit-def: $vgpr5
                                        ; implicit-def: $vgpr0
	v_mov_b32_e32 v8, v10
                                        ; implicit-def: $vgpr9_vgpr10
	s_andn2_saveexec_b32 s3, s1
	s_cbranch_execnz .LBB721_24
.LBB721_22:
	s_or_b32 exec_lo, exec_lo, s3
	s_and_saveexec_b32 s1, vcc_lo
	s_cbranch_execnz .LBB721_27
	s_branch .LBB721_37
.LBB721_23:
	s_andn2_saveexec_b32 s3, s1
	s_cbranch_execz .LBB721_22
.LBB721_24:
	s_and_b32 s1, s7, exec_lo
	s_cselect_b32 s1, 0, s2
	s_cselect_b32 s4, 0, 0
	v_add_co_u32 v5, s1, v5, s1
	v_add_co_ci_u32_e64 v6, null, s4, v6, s1
	v_mov_b32_e32 v8, 0
	v_mov_b32_e32 v7, v9
	global_load_ubyte v5, v[5:6], off
	s_waitcnt vmcnt(0)
	v_and_b32_e32 v5, 1, v5
	v_cmp_eq_u32_e64 s1, 1, v5
	s_xor_b32 s1, s1, -1
	s_and_saveexec_b32 s4, s1
	s_xor_b32 s4, exec_lo, s4
	s_cbranch_execz .LBB721_26
; %bb.25:
	v_sub_f32_e32 v0, v10, v0
	v_mul_f32_e32 v5, 0x3fb8aa3b, v0
	v_cmp_ngt_f32_e64 s1, 0xc2ce8ed0, v0
	v_fma_f32 v6, 0x3fb8aa3b, v0, -v5
	v_rndne_f32_e32 v7, v5
	v_fmamk_f32 v6, v0, 0x32a5705f, v6
	v_sub_f32_e32 v5, v5, v7
	v_add_f32_e32 v5, v5, v6
	v_cvt_i32_f32_e32 v6, v7
	v_exp_f32_e32 v5, v5
	v_ldexp_f32 v5, v5, v6
	v_cndmask_b32_e64 v5, 0, v5, s1
	v_cmp_nlt_f32_e64 s1, 0x42b17218, v0
	v_cndmask_b32_e64 v10, 0x7f800000, v5, s1
	v_mov_b32_e32 v7, v9
	v_add_f32_e32 v4, v4, v10
	v_mov_b32_e32 v8, v10
.LBB721_26:
	s_andn2_saveexec_b32 s1, s4
	s_or_b32 exec_lo, exec_lo, s1
	s_or_b32 exec_lo, exec_lo, s3
	s_and_saveexec_b32 s1, vcc_lo
	s_cbranch_execz .LBB721_37
.LBB721_27:
	v_add_co_u32 v0, vcc_lo, s8, v1
	v_add_co_ci_u32_e64 v1, null, s9, v2, vcc_lo
	s_and_saveexec_b32 s1, s0
	s_cbranch_execz .LBB721_32
; %bb.28:
	s_mov_b32 s3, exec_lo
	v_cmpx_neq_f32_e32 0, v3
	s_xor_b32 s3, exec_lo, s3
	s_cbranch_execz .LBB721_30
; %bb.29:
	v_div_scale_f32 v2, null, v3, v3, v7
	v_rcp_f32_e32 v5, v2
	v_fma_f32 v6, -v2, v5, 1.0
	v_fmac_f32_e32 v5, v6, v5
	v_div_scale_f32 v6, vcc_lo, v7, v3, v7
	v_mul_f32_e32 v9, v6, v5
	v_fma_f32 v10, -v2, v9, v6
	v_fmac_f32_e32 v9, v10, v5
	v_fma_f32 v2, -v2, v9, v6
	v_div_fmas_f32 v2, v2, v5, v9
	v_div_fixup_f32 v2, v2, v3, v7
	v_cvt_f16_f32_e32 v2, v2
	global_store_short v[0:1], v2, off
.LBB721_30:
	s_andn2_saveexec_b32 s3, s3
	s_cbranch_execz .LBB721_32
; %bb.31:
	v_mov_b32_e32 v2, 0x7e00
	global_store_short v[0:1], v2, off
.LBB721_32:
	s_or_b32 exec_lo, exec_lo, s1
	v_cmp_ne_u32_e32 vcc_lo, 1, v11
	s_and_b32 s0, vcc_lo, s0
	s_and_b32 exec_lo, exec_lo, s0
	s_cbranch_execz .LBB721_37
; %bb.33:
	s_mov_b32 s3, 0
	s_lshl_b64 s[0:1], s[2:3], 1
	v_add_co_u32 v0, s0, v0, s0
	v_add_co_ci_u32_e64 v1, null, s1, v1, s0
	s_mov_b32 s0, exec_lo
	v_cmpx_neq_f32_e32 0, v4
	s_xor_b32 s0, exec_lo, s0
	s_cbranch_execz .LBB721_35
; %bb.34:
	v_div_scale_f32 v2, null, v4, v4, v8
	v_rcp_f32_e32 v3, v2
	v_fma_f32 v5, -v2, v3, 1.0
	v_fmac_f32_e32 v3, v5, v3
	v_div_scale_f32 v5, vcc_lo, v8, v4, v8
	v_mul_f32_e32 v6, v5, v3
	v_fma_f32 v7, -v2, v6, v5
	v_fmac_f32_e32 v6, v7, v3
	v_fma_f32 v2, -v2, v6, v5
	v_div_fmas_f32 v2, v2, v3, v6
	v_div_fixup_f32 v2, v2, v4, v8
	v_cvt_f16_f32_e32 v2, v2
	global_store_short v[0:1], v2, off
                                        ; implicit-def: $vgpr0_vgpr1
.LBB721_35:
	s_andn2_saveexec_b32 s0, s0
	s_cbranch_execz .LBB721_37
; %bb.36:
	v_mov_b32_e32 v2, 0x7e00
	global_store_short v[0:1], v2, off
	s_endpgm
.LBB721_37:
	s_endpgm
	.section	.rodata,"a",@progbits
	.p2align	6, 0x0
	.amdhsa_kernel _ZN12_GLOBAL__N_120softmax_warp_forwardIN3c104HalfES2_fLi0ELb0ELb1ELi32EEEvPT0_PKT_iiiPKbib
		.amdhsa_group_segment_fixed_size 0
		.amdhsa_private_segment_fixed_size 0
		.amdhsa_kernarg_size 304
		.amdhsa_user_sgpr_count 6
		.amdhsa_user_sgpr_private_segment_buffer 1
		.amdhsa_user_sgpr_dispatch_ptr 0
		.amdhsa_user_sgpr_queue_ptr 0
		.amdhsa_user_sgpr_kernarg_segment_ptr 1
		.amdhsa_user_sgpr_dispatch_id 0
		.amdhsa_user_sgpr_flat_scratch_init 0
		.amdhsa_user_sgpr_private_segment_size 0
		.amdhsa_wavefront_size32 1
		.amdhsa_uses_dynamic_stack 0
		.amdhsa_system_sgpr_private_segment_wavefront_offset 0
		.amdhsa_system_sgpr_workgroup_id_x 1
		.amdhsa_system_sgpr_workgroup_id_y 0
		.amdhsa_system_sgpr_workgroup_id_z 0
		.amdhsa_system_sgpr_workgroup_info 0
		.amdhsa_system_vgpr_workitem_id 1
		.amdhsa_next_free_vgpr 14
		.amdhsa_next_free_sgpr 14
		.amdhsa_reserve_vcc 1
		.amdhsa_reserve_flat_scratch 0
		.amdhsa_float_round_mode_32 0
		.amdhsa_float_round_mode_16_64 0
		.amdhsa_float_denorm_mode_32 3
		.amdhsa_float_denorm_mode_16_64 3
		.amdhsa_dx10_clamp 1
		.amdhsa_ieee_mode 1
		.amdhsa_fp16_overflow 0
		.amdhsa_workgroup_processor_mode 1
		.amdhsa_memory_ordered 1
		.amdhsa_forward_progress 1
		.amdhsa_shared_vgpr_count 0
		.amdhsa_exception_fp_ieee_invalid_op 0
		.amdhsa_exception_fp_denorm_src 0
		.amdhsa_exception_fp_ieee_div_zero 0
		.amdhsa_exception_fp_ieee_overflow 0
		.amdhsa_exception_fp_ieee_underflow 0
		.amdhsa_exception_fp_ieee_inexact 0
		.amdhsa_exception_int_div_zero 0
	.end_amdhsa_kernel
	.section	.text._ZN12_GLOBAL__N_120softmax_warp_forwardIN3c104HalfES2_fLi0ELb0ELb1ELi32EEEvPT0_PKT_iiiPKbib,"axG",@progbits,_ZN12_GLOBAL__N_120softmax_warp_forwardIN3c104HalfES2_fLi0ELb0ELb1ELi32EEEvPT0_PKT_iiiPKbib,comdat
.Lfunc_end721:
	.size	_ZN12_GLOBAL__N_120softmax_warp_forwardIN3c104HalfES2_fLi0ELb0ELb1ELi32EEEvPT0_PKT_iiiPKbib, .Lfunc_end721-_ZN12_GLOBAL__N_120softmax_warp_forwardIN3c104HalfES2_fLi0ELb0ELb1ELi32EEEvPT0_PKT_iiiPKbib
                                        ; -- End function
	.set _ZN12_GLOBAL__N_120softmax_warp_forwardIN3c104HalfES2_fLi0ELb0ELb1ELi32EEEvPT0_PKT_iiiPKbib.num_vgpr, 14
	.set _ZN12_GLOBAL__N_120softmax_warp_forwardIN3c104HalfES2_fLi0ELb0ELb1ELi32EEEvPT0_PKT_iiiPKbib.num_agpr, 0
	.set _ZN12_GLOBAL__N_120softmax_warp_forwardIN3c104HalfES2_fLi0ELb0ELb1ELi32EEEvPT0_PKT_iiiPKbib.numbered_sgpr, 14
	.set _ZN12_GLOBAL__N_120softmax_warp_forwardIN3c104HalfES2_fLi0ELb0ELb1ELi32EEEvPT0_PKT_iiiPKbib.num_named_barrier, 0
	.set _ZN12_GLOBAL__N_120softmax_warp_forwardIN3c104HalfES2_fLi0ELb0ELb1ELi32EEEvPT0_PKT_iiiPKbib.private_seg_size, 0
	.set _ZN12_GLOBAL__N_120softmax_warp_forwardIN3c104HalfES2_fLi0ELb0ELb1ELi32EEEvPT0_PKT_iiiPKbib.uses_vcc, 1
	.set _ZN12_GLOBAL__N_120softmax_warp_forwardIN3c104HalfES2_fLi0ELb0ELb1ELi32EEEvPT0_PKT_iiiPKbib.uses_flat_scratch, 0
	.set _ZN12_GLOBAL__N_120softmax_warp_forwardIN3c104HalfES2_fLi0ELb0ELb1ELi32EEEvPT0_PKT_iiiPKbib.has_dyn_sized_stack, 0
	.set _ZN12_GLOBAL__N_120softmax_warp_forwardIN3c104HalfES2_fLi0ELb0ELb1ELi32EEEvPT0_PKT_iiiPKbib.has_recursion, 0
	.set _ZN12_GLOBAL__N_120softmax_warp_forwardIN3c104HalfES2_fLi0ELb0ELb1ELi32EEEvPT0_PKT_iiiPKbib.has_indirect_call, 0
	.section	.AMDGPU.csdata,"",@progbits
; Kernel info:
; codeLenInByte = 1424
; TotalNumSgprs: 16
; NumVgprs: 14
; ScratchSize: 0
; MemoryBound: 0
; FloatMode: 240
; IeeeMode: 1
; LDSByteSize: 0 bytes/workgroup (compile time only)
; SGPRBlocks: 0
; VGPRBlocks: 1
; NumSGPRsForWavesPerEU: 16
; NumVGPRsForWavesPerEU: 14
; Occupancy: 16
; WaveLimiterHint : 0
; COMPUTE_PGM_RSRC2:SCRATCH_EN: 0
; COMPUTE_PGM_RSRC2:USER_SGPR: 6
; COMPUTE_PGM_RSRC2:TRAP_HANDLER: 0
; COMPUTE_PGM_RSRC2:TGID_X_EN: 1
; COMPUTE_PGM_RSRC2:TGID_Y_EN: 0
; COMPUTE_PGM_RSRC2:TGID_Z_EN: 0
; COMPUTE_PGM_RSRC2:TIDIG_COMP_CNT: 1
	.section	.text._ZN12_GLOBAL__N_120softmax_warp_forwardIN3c104HalfES2_fLi1ELb0ELb1ELi64EEEvPT0_PKT_iiiPKbib,"axG",@progbits,_ZN12_GLOBAL__N_120softmax_warp_forwardIN3c104HalfES2_fLi1ELb0ELb1ELi64EEEvPT0_PKT_iiiPKbib,comdat
	.globl	_ZN12_GLOBAL__N_120softmax_warp_forwardIN3c104HalfES2_fLi1ELb0ELb1ELi64EEEvPT0_PKT_iiiPKbib ; -- Begin function _ZN12_GLOBAL__N_120softmax_warp_forwardIN3c104HalfES2_fLi1ELb0ELb1ELi64EEEvPT0_PKT_iiiPKbib
	.p2align	8
	.type	_ZN12_GLOBAL__N_120softmax_warp_forwardIN3c104HalfES2_fLi1ELb0ELb1ELi64EEEvPT0_PKT_iiiPKbib,@function
_ZN12_GLOBAL__N_120softmax_warp_forwardIN3c104HalfES2_fLi1ELb0ELb1ELi64EEEvPT0_PKT_iiiPKbib: ; @_ZN12_GLOBAL__N_120softmax_warp_forwardIN3c104HalfES2_fLi1ELb0ELb1ELi64EEEvPT0_PKT_iiiPKbib
; %bb.0:
	s_clause 0x2
	s_load_dwordx2 s[8:9], s[4:5], 0x28
	s_load_dword s10, s[4:5], 0x3c
	s_load_dwordx4 s[0:3], s[4:5], 0x10
	s_waitcnt lgkmcnt(0)
	s_bitcmp1_b32 s9, 0
	s_cselect_b32 s7, -1, 0
	s_lshr_b32 s3, s10, 16
	s_and_b32 s3, s3, 0xffff
	s_bitcmp0_b32 s9, 0
	s_mul_i32 s6, s6, s3
	v_add_lshl_u32 v5, s6, v1, 1
	v_mul_lo_u32 v6, v5, s1
	v_add_nc_u32_e32 v1, v6, v0
	v_ashrrev_i32_e32 v2, 31, v1
	v_mov_b32_e32 v4, v2
	v_mov_b32_e32 v3, v1
	s_cbranch_scc1 .LBB722_2
; %bb.1:
	s_abs_i32 s3, s8
	v_sub_nc_u32_e32 v7, 0, v6
	v_cvt_f32_u32_e32 v3, s3
	s_sub_i32 s6, 0, s3
	v_max_i32_e32 v7, v6, v7
	v_rcp_iflag_f32_e32 v3, v3
	v_xor_b32_e32 v6, s8, v6
	v_ashrrev_i32_e32 v6, 31, v6
	v_mul_f32_e32 v3, 0x4f7ffffe, v3
	v_cvt_u32_f32_e32 v3, v3
	v_mul_lo_u32 v4, s6, v3
	v_mul_hi_u32 v4, v3, v4
	v_add_nc_u32_e32 v3, v3, v4
	v_mul_hi_u32 v3, v7, v3
	v_mul_lo_u32 v4, v3, s3
	v_sub_nc_u32_e32 v4, v7, v4
	v_add_nc_u32_e32 v7, 1, v3
	v_subrev_nc_u32_e32 v8, s3, v4
	v_cmp_le_u32_e32 vcc_lo, s3, v4
	v_cndmask_b32_e32 v3, v3, v7, vcc_lo
	v_cndmask_b32_e32 v4, v4, v8, vcc_lo
	v_add_nc_u32_e32 v7, 1, v3
	v_cmp_le_u32_e32 vcc_lo, s3, v4
	v_cndmask_b32_e32 v3, v3, v7, vcc_lo
	v_xor_b32_e32 v3, v3, v6
	v_sub_nc_u32_e32 v3, v3, v6
	v_mad_u64_u32 v[3:4], null, v3, s1, v[0:1]
	v_ashrrev_i32_e32 v4, 31, v3
.LBB722_2:
	s_load_dwordx4 s[8:11], s[4:5], 0x0
	v_lshlrev_b64 v[1:2], 1, v[1:2]
	v_sub_nc_u32_e32 v11, s0, v5
	v_cmp_gt_i32_e64 s0, s2, v0
	v_mov_b32_e32 v8, 0xff800000
	v_mov_b32_e32 v7, 0xff800000
	v_cmp_lt_i32_e32 vcc_lo, 0, v11
	s_waitcnt lgkmcnt(0)
	v_add_co_u32 v5, s1, s10, v1
	v_add_co_ci_u32_e64 v6, null, s11, v2, s1
	s_and_b32 s10, s0, vcc_lo
	s_and_saveexec_b32 s1, s10
	s_cbranch_execz .LBB722_4
; %bb.3:
	global_load_ushort v0, v[5:6], off
	s_waitcnt vmcnt(0)
	v_cvt_f32_f16_e32 v7, v0
.LBB722_4:
	s_or_b32 exec_lo, exec_lo, s1
	v_cmp_lt_i32_e64 s1, 1, v11
	s_and_b32 s6, s0, s1
	s_and_saveexec_b32 s11, s6
	s_cbranch_execz .LBB722_6
; %bb.5:
	s_mov_b32 s3, 0
	s_lshl_b64 s[12:13], s[2:3], 1
	v_add_co_u32 v5, s1, v5, s12
	v_add_co_ci_u32_e64 v6, null, s13, v6, s1
	global_load_ushort v0, v[5:6], off
	s_waitcnt vmcnt(0)
	v_cvt_f32_f16_e32 v8, v0
.LBB722_6:
	s_or_b32 exec_lo, exec_lo, s11
	s_load_dwordx2 s[4:5], s[4:5], 0x20
	v_mov_b32_e32 v14, 0xff800000
	s_waitcnt lgkmcnt(0)
	v_add_co_u32 v5, s1, s4, v3
	v_add_co_ci_u32_e64 v6, null, s5, v4, s1
	s_and_saveexec_b32 s3, s10
	s_cbranch_execz .LBB722_8
; %bb.7:
	global_load_ubyte v0, v[5:6], off
	s_waitcnt vmcnt(0)
	v_and_b32_e32 v0, 1, v0
	v_cmp_eq_u32_e64 s1, 1, v0
	v_cndmask_b32_e64 v14, v7, 0xff800000, s1
.LBB722_8:
	s_or_b32 exec_lo, exec_lo, s3
	s_xor_b32 s3, s10, -1
	s_mov_b32 s5, 0
	s_and_saveexec_b32 s4, s6
	s_cbranch_execz .LBB722_12
; %bb.9:
	s_and_b32 s1, s7, exec_lo
	s_cselect_b32 s1, 0, s2
	s_cselect_b32 s5, 0, 0
	v_add_co_u32 v3, s1, v5, s1
	v_add_co_ci_u32_e64 v4, null, s5, v6, s1
	s_mov_b32 s5, 0
	global_load_ubyte v0, v[3:4], off
	s_waitcnt vmcnt(0)
	v_and_b32_e32 v0, 1, v0
	v_cmp_eq_u32_e64 s1, 1, v0
	s_xor_b32 s10, s1, -1
	s_and_saveexec_b32 s1, s10
; %bb.10:
	s_mov_b32 s5, exec_lo
; %bb.11:
	s_or_b32 exec_lo, exec_lo, s1
	s_and_b32 s5, s5, exec_lo
.LBB722_12:
	s_or_b32 exec_lo, exec_lo, s4
	v_mbcnt_lo_u32_b32 v0, -1, 0
	v_cndmask_b32_e64 v12, 0xff800000, v8, s5
                                        ; implicit-def: $vgpr9_vgpr10
	v_and_b32_e32 v3, 30, v0
	v_xor_b32_e32 v4, 1, v0
	v_add_nc_u32_e32 v3, 2, v3
	v_cmp_lt_i32_e64 s1, v4, v3
	v_cndmask_b32_e64 v0, v0, v4, s1
	v_lshlrev_b32_e32 v0, 2, v0
	ds_bpermute_b32 v15, v0, v14
	ds_bpermute_b32 v13, v0, v12
	s_and_saveexec_b32 s1, s3
	s_xor_b32 s1, exec_lo, s1
; %bb.13:
	v_mov_b32_e32 v7, 0
	v_mov_b32_e32 v10, v8
                                        ; implicit-def: $vgpr14
                                        ; implicit-def: $vgpr15
	v_mov_b32_e32 v9, v7
                                        ; implicit-def: $vgpr8
                                        ; implicit-def: $vgpr7
; %bb.14:
	s_or_saveexec_b32 s3, s1
	v_mov_b32_e32 v3, 0
	s_xor_b32 s4, s6, -1
	v_mov_b32_e32 v4, v3
	s_xor_b32 exec_lo, exec_lo, s3
	s_cbranch_execz .LBB722_20
; %bb.15:
	global_load_ubyte v4, v[5:6], off
	s_waitcnt vmcnt(0)
	v_and_b32_e32 v9, 1, v4
	v_mov_b32_e32 v4, v8
	v_cmp_eq_u32_e64 s1, 1, v9
	v_mov_b32_e32 v10, v4
	v_mov_b32_e32 v9, v3
	s_xor_b32 s1, s1, -1
	s_and_saveexec_b32 s5, s1
	s_xor_b32 s5, exec_lo, s5
	s_cbranch_execz .LBB722_17
; %bb.16:
	s_waitcnt lgkmcnt(1)
	v_cmp_lt_f32_e64 s1, v14, v15
	v_cndmask_b32_e64 v4, v14, v15, s1
	v_mov_b32_e32 v15, v3
	v_sub_f32_e32 v4, v7, v4
	v_mul_f32_e32 v7, 0x3fb8aa3b, v4
	v_cmp_ngt_f32_e64 s1, 0xc2ce8ed0, v4
	v_fma_f32 v9, 0x3fb8aa3b, v4, -v7
	v_rndne_f32_e32 v10, v7
	v_fmamk_f32 v9, v4, 0x32a5705f, v9
	v_sub_f32_e32 v7, v7, v10
	v_add_f32_e32 v7, v7, v9
	v_cvt_i32_f32_e32 v9, v10
	v_exp_f32_e32 v7, v7
	v_ldexp_f32 v7, v7, v9
	v_cndmask_b32_e64 v7, 0, v7, s1
	v_cmp_nlt_f32_e64 s1, 0x42b17218, v4
	v_cndmask_b32_e64 v7, 0x7f800000, v7, s1
	v_mov_b32_e32 v10, v8
	v_mov_b32_e32 v14, v7
	;; [unrolled: 1-line block ×5, first 2 shown]
.LBB722_17:
	s_andn2_saveexec_b32 s1, s5
; %bb.18:
	v_mov_b32_e32 v3, 0
	v_mov_b32_e32 v4, v3
; %bb.19:
	s_or_b32 exec_lo, exec_lo, s1
.LBB722_20:
	s_or_b32 exec_lo, exec_lo, s3
                                        ; implicit-def: $vgpr7_vgpr8
	s_and_saveexec_b32 s1, s4
	s_xor_b32 s1, exec_lo, s1
	s_cbranch_execz .LBB722_22
; %bb.21:
	v_mov_b32_e32 v10, 0
	v_mov_b32_e32 v7, v9
                                        ; implicit-def: $vgpr5
                                        ; implicit-def: $vgpr12
                                        ; implicit-def: $vgpr13
	v_mov_b32_e32 v8, v10
                                        ; implicit-def: $vgpr9_vgpr10
	s_andn2_saveexec_b32 s3, s1
	s_cbranch_execz .LBB722_26
	s_branch .LBB722_23
.LBB722_22:
	s_andn2_saveexec_b32 s3, s1
	s_cbranch_execz .LBB722_26
.LBB722_23:
	s_and_b32 s1, s7, exec_lo
	s_cselect_b32 s1, 0, s2
	s_cselect_b32 s4, 0, 0
	v_add_co_u32 v5, s1, v5, s1
	v_add_co_ci_u32_e64 v6, null, s4, v6, s1
	v_mov_b32_e32 v8, 0
	v_mov_b32_e32 v7, v9
	global_load_ubyte v5, v[5:6], off
	s_waitcnt vmcnt(0)
	v_and_b32_e32 v5, 1, v5
	v_cmp_eq_u32_e64 s1, 1, v5
	s_xor_b32 s1, s1, -1
	s_and_saveexec_b32 s4, s1
	s_xor_b32 s4, exec_lo, s4
	s_cbranch_execz .LBB722_25
; %bb.24:
	s_waitcnt lgkmcnt(0)
	v_cmp_lt_f32_e64 s1, v12, v13
	v_cndmask_b32_e64 v5, v12, v13, s1
	v_sub_f32_e32 v5, v10, v5
	v_mul_f32_e32 v6, 0x3fb8aa3b, v5
	v_cmp_ngt_f32_e64 s1, 0xc2ce8ed0, v5
	v_fma_f32 v7, 0x3fb8aa3b, v5, -v6
	v_rndne_f32_e32 v8, v6
	v_fmamk_f32 v7, v5, 0x32a5705f, v7
	v_sub_f32_e32 v6, v6, v8
	v_add_f32_e32 v6, v6, v7
	v_cvt_i32_f32_e32 v7, v8
	v_exp_f32_e32 v6, v6
	v_ldexp_f32 v6, v6, v7
	v_cndmask_b32_e64 v6, 0, v6, s1
	v_cmp_nlt_f32_e64 s1, 0x42b17218, v5
	v_cndmask_b32_e64 v10, 0x7f800000, v6, s1
	v_mov_b32_e32 v7, v9
	v_add_f32_e32 v4, v4, v10
	v_mov_b32_e32 v8, v10
.LBB722_25:
	s_andn2_saveexec_b32 s1, s4
	s_or_b32 exec_lo, exec_lo, s1
.LBB722_26:
	s_or_b32 exec_lo, exec_lo, s3
	ds_bpermute_b32 v6, v0, v3
	ds_bpermute_b32 v5, v0, v4
	s_and_saveexec_b32 s1, vcc_lo
	s_cbranch_execz .LBB722_37
; %bb.27:
	v_add_co_u32 v0, vcc_lo, s8, v1
	v_add_co_ci_u32_e64 v1, null, s9, v2, vcc_lo
	s_and_saveexec_b32 s1, s0
	s_cbranch_execz .LBB722_32
; %bb.28:
	s_waitcnt lgkmcnt(1)
	v_add_f32_e32 v2, v3, v6
	s_mov_b32 s3, exec_lo
	v_cmpx_neq_f32_e32 0, v2
	s_xor_b32 s3, exec_lo, s3
	s_cbranch_execz .LBB722_30
; %bb.29:
	v_div_scale_f32 v3, null, v2, v2, v7
	v_rcp_f32_e32 v6, v3
	v_fma_f32 v9, -v3, v6, 1.0
	v_fmac_f32_e32 v6, v9, v6
	v_div_scale_f32 v9, vcc_lo, v7, v2, v7
	v_mul_f32_e32 v10, v9, v6
	v_fma_f32 v12, -v3, v10, v9
	v_fmac_f32_e32 v10, v12, v6
	v_fma_f32 v3, -v3, v10, v9
	v_div_fmas_f32 v3, v3, v6, v10
	v_div_fixup_f32 v2, v3, v2, v7
	v_cvt_f16_f32_e32 v2, v2
	global_store_short v[0:1], v2, off
.LBB722_30:
	s_andn2_saveexec_b32 s3, s3
	s_cbranch_execz .LBB722_32
; %bb.31:
	v_mov_b32_e32 v2, 0x7e00
	global_store_short v[0:1], v2, off
.LBB722_32:
	s_or_b32 exec_lo, exec_lo, s1
	v_cmp_ne_u32_e32 vcc_lo, 1, v11
	s_and_b32 s0, vcc_lo, s0
	s_and_b32 exec_lo, exec_lo, s0
	s_cbranch_execz .LBB722_37
; %bb.33:
	s_mov_b32 s3, 0
	s_waitcnt lgkmcnt(0)
	v_add_f32_e32 v2, v4, v5
	s_lshl_b64 s[0:1], s[2:3], 1
	v_add_co_u32 v0, s0, v0, s0
	v_add_co_ci_u32_e64 v1, null, s1, v1, s0
	s_mov_b32 s0, exec_lo
	v_cmpx_neq_f32_e32 0, v2
	s_xor_b32 s0, exec_lo, s0
	s_cbranch_execz .LBB722_35
; %bb.34:
	v_div_scale_f32 v3, null, v2, v2, v8
	v_rcp_f32_e32 v4, v3
	v_fma_f32 v5, -v3, v4, 1.0
	v_fmac_f32_e32 v4, v5, v4
	v_div_scale_f32 v5, vcc_lo, v8, v2, v8
	v_mul_f32_e32 v6, v5, v4
	v_fma_f32 v7, -v3, v6, v5
	v_fmac_f32_e32 v6, v7, v4
	v_fma_f32 v3, -v3, v6, v5
	v_div_fmas_f32 v3, v3, v4, v6
	v_div_fixup_f32 v2, v3, v2, v8
	v_cvt_f16_f32_e32 v2, v2
	global_store_short v[0:1], v2, off
                                        ; implicit-def: $vgpr0_vgpr1
.LBB722_35:
	s_andn2_saveexec_b32 s0, s0
	s_cbranch_execz .LBB722_37
; %bb.36:
	v_mov_b32_e32 v2, 0x7e00
	global_store_short v[0:1], v2, off
.LBB722_37:
	s_endpgm
	.section	.rodata,"a",@progbits
	.p2align	6, 0x0
	.amdhsa_kernel _ZN12_GLOBAL__N_120softmax_warp_forwardIN3c104HalfES2_fLi1ELb0ELb1ELi64EEEvPT0_PKT_iiiPKbib
		.amdhsa_group_segment_fixed_size 0
		.amdhsa_private_segment_fixed_size 0
		.amdhsa_kernarg_size 304
		.amdhsa_user_sgpr_count 6
		.amdhsa_user_sgpr_private_segment_buffer 1
		.amdhsa_user_sgpr_dispatch_ptr 0
		.amdhsa_user_sgpr_queue_ptr 0
		.amdhsa_user_sgpr_kernarg_segment_ptr 1
		.amdhsa_user_sgpr_dispatch_id 0
		.amdhsa_user_sgpr_flat_scratch_init 0
		.amdhsa_user_sgpr_private_segment_size 0
		.amdhsa_wavefront_size32 1
		.amdhsa_uses_dynamic_stack 0
		.amdhsa_system_sgpr_private_segment_wavefront_offset 0
		.amdhsa_system_sgpr_workgroup_id_x 1
		.amdhsa_system_sgpr_workgroup_id_y 0
		.amdhsa_system_sgpr_workgroup_id_z 0
		.amdhsa_system_sgpr_workgroup_info 0
		.amdhsa_system_vgpr_workitem_id 1
		.amdhsa_next_free_vgpr 16
		.amdhsa_next_free_sgpr 14
		.amdhsa_reserve_vcc 1
		.amdhsa_reserve_flat_scratch 0
		.amdhsa_float_round_mode_32 0
		.amdhsa_float_round_mode_16_64 0
		.amdhsa_float_denorm_mode_32 3
		.amdhsa_float_denorm_mode_16_64 3
		.amdhsa_dx10_clamp 1
		.amdhsa_ieee_mode 1
		.amdhsa_fp16_overflow 0
		.amdhsa_workgroup_processor_mode 1
		.amdhsa_memory_ordered 1
		.amdhsa_forward_progress 1
		.amdhsa_shared_vgpr_count 0
		.amdhsa_exception_fp_ieee_invalid_op 0
		.amdhsa_exception_fp_denorm_src 0
		.amdhsa_exception_fp_ieee_div_zero 0
		.amdhsa_exception_fp_ieee_overflow 0
		.amdhsa_exception_fp_ieee_underflow 0
		.amdhsa_exception_fp_ieee_inexact 0
		.amdhsa_exception_int_div_zero 0
	.end_amdhsa_kernel
	.section	.text._ZN12_GLOBAL__N_120softmax_warp_forwardIN3c104HalfES2_fLi1ELb0ELb1ELi64EEEvPT0_PKT_iiiPKbib,"axG",@progbits,_ZN12_GLOBAL__N_120softmax_warp_forwardIN3c104HalfES2_fLi1ELb0ELb1ELi64EEEvPT0_PKT_iiiPKbib,comdat
.Lfunc_end722:
	.size	_ZN12_GLOBAL__N_120softmax_warp_forwardIN3c104HalfES2_fLi1ELb0ELb1ELi64EEEvPT0_PKT_iiiPKbib, .Lfunc_end722-_ZN12_GLOBAL__N_120softmax_warp_forwardIN3c104HalfES2_fLi1ELb0ELb1ELi64EEEvPT0_PKT_iiiPKbib
                                        ; -- End function
	.set _ZN12_GLOBAL__N_120softmax_warp_forwardIN3c104HalfES2_fLi1ELb0ELb1ELi64EEEvPT0_PKT_iiiPKbib.num_vgpr, 16
	.set _ZN12_GLOBAL__N_120softmax_warp_forwardIN3c104HalfES2_fLi1ELb0ELb1ELi64EEEvPT0_PKT_iiiPKbib.num_agpr, 0
	.set _ZN12_GLOBAL__N_120softmax_warp_forwardIN3c104HalfES2_fLi1ELb0ELb1ELi64EEEvPT0_PKT_iiiPKbib.numbered_sgpr, 14
	.set _ZN12_GLOBAL__N_120softmax_warp_forwardIN3c104HalfES2_fLi1ELb0ELb1ELi64EEEvPT0_PKT_iiiPKbib.num_named_barrier, 0
	.set _ZN12_GLOBAL__N_120softmax_warp_forwardIN3c104HalfES2_fLi1ELb0ELb1ELi64EEEvPT0_PKT_iiiPKbib.private_seg_size, 0
	.set _ZN12_GLOBAL__N_120softmax_warp_forwardIN3c104HalfES2_fLi1ELb0ELb1ELi64EEEvPT0_PKT_iiiPKbib.uses_vcc, 1
	.set _ZN12_GLOBAL__N_120softmax_warp_forwardIN3c104HalfES2_fLi1ELb0ELb1ELi64EEEvPT0_PKT_iiiPKbib.uses_flat_scratch, 0
	.set _ZN12_GLOBAL__N_120softmax_warp_forwardIN3c104HalfES2_fLi1ELb0ELb1ELi64EEEvPT0_PKT_iiiPKbib.has_dyn_sized_stack, 0
	.set _ZN12_GLOBAL__N_120softmax_warp_forwardIN3c104HalfES2_fLi1ELb0ELb1ELi64EEEvPT0_PKT_iiiPKbib.has_recursion, 0
	.set _ZN12_GLOBAL__N_120softmax_warp_forwardIN3c104HalfES2_fLi1ELb0ELb1ELi64EEEvPT0_PKT_iiiPKbib.has_indirect_call, 0
	.section	.AMDGPU.csdata,"",@progbits
; Kernel info:
; codeLenInByte = 1536
; TotalNumSgprs: 16
; NumVgprs: 16
; ScratchSize: 0
; MemoryBound: 0
; FloatMode: 240
; IeeeMode: 1
; LDSByteSize: 0 bytes/workgroup (compile time only)
; SGPRBlocks: 0
; VGPRBlocks: 1
; NumSGPRsForWavesPerEU: 16
; NumVGPRsForWavesPerEU: 16
; Occupancy: 16
; WaveLimiterHint : 0
; COMPUTE_PGM_RSRC2:SCRATCH_EN: 0
; COMPUTE_PGM_RSRC2:USER_SGPR: 6
; COMPUTE_PGM_RSRC2:TRAP_HANDLER: 0
; COMPUTE_PGM_RSRC2:TGID_X_EN: 1
; COMPUTE_PGM_RSRC2:TGID_Y_EN: 0
; COMPUTE_PGM_RSRC2:TGID_Z_EN: 0
; COMPUTE_PGM_RSRC2:TIDIG_COMP_CNT: 1
	.section	.text._ZN12_GLOBAL__N_120softmax_warp_forwardIN3c104HalfES2_fLi1ELb0ELb1ELi32EEEvPT0_PKT_iiiPKbib,"axG",@progbits,_ZN12_GLOBAL__N_120softmax_warp_forwardIN3c104HalfES2_fLi1ELb0ELb1ELi32EEEvPT0_PKT_iiiPKbib,comdat
	.globl	_ZN12_GLOBAL__N_120softmax_warp_forwardIN3c104HalfES2_fLi1ELb0ELb1ELi32EEEvPT0_PKT_iiiPKbib ; -- Begin function _ZN12_GLOBAL__N_120softmax_warp_forwardIN3c104HalfES2_fLi1ELb0ELb1ELi32EEEvPT0_PKT_iiiPKbib
	.p2align	8
	.type	_ZN12_GLOBAL__N_120softmax_warp_forwardIN3c104HalfES2_fLi1ELb0ELb1ELi32EEEvPT0_PKT_iiiPKbib,@function
_ZN12_GLOBAL__N_120softmax_warp_forwardIN3c104HalfES2_fLi1ELb0ELb1ELi32EEEvPT0_PKT_iiiPKbib: ; @_ZN12_GLOBAL__N_120softmax_warp_forwardIN3c104HalfES2_fLi1ELb0ELb1ELi32EEEvPT0_PKT_iiiPKbib
; %bb.0:
	s_clause 0x2
	s_load_dwordx2 s[8:9], s[4:5], 0x28
	s_load_dword s10, s[4:5], 0x3c
	s_load_dwordx4 s[0:3], s[4:5], 0x10
	s_waitcnt lgkmcnt(0)
	s_bitcmp1_b32 s9, 0
	s_cselect_b32 s7, -1, 0
	s_lshr_b32 s3, s10, 16
	s_and_b32 s3, s3, 0xffff
	s_bitcmp0_b32 s9, 0
	s_mul_i32 s6, s6, s3
	v_add_lshl_u32 v5, s6, v1, 1
	v_mul_lo_u32 v6, v5, s1
	v_add_nc_u32_e32 v1, v6, v0
	v_ashrrev_i32_e32 v2, 31, v1
	v_mov_b32_e32 v4, v2
	v_mov_b32_e32 v3, v1
	s_cbranch_scc1 .LBB723_2
; %bb.1:
	s_abs_i32 s3, s8
	v_sub_nc_u32_e32 v7, 0, v6
	v_cvt_f32_u32_e32 v3, s3
	s_sub_i32 s6, 0, s3
	v_max_i32_e32 v7, v6, v7
	v_rcp_iflag_f32_e32 v3, v3
	v_xor_b32_e32 v6, s8, v6
	v_ashrrev_i32_e32 v6, 31, v6
	v_mul_f32_e32 v3, 0x4f7ffffe, v3
	v_cvt_u32_f32_e32 v3, v3
	v_mul_lo_u32 v4, s6, v3
	v_mul_hi_u32 v4, v3, v4
	v_add_nc_u32_e32 v3, v3, v4
	v_mul_hi_u32 v3, v7, v3
	v_mul_lo_u32 v4, v3, s3
	v_sub_nc_u32_e32 v4, v7, v4
	v_add_nc_u32_e32 v7, 1, v3
	v_subrev_nc_u32_e32 v8, s3, v4
	v_cmp_le_u32_e32 vcc_lo, s3, v4
	v_cndmask_b32_e32 v3, v3, v7, vcc_lo
	v_cndmask_b32_e32 v4, v4, v8, vcc_lo
	v_add_nc_u32_e32 v7, 1, v3
	v_cmp_le_u32_e32 vcc_lo, s3, v4
	v_cndmask_b32_e32 v3, v3, v7, vcc_lo
	v_xor_b32_e32 v3, v3, v6
	v_sub_nc_u32_e32 v3, v3, v6
	v_mad_u64_u32 v[3:4], null, v3, s1, v[0:1]
	v_ashrrev_i32_e32 v4, 31, v3
.LBB723_2:
	s_load_dwordx4 s[8:11], s[4:5], 0x0
	v_lshlrev_b64 v[1:2], 1, v[1:2]
	v_sub_nc_u32_e32 v11, s0, v5
	v_cmp_gt_i32_e64 s0, s2, v0
	v_mov_b32_e32 v8, 0xff800000
	v_mov_b32_e32 v7, 0xff800000
	v_cmp_lt_i32_e32 vcc_lo, 0, v11
	s_waitcnt lgkmcnt(0)
	v_add_co_u32 v5, s1, s10, v1
	v_add_co_ci_u32_e64 v6, null, s11, v2, s1
	s_and_b32 s10, s0, vcc_lo
	s_and_saveexec_b32 s1, s10
	s_cbranch_execz .LBB723_4
; %bb.3:
	global_load_ushort v0, v[5:6], off
	s_waitcnt vmcnt(0)
	v_cvt_f32_f16_e32 v7, v0
.LBB723_4:
	s_or_b32 exec_lo, exec_lo, s1
	v_cmp_lt_i32_e64 s1, 1, v11
	s_and_b32 s6, s0, s1
	s_and_saveexec_b32 s11, s6
	s_cbranch_execz .LBB723_6
; %bb.5:
	s_mov_b32 s3, 0
	s_lshl_b64 s[12:13], s[2:3], 1
	v_add_co_u32 v5, s1, v5, s12
	v_add_co_ci_u32_e64 v6, null, s13, v6, s1
	global_load_ushort v0, v[5:6], off
	s_waitcnt vmcnt(0)
	v_cvt_f32_f16_e32 v8, v0
.LBB723_6:
	s_or_b32 exec_lo, exec_lo, s11
	s_load_dwordx2 s[4:5], s[4:5], 0x20
	v_mov_b32_e32 v14, 0xff800000
	s_waitcnt lgkmcnt(0)
	v_add_co_u32 v5, s1, s4, v3
	v_add_co_ci_u32_e64 v6, null, s5, v4, s1
	s_and_saveexec_b32 s3, s10
	s_cbranch_execz .LBB723_8
; %bb.7:
	global_load_ubyte v0, v[5:6], off
	s_waitcnt vmcnt(0)
	v_and_b32_e32 v0, 1, v0
	v_cmp_eq_u32_e64 s1, 1, v0
	v_cndmask_b32_e64 v14, v7, 0xff800000, s1
.LBB723_8:
	s_or_b32 exec_lo, exec_lo, s3
	s_xor_b32 s3, s10, -1
	s_mov_b32 s5, 0
	s_and_saveexec_b32 s4, s6
	s_cbranch_execz .LBB723_12
; %bb.9:
	s_and_b32 s1, s7, exec_lo
	s_cselect_b32 s1, 0, s2
	s_cselect_b32 s5, 0, 0
	v_add_co_u32 v3, s1, v5, s1
	v_add_co_ci_u32_e64 v4, null, s5, v6, s1
	s_mov_b32 s5, 0
	global_load_ubyte v0, v[3:4], off
	s_waitcnt vmcnt(0)
	v_and_b32_e32 v0, 1, v0
	v_cmp_eq_u32_e64 s1, 1, v0
	s_xor_b32 s10, s1, -1
	s_and_saveexec_b32 s1, s10
; %bb.10:
	s_mov_b32 s5, exec_lo
; %bb.11:
	s_or_b32 exec_lo, exec_lo, s1
	s_and_b32 s5, s5, exec_lo
.LBB723_12:
	s_or_b32 exec_lo, exec_lo, s4
	v_mbcnt_lo_u32_b32 v0, -1, 0
	v_cndmask_b32_e64 v12, 0xff800000, v8, s5
                                        ; implicit-def: $vgpr9_vgpr10
	v_and_b32_e32 v3, 30, v0
	v_xor_b32_e32 v4, 1, v0
	v_add_nc_u32_e32 v3, 2, v3
	v_cmp_lt_i32_e64 s1, v4, v3
	v_cndmask_b32_e64 v0, v0, v4, s1
	v_lshlrev_b32_e32 v0, 2, v0
	ds_bpermute_b32 v15, v0, v14
	ds_bpermute_b32 v13, v0, v12
	s_and_saveexec_b32 s1, s3
	s_xor_b32 s1, exec_lo, s1
; %bb.13:
	v_mov_b32_e32 v7, 0
	v_mov_b32_e32 v10, v8
                                        ; implicit-def: $vgpr14
                                        ; implicit-def: $vgpr15
	v_mov_b32_e32 v9, v7
                                        ; implicit-def: $vgpr8
                                        ; implicit-def: $vgpr7
; %bb.14:
	s_or_saveexec_b32 s3, s1
	v_mov_b32_e32 v3, 0
	s_xor_b32 s4, s6, -1
	v_mov_b32_e32 v4, v3
	s_xor_b32 exec_lo, exec_lo, s3
	s_cbranch_execz .LBB723_20
; %bb.15:
	global_load_ubyte v4, v[5:6], off
	s_waitcnt vmcnt(0)
	v_and_b32_e32 v9, 1, v4
	v_mov_b32_e32 v4, v8
	v_cmp_eq_u32_e64 s1, 1, v9
	v_mov_b32_e32 v10, v4
	v_mov_b32_e32 v9, v3
	s_xor_b32 s1, s1, -1
	s_and_saveexec_b32 s5, s1
	s_xor_b32 s5, exec_lo, s5
	s_cbranch_execz .LBB723_17
; %bb.16:
	s_waitcnt lgkmcnt(1)
	v_cmp_lt_f32_e64 s1, v14, v15
	v_cndmask_b32_e64 v4, v14, v15, s1
	v_mov_b32_e32 v15, v3
	v_sub_f32_e32 v4, v7, v4
	v_mul_f32_e32 v7, 0x3fb8aa3b, v4
	v_cmp_ngt_f32_e64 s1, 0xc2ce8ed0, v4
	v_fma_f32 v9, 0x3fb8aa3b, v4, -v7
	v_rndne_f32_e32 v10, v7
	v_fmamk_f32 v9, v4, 0x32a5705f, v9
	v_sub_f32_e32 v7, v7, v10
	v_add_f32_e32 v7, v7, v9
	v_cvt_i32_f32_e32 v9, v10
	v_exp_f32_e32 v7, v7
	v_ldexp_f32 v7, v7, v9
	v_cndmask_b32_e64 v7, 0, v7, s1
	v_cmp_nlt_f32_e64 s1, 0x42b17218, v4
	v_cndmask_b32_e64 v7, 0x7f800000, v7, s1
	v_mov_b32_e32 v10, v8
	v_mov_b32_e32 v14, v7
	;; [unrolled: 1-line block ×5, first 2 shown]
.LBB723_17:
	s_andn2_saveexec_b32 s1, s5
; %bb.18:
	v_mov_b32_e32 v3, 0
	v_mov_b32_e32 v4, v3
; %bb.19:
	s_or_b32 exec_lo, exec_lo, s1
.LBB723_20:
	s_or_b32 exec_lo, exec_lo, s3
                                        ; implicit-def: $vgpr7_vgpr8
	s_and_saveexec_b32 s1, s4
	s_xor_b32 s1, exec_lo, s1
	s_cbranch_execz .LBB723_22
; %bb.21:
	v_mov_b32_e32 v10, 0
	v_mov_b32_e32 v7, v9
                                        ; implicit-def: $vgpr5
                                        ; implicit-def: $vgpr12
                                        ; implicit-def: $vgpr13
	v_mov_b32_e32 v8, v10
                                        ; implicit-def: $vgpr9_vgpr10
	s_andn2_saveexec_b32 s3, s1
	s_cbranch_execz .LBB723_26
	s_branch .LBB723_23
.LBB723_22:
	s_andn2_saveexec_b32 s3, s1
	s_cbranch_execz .LBB723_26
.LBB723_23:
	s_and_b32 s1, s7, exec_lo
	s_cselect_b32 s1, 0, s2
	s_cselect_b32 s4, 0, 0
	v_add_co_u32 v5, s1, v5, s1
	v_add_co_ci_u32_e64 v6, null, s4, v6, s1
	v_mov_b32_e32 v8, 0
	v_mov_b32_e32 v7, v9
	global_load_ubyte v5, v[5:6], off
	s_waitcnt vmcnt(0)
	v_and_b32_e32 v5, 1, v5
	v_cmp_eq_u32_e64 s1, 1, v5
	s_xor_b32 s1, s1, -1
	s_and_saveexec_b32 s4, s1
	s_xor_b32 s4, exec_lo, s4
	s_cbranch_execz .LBB723_25
; %bb.24:
	s_waitcnt lgkmcnt(0)
	v_cmp_lt_f32_e64 s1, v12, v13
	v_cndmask_b32_e64 v5, v12, v13, s1
	v_sub_f32_e32 v5, v10, v5
	v_mul_f32_e32 v6, 0x3fb8aa3b, v5
	v_cmp_ngt_f32_e64 s1, 0xc2ce8ed0, v5
	v_fma_f32 v7, 0x3fb8aa3b, v5, -v6
	v_rndne_f32_e32 v8, v6
	v_fmamk_f32 v7, v5, 0x32a5705f, v7
	v_sub_f32_e32 v6, v6, v8
	v_add_f32_e32 v6, v6, v7
	v_cvt_i32_f32_e32 v7, v8
	v_exp_f32_e32 v6, v6
	v_ldexp_f32 v6, v6, v7
	v_cndmask_b32_e64 v6, 0, v6, s1
	v_cmp_nlt_f32_e64 s1, 0x42b17218, v5
	v_cndmask_b32_e64 v10, 0x7f800000, v6, s1
	v_mov_b32_e32 v7, v9
	v_add_f32_e32 v4, v4, v10
	v_mov_b32_e32 v8, v10
.LBB723_25:
	s_andn2_saveexec_b32 s1, s4
	s_or_b32 exec_lo, exec_lo, s1
.LBB723_26:
	s_or_b32 exec_lo, exec_lo, s3
	ds_bpermute_b32 v6, v0, v3
	ds_bpermute_b32 v5, v0, v4
	s_and_saveexec_b32 s1, vcc_lo
	s_cbranch_execz .LBB723_37
; %bb.27:
	v_add_co_u32 v0, vcc_lo, s8, v1
	v_add_co_ci_u32_e64 v1, null, s9, v2, vcc_lo
	s_and_saveexec_b32 s1, s0
	s_cbranch_execz .LBB723_32
; %bb.28:
	s_waitcnt lgkmcnt(1)
	v_add_f32_e32 v2, v3, v6
	s_mov_b32 s3, exec_lo
	v_cmpx_neq_f32_e32 0, v2
	s_xor_b32 s3, exec_lo, s3
	s_cbranch_execz .LBB723_30
; %bb.29:
	v_div_scale_f32 v3, null, v2, v2, v7
	v_rcp_f32_e32 v6, v3
	v_fma_f32 v9, -v3, v6, 1.0
	v_fmac_f32_e32 v6, v9, v6
	v_div_scale_f32 v9, vcc_lo, v7, v2, v7
	v_mul_f32_e32 v10, v9, v6
	v_fma_f32 v12, -v3, v10, v9
	v_fmac_f32_e32 v10, v12, v6
	v_fma_f32 v3, -v3, v10, v9
	v_div_fmas_f32 v3, v3, v6, v10
	v_div_fixup_f32 v2, v3, v2, v7
	v_cvt_f16_f32_e32 v2, v2
	global_store_short v[0:1], v2, off
.LBB723_30:
	s_andn2_saveexec_b32 s3, s3
	s_cbranch_execz .LBB723_32
; %bb.31:
	v_mov_b32_e32 v2, 0x7e00
	global_store_short v[0:1], v2, off
.LBB723_32:
	s_or_b32 exec_lo, exec_lo, s1
	v_cmp_ne_u32_e32 vcc_lo, 1, v11
	s_and_b32 s0, vcc_lo, s0
	s_and_b32 exec_lo, exec_lo, s0
	s_cbranch_execz .LBB723_37
; %bb.33:
	s_mov_b32 s3, 0
	s_waitcnt lgkmcnt(0)
	v_add_f32_e32 v2, v4, v5
	s_lshl_b64 s[0:1], s[2:3], 1
	v_add_co_u32 v0, s0, v0, s0
	v_add_co_ci_u32_e64 v1, null, s1, v1, s0
	s_mov_b32 s0, exec_lo
	v_cmpx_neq_f32_e32 0, v2
	s_xor_b32 s0, exec_lo, s0
	s_cbranch_execz .LBB723_35
; %bb.34:
	v_div_scale_f32 v3, null, v2, v2, v8
	v_rcp_f32_e32 v4, v3
	v_fma_f32 v5, -v3, v4, 1.0
	v_fmac_f32_e32 v4, v5, v4
	v_div_scale_f32 v5, vcc_lo, v8, v2, v8
	v_mul_f32_e32 v6, v5, v4
	v_fma_f32 v7, -v3, v6, v5
	v_fmac_f32_e32 v6, v7, v4
	v_fma_f32 v3, -v3, v6, v5
	v_div_fmas_f32 v3, v3, v4, v6
	v_div_fixup_f32 v2, v3, v2, v8
	v_cvt_f16_f32_e32 v2, v2
	global_store_short v[0:1], v2, off
                                        ; implicit-def: $vgpr0_vgpr1
.LBB723_35:
	s_andn2_saveexec_b32 s0, s0
	s_cbranch_execz .LBB723_37
; %bb.36:
	v_mov_b32_e32 v2, 0x7e00
	global_store_short v[0:1], v2, off
.LBB723_37:
	s_endpgm
	.section	.rodata,"a",@progbits
	.p2align	6, 0x0
	.amdhsa_kernel _ZN12_GLOBAL__N_120softmax_warp_forwardIN3c104HalfES2_fLi1ELb0ELb1ELi32EEEvPT0_PKT_iiiPKbib
		.amdhsa_group_segment_fixed_size 0
		.amdhsa_private_segment_fixed_size 0
		.amdhsa_kernarg_size 304
		.amdhsa_user_sgpr_count 6
		.amdhsa_user_sgpr_private_segment_buffer 1
		.amdhsa_user_sgpr_dispatch_ptr 0
		.amdhsa_user_sgpr_queue_ptr 0
		.amdhsa_user_sgpr_kernarg_segment_ptr 1
		.amdhsa_user_sgpr_dispatch_id 0
		.amdhsa_user_sgpr_flat_scratch_init 0
		.amdhsa_user_sgpr_private_segment_size 0
		.amdhsa_wavefront_size32 1
		.amdhsa_uses_dynamic_stack 0
		.amdhsa_system_sgpr_private_segment_wavefront_offset 0
		.amdhsa_system_sgpr_workgroup_id_x 1
		.amdhsa_system_sgpr_workgroup_id_y 0
		.amdhsa_system_sgpr_workgroup_id_z 0
		.amdhsa_system_sgpr_workgroup_info 0
		.amdhsa_system_vgpr_workitem_id 1
		.amdhsa_next_free_vgpr 16
		.amdhsa_next_free_sgpr 14
		.amdhsa_reserve_vcc 1
		.amdhsa_reserve_flat_scratch 0
		.amdhsa_float_round_mode_32 0
		.amdhsa_float_round_mode_16_64 0
		.amdhsa_float_denorm_mode_32 3
		.amdhsa_float_denorm_mode_16_64 3
		.amdhsa_dx10_clamp 1
		.amdhsa_ieee_mode 1
		.amdhsa_fp16_overflow 0
		.amdhsa_workgroup_processor_mode 1
		.amdhsa_memory_ordered 1
		.amdhsa_forward_progress 1
		.amdhsa_shared_vgpr_count 0
		.amdhsa_exception_fp_ieee_invalid_op 0
		.amdhsa_exception_fp_denorm_src 0
		.amdhsa_exception_fp_ieee_div_zero 0
		.amdhsa_exception_fp_ieee_overflow 0
		.amdhsa_exception_fp_ieee_underflow 0
		.amdhsa_exception_fp_ieee_inexact 0
		.amdhsa_exception_int_div_zero 0
	.end_amdhsa_kernel
	.section	.text._ZN12_GLOBAL__N_120softmax_warp_forwardIN3c104HalfES2_fLi1ELb0ELb1ELi32EEEvPT0_PKT_iiiPKbib,"axG",@progbits,_ZN12_GLOBAL__N_120softmax_warp_forwardIN3c104HalfES2_fLi1ELb0ELb1ELi32EEEvPT0_PKT_iiiPKbib,comdat
.Lfunc_end723:
	.size	_ZN12_GLOBAL__N_120softmax_warp_forwardIN3c104HalfES2_fLi1ELb0ELb1ELi32EEEvPT0_PKT_iiiPKbib, .Lfunc_end723-_ZN12_GLOBAL__N_120softmax_warp_forwardIN3c104HalfES2_fLi1ELb0ELb1ELi32EEEvPT0_PKT_iiiPKbib
                                        ; -- End function
	.set _ZN12_GLOBAL__N_120softmax_warp_forwardIN3c104HalfES2_fLi1ELb0ELb1ELi32EEEvPT0_PKT_iiiPKbib.num_vgpr, 16
	.set _ZN12_GLOBAL__N_120softmax_warp_forwardIN3c104HalfES2_fLi1ELb0ELb1ELi32EEEvPT0_PKT_iiiPKbib.num_agpr, 0
	.set _ZN12_GLOBAL__N_120softmax_warp_forwardIN3c104HalfES2_fLi1ELb0ELb1ELi32EEEvPT0_PKT_iiiPKbib.numbered_sgpr, 14
	.set _ZN12_GLOBAL__N_120softmax_warp_forwardIN3c104HalfES2_fLi1ELb0ELb1ELi32EEEvPT0_PKT_iiiPKbib.num_named_barrier, 0
	.set _ZN12_GLOBAL__N_120softmax_warp_forwardIN3c104HalfES2_fLi1ELb0ELb1ELi32EEEvPT0_PKT_iiiPKbib.private_seg_size, 0
	.set _ZN12_GLOBAL__N_120softmax_warp_forwardIN3c104HalfES2_fLi1ELb0ELb1ELi32EEEvPT0_PKT_iiiPKbib.uses_vcc, 1
	.set _ZN12_GLOBAL__N_120softmax_warp_forwardIN3c104HalfES2_fLi1ELb0ELb1ELi32EEEvPT0_PKT_iiiPKbib.uses_flat_scratch, 0
	.set _ZN12_GLOBAL__N_120softmax_warp_forwardIN3c104HalfES2_fLi1ELb0ELb1ELi32EEEvPT0_PKT_iiiPKbib.has_dyn_sized_stack, 0
	.set _ZN12_GLOBAL__N_120softmax_warp_forwardIN3c104HalfES2_fLi1ELb0ELb1ELi32EEEvPT0_PKT_iiiPKbib.has_recursion, 0
	.set _ZN12_GLOBAL__N_120softmax_warp_forwardIN3c104HalfES2_fLi1ELb0ELb1ELi32EEEvPT0_PKT_iiiPKbib.has_indirect_call, 0
	.section	.AMDGPU.csdata,"",@progbits
; Kernel info:
; codeLenInByte = 1536
; TotalNumSgprs: 16
; NumVgprs: 16
; ScratchSize: 0
; MemoryBound: 0
; FloatMode: 240
; IeeeMode: 1
; LDSByteSize: 0 bytes/workgroup (compile time only)
; SGPRBlocks: 0
; VGPRBlocks: 1
; NumSGPRsForWavesPerEU: 16
; NumVGPRsForWavesPerEU: 16
; Occupancy: 16
; WaveLimiterHint : 0
; COMPUTE_PGM_RSRC2:SCRATCH_EN: 0
; COMPUTE_PGM_RSRC2:USER_SGPR: 6
; COMPUTE_PGM_RSRC2:TRAP_HANDLER: 0
; COMPUTE_PGM_RSRC2:TGID_X_EN: 1
; COMPUTE_PGM_RSRC2:TGID_Y_EN: 0
; COMPUTE_PGM_RSRC2:TGID_Z_EN: 0
; COMPUTE_PGM_RSRC2:TIDIG_COMP_CNT: 1
	.section	.text._ZN12_GLOBAL__N_120softmax_warp_forwardIN3c104HalfES2_fLi2ELb0ELb1ELi64EEEvPT0_PKT_iiiPKbib,"axG",@progbits,_ZN12_GLOBAL__N_120softmax_warp_forwardIN3c104HalfES2_fLi2ELb0ELb1ELi64EEEvPT0_PKT_iiiPKbib,comdat
	.globl	_ZN12_GLOBAL__N_120softmax_warp_forwardIN3c104HalfES2_fLi2ELb0ELb1ELi64EEEvPT0_PKT_iiiPKbib ; -- Begin function _ZN12_GLOBAL__N_120softmax_warp_forwardIN3c104HalfES2_fLi2ELb0ELb1ELi64EEEvPT0_PKT_iiiPKbib
	.p2align	8
	.type	_ZN12_GLOBAL__N_120softmax_warp_forwardIN3c104HalfES2_fLi2ELb0ELb1ELi64EEEvPT0_PKT_iiiPKbib,@function
_ZN12_GLOBAL__N_120softmax_warp_forwardIN3c104HalfES2_fLi2ELb0ELb1ELi64EEEvPT0_PKT_iiiPKbib: ; @_ZN12_GLOBAL__N_120softmax_warp_forwardIN3c104HalfES2_fLi2ELb0ELb1ELi64EEEvPT0_PKT_iiiPKbib
; %bb.0:
	s_clause 0x2
	s_load_dwordx2 s[8:9], s[4:5], 0x28
	s_load_dword s10, s[4:5], 0x3c
	s_load_dwordx4 s[0:3], s[4:5], 0x10
	s_waitcnt lgkmcnt(0)
	s_bitcmp1_b32 s9, 0
	s_cselect_b32 s7, -1, 0
	s_lshr_b32 s3, s10, 16
	s_and_b32 s3, s3, 0xffff
	s_bitcmp0_b32 s9, 0
	s_mul_i32 s6, s6, s3
	v_add_lshl_u32 v5, s6, v1, 1
	v_mul_lo_u32 v6, v5, s1
	v_add_nc_u32_e32 v1, v6, v0
	v_ashrrev_i32_e32 v2, 31, v1
	v_mov_b32_e32 v4, v2
	v_mov_b32_e32 v3, v1
	s_cbranch_scc1 .LBB724_2
; %bb.1:
	s_abs_i32 s3, s8
	v_sub_nc_u32_e32 v7, 0, v6
	v_cvt_f32_u32_e32 v3, s3
	s_sub_i32 s6, 0, s3
	v_max_i32_e32 v7, v6, v7
	v_rcp_iflag_f32_e32 v3, v3
	v_xor_b32_e32 v6, s8, v6
	v_ashrrev_i32_e32 v6, 31, v6
	v_mul_f32_e32 v3, 0x4f7ffffe, v3
	v_cvt_u32_f32_e32 v3, v3
	v_mul_lo_u32 v4, s6, v3
	v_mul_hi_u32 v4, v3, v4
	v_add_nc_u32_e32 v3, v3, v4
	v_mul_hi_u32 v3, v7, v3
	v_mul_lo_u32 v4, v3, s3
	v_sub_nc_u32_e32 v4, v7, v4
	v_add_nc_u32_e32 v7, 1, v3
	v_subrev_nc_u32_e32 v8, s3, v4
	v_cmp_le_u32_e32 vcc_lo, s3, v4
	v_cndmask_b32_e32 v3, v3, v7, vcc_lo
	v_cndmask_b32_e32 v4, v4, v8, vcc_lo
	v_add_nc_u32_e32 v7, 1, v3
	v_cmp_le_u32_e32 vcc_lo, s3, v4
	v_cndmask_b32_e32 v3, v3, v7, vcc_lo
	v_xor_b32_e32 v3, v3, v6
	v_sub_nc_u32_e32 v3, v3, v6
	v_mad_u64_u32 v[3:4], null, v3, s1, v[0:1]
	v_ashrrev_i32_e32 v4, 31, v3
.LBB724_2:
	s_load_dwordx4 s[8:11], s[4:5], 0x0
	v_lshlrev_b64 v[1:2], 1, v[1:2]
	v_sub_nc_u32_e32 v11, s0, v5
	v_cmp_gt_i32_e64 s0, s2, v0
	v_mov_b32_e32 v6, 0xff800000
	v_mov_b32_e32 v5, 0xff800000
	v_cmp_lt_i32_e32 vcc_lo, 0, v11
	s_waitcnt lgkmcnt(0)
	v_add_co_u32 v7, s1, s10, v1
	v_add_co_ci_u32_e64 v8, null, s11, v2, s1
	s_and_b32 s10, s0, vcc_lo
	s_and_saveexec_b32 s1, s10
	s_cbranch_execz .LBB724_4
; %bb.3:
	global_load_ushort v0, v[7:8], off
	s_waitcnt vmcnt(0)
	v_cvt_f32_f16_e32 v5, v0
.LBB724_4:
	s_or_b32 exec_lo, exec_lo, s1
	v_cmp_lt_i32_e64 s1, 1, v11
	s_and_b32 s6, s0, s1
	s_and_saveexec_b32 s11, s6
	s_cbranch_execz .LBB724_6
; %bb.5:
	s_mov_b32 s3, 0
	s_lshl_b64 s[12:13], s[2:3], 1
	v_add_co_u32 v6, s1, v7, s12
	v_add_co_ci_u32_e64 v7, null, s13, v8, s1
	global_load_ushort v0, v[6:7], off
	s_waitcnt vmcnt(0)
	v_cvt_f32_f16_e32 v6, v0
.LBB724_6:
	s_or_b32 exec_lo, exec_lo, s11
	s_load_dwordx2 s[4:5], s[4:5], 0x20
	v_mov_b32_e32 v7, 0xff800000
	s_waitcnt lgkmcnt(0)
	v_add_co_u32 v3, s1, s4, v3
	v_add_co_ci_u32_e64 v4, null, s5, v4, s1
	s_and_saveexec_b32 s3, s10
	s_cbranch_execz .LBB724_8
; %bb.7:
	global_load_ubyte v0, v[3:4], off
	s_waitcnt vmcnt(0)
	v_and_b32_e32 v0, 1, v0
	v_cmp_eq_u32_e64 s1, 1, v0
	v_cndmask_b32_e64 v7, v5, 0xff800000, s1
.LBB724_8:
	s_or_b32 exec_lo, exec_lo, s3
	s_xor_b32 s3, s10, -1
	s_mov_b32 s5, 0
	s_and_saveexec_b32 s4, s6
	s_cbranch_execz .LBB724_12
; %bb.9:
	s_and_b32 s1, s7, exec_lo
	s_cselect_b32 s1, 0, s2
	s_cselect_b32 s5, 0, 0
	v_add_co_u32 v8, s1, v3, s1
	v_add_co_ci_u32_e64 v9, null, s5, v4, s1
	s_mov_b32 s5, 0
	global_load_ubyte v0, v[8:9], off
	s_waitcnt vmcnt(0)
	v_and_b32_e32 v0, 1, v0
	v_cmp_eq_u32_e64 s1, 1, v0
	s_xor_b32 s10, s1, -1
	s_and_saveexec_b32 s1, s10
; %bb.10:
	s_mov_b32 s5, exec_lo
; %bb.11:
	s_or_b32 exec_lo, exec_lo, s1
	s_and_b32 s5, s5, exec_lo
.LBB724_12:
	s_or_b32 exec_lo, exec_lo, s4
	v_mbcnt_lo_u32_b32 v8, -1, 0
	v_and_b32_e32 v0, 28, v8
	v_xor_b32_e32 v9, 2, v8
	v_xor_b32_e32 v12, 1, v8
	v_add_nc_u32_e32 v10, 4, v0
	v_cmp_lt_i32_e64 s1, v9, v10
	v_cndmask_b32_e64 v0, v8, v9, s1
	v_cndmask_b32_e64 v9, 0xff800000, v6, s5
	v_cmp_lt_i32_e64 s1, v12, v10
	v_lshlrev_b32_e32 v0, 2, v0
	v_cndmask_b32_e64 v8, v8, v12, s1
	ds_bpermute_b32 v13, v0, v7
	ds_bpermute_b32 v14, v0, v9
	v_lshlrev_b32_e32 v12, 2, v8
	s_waitcnt lgkmcnt(1)
	v_cmp_lt_f32_e64 s1, v7, v13
	v_cndmask_b32_e64 v15, v7, v13, s1
	s_waitcnt lgkmcnt(0)
	v_cmp_lt_f32_e64 s1, v9, v14
	ds_bpermute_b32 v16, v12, v15
	v_cndmask_b32_e64 v13, v9, v14, s1
                                        ; implicit-def: $vgpr9_vgpr10
	ds_bpermute_b32 v14, v12, v13
	s_and_saveexec_b32 s1, s3
	s_xor_b32 s1, exec_lo, s1
; %bb.13:
	v_mov_b32_e32 v5, 0
	v_mov_b32_e32 v10, v6
                                        ; implicit-def: $vgpr15
                                        ; implicit-def: $vgpr16
	v_mov_b32_e32 v9, v5
                                        ; implicit-def: $vgpr6
                                        ; implicit-def: $vgpr5
; %bb.14:
	s_or_saveexec_b32 s3, s1
	v_mov_b32_e32 v7, 0
	s_xor_b32 s4, s6, -1
	v_mov_b32_e32 v8, v7
	s_xor_b32 exec_lo, exec_lo, s3
	s_cbranch_execz .LBB724_20
; %bb.15:
	global_load_ubyte v8, v[3:4], off
	s_waitcnt vmcnt(0)
	v_and_b32_e32 v9, 1, v8
	v_mov_b32_e32 v8, v6
	v_cmp_eq_u32_e64 s1, 1, v9
	v_mov_b32_e32 v10, v8
	v_mov_b32_e32 v9, v7
	s_xor_b32 s1, s1, -1
	s_and_saveexec_b32 s5, s1
	s_xor_b32 s5, exec_lo, s5
	s_cbranch_execz .LBB724_17
; %bb.16:
	s_waitcnt lgkmcnt(1)
	v_cmp_lt_f32_e64 s1, v15, v16
	v_cndmask_b32_e64 v8, v15, v16, s1
	v_mov_b32_e32 v16, v7
	v_sub_f32_e32 v5, v5, v8
	v_mul_f32_e32 v8, 0x3fb8aa3b, v5
	v_cmp_ngt_f32_e64 s1, 0xc2ce8ed0, v5
	v_fma_f32 v9, 0x3fb8aa3b, v5, -v8
	v_rndne_f32_e32 v10, v8
	v_fmamk_f32 v9, v5, 0x32a5705f, v9
	v_sub_f32_e32 v8, v8, v10
	v_add_f32_e32 v8, v8, v9
	v_cvt_i32_f32_e32 v9, v10
	v_exp_f32_e32 v8, v8
	v_ldexp_f32 v8, v8, v9
	v_cndmask_b32_e64 v8, 0, v8, s1
	v_cmp_nlt_f32_e64 s1, 0x42b17218, v5
	v_cndmask_b32_e64 v5, 0x7f800000, v8, s1
	v_mov_b32_e32 v10, v6
	v_mov_b32_e32 v15, v5
	;; [unrolled: 1-line block ×5, first 2 shown]
.LBB724_17:
	s_andn2_saveexec_b32 s1, s5
; %bb.18:
	v_mov_b32_e32 v7, 0
	v_mov_b32_e32 v8, v7
; %bb.19:
	s_or_b32 exec_lo, exec_lo, s1
.LBB724_20:
	s_or_b32 exec_lo, exec_lo, s3
                                        ; implicit-def: $vgpr5_vgpr6
	s_and_saveexec_b32 s1, s4
	s_xor_b32 s1, exec_lo, s1
	s_cbranch_execz .LBB724_22
; %bb.21:
	v_mov_b32_e32 v10, 0
	v_mov_b32_e32 v5, v9
                                        ; implicit-def: $vgpr3
                                        ; implicit-def: $vgpr13
                                        ; implicit-def: $vgpr14
	v_mov_b32_e32 v6, v10
                                        ; implicit-def: $vgpr9_vgpr10
	s_andn2_saveexec_b32 s3, s1
	s_cbranch_execz .LBB724_26
	s_branch .LBB724_23
.LBB724_22:
	s_andn2_saveexec_b32 s3, s1
	s_cbranch_execz .LBB724_26
.LBB724_23:
	s_and_b32 s1, s7, exec_lo
	s_cselect_b32 s1, 0, s2
	s_cselect_b32 s4, 0, 0
	v_add_co_u32 v3, s1, v3, s1
	v_add_co_ci_u32_e64 v4, null, s4, v4, s1
	v_mov_b32_e32 v6, 0
	v_mov_b32_e32 v5, v9
	global_load_ubyte v3, v[3:4], off
	s_waitcnt vmcnt(0)
	v_and_b32_e32 v3, 1, v3
	v_cmp_eq_u32_e64 s1, 1, v3
	s_xor_b32 s1, s1, -1
	s_and_saveexec_b32 s4, s1
	s_xor_b32 s4, exec_lo, s4
	s_cbranch_execz .LBB724_25
; %bb.24:
	s_waitcnt lgkmcnt(0)
	v_cmp_lt_f32_e64 s1, v13, v14
	v_cndmask_b32_e64 v3, v13, v14, s1
	v_sub_f32_e32 v3, v10, v3
	v_mul_f32_e32 v4, 0x3fb8aa3b, v3
	v_cmp_ngt_f32_e64 s1, 0xc2ce8ed0, v3
	v_fma_f32 v5, 0x3fb8aa3b, v3, -v4
	v_rndne_f32_e32 v6, v4
	v_fmamk_f32 v5, v3, 0x32a5705f, v5
	v_sub_f32_e32 v4, v4, v6
	v_add_f32_e32 v4, v4, v5
	v_cvt_i32_f32_e32 v5, v6
	v_exp_f32_e32 v4, v4
	v_ldexp_f32 v4, v4, v5
	v_cndmask_b32_e64 v4, 0, v4, s1
	v_cmp_nlt_f32_e64 s1, 0x42b17218, v3
	v_cndmask_b32_e64 v10, 0x7f800000, v4, s1
	v_mov_b32_e32 v5, v9
	v_add_f32_e32 v8, v8, v10
	v_mov_b32_e32 v6, v10
.LBB724_25:
	s_andn2_saveexec_b32 s1, s4
	s_or_b32 exec_lo, exec_lo, s1
.LBB724_26:
	s_or_b32 exec_lo, exec_lo, s3
	ds_bpermute_b32 v3, v0, v7
	ds_bpermute_b32 v0, v0, v8
	s_waitcnt lgkmcnt(1)
	v_add_f32_e32 v7, v7, v3
	s_waitcnt lgkmcnt(0)
	v_add_f32_e32 v3, v8, v0
	ds_bpermute_b32 v8, v12, v7
	ds_bpermute_b32 v4, v12, v3
	s_and_saveexec_b32 s1, vcc_lo
	s_cbranch_execz .LBB724_37
; %bb.27:
	v_add_co_u32 v0, vcc_lo, s8, v1
	v_add_co_ci_u32_e64 v1, null, s9, v2, vcc_lo
	s_and_saveexec_b32 s1, s0
	s_cbranch_execz .LBB724_32
; %bb.28:
	s_waitcnt lgkmcnt(1)
	v_add_f32_e32 v2, v7, v8
	s_mov_b32 s3, exec_lo
	v_cmpx_neq_f32_e32 0, v2
	s_xor_b32 s3, exec_lo, s3
	s_cbranch_execz .LBB724_30
; %bb.29:
	v_div_scale_f32 v7, null, v2, v2, v5
	v_rcp_f32_e32 v8, v7
	v_fma_f32 v9, -v7, v8, 1.0
	v_fmac_f32_e32 v8, v9, v8
	v_div_scale_f32 v9, vcc_lo, v5, v2, v5
	v_mul_f32_e32 v10, v9, v8
	v_fma_f32 v12, -v7, v10, v9
	v_fmac_f32_e32 v10, v12, v8
	v_fma_f32 v7, -v7, v10, v9
	v_div_fmas_f32 v7, v7, v8, v10
	v_div_fixup_f32 v2, v7, v2, v5
	v_cvt_f16_f32_e32 v2, v2
	global_store_short v[0:1], v2, off
.LBB724_30:
	s_andn2_saveexec_b32 s3, s3
	s_cbranch_execz .LBB724_32
; %bb.31:
	v_mov_b32_e32 v2, 0x7e00
	global_store_short v[0:1], v2, off
.LBB724_32:
	s_or_b32 exec_lo, exec_lo, s1
	v_cmp_ne_u32_e32 vcc_lo, 1, v11
	s_and_b32 s0, vcc_lo, s0
	s_and_b32 exec_lo, exec_lo, s0
	s_cbranch_execz .LBB724_37
; %bb.33:
	s_mov_b32 s3, 0
	s_waitcnt lgkmcnt(0)
	v_add_f32_e32 v2, v3, v4
	s_lshl_b64 s[0:1], s[2:3], 1
	v_add_co_u32 v0, s0, v0, s0
	v_add_co_ci_u32_e64 v1, null, s1, v1, s0
	s_mov_b32 s0, exec_lo
	v_cmpx_neq_f32_e32 0, v2
	s_xor_b32 s0, exec_lo, s0
	s_cbranch_execz .LBB724_35
; %bb.34:
	v_div_scale_f32 v3, null, v2, v2, v6
	v_rcp_f32_e32 v4, v3
	v_fma_f32 v5, -v3, v4, 1.0
	v_fmac_f32_e32 v4, v5, v4
	v_div_scale_f32 v5, vcc_lo, v6, v2, v6
	v_mul_f32_e32 v7, v5, v4
	v_fma_f32 v8, -v3, v7, v5
	v_fmac_f32_e32 v7, v8, v4
	v_fma_f32 v3, -v3, v7, v5
	v_div_fmas_f32 v3, v3, v4, v7
	v_div_fixup_f32 v2, v3, v2, v6
	v_cvt_f16_f32_e32 v2, v2
	global_store_short v[0:1], v2, off
                                        ; implicit-def: $vgpr0_vgpr1
.LBB724_35:
	s_andn2_saveexec_b32 s0, s0
	s_cbranch_execz .LBB724_37
; %bb.36:
	v_mov_b32_e32 v2, 0x7e00
	global_store_short v[0:1], v2, off
.LBB724_37:
	s_endpgm
	.section	.rodata,"a",@progbits
	.p2align	6, 0x0
	.amdhsa_kernel _ZN12_GLOBAL__N_120softmax_warp_forwardIN3c104HalfES2_fLi2ELb0ELb1ELi64EEEvPT0_PKT_iiiPKbib
		.amdhsa_group_segment_fixed_size 0
		.amdhsa_private_segment_fixed_size 0
		.amdhsa_kernarg_size 304
		.amdhsa_user_sgpr_count 6
		.amdhsa_user_sgpr_private_segment_buffer 1
		.amdhsa_user_sgpr_dispatch_ptr 0
		.amdhsa_user_sgpr_queue_ptr 0
		.amdhsa_user_sgpr_kernarg_segment_ptr 1
		.amdhsa_user_sgpr_dispatch_id 0
		.amdhsa_user_sgpr_flat_scratch_init 0
		.amdhsa_user_sgpr_private_segment_size 0
		.amdhsa_wavefront_size32 1
		.amdhsa_uses_dynamic_stack 0
		.amdhsa_system_sgpr_private_segment_wavefront_offset 0
		.amdhsa_system_sgpr_workgroup_id_x 1
		.amdhsa_system_sgpr_workgroup_id_y 0
		.amdhsa_system_sgpr_workgroup_id_z 0
		.amdhsa_system_sgpr_workgroup_info 0
		.amdhsa_system_vgpr_workitem_id 1
		.amdhsa_next_free_vgpr 17
		.amdhsa_next_free_sgpr 14
		.amdhsa_reserve_vcc 1
		.amdhsa_reserve_flat_scratch 0
		.amdhsa_float_round_mode_32 0
		.amdhsa_float_round_mode_16_64 0
		.amdhsa_float_denorm_mode_32 3
		.amdhsa_float_denorm_mode_16_64 3
		.amdhsa_dx10_clamp 1
		.amdhsa_ieee_mode 1
		.amdhsa_fp16_overflow 0
		.amdhsa_workgroup_processor_mode 1
		.amdhsa_memory_ordered 1
		.amdhsa_forward_progress 1
		.amdhsa_shared_vgpr_count 0
		.amdhsa_exception_fp_ieee_invalid_op 0
		.amdhsa_exception_fp_denorm_src 0
		.amdhsa_exception_fp_ieee_div_zero 0
		.amdhsa_exception_fp_ieee_overflow 0
		.amdhsa_exception_fp_ieee_underflow 0
		.amdhsa_exception_fp_ieee_inexact 0
		.amdhsa_exception_int_div_zero 0
	.end_amdhsa_kernel
	.section	.text._ZN12_GLOBAL__N_120softmax_warp_forwardIN3c104HalfES2_fLi2ELb0ELb1ELi64EEEvPT0_PKT_iiiPKbib,"axG",@progbits,_ZN12_GLOBAL__N_120softmax_warp_forwardIN3c104HalfES2_fLi2ELb0ELb1ELi64EEEvPT0_PKT_iiiPKbib,comdat
.Lfunc_end724:
	.size	_ZN12_GLOBAL__N_120softmax_warp_forwardIN3c104HalfES2_fLi2ELb0ELb1ELi64EEEvPT0_PKT_iiiPKbib, .Lfunc_end724-_ZN12_GLOBAL__N_120softmax_warp_forwardIN3c104HalfES2_fLi2ELb0ELb1ELi64EEEvPT0_PKT_iiiPKbib
                                        ; -- End function
	.set _ZN12_GLOBAL__N_120softmax_warp_forwardIN3c104HalfES2_fLi2ELb0ELb1ELi64EEEvPT0_PKT_iiiPKbib.num_vgpr, 17
	.set _ZN12_GLOBAL__N_120softmax_warp_forwardIN3c104HalfES2_fLi2ELb0ELb1ELi64EEEvPT0_PKT_iiiPKbib.num_agpr, 0
	.set _ZN12_GLOBAL__N_120softmax_warp_forwardIN3c104HalfES2_fLi2ELb0ELb1ELi64EEEvPT0_PKT_iiiPKbib.numbered_sgpr, 14
	.set _ZN12_GLOBAL__N_120softmax_warp_forwardIN3c104HalfES2_fLi2ELb0ELb1ELi64EEEvPT0_PKT_iiiPKbib.num_named_barrier, 0
	.set _ZN12_GLOBAL__N_120softmax_warp_forwardIN3c104HalfES2_fLi2ELb0ELb1ELi64EEEvPT0_PKT_iiiPKbib.private_seg_size, 0
	.set _ZN12_GLOBAL__N_120softmax_warp_forwardIN3c104HalfES2_fLi2ELb0ELb1ELi64EEEvPT0_PKT_iiiPKbib.uses_vcc, 1
	.set _ZN12_GLOBAL__N_120softmax_warp_forwardIN3c104HalfES2_fLi2ELb0ELb1ELi64EEEvPT0_PKT_iiiPKbib.uses_flat_scratch, 0
	.set _ZN12_GLOBAL__N_120softmax_warp_forwardIN3c104HalfES2_fLi2ELb0ELb1ELi64EEEvPT0_PKT_iiiPKbib.has_dyn_sized_stack, 0
	.set _ZN12_GLOBAL__N_120softmax_warp_forwardIN3c104HalfES2_fLi2ELb0ELb1ELi64EEEvPT0_PKT_iiiPKbib.has_recursion, 0
	.set _ZN12_GLOBAL__N_120softmax_warp_forwardIN3c104HalfES2_fLi2ELb0ELb1ELi64EEEvPT0_PKT_iiiPKbib.has_indirect_call, 0
	.section	.AMDGPU.csdata,"",@progbits
; Kernel info:
; codeLenInByte = 1648
; TotalNumSgprs: 16
; NumVgprs: 17
; ScratchSize: 0
; MemoryBound: 0
; FloatMode: 240
; IeeeMode: 1
; LDSByteSize: 0 bytes/workgroup (compile time only)
; SGPRBlocks: 0
; VGPRBlocks: 2
; NumSGPRsForWavesPerEU: 16
; NumVGPRsForWavesPerEU: 17
; Occupancy: 16
; WaveLimiterHint : 0
; COMPUTE_PGM_RSRC2:SCRATCH_EN: 0
; COMPUTE_PGM_RSRC2:USER_SGPR: 6
; COMPUTE_PGM_RSRC2:TRAP_HANDLER: 0
; COMPUTE_PGM_RSRC2:TGID_X_EN: 1
; COMPUTE_PGM_RSRC2:TGID_Y_EN: 0
; COMPUTE_PGM_RSRC2:TGID_Z_EN: 0
; COMPUTE_PGM_RSRC2:TIDIG_COMP_CNT: 1
	.section	.text._ZN12_GLOBAL__N_120softmax_warp_forwardIN3c104HalfES2_fLi2ELb0ELb1ELi32EEEvPT0_PKT_iiiPKbib,"axG",@progbits,_ZN12_GLOBAL__N_120softmax_warp_forwardIN3c104HalfES2_fLi2ELb0ELb1ELi32EEEvPT0_PKT_iiiPKbib,comdat
	.globl	_ZN12_GLOBAL__N_120softmax_warp_forwardIN3c104HalfES2_fLi2ELb0ELb1ELi32EEEvPT0_PKT_iiiPKbib ; -- Begin function _ZN12_GLOBAL__N_120softmax_warp_forwardIN3c104HalfES2_fLi2ELb0ELb1ELi32EEEvPT0_PKT_iiiPKbib
	.p2align	8
	.type	_ZN12_GLOBAL__N_120softmax_warp_forwardIN3c104HalfES2_fLi2ELb0ELb1ELi32EEEvPT0_PKT_iiiPKbib,@function
_ZN12_GLOBAL__N_120softmax_warp_forwardIN3c104HalfES2_fLi2ELb0ELb1ELi32EEEvPT0_PKT_iiiPKbib: ; @_ZN12_GLOBAL__N_120softmax_warp_forwardIN3c104HalfES2_fLi2ELb0ELb1ELi32EEEvPT0_PKT_iiiPKbib
; %bb.0:
	s_clause 0x2
	s_load_dwordx2 s[8:9], s[4:5], 0x28
	s_load_dword s10, s[4:5], 0x3c
	s_load_dwordx4 s[0:3], s[4:5], 0x10
	s_waitcnt lgkmcnt(0)
	s_bitcmp1_b32 s9, 0
	s_cselect_b32 s7, -1, 0
	s_lshr_b32 s3, s10, 16
	s_and_b32 s3, s3, 0xffff
	s_bitcmp0_b32 s9, 0
	s_mul_i32 s6, s6, s3
	v_add_lshl_u32 v5, s6, v1, 1
	v_mul_lo_u32 v6, v5, s1
	v_add_nc_u32_e32 v1, v6, v0
	v_ashrrev_i32_e32 v2, 31, v1
	v_mov_b32_e32 v4, v2
	v_mov_b32_e32 v3, v1
	s_cbranch_scc1 .LBB725_2
; %bb.1:
	s_abs_i32 s3, s8
	v_sub_nc_u32_e32 v7, 0, v6
	v_cvt_f32_u32_e32 v3, s3
	s_sub_i32 s6, 0, s3
	v_max_i32_e32 v7, v6, v7
	v_rcp_iflag_f32_e32 v3, v3
	v_xor_b32_e32 v6, s8, v6
	v_ashrrev_i32_e32 v6, 31, v6
	v_mul_f32_e32 v3, 0x4f7ffffe, v3
	v_cvt_u32_f32_e32 v3, v3
	v_mul_lo_u32 v4, s6, v3
	v_mul_hi_u32 v4, v3, v4
	v_add_nc_u32_e32 v3, v3, v4
	v_mul_hi_u32 v3, v7, v3
	v_mul_lo_u32 v4, v3, s3
	v_sub_nc_u32_e32 v4, v7, v4
	v_add_nc_u32_e32 v7, 1, v3
	v_subrev_nc_u32_e32 v8, s3, v4
	v_cmp_le_u32_e32 vcc_lo, s3, v4
	v_cndmask_b32_e32 v3, v3, v7, vcc_lo
	v_cndmask_b32_e32 v4, v4, v8, vcc_lo
	v_add_nc_u32_e32 v7, 1, v3
	v_cmp_le_u32_e32 vcc_lo, s3, v4
	v_cndmask_b32_e32 v3, v3, v7, vcc_lo
	v_xor_b32_e32 v3, v3, v6
	v_sub_nc_u32_e32 v3, v3, v6
	v_mad_u64_u32 v[3:4], null, v3, s1, v[0:1]
	v_ashrrev_i32_e32 v4, 31, v3
.LBB725_2:
	s_load_dwordx4 s[8:11], s[4:5], 0x0
	v_lshlrev_b64 v[1:2], 1, v[1:2]
	v_sub_nc_u32_e32 v11, s0, v5
	v_cmp_gt_i32_e64 s0, s2, v0
	v_mov_b32_e32 v6, 0xff800000
	v_mov_b32_e32 v5, 0xff800000
	v_cmp_lt_i32_e32 vcc_lo, 0, v11
	s_waitcnt lgkmcnt(0)
	v_add_co_u32 v7, s1, s10, v1
	v_add_co_ci_u32_e64 v8, null, s11, v2, s1
	s_and_b32 s10, s0, vcc_lo
	s_and_saveexec_b32 s1, s10
	s_cbranch_execz .LBB725_4
; %bb.3:
	global_load_ushort v0, v[7:8], off
	s_waitcnt vmcnt(0)
	v_cvt_f32_f16_e32 v5, v0
.LBB725_4:
	s_or_b32 exec_lo, exec_lo, s1
	v_cmp_lt_i32_e64 s1, 1, v11
	s_and_b32 s6, s0, s1
	s_and_saveexec_b32 s11, s6
	s_cbranch_execz .LBB725_6
; %bb.5:
	s_mov_b32 s3, 0
	s_lshl_b64 s[12:13], s[2:3], 1
	v_add_co_u32 v6, s1, v7, s12
	v_add_co_ci_u32_e64 v7, null, s13, v8, s1
	global_load_ushort v0, v[6:7], off
	s_waitcnt vmcnt(0)
	v_cvt_f32_f16_e32 v6, v0
.LBB725_6:
	s_or_b32 exec_lo, exec_lo, s11
	s_load_dwordx2 s[4:5], s[4:5], 0x20
	v_mov_b32_e32 v7, 0xff800000
	s_waitcnt lgkmcnt(0)
	v_add_co_u32 v3, s1, s4, v3
	v_add_co_ci_u32_e64 v4, null, s5, v4, s1
	s_and_saveexec_b32 s3, s10
	s_cbranch_execz .LBB725_8
; %bb.7:
	global_load_ubyte v0, v[3:4], off
	s_waitcnt vmcnt(0)
	v_and_b32_e32 v0, 1, v0
	v_cmp_eq_u32_e64 s1, 1, v0
	v_cndmask_b32_e64 v7, v5, 0xff800000, s1
.LBB725_8:
	s_or_b32 exec_lo, exec_lo, s3
	s_xor_b32 s3, s10, -1
	s_mov_b32 s5, 0
	s_and_saveexec_b32 s4, s6
	s_cbranch_execz .LBB725_12
; %bb.9:
	s_and_b32 s1, s7, exec_lo
	s_cselect_b32 s1, 0, s2
	s_cselect_b32 s5, 0, 0
	v_add_co_u32 v8, s1, v3, s1
	v_add_co_ci_u32_e64 v9, null, s5, v4, s1
	s_mov_b32 s5, 0
	global_load_ubyte v0, v[8:9], off
	s_waitcnt vmcnt(0)
	v_and_b32_e32 v0, 1, v0
	v_cmp_eq_u32_e64 s1, 1, v0
	s_xor_b32 s10, s1, -1
	s_and_saveexec_b32 s1, s10
; %bb.10:
	s_mov_b32 s5, exec_lo
; %bb.11:
	s_or_b32 exec_lo, exec_lo, s1
	s_and_b32 s5, s5, exec_lo
.LBB725_12:
	s_or_b32 exec_lo, exec_lo, s4
	v_mbcnt_lo_u32_b32 v8, -1, 0
	v_and_b32_e32 v0, 28, v8
	v_xor_b32_e32 v9, 2, v8
	v_xor_b32_e32 v12, 1, v8
	v_add_nc_u32_e32 v10, 4, v0
	v_cmp_lt_i32_e64 s1, v9, v10
	v_cndmask_b32_e64 v0, v8, v9, s1
	v_cndmask_b32_e64 v9, 0xff800000, v6, s5
	v_cmp_lt_i32_e64 s1, v12, v10
	v_lshlrev_b32_e32 v0, 2, v0
	v_cndmask_b32_e64 v8, v8, v12, s1
	ds_bpermute_b32 v13, v0, v7
	ds_bpermute_b32 v14, v0, v9
	v_lshlrev_b32_e32 v12, 2, v8
	s_waitcnt lgkmcnt(1)
	v_cmp_lt_f32_e64 s1, v7, v13
	v_cndmask_b32_e64 v15, v7, v13, s1
	s_waitcnt lgkmcnt(0)
	v_cmp_lt_f32_e64 s1, v9, v14
	ds_bpermute_b32 v16, v12, v15
	v_cndmask_b32_e64 v13, v9, v14, s1
                                        ; implicit-def: $vgpr9_vgpr10
	ds_bpermute_b32 v14, v12, v13
	s_and_saveexec_b32 s1, s3
	s_xor_b32 s1, exec_lo, s1
; %bb.13:
	v_mov_b32_e32 v5, 0
	v_mov_b32_e32 v10, v6
                                        ; implicit-def: $vgpr15
                                        ; implicit-def: $vgpr16
	v_mov_b32_e32 v9, v5
                                        ; implicit-def: $vgpr6
                                        ; implicit-def: $vgpr5
; %bb.14:
	s_or_saveexec_b32 s3, s1
	v_mov_b32_e32 v7, 0
	s_xor_b32 s4, s6, -1
	v_mov_b32_e32 v8, v7
	s_xor_b32 exec_lo, exec_lo, s3
	s_cbranch_execz .LBB725_20
; %bb.15:
	global_load_ubyte v8, v[3:4], off
	s_waitcnt vmcnt(0)
	v_and_b32_e32 v9, 1, v8
	v_mov_b32_e32 v8, v6
	v_cmp_eq_u32_e64 s1, 1, v9
	v_mov_b32_e32 v10, v8
	v_mov_b32_e32 v9, v7
	s_xor_b32 s1, s1, -1
	s_and_saveexec_b32 s5, s1
	s_xor_b32 s5, exec_lo, s5
	s_cbranch_execz .LBB725_17
; %bb.16:
	s_waitcnt lgkmcnt(1)
	v_cmp_lt_f32_e64 s1, v15, v16
	v_cndmask_b32_e64 v8, v15, v16, s1
	v_mov_b32_e32 v16, v7
	v_sub_f32_e32 v5, v5, v8
	v_mul_f32_e32 v8, 0x3fb8aa3b, v5
	v_cmp_ngt_f32_e64 s1, 0xc2ce8ed0, v5
	v_fma_f32 v9, 0x3fb8aa3b, v5, -v8
	v_rndne_f32_e32 v10, v8
	v_fmamk_f32 v9, v5, 0x32a5705f, v9
	v_sub_f32_e32 v8, v8, v10
	v_add_f32_e32 v8, v8, v9
	v_cvt_i32_f32_e32 v9, v10
	v_exp_f32_e32 v8, v8
	v_ldexp_f32 v8, v8, v9
	v_cndmask_b32_e64 v8, 0, v8, s1
	v_cmp_nlt_f32_e64 s1, 0x42b17218, v5
	v_cndmask_b32_e64 v5, 0x7f800000, v8, s1
	v_mov_b32_e32 v10, v6
	v_mov_b32_e32 v15, v5
	;; [unrolled: 1-line block ×5, first 2 shown]
.LBB725_17:
	s_andn2_saveexec_b32 s1, s5
; %bb.18:
	v_mov_b32_e32 v7, 0
	v_mov_b32_e32 v8, v7
; %bb.19:
	s_or_b32 exec_lo, exec_lo, s1
.LBB725_20:
	s_or_b32 exec_lo, exec_lo, s3
                                        ; implicit-def: $vgpr5_vgpr6
	s_and_saveexec_b32 s1, s4
	s_xor_b32 s1, exec_lo, s1
	s_cbranch_execz .LBB725_22
; %bb.21:
	v_mov_b32_e32 v10, 0
	v_mov_b32_e32 v5, v9
                                        ; implicit-def: $vgpr3
                                        ; implicit-def: $vgpr13
                                        ; implicit-def: $vgpr14
	v_mov_b32_e32 v6, v10
                                        ; implicit-def: $vgpr9_vgpr10
	s_andn2_saveexec_b32 s3, s1
	s_cbranch_execz .LBB725_26
	s_branch .LBB725_23
.LBB725_22:
	s_andn2_saveexec_b32 s3, s1
	s_cbranch_execz .LBB725_26
.LBB725_23:
	s_and_b32 s1, s7, exec_lo
	s_cselect_b32 s1, 0, s2
	s_cselect_b32 s4, 0, 0
	v_add_co_u32 v3, s1, v3, s1
	v_add_co_ci_u32_e64 v4, null, s4, v4, s1
	v_mov_b32_e32 v6, 0
	v_mov_b32_e32 v5, v9
	global_load_ubyte v3, v[3:4], off
	s_waitcnt vmcnt(0)
	v_and_b32_e32 v3, 1, v3
	v_cmp_eq_u32_e64 s1, 1, v3
	s_xor_b32 s1, s1, -1
	s_and_saveexec_b32 s4, s1
	s_xor_b32 s4, exec_lo, s4
	s_cbranch_execz .LBB725_25
; %bb.24:
	s_waitcnt lgkmcnt(0)
	v_cmp_lt_f32_e64 s1, v13, v14
	v_cndmask_b32_e64 v3, v13, v14, s1
	v_sub_f32_e32 v3, v10, v3
	v_mul_f32_e32 v4, 0x3fb8aa3b, v3
	v_cmp_ngt_f32_e64 s1, 0xc2ce8ed0, v3
	v_fma_f32 v5, 0x3fb8aa3b, v3, -v4
	v_rndne_f32_e32 v6, v4
	v_fmamk_f32 v5, v3, 0x32a5705f, v5
	v_sub_f32_e32 v4, v4, v6
	v_add_f32_e32 v4, v4, v5
	v_cvt_i32_f32_e32 v5, v6
	v_exp_f32_e32 v4, v4
	v_ldexp_f32 v4, v4, v5
	v_cndmask_b32_e64 v4, 0, v4, s1
	v_cmp_nlt_f32_e64 s1, 0x42b17218, v3
	v_cndmask_b32_e64 v10, 0x7f800000, v4, s1
	v_mov_b32_e32 v5, v9
	v_add_f32_e32 v8, v8, v10
	v_mov_b32_e32 v6, v10
.LBB725_25:
	s_andn2_saveexec_b32 s1, s4
	s_or_b32 exec_lo, exec_lo, s1
.LBB725_26:
	s_or_b32 exec_lo, exec_lo, s3
	ds_bpermute_b32 v3, v0, v7
	ds_bpermute_b32 v0, v0, v8
	s_waitcnt lgkmcnt(1)
	v_add_f32_e32 v7, v7, v3
	s_waitcnt lgkmcnt(0)
	v_add_f32_e32 v3, v8, v0
	ds_bpermute_b32 v8, v12, v7
	ds_bpermute_b32 v4, v12, v3
	s_and_saveexec_b32 s1, vcc_lo
	s_cbranch_execz .LBB725_37
; %bb.27:
	v_add_co_u32 v0, vcc_lo, s8, v1
	v_add_co_ci_u32_e64 v1, null, s9, v2, vcc_lo
	s_and_saveexec_b32 s1, s0
	s_cbranch_execz .LBB725_32
; %bb.28:
	s_waitcnt lgkmcnt(1)
	v_add_f32_e32 v2, v7, v8
	s_mov_b32 s3, exec_lo
	v_cmpx_neq_f32_e32 0, v2
	s_xor_b32 s3, exec_lo, s3
	s_cbranch_execz .LBB725_30
; %bb.29:
	v_div_scale_f32 v7, null, v2, v2, v5
	v_rcp_f32_e32 v8, v7
	v_fma_f32 v9, -v7, v8, 1.0
	v_fmac_f32_e32 v8, v9, v8
	v_div_scale_f32 v9, vcc_lo, v5, v2, v5
	v_mul_f32_e32 v10, v9, v8
	v_fma_f32 v12, -v7, v10, v9
	v_fmac_f32_e32 v10, v12, v8
	v_fma_f32 v7, -v7, v10, v9
	v_div_fmas_f32 v7, v7, v8, v10
	v_div_fixup_f32 v2, v7, v2, v5
	v_cvt_f16_f32_e32 v2, v2
	global_store_short v[0:1], v2, off
.LBB725_30:
	s_andn2_saveexec_b32 s3, s3
	s_cbranch_execz .LBB725_32
; %bb.31:
	v_mov_b32_e32 v2, 0x7e00
	global_store_short v[0:1], v2, off
.LBB725_32:
	s_or_b32 exec_lo, exec_lo, s1
	v_cmp_ne_u32_e32 vcc_lo, 1, v11
	s_and_b32 s0, vcc_lo, s0
	s_and_b32 exec_lo, exec_lo, s0
	s_cbranch_execz .LBB725_37
; %bb.33:
	s_mov_b32 s3, 0
	s_waitcnt lgkmcnt(0)
	v_add_f32_e32 v2, v3, v4
	s_lshl_b64 s[0:1], s[2:3], 1
	v_add_co_u32 v0, s0, v0, s0
	v_add_co_ci_u32_e64 v1, null, s1, v1, s0
	s_mov_b32 s0, exec_lo
	v_cmpx_neq_f32_e32 0, v2
	s_xor_b32 s0, exec_lo, s0
	s_cbranch_execz .LBB725_35
; %bb.34:
	v_div_scale_f32 v3, null, v2, v2, v6
	v_rcp_f32_e32 v4, v3
	v_fma_f32 v5, -v3, v4, 1.0
	v_fmac_f32_e32 v4, v5, v4
	v_div_scale_f32 v5, vcc_lo, v6, v2, v6
	v_mul_f32_e32 v7, v5, v4
	v_fma_f32 v8, -v3, v7, v5
	v_fmac_f32_e32 v7, v8, v4
	v_fma_f32 v3, -v3, v7, v5
	v_div_fmas_f32 v3, v3, v4, v7
	v_div_fixup_f32 v2, v3, v2, v6
	v_cvt_f16_f32_e32 v2, v2
	global_store_short v[0:1], v2, off
                                        ; implicit-def: $vgpr0_vgpr1
.LBB725_35:
	s_andn2_saveexec_b32 s0, s0
	s_cbranch_execz .LBB725_37
; %bb.36:
	v_mov_b32_e32 v2, 0x7e00
	global_store_short v[0:1], v2, off
.LBB725_37:
	s_endpgm
	.section	.rodata,"a",@progbits
	.p2align	6, 0x0
	.amdhsa_kernel _ZN12_GLOBAL__N_120softmax_warp_forwardIN3c104HalfES2_fLi2ELb0ELb1ELi32EEEvPT0_PKT_iiiPKbib
		.amdhsa_group_segment_fixed_size 0
		.amdhsa_private_segment_fixed_size 0
		.amdhsa_kernarg_size 304
		.amdhsa_user_sgpr_count 6
		.amdhsa_user_sgpr_private_segment_buffer 1
		.amdhsa_user_sgpr_dispatch_ptr 0
		.amdhsa_user_sgpr_queue_ptr 0
		.amdhsa_user_sgpr_kernarg_segment_ptr 1
		.amdhsa_user_sgpr_dispatch_id 0
		.amdhsa_user_sgpr_flat_scratch_init 0
		.amdhsa_user_sgpr_private_segment_size 0
		.amdhsa_wavefront_size32 1
		.amdhsa_uses_dynamic_stack 0
		.amdhsa_system_sgpr_private_segment_wavefront_offset 0
		.amdhsa_system_sgpr_workgroup_id_x 1
		.amdhsa_system_sgpr_workgroup_id_y 0
		.amdhsa_system_sgpr_workgroup_id_z 0
		.amdhsa_system_sgpr_workgroup_info 0
		.amdhsa_system_vgpr_workitem_id 1
		.amdhsa_next_free_vgpr 17
		.amdhsa_next_free_sgpr 14
		.amdhsa_reserve_vcc 1
		.amdhsa_reserve_flat_scratch 0
		.amdhsa_float_round_mode_32 0
		.amdhsa_float_round_mode_16_64 0
		.amdhsa_float_denorm_mode_32 3
		.amdhsa_float_denorm_mode_16_64 3
		.amdhsa_dx10_clamp 1
		.amdhsa_ieee_mode 1
		.amdhsa_fp16_overflow 0
		.amdhsa_workgroup_processor_mode 1
		.amdhsa_memory_ordered 1
		.amdhsa_forward_progress 1
		.amdhsa_shared_vgpr_count 0
		.amdhsa_exception_fp_ieee_invalid_op 0
		.amdhsa_exception_fp_denorm_src 0
		.amdhsa_exception_fp_ieee_div_zero 0
		.amdhsa_exception_fp_ieee_overflow 0
		.amdhsa_exception_fp_ieee_underflow 0
		.amdhsa_exception_fp_ieee_inexact 0
		.amdhsa_exception_int_div_zero 0
	.end_amdhsa_kernel
	.section	.text._ZN12_GLOBAL__N_120softmax_warp_forwardIN3c104HalfES2_fLi2ELb0ELb1ELi32EEEvPT0_PKT_iiiPKbib,"axG",@progbits,_ZN12_GLOBAL__N_120softmax_warp_forwardIN3c104HalfES2_fLi2ELb0ELb1ELi32EEEvPT0_PKT_iiiPKbib,comdat
.Lfunc_end725:
	.size	_ZN12_GLOBAL__N_120softmax_warp_forwardIN3c104HalfES2_fLi2ELb0ELb1ELi32EEEvPT0_PKT_iiiPKbib, .Lfunc_end725-_ZN12_GLOBAL__N_120softmax_warp_forwardIN3c104HalfES2_fLi2ELb0ELb1ELi32EEEvPT0_PKT_iiiPKbib
                                        ; -- End function
	.set _ZN12_GLOBAL__N_120softmax_warp_forwardIN3c104HalfES2_fLi2ELb0ELb1ELi32EEEvPT0_PKT_iiiPKbib.num_vgpr, 17
	.set _ZN12_GLOBAL__N_120softmax_warp_forwardIN3c104HalfES2_fLi2ELb0ELb1ELi32EEEvPT0_PKT_iiiPKbib.num_agpr, 0
	.set _ZN12_GLOBAL__N_120softmax_warp_forwardIN3c104HalfES2_fLi2ELb0ELb1ELi32EEEvPT0_PKT_iiiPKbib.numbered_sgpr, 14
	.set _ZN12_GLOBAL__N_120softmax_warp_forwardIN3c104HalfES2_fLi2ELb0ELb1ELi32EEEvPT0_PKT_iiiPKbib.num_named_barrier, 0
	.set _ZN12_GLOBAL__N_120softmax_warp_forwardIN3c104HalfES2_fLi2ELb0ELb1ELi32EEEvPT0_PKT_iiiPKbib.private_seg_size, 0
	.set _ZN12_GLOBAL__N_120softmax_warp_forwardIN3c104HalfES2_fLi2ELb0ELb1ELi32EEEvPT0_PKT_iiiPKbib.uses_vcc, 1
	.set _ZN12_GLOBAL__N_120softmax_warp_forwardIN3c104HalfES2_fLi2ELb0ELb1ELi32EEEvPT0_PKT_iiiPKbib.uses_flat_scratch, 0
	.set _ZN12_GLOBAL__N_120softmax_warp_forwardIN3c104HalfES2_fLi2ELb0ELb1ELi32EEEvPT0_PKT_iiiPKbib.has_dyn_sized_stack, 0
	.set _ZN12_GLOBAL__N_120softmax_warp_forwardIN3c104HalfES2_fLi2ELb0ELb1ELi32EEEvPT0_PKT_iiiPKbib.has_recursion, 0
	.set _ZN12_GLOBAL__N_120softmax_warp_forwardIN3c104HalfES2_fLi2ELb0ELb1ELi32EEEvPT0_PKT_iiiPKbib.has_indirect_call, 0
	.section	.AMDGPU.csdata,"",@progbits
; Kernel info:
; codeLenInByte = 1648
; TotalNumSgprs: 16
; NumVgprs: 17
; ScratchSize: 0
; MemoryBound: 0
; FloatMode: 240
; IeeeMode: 1
; LDSByteSize: 0 bytes/workgroup (compile time only)
; SGPRBlocks: 0
; VGPRBlocks: 2
; NumSGPRsForWavesPerEU: 16
; NumVGPRsForWavesPerEU: 17
; Occupancy: 16
; WaveLimiterHint : 0
; COMPUTE_PGM_RSRC2:SCRATCH_EN: 0
; COMPUTE_PGM_RSRC2:USER_SGPR: 6
; COMPUTE_PGM_RSRC2:TRAP_HANDLER: 0
; COMPUTE_PGM_RSRC2:TGID_X_EN: 1
; COMPUTE_PGM_RSRC2:TGID_Y_EN: 0
; COMPUTE_PGM_RSRC2:TGID_Z_EN: 0
; COMPUTE_PGM_RSRC2:TIDIG_COMP_CNT: 1
	.section	.text._ZN12_GLOBAL__N_120softmax_warp_forwardIN3c104HalfES2_fLi3ELb0ELb1ELi64EEEvPT0_PKT_iiiPKbib,"axG",@progbits,_ZN12_GLOBAL__N_120softmax_warp_forwardIN3c104HalfES2_fLi3ELb0ELb1ELi64EEEvPT0_PKT_iiiPKbib,comdat
	.globl	_ZN12_GLOBAL__N_120softmax_warp_forwardIN3c104HalfES2_fLi3ELb0ELb1ELi64EEEvPT0_PKT_iiiPKbib ; -- Begin function _ZN12_GLOBAL__N_120softmax_warp_forwardIN3c104HalfES2_fLi3ELb0ELb1ELi64EEEvPT0_PKT_iiiPKbib
	.p2align	8
	.type	_ZN12_GLOBAL__N_120softmax_warp_forwardIN3c104HalfES2_fLi3ELb0ELb1ELi64EEEvPT0_PKT_iiiPKbib,@function
_ZN12_GLOBAL__N_120softmax_warp_forwardIN3c104HalfES2_fLi3ELb0ELb1ELi64EEEvPT0_PKT_iiiPKbib: ; @_ZN12_GLOBAL__N_120softmax_warp_forwardIN3c104HalfES2_fLi3ELb0ELb1ELi64EEEvPT0_PKT_iiiPKbib
; %bb.0:
	s_clause 0x2
	s_load_dwordx2 s[8:9], s[4:5], 0x28
	s_load_dword s10, s[4:5], 0x3c
	s_load_dwordx4 s[0:3], s[4:5], 0x10
	s_waitcnt lgkmcnt(0)
	s_bitcmp1_b32 s9, 0
	s_cselect_b32 s7, -1, 0
	s_lshr_b32 s3, s10, 16
	s_and_b32 s3, s3, 0xffff
	s_bitcmp0_b32 s9, 0
	s_mul_i32 s6, s6, s3
	v_add_lshl_u32 v5, s6, v1, 1
	v_mul_lo_u32 v6, v5, s1
	v_add_nc_u32_e32 v1, v6, v0
	v_ashrrev_i32_e32 v2, 31, v1
	v_mov_b32_e32 v4, v2
	v_mov_b32_e32 v3, v1
	s_cbranch_scc1 .LBB726_2
; %bb.1:
	s_abs_i32 s3, s8
	v_sub_nc_u32_e32 v7, 0, v6
	v_cvt_f32_u32_e32 v3, s3
	s_sub_i32 s6, 0, s3
	v_max_i32_e32 v7, v6, v7
	v_rcp_iflag_f32_e32 v3, v3
	v_xor_b32_e32 v6, s8, v6
	v_ashrrev_i32_e32 v6, 31, v6
	v_mul_f32_e32 v3, 0x4f7ffffe, v3
	v_cvt_u32_f32_e32 v3, v3
	v_mul_lo_u32 v4, s6, v3
	v_mul_hi_u32 v4, v3, v4
	v_add_nc_u32_e32 v3, v3, v4
	v_mul_hi_u32 v3, v7, v3
	v_mul_lo_u32 v4, v3, s3
	v_sub_nc_u32_e32 v4, v7, v4
	v_add_nc_u32_e32 v7, 1, v3
	v_subrev_nc_u32_e32 v8, s3, v4
	v_cmp_le_u32_e32 vcc_lo, s3, v4
	v_cndmask_b32_e32 v3, v3, v7, vcc_lo
	v_cndmask_b32_e32 v4, v4, v8, vcc_lo
	v_add_nc_u32_e32 v7, 1, v3
	v_cmp_le_u32_e32 vcc_lo, s3, v4
	v_cndmask_b32_e32 v3, v3, v7, vcc_lo
	v_xor_b32_e32 v3, v3, v6
	v_sub_nc_u32_e32 v3, v3, v6
	v_mad_u64_u32 v[3:4], null, v3, s1, v[0:1]
	v_ashrrev_i32_e32 v4, 31, v3
.LBB726_2:
	s_load_dwordx4 s[8:11], s[4:5], 0x0
	v_lshlrev_b64 v[1:2], 1, v[1:2]
	v_sub_nc_u32_e32 v11, s0, v5
	v_cmp_gt_i32_e64 s0, s2, v0
	v_mov_b32_e32 v6, 0xff800000
	v_mov_b32_e32 v5, 0xff800000
	v_cmp_lt_i32_e32 vcc_lo, 0, v11
	s_waitcnt lgkmcnt(0)
	v_add_co_u32 v7, s1, s10, v1
	v_add_co_ci_u32_e64 v8, null, s11, v2, s1
	s_and_b32 s10, s0, vcc_lo
	s_and_saveexec_b32 s1, s10
	s_cbranch_execz .LBB726_4
; %bb.3:
	global_load_ushort v0, v[7:8], off
	s_waitcnt vmcnt(0)
	v_cvt_f32_f16_e32 v5, v0
.LBB726_4:
	s_or_b32 exec_lo, exec_lo, s1
	v_cmp_lt_i32_e64 s1, 1, v11
	s_and_b32 s6, s0, s1
	s_and_saveexec_b32 s11, s6
	s_cbranch_execz .LBB726_6
; %bb.5:
	s_mov_b32 s3, 0
	s_lshl_b64 s[12:13], s[2:3], 1
	v_add_co_u32 v6, s1, v7, s12
	v_add_co_ci_u32_e64 v7, null, s13, v8, s1
	global_load_ushort v0, v[6:7], off
	s_waitcnt vmcnt(0)
	v_cvt_f32_f16_e32 v6, v0
.LBB726_6:
	s_or_b32 exec_lo, exec_lo, s11
	s_load_dwordx2 s[4:5], s[4:5], 0x20
	v_mov_b32_e32 v7, 0xff800000
	s_waitcnt lgkmcnt(0)
	v_add_co_u32 v3, s1, s4, v3
	v_add_co_ci_u32_e64 v4, null, s5, v4, s1
	s_and_saveexec_b32 s3, s10
	s_cbranch_execz .LBB726_8
; %bb.7:
	global_load_ubyte v0, v[3:4], off
	s_waitcnt vmcnt(0)
	v_and_b32_e32 v0, 1, v0
	v_cmp_eq_u32_e64 s1, 1, v0
	v_cndmask_b32_e64 v7, v5, 0xff800000, s1
.LBB726_8:
	s_or_b32 exec_lo, exec_lo, s3
	s_xor_b32 s3, s10, -1
	s_mov_b32 s5, 0
	s_and_saveexec_b32 s4, s6
	s_cbranch_execz .LBB726_12
; %bb.9:
	s_and_b32 s1, s7, exec_lo
	s_cselect_b32 s1, 0, s2
	s_cselect_b32 s5, 0, 0
	v_add_co_u32 v8, s1, v3, s1
	v_add_co_ci_u32_e64 v9, null, s5, v4, s1
	s_mov_b32 s5, 0
	global_load_ubyte v0, v[8:9], off
	s_waitcnt vmcnt(0)
	v_and_b32_e32 v0, 1, v0
	v_cmp_eq_u32_e64 s1, 1, v0
	s_xor_b32 s10, s1, -1
	s_and_saveexec_b32 s1, s10
; %bb.10:
	s_mov_b32 s5, exec_lo
; %bb.11:
	s_or_b32 exec_lo, exec_lo, s1
	s_and_b32 s5, s5, exec_lo
.LBB726_12:
	s_or_b32 exec_lo, exec_lo, s4
	v_mbcnt_lo_u32_b32 v8, -1, 0
	v_and_b32_e32 v0, 24, v8
	v_xor_b32_e32 v9, 4, v8
	v_xor_b32_e32 v12, 2, v8
	v_add_nc_u32_e32 v10, 8, v0
	v_cmp_lt_i32_e64 s1, v9, v10
	v_cndmask_b32_e64 v0, v8, v9, s1
	v_cndmask_b32_e64 v9, 0xff800000, v6, s5
	v_cmp_lt_i32_e64 s1, v12, v10
	v_lshlrev_b32_e32 v0, 2, v0
	v_cndmask_b32_e64 v12, v8, v12, s1
	ds_bpermute_b32 v13, v0, v7
	ds_bpermute_b32 v14, v0, v9
	v_lshlrev_b32_e32 v12, 2, v12
	s_waitcnt lgkmcnt(1)
	v_cmp_lt_f32_e64 s1, v7, v13
	v_cndmask_b32_e64 v7, v7, v13, s1
	s_waitcnt lgkmcnt(0)
	v_cmp_lt_f32_e64 s1, v9, v14
	v_xor_b32_e32 v13, 1, v8
	v_cndmask_b32_e64 v9, v9, v14, s1
	ds_bpermute_b32 v14, v12, v7
	v_cmp_lt_i32_e64 s1, v13, v10
	ds_bpermute_b32 v15, v12, v9
	v_cndmask_b32_e64 v8, v8, v13, s1
	v_lshlrev_b32_e32 v13, 2, v8
	s_waitcnt lgkmcnt(1)
	v_cmp_lt_f32_e64 s1, v7, v14
	v_cndmask_b32_e64 v16, v7, v14, s1
	s_waitcnt lgkmcnt(0)
	v_cmp_lt_f32_e64 s1, v9, v15
	ds_bpermute_b32 v17, v13, v16
	v_cndmask_b32_e64 v14, v9, v15, s1
                                        ; implicit-def: $vgpr9_vgpr10
	ds_bpermute_b32 v15, v13, v14
	s_and_saveexec_b32 s1, s3
	s_xor_b32 s1, exec_lo, s1
; %bb.13:
	v_mov_b32_e32 v5, 0
	v_mov_b32_e32 v10, v6
                                        ; implicit-def: $vgpr16
                                        ; implicit-def: $vgpr17
	v_mov_b32_e32 v9, v5
                                        ; implicit-def: $vgpr6
                                        ; implicit-def: $vgpr5
; %bb.14:
	s_or_saveexec_b32 s3, s1
	v_mov_b32_e32 v7, 0
	s_xor_b32 s4, s6, -1
	v_mov_b32_e32 v8, v7
	s_xor_b32 exec_lo, exec_lo, s3
	s_cbranch_execz .LBB726_20
; %bb.15:
	global_load_ubyte v8, v[3:4], off
	s_waitcnt vmcnt(0)
	v_and_b32_e32 v9, 1, v8
	v_mov_b32_e32 v8, v6
	v_cmp_eq_u32_e64 s1, 1, v9
	v_mov_b32_e32 v10, v8
	v_mov_b32_e32 v9, v7
	s_xor_b32 s1, s1, -1
	s_and_saveexec_b32 s5, s1
	s_xor_b32 s5, exec_lo, s5
	s_cbranch_execz .LBB726_17
; %bb.16:
	s_waitcnt lgkmcnt(1)
	v_cmp_lt_f32_e64 s1, v16, v17
	v_cndmask_b32_e64 v8, v16, v17, s1
	v_mov_b32_e32 v17, v7
	v_sub_f32_e32 v5, v5, v8
	v_mul_f32_e32 v8, 0x3fb8aa3b, v5
	v_cmp_ngt_f32_e64 s1, 0xc2ce8ed0, v5
	v_fma_f32 v9, 0x3fb8aa3b, v5, -v8
	v_rndne_f32_e32 v10, v8
	v_fmamk_f32 v9, v5, 0x32a5705f, v9
	v_sub_f32_e32 v8, v8, v10
	v_add_f32_e32 v8, v8, v9
	v_cvt_i32_f32_e32 v9, v10
	v_exp_f32_e32 v8, v8
	v_ldexp_f32 v8, v8, v9
	v_cndmask_b32_e64 v8, 0, v8, s1
	v_cmp_nlt_f32_e64 s1, 0x42b17218, v5
	v_cndmask_b32_e64 v5, 0x7f800000, v8, s1
	v_mov_b32_e32 v10, v6
	v_mov_b32_e32 v16, v5
	;; [unrolled: 1-line block ×5, first 2 shown]
.LBB726_17:
	s_andn2_saveexec_b32 s1, s5
; %bb.18:
	v_mov_b32_e32 v7, 0
	v_mov_b32_e32 v8, v7
; %bb.19:
	s_or_b32 exec_lo, exec_lo, s1
.LBB726_20:
	s_or_b32 exec_lo, exec_lo, s3
                                        ; implicit-def: $vgpr5_vgpr6
	s_and_saveexec_b32 s1, s4
	s_xor_b32 s1, exec_lo, s1
	s_cbranch_execz .LBB726_22
; %bb.21:
	v_mov_b32_e32 v10, 0
	v_mov_b32_e32 v5, v9
                                        ; implicit-def: $vgpr3
                                        ; implicit-def: $vgpr14
                                        ; implicit-def: $vgpr15
	v_mov_b32_e32 v6, v10
                                        ; implicit-def: $vgpr9_vgpr10
	s_andn2_saveexec_b32 s3, s1
	s_cbranch_execz .LBB726_26
	s_branch .LBB726_23
.LBB726_22:
	s_andn2_saveexec_b32 s3, s1
	s_cbranch_execz .LBB726_26
.LBB726_23:
	s_and_b32 s1, s7, exec_lo
	s_cselect_b32 s1, 0, s2
	s_cselect_b32 s4, 0, 0
	v_add_co_u32 v3, s1, v3, s1
	v_add_co_ci_u32_e64 v4, null, s4, v4, s1
	v_mov_b32_e32 v6, 0
	v_mov_b32_e32 v5, v9
	global_load_ubyte v3, v[3:4], off
	s_waitcnt vmcnt(0)
	v_and_b32_e32 v3, 1, v3
	v_cmp_eq_u32_e64 s1, 1, v3
	s_xor_b32 s1, s1, -1
	s_and_saveexec_b32 s4, s1
	s_xor_b32 s4, exec_lo, s4
	s_cbranch_execz .LBB726_25
; %bb.24:
	s_waitcnt lgkmcnt(0)
	v_cmp_lt_f32_e64 s1, v14, v15
	v_cndmask_b32_e64 v3, v14, v15, s1
	v_sub_f32_e32 v3, v10, v3
	v_mul_f32_e32 v4, 0x3fb8aa3b, v3
	v_cmp_ngt_f32_e64 s1, 0xc2ce8ed0, v3
	v_fma_f32 v5, 0x3fb8aa3b, v3, -v4
	v_rndne_f32_e32 v6, v4
	v_fmamk_f32 v5, v3, 0x32a5705f, v5
	v_sub_f32_e32 v4, v4, v6
	v_add_f32_e32 v4, v4, v5
	v_cvt_i32_f32_e32 v5, v6
	v_exp_f32_e32 v4, v4
	v_ldexp_f32 v4, v4, v5
	v_cndmask_b32_e64 v4, 0, v4, s1
	v_cmp_nlt_f32_e64 s1, 0x42b17218, v3
	v_cndmask_b32_e64 v10, 0x7f800000, v4, s1
	v_mov_b32_e32 v5, v9
	v_add_f32_e32 v8, v8, v10
	v_mov_b32_e32 v6, v10
.LBB726_25:
	s_andn2_saveexec_b32 s1, s4
	s_or_b32 exec_lo, exec_lo, s1
.LBB726_26:
	s_or_b32 exec_lo, exec_lo, s3
	ds_bpermute_b32 v3, v0, v7
	ds_bpermute_b32 v0, v0, v8
	s_waitcnt lgkmcnt(1)
	v_add_f32_e32 v3, v7, v3
	s_waitcnt lgkmcnt(0)
	v_add_f32_e32 v0, v8, v0
	ds_bpermute_b32 v4, v12, v3
	ds_bpermute_b32 v8, v12, v0
	s_waitcnt lgkmcnt(1)
	v_add_f32_e32 v7, v3, v4
	s_waitcnt lgkmcnt(0)
	v_add_f32_e32 v3, v0, v8
	ds_bpermute_b32 v8, v13, v7
	ds_bpermute_b32 v4, v13, v3
	s_and_saveexec_b32 s1, vcc_lo
	s_cbranch_execz .LBB726_37
; %bb.27:
	v_add_co_u32 v0, vcc_lo, s8, v1
	v_add_co_ci_u32_e64 v1, null, s9, v2, vcc_lo
	s_and_saveexec_b32 s1, s0
	s_cbranch_execz .LBB726_32
; %bb.28:
	s_waitcnt lgkmcnt(1)
	v_add_f32_e32 v2, v7, v8
	s_mov_b32 s3, exec_lo
	v_cmpx_neq_f32_e32 0, v2
	s_xor_b32 s3, exec_lo, s3
	s_cbranch_execz .LBB726_30
; %bb.29:
	v_div_scale_f32 v7, null, v2, v2, v5
	v_rcp_f32_e32 v8, v7
	v_fma_f32 v9, -v7, v8, 1.0
	v_fmac_f32_e32 v8, v9, v8
	v_div_scale_f32 v9, vcc_lo, v5, v2, v5
	v_mul_f32_e32 v10, v9, v8
	v_fma_f32 v12, -v7, v10, v9
	v_fmac_f32_e32 v10, v12, v8
	v_fma_f32 v7, -v7, v10, v9
	v_div_fmas_f32 v7, v7, v8, v10
	v_div_fixup_f32 v2, v7, v2, v5
	v_cvt_f16_f32_e32 v2, v2
	global_store_short v[0:1], v2, off
.LBB726_30:
	s_andn2_saveexec_b32 s3, s3
	s_cbranch_execz .LBB726_32
; %bb.31:
	v_mov_b32_e32 v2, 0x7e00
	global_store_short v[0:1], v2, off
.LBB726_32:
	s_or_b32 exec_lo, exec_lo, s1
	v_cmp_ne_u32_e32 vcc_lo, 1, v11
	s_and_b32 s0, vcc_lo, s0
	s_and_b32 exec_lo, exec_lo, s0
	s_cbranch_execz .LBB726_37
; %bb.33:
	s_mov_b32 s3, 0
	s_waitcnt lgkmcnt(0)
	v_add_f32_e32 v2, v3, v4
	s_lshl_b64 s[0:1], s[2:3], 1
	v_add_co_u32 v0, s0, v0, s0
	v_add_co_ci_u32_e64 v1, null, s1, v1, s0
	s_mov_b32 s0, exec_lo
	v_cmpx_neq_f32_e32 0, v2
	s_xor_b32 s0, exec_lo, s0
	s_cbranch_execz .LBB726_35
; %bb.34:
	v_div_scale_f32 v3, null, v2, v2, v6
	v_rcp_f32_e32 v4, v3
	v_fma_f32 v5, -v3, v4, 1.0
	v_fmac_f32_e32 v4, v5, v4
	v_div_scale_f32 v5, vcc_lo, v6, v2, v6
	v_mul_f32_e32 v7, v5, v4
	v_fma_f32 v8, -v3, v7, v5
	v_fmac_f32_e32 v7, v8, v4
	v_fma_f32 v3, -v3, v7, v5
	v_div_fmas_f32 v3, v3, v4, v7
	v_div_fixup_f32 v2, v3, v2, v6
	v_cvt_f16_f32_e32 v2, v2
	global_store_short v[0:1], v2, off
                                        ; implicit-def: $vgpr0_vgpr1
.LBB726_35:
	s_andn2_saveexec_b32 s0, s0
	s_cbranch_execz .LBB726_37
; %bb.36:
	v_mov_b32_e32 v2, 0x7e00
	global_store_short v[0:1], v2, off
.LBB726_37:
	s_endpgm
	.section	.rodata,"a",@progbits
	.p2align	6, 0x0
	.amdhsa_kernel _ZN12_GLOBAL__N_120softmax_warp_forwardIN3c104HalfES2_fLi3ELb0ELb1ELi64EEEvPT0_PKT_iiiPKbib
		.amdhsa_group_segment_fixed_size 0
		.amdhsa_private_segment_fixed_size 0
		.amdhsa_kernarg_size 304
		.amdhsa_user_sgpr_count 6
		.amdhsa_user_sgpr_private_segment_buffer 1
		.amdhsa_user_sgpr_dispatch_ptr 0
		.amdhsa_user_sgpr_queue_ptr 0
		.amdhsa_user_sgpr_kernarg_segment_ptr 1
		.amdhsa_user_sgpr_dispatch_id 0
		.amdhsa_user_sgpr_flat_scratch_init 0
		.amdhsa_user_sgpr_private_segment_size 0
		.amdhsa_wavefront_size32 1
		.amdhsa_uses_dynamic_stack 0
		.amdhsa_system_sgpr_private_segment_wavefront_offset 0
		.amdhsa_system_sgpr_workgroup_id_x 1
		.amdhsa_system_sgpr_workgroup_id_y 0
		.amdhsa_system_sgpr_workgroup_id_z 0
		.amdhsa_system_sgpr_workgroup_info 0
		.amdhsa_system_vgpr_workitem_id 1
		.amdhsa_next_free_vgpr 18
		.amdhsa_next_free_sgpr 14
		.amdhsa_reserve_vcc 1
		.amdhsa_reserve_flat_scratch 0
		.amdhsa_float_round_mode_32 0
		.amdhsa_float_round_mode_16_64 0
		.amdhsa_float_denorm_mode_32 3
		.amdhsa_float_denorm_mode_16_64 3
		.amdhsa_dx10_clamp 1
		.amdhsa_ieee_mode 1
		.amdhsa_fp16_overflow 0
		.amdhsa_workgroup_processor_mode 1
		.amdhsa_memory_ordered 1
		.amdhsa_forward_progress 1
		.amdhsa_shared_vgpr_count 0
		.amdhsa_exception_fp_ieee_invalid_op 0
		.amdhsa_exception_fp_denorm_src 0
		.amdhsa_exception_fp_ieee_div_zero 0
		.amdhsa_exception_fp_ieee_overflow 0
		.amdhsa_exception_fp_ieee_underflow 0
		.amdhsa_exception_fp_ieee_inexact 0
		.amdhsa_exception_int_div_zero 0
	.end_amdhsa_kernel
	.section	.text._ZN12_GLOBAL__N_120softmax_warp_forwardIN3c104HalfES2_fLi3ELb0ELb1ELi64EEEvPT0_PKT_iiiPKbib,"axG",@progbits,_ZN12_GLOBAL__N_120softmax_warp_forwardIN3c104HalfES2_fLi3ELb0ELb1ELi64EEEvPT0_PKT_iiiPKbib,comdat
.Lfunc_end726:
	.size	_ZN12_GLOBAL__N_120softmax_warp_forwardIN3c104HalfES2_fLi3ELb0ELb1ELi64EEEvPT0_PKT_iiiPKbib, .Lfunc_end726-_ZN12_GLOBAL__N_120softmax_warp_forwardIN3c104HalfES2_fLi3ELb0ELb1ELi64EEEvPT0_PKT_iiiPKbib
                                        ; -- End function
	.set _ZN12_GLOBAL__N_120softmax_warp_forwardIN3c104HalfES2_fLi3ELb0ELb1ELi64EEEvPT0_PKT_iiiPKbib.num_vgpr, 18
	.set _ZN12_GLOBAL__N_120softmax_warp_forwardIN3c104HalfES2_fLi3ELb0ELb1ELi64EEEvPT0_PKT_iiiPKbib.num_agpr, 0
	.set _ZN12_GLOBAL__N_120softmax_warp_forwardIN3c104HalfES2_fLi3ELb0ELb1ELi64EEEvPT0_PKT_iiiPKbib.numbered_sgpr, 14
	.set _ZN12_GLOBAL__N_120softmax_warp_forwardIN3c104HalfES2_fLi3ELb0ELb1ELi64EEEvPT0_PKT_iiiPKbib.num_named_barrier, 0
	.set _ZN12_GLOBAL__N_120softmax_warp_forwardIN3c104HalfES2_fLi3ELb0ELb1ELi64EEEvPT0_PKT_iiiPKbib.private_seg_size, 0
	.set _ZN12_GLOBAL__N_120softmax_warp_forwardIN3c104HalfES2_fLi3ELb0ELb1ELi64EEEvPT0_PKT_iiiPKbib.uses_vcc, 1
	.set _ZN12_GLOBAL__N_120softmax_warp_forwardIN3c104HalfES2_fLi3ELb0ELb1ELi64EEEvPT0_PKT_iiiPKbib.uses_flat_scratch, 0
	.set _ZN12_GLOBAL__N_120softmax_warp_forwardIN3c104HalfES2_fLi3ELb0ELb1ELi64EEEvPT0_PKT_iiiPKbib.has_dyn_sized_stack, 0
	.set _ZN12_GLOBAL__N_120softmax_warp_forwardIN3c104HalfES2_fLi3ELb0ELb1ELi64EEEvPT0_PKT_iiiPKbib.has_recursion, 0
	.set _ZN12_GLOBAL__N_120softmax_warp_forwardIN3c104HalfES2_fLi3ELb0ELb1ELi64EEEvPT0_PKT_iiiPKbib.has_indirect_call, 0
	.section	.AMDGPU.csdata,"",@progbits
; Kernel info:
; codeLenInByte = 1760
; TotalNumSgprs: 16
; NumVgprs: 18
; ScratchSize: 0
; MemoryBound: 0
; FloatMode: 240
; IeeeMode: 1
; LDSByteSize: 0 bytes/workgroup (compile time only)
; SGPRBlocks: 0
; VGPRBlocks: 2
; NumSGPRsForWavesPerEU: 16
; NumVGPRsForWavesPerEU: 18
; Occupancy: 16
; WaveLimiterHint : 0
; COMPUTE_PGM_RSRC2:SCRATCH_EN: 0
; COMPUTE_PGM_RSRC2:USER_SGPR: 6
; COMPUTE_PGM_RSRC2:TRAP_HANDLER: 0
; COMPUTE_PGM_RSRC2:TGID_X_EN: 1
; COMPUTE_PGM_RSRC2:TGID_Y_EN: 0
; COMPUTE_PGM_RSRC2:TGID_Z_EN: 0
; COMPUTE_PGM_RSRC2:TIDIG_COMP_CNT: 1
	.section	.text._ZN12_GLOBAL__N_120softmax_warp_forwardIN3c104HalfES2_fLi3ELb0ELb1ELi32EEEvPT0_PKT_iiiPKbib,"axG",@progbits,_ZN12_GLOBAL__N_120softmax_warp_forwardIN3c104HalfES2_fLi3ELb0ELb1ELi32EEEvPT0_PKT_iiiPKbib,comdat
	.globl	_ZN12_GLOBAL__N_120softmax_warp_forwardIN3c104HalfES2_fLi3ELb0ELb1ELi32EEEvPT0_PKT_iiiPKbib ; -- Begin function _ZN12_GLOBAL__N_120softmax_warp_forwardIN3c104HalfES2_fLi3ELb0ELb1ELi32EEEvPT0_PKT_iiiPKbib
	.p2align	8
	.type	_ZN12_GLOBAL__N_120softmax_warp_forwardIN3c104HalfES2_fLi3ELb0ELb1ELi32EEEvPT0_PKT_iiiPKbib,@function
_ZN12_GLOBAL__N_120softmax_warp_forwardIN3c104HalfES2_fLi3ELb0ELb1ELi32EEEvPT0_PKT_iiiPKbib: ; @_ZN12_GLOBAL__N_120softmax_warp_forwardIN3c104HalfES2_fLi3ELb0ELb1ELi32EEEvPT0_PKT_iiiPKbib
; %bb.0:
	s_clause 0x2
	s_load_dwordx2 s[8:9], s[4:5], 0x28
	s_load_dword s10, s[4:5], 0x3c
	s_load_dwordx4 s[0:3], s[4:5], 0x10
	s_waitcnt lgkmcnt(0)
	s_bitcmp1_b32 s9, 0
	s_cselect_b32 s7, -1, 0
	s_lshr_b32 s3, s10, 16
	s_and_b32 s3, s3, 0xffff
	s_bitcmp0_b32 s9, 0
	s_mul_i32 s6, s6, s3
	v_add_lshl_u32 v5, s6, v1, 1
	v_mul_lo_u32 v6, v5, s1
	v_add_nc_u32_e32 v1, v6, v0
	v_ashrrev_i32_e32 v2, 31, v1
	v_mov_b32_e32 v4, v2
	v_mov_b32_e32 v3, v1
	s_cbranch_scc1 .LBB727_2
; %bb.1:
	s_abs_i32 s3, s8
	v_sub_nc_u32_e32 v7, 0, v6
	v_cvt_f32_u32_e32 v3, s3
	s_sub_i32 s6, 0, s3
	v_max_i32_e32 v7, v6, v7
	v_rcp_iflag_f32_e32 v3, v3
	v_xor_b32_e32 v6, s8, v6
	v_ashrrev_i32_e32 v6, 31, v6
	v_mul_f32_e32 v3, 0x4f7ffffe, v3
	v_cvt_u32_f32_e32 v3, v3
	v_mul_lo_u32 v4, s6, v3
	v_mul_hi_u32 v4, v3, v4
	v_add_nc_u32_e32 v3, v3, v4
	v_mul_hi_u32 v3, v7, v3
	v_mul_lo_u32 v4, v3, s3
	v_sub_nc_u32_e32 v4, v7, v4
	v_add_nc_u32_e32 v7, 1, v3
	v_subrev_nc_u32_e32 v8, s3, v4
	v_cmp_le_u32_e32 vcc_lo, s3, v4
	v_cndmask_b32_e32 v3, v3, v7, vcc_lo
	v_cndmask_b32_e32 v4, v4, v8, vcc_lo
	v_add_nc_u32_e32 v7, 1, v3
	v_cmp_le_u32_e32 vcc_lo, s3, v4
	v_cndmask_b32_e32 v3, v3, v7, vcc_lo
	v_xor_b32_e32 v3, v3, v6
	v_sub_nc_u32_e32 v3, v3, v6
	v_mad_u64_u32 v[3:4], null, v3, s1, v[0:1]
	v_ashrrev_i32_e32 v4, 31, v3
.LBB727_2:
	s_load_dwordx4 s[8:11], s[4:5], 0x0
	v_lshlrev_b64 v[1:2], 1, v[1:2]
	v_sub_nc_u32_e32 v11, s0, v5
	v_cmp_gt_i32_e64 s0, s2, v0
	v_mov_b32_e32 v6, 0xff800000
	v_mov_b32_e32 v5, 0xff800000
	v_cmp_lt_i32_e32 vcc_lo, 0, v11
	s_waitcnt lgkmcnt(0)
	v_add_co_u32 v7, s1, s10, v1
	v_add_co_ci_u32_e64 v8, null, s11, v2, s1
	s_and_b32 s10, s0, vcc_lo
	s_and_saveexec_b32 s1, s10
	s_cbranch_execz .LBB727_4
; %bb.3:
	global_load_ushort v0, v[7:8], off
	s_waitcnt vmcnt(0)
	v_cvt_f32_f16_e32 v5, v0
.LBB727_4:
	s_or_b32 exec_lo, exec_lo, s1
	v_cmp_lt_i32_e64 s1, 1, v11
	s_and_b32 s6, s0, s1
	s_and_saveexec_b32 s11, s6
	s_cbranch_execz .LBB727_6
; %bb.5:
	s_mov_b32 s3, 0
	s_lshl_b64 s[12:13], s[2:3], 1
	v_add_co_u32 v6, s1, v7, s12
	v_add_co_ci_u32_e64 v7, null, s13, v8, s1
	global_load_ushort v0, v[6:7], off
	s_waitcnt vmcnt(0)
	v_cvt_f32_f16_e32 v6, v0
.LBB727_6:
	s_or_b32 exec_lo, exec_lo, s11
	s_load_dwordx2 s[4:5], s[4:5], 0x20
	v_mov_b32_e32 v7, 0xff800000
	s_waitcnt lgkmcnt(0)
	v_add_co_u32 v3, s1, s4, v3
	v_add_co_ci_u32_e64 v4, null, s5, v4, s1
	s_and_saveexec_b32 s3, s10
	s_cbranch_execz .LBB727_8
; %bb.7:
	global_load_ubyte v0, v[3:4], off
	s_waitcnt vmcnt(0)
	v_and_b32_e32 v0, 1, v0
	v_cmp_eq_u32_e64 s1, 1, v0
	v_cndmask_b32_e64 v7, v5, 0xff800000, s1
.LBB727_8:
	s_or_b32 exec_lo, exec_lo, s3
	s_xor_b32 s3, s10, -1
	s_mov_b32 s5, 0
	s_and_saveexec_b32 s4, s6
	s_cbranch_execz .LBB727_12
; %bb.9:
	s_and_b32 s1, s7, exec_lo
	s_cselect_b32 s1, 0, s2
	s_cselect_b32 s5, 0, 0
	v_add_co_u32 v8, s1, v3, s1
	v_add_co_ci_u32_e64 v9, null, s5, v4, s1
	s_mov_b32 s5, 0
	global_load_ubyte v0, v[8:9], off
	s_waitcnt vmcnt(0)
	v_and_b32_e32 v0, 1, v0
	v_cmp_eq_u32_e64 s1, 1, v0
	s_xor_b32 s10, s1, -1
	s_and_saveexec_b32 s1, s10
; %bb.10:
	s_mov_b32 s5, exec_lo
; %bb.11:
	s_or_b32 exec_lo, exec_lo, s1
	s_and_b32 s5, s5, exec_lo
.LBB727_12:
	s_or_b32 exec_lo, exec_lo, s4
	v_mbcnt_lo_u32_b32 v8, -1, 0
	v_and_b32_e32 v0, 24, v8
	v_xor_b32_e32 v9, 4, v8
	v_xor_b32_e32 v12, 2, v8
	v_add_nc_u32_e32 v10, 8, v0
	v_cmp_lt_i32_e64 s1, v9, v10
	v_cndmask_b32_e64 v0, v8, v9, s1
	v_cndmask_b32_e64 v9, 0xff800000, v6, s5
	v_cmp_lt_i32_e64 s1, v12, v10
	v_lshlrev_b32_e32 v0, 2, v0
	v_cndmask_b32_e64 v12, v8, v12, s1
	ds_bpermute_b32 v13, v0, v7
	ds_bpermute_b32 v14, v0, v9
	v_lshlrev_b32_e32 v12, 2, v12
	s_waitcnt lgkmcnt(1)
	v_cmp_lt_f32_e64 s1, v7, v13
	v_cndmask_b32_e64 v7, v7, v13, s1
	s_waitcnt lgkmcnt(0)
	v_cmp_lt_f32_e64 s1, v9, v14
	v_xor_b32_e32 v13, 1, v8
	v_cndmask_b32_e64 v9, v9, v14, s1
	ds_bpermute_b32 v14, v12, v7
	v_cmp_lt_i32_e64 s1, v13, v10
	ds_bpermute_b32 v15, v12, v9
	v_cndmask_b32_e64 v8, v8, v13, s1
	v_lshlrev_b32_e32 v13, 2, v8
	s_waitcnt lgkmcnt(1)
	v_cmp_lt_f32_e64 s1, v7, v14
	v_cndmask_b32_e64 v16, v7, v14, s1
	s_waitcnt lgkmcnt(0)
	v_cmp_lt_f32_e64 s1, v9, v15
	ds_bpermute_b32 v17, v13, v16
	v_cndmask_b32_e64 v14, v9, v15, s1
                                        ; implicit-def: $vgpr9_vgpr10
	ds_bpermute_b32 v15, v13, v14
	s_and_saveexec_b32 s1, s3
	s_xor_b32 s1, exec_lo, s1
; %bb.13:
	v_mov_b32_e32 v5, 0
	v_mov_b32_e32 v10, v6
                                        ; implicit-def: $vgpr16
                                        ; implicit-def: $vgpr17
	v_mov_b32_e32 v9, v5
                                        ; implicit-def: $vgpr6
                                        ; implicit-def: $vgpr5
; %bb.14:
	s_or_saveexec_b32 s3, s1
	v_mov_b32_e32 v7, 0
	s_xor_b32 s4, s6, -1
	v_mov_b32_e32 v8, v7
	s_xor_b32 exec_lo, exec_lo, s3
	s_cbranch_execz .LBB727_20
; %bb.15:
	global_load_ubyte v8, v[3:4], off
	s_waitcnt vmcnt(0)
	v_and_b32_e32 v9, 1, v8
	v_mov_b32_e32 v8, v6
	v_cmp_eq_u32_e64 s1, 1, v9
	v_mov_b32_e32 v10, v8
	v_mov_b32_e32 v9, v7
	s_xor_b32 s1, s1, -1
	s_and_saveexec_b32 s5, s1
	s_xor_b32 s5, exec_lo, s5
	s_cbranch_execz .LBB727_17
; %bb.16:
	s_waitcnt lgkmcnt(1)
	v_cmp_lt_f32_e64 s1, v16, v17
	v_cndmask_b32_e64 v8, v16, v17, s1
	v_mov_b32_e32 v17, v7
	v_sub_f32_e32 v5, v5, v8
	v_mul_f32_e32 v8, 0x3fb8aa3b, v5
	v_cmp_ngt_f32_e64 s1, 0xc2ce8ed0, v5
	v_fma_f32 v9, 0x3fb8aa3b, v5, -v8
	v_rndne_f32_e32 v10, v8
	v_fmamk_f32 v9, v5, 0x32a5705f, v9
	v_sub_f32_e32 v8, v8, v10
	v_add_f32_e32 v8, v8, v9
	v_cvt_i32_f32_e32 v9, v10
	v_exp_f32_e32 v8, v8
	v_ldexp_f32 v8, v8, v9
	v_cndmask_b32_e64 v8, 0, v8, s1
	v_cmp_nlt_f32_e64 s1, 0x42b17218, v5
	v_cndmask_b32_e64 v5, 0x7f800000, v8, s1
	v_mov_b32_e32 v10, v6
	v_mov_b32_e32 v16, v5
	;; [unrolled: 1-line block ×5, first 2 shown]
.LBB727_17:
	s_andn2_saveexec_b32 s1, s5
; %bb.18:
	v_mov_b32_e32 v7, 0
	v_mov_b32_e32 v8, v7
; %bb.19:
	s_or_b32 exec_lo, exec_lo, s1
.LBB727_20:
	s_or_b32 exec_lo, exec_lo, s3
                                        ; implicit-def: $vgpr5_vgpr6
	s_and_saveexec_b32 s1, s4
	s_xor_b32 s1, exec_lo, s1
	s_cbranch_execz .LBB727_22
; %bb.21:
	v_mov_b32_e32 v10, 0
	v_mov_b32_e32 v5, v9
                                        ; implicit-def: $vgpr3
                                        ; implicit-def: $vgpr14
                                        ; implicit-def: $vgpr15
	v_mov_b32_e32 v6, v10
                                        ; implicit-def: $vgpr9_vgpr10
	s_andn2_saveexec_b32 s3, s1
	s_cbranch_execz .LBB727_26
	s_branch .LBB727_23
.LBB727_22:
	s_andn2_saveexec_b32 s3, s1
	s_cbranch_execz .LBB727_26
.LBB727_23:
	s_and_b32 s1, s7, exec_lo
	s_cselect_b32 s1, 0, s2
	s_cselect_b32 s4, 0, 0
	v_add_co_u32 v3, s1, v3, s1
	v_add_co_ci_u32_e64 v4, null, s4, v4, s1
	v_mov_b32_e32 v6, 0
	v_mov_b32_e32 v5, v9
	global_load_ubyte v3, v[3:4], off
	s_waitcnt vmcnt(0)
	v_and_b32_e32 v3, 1, v3
	v_cmp_eq_u32_e64 s1, 1, v3
	s_xor_b32 s1, s1, -1
	s_and_saveexec_b32 s4, s1
	s_xor_b32 s4, exec_lo, s4
	s_cbranch_execz .LBB727_25
; %bb.24:
	s_waitcnt lgkmcnt(0)
	v_cmp_lt_f32_e64 s1, v14, v15
	v_cndmask_b32_e64 v3, v14, v15, s1
	v_sub_f32_e32 v3, v10, v3
	v_mul_f32_e32 v4, 0x3fb8aa3b, v3
	v_cmp_ngt_f32_e64 s1, 0xc2ce8ed0, v3
	v_fma_f32 v5, 0x3fb8aa3b, v3, -v4
	v_rndne_f32_e32 v6, v4
	v_fmamk_f32 v5, v3, 0x32a5705f, v5
	v_sub_f32_e32 v4, v4, v6
	v_add_f32_e32 v4, v4, v5
	v_cvt_i32_f32_e32 v5, v6
	v_exp_f32_e32 v4, v4
	v_ldexp_f32 v4, v4, v5
	v_cndmask_b32_e64 v4, 0, v4, s1
	v_cmp_nlt_f32_e64 s1, 0x42b17218, v3
	v_cndmask_b32_e64 v10, 0x7f800000, v4, s1
	v_mov_b32_e32 v5, v9
	v_add_f32_e32 v8, v8, v10
	v_mov_b32_e32 v6, v10
.LBB727_25:
	s_andn2_saveexec_b32 s1, s4
	s_or_b32 exec_lo, exec_lo, s1
.LBB727_26:
	s_or_b32 exec_lo, exec_lo, s3
	ds_bpermute_b32 v3, v0, v7
	ds_bpermute_b32 v0, v0, v8
	s_waitcnt lgkmcnt(1)
	v_add_f32_e32 v3, v7, v3
	s_waitcnt lgkmcnt(0)
	v_add_f32_e32 v0, v8, v0
	ds_bpermute_b32 v4, v12, v3
	ds_bpermute_b32 v8, v12, v0
	s_waitcnt lgkmcnt(1)
	v_add_f32_e32 v7, v3, v4
	s_waitcnt lgkmcnt(0)
	v_add_f32_e32 v3, v0, v8
	ds_bpermute_b32 v8, v13, v7
	ds_bpermute_b32 v4, v13, v3
	s_and_saveexec_b32 s1, vcc_lo
	s_cbranch_execz .LBB727_37
; %bb.27:
	v_add_co_u32 v0, vcc_lo, s8, v1
	v_add_co_ci_u32_e64 v1, null, s9, v2, vcc_lo
	s_and_saveexec_b32 s1, s0
	s_cbranch_execz .LBB727_32
; %bb.28:
	s_waitcnt lgkmcnt(1)
	v_add_f32_e32 v2, v7, v8
	s_mov_b32 s3, exec_lo
	v_cmpx_neq_f32_e32 0, v2
	s_xor_b32 s3, exec_lo, s3
	s_cbranch_execz .LBB727_30
; %bb.29:
	v_div_scale_f32 v7, null, v2, v2, v5
	v_rcp_f32_e32 v8, v7
	v_fma_f32 v9, -v7, v8, 1.0
	v_fmac_f32_e32 v8, v9, v8
	v_div_scale_f32 v9, vcc_lo, v5, v2, v5
	v_mul_f32_e32 v10, v9, v8
	v_fma_f32 v12, -v7, v10, v9
	v_fmac_f32_e32 v10, v12, v8
	v_fma_f32 v7, -v7, v10, v9
	v_div_fmas_f32 v7, v7, v8, v10
	v_div_fixup_f32 v2, v7, v2, v5
	v_cvt_f16_f32_e32 v2, v2
	global_store_short v[0:1], v2, off
.LBB727_30:
	s_andn2_saveexec_b32 s3, s3
	s_cbranch_execz .LBB727_32
; %bb.31:
	v_mov_b32_e32 v2, 0x7e00
	global_store_short v[0:1], v2, off
.LBB727_32:
	s_or_b32 exec_lo, exec_lo, s1
	v_cmp_ne_u32_e32 vcc_lo, 1, v11
	s_and_b32 s0, vcc_lo, s0
	s_and_b32 exec_lo, exec_lo, s0
	s_cbranch_execz .LBB727_37
; %bb.33:
	s_mov_b32 s3, 0
	s_waitcnt lgkmcnt(0)
	v_add_f32_e32 v2, v3, v4
	s_lshl_b64 s[0:1], s[2:3], 1
	v_add_co_u32 v0, s0, v0, s0
	v_add_co_ci_u32_e64 v1, null, s1, v1, s0
	s_mov_b32 s0, exec_lo
	v_cmpx_neq_f32_e32 0, v2
	s_xor_b32 s0, exec_lo, s0
	s_cbranch_execz .LBB727_35
; %bb.34:
	v_div_scale_f32 v3, null, v2, v2, v6
	v_rcp_f32_e32 v4, v3
	v_fma_f32 v5, -v3, v4, 1.0
	v_fmac_f32_e32 v4, v5, v4
	v_div_scale_f32 v5, vcc_lo, v6, v2, v6
	v_mul_f32_e32 v7, v5, v4
	v_fma_f32 v8, -v3, v7, v5
	v_fmac_f32_e32 v7, v8, v4
	v_fma_f32 v3, -v3, v7, v5
	v_div_fmas_f32 v3, v3, v4, v7
	v_div_fixup_f32 v2, v3, v2, v6
	v_cvt_f16_f32_e32 v2, v2
	global_store_short v[0:1], v2, off
                                        ; implicit-def: $vgpr0_vgpr1
.LBB727_35:
	s_andn2_saveexec_b32 s0, s0
	s_cbranch_execz .LBB727_37
; %bb.36:
	v_mov_b32_e32 v2, 0x7e00
	global_store_short v[0:1], v2, off
.LBB727_37:
	s_endpgm
	.section	.rodata,"a",@progbits
	.p2align	6, 0x0
	.amdhsa_kernel _ZN12_GLOBAL__N_120softmax_warp_forwardIN3c104HalfES2_fLi3ELb0ELb1ELi32EEEvPT0_PKT_iiiPKbib
		.amdhsa_group_segment_fixed_size 0
		.amdhsa_private_segment_fixed_size 0
		.amdhsa_kernarg_size 304
		.amdhsa_user_sgpr_count 6
		.amdhsa_user_sgpr_private_segment_buffer 1
		.amdhsa_user_sgpr_dispatch_ptr 0
		.amdhsa_user_sgpr_queue_ptr 0
		.amdhsa_user_sgpr_kernarg_segment_ptr 1
		.amdhsa_user_sgpr_dispatch_id 0
		.amdhsa_user_sgpr_flat_scratch_init 0
		.amdhsa_user_sgpr_private_segment_size 0
		.amdhsa_wavefront_size32 1
		.amdhsa_uses_dynamic_stack 0
		.amdhsa_system_sgpr_private_segment_wavefront_offset 0
		.amdhsa_system_sgpr_workgroup_id_x 1
		.amdhsa_system_sgpr_workgroup_id_y 0
		.amdhsa_system_sgpr_workgroup_id_z 0
		.amdhsa_system_sgpr_workgroup_info 0
		.amdhsa_system_vgpr_workitem_id 1
		.amdhsa_next_free_vgpr 18
		.amdhsa_next_free_sgpr 14
		.amdhsa_reserve_vcc 1
		.amdhsa_reserve_flat_scratch 0
		.amdhsa_float_round_mode_32 0
		.amdhsa_float_round_mode_16_64 0
		.amdhsa_float_denorm_mode_32 3
		.amdhsa_float_denorm_mode_16_64 3
		.amdhsa_dx10_clamp 1
		.amdhsa_ieee_mode 1
		.amdhsa_fp16_overflow 0
		.amdhsa_workgroup_processor_mode 1
		.amdhsa_memory_ordered 1
		.amdhsa_forward_progress 1
		.amdhsa_shared_vgpr_count 0
		.amdhsa_exception_fp_ieee_invalid_op 0
		.amdhsa_exception_fp_denorm_src 0
		.amdhsa_exception_fp_ieee_div_zero 0
		.amdhsa_exception_fp_ieee_overflow 0
		.amdhsa_exception_fp_ieee_underflow 0
		.amdhsa_exception_fp_ieee_inexact 0
		.amdhsa_exception_int_div_zero 0
	.end_amdhsa_kernel
	.section	.text._ZN12_GLOBAL__N_120softmax_warp_forwardIN3c104HalfES2_fLi3ELb0ELb1ELi32EEEvPT0_PKT_iiiPKbib,"axG",@progbits,_ZN12_GLOBAL__N_120softmax_warp_forwardIN3c104HalfES2_fLi3ELb0ELb1ELi32EEEvPT0_PKT_iiiPKbib,comdat
.Lfunc_end727:
	.size	_ZN12_GLOBAL__N_120softmax_warp_forwardIN3c104HalfES2_fLi3ELb0ELb1ELi32EEEvPT0_PKT_iiiPKbib, .Lfunc_end727-_ZN12_GLOBAL__N_120softmax_warp_forwardIN3c104HalfES2_fLi3ELb0ELb1ELi32EEEvPT0_PKT_iiiPKbib
                                        ; -- End function
	.set _ZN12_GLOBAL__N_120softmax_warp_forwardIN3c104HalfES2_fLi3ELb0ELb1ELi32EEEvPT0_PKT_iiiPKbib.num_vgpr, 18
	.set _ZN12_GLOBAL__N_120softmax_warp_forwardIN3c104HalfES2_fLi3ELb0ELb1ELi32EEEvPT0_PKT_iiiPKbib.num_agpr, 0
	.set _ZN12_GLOBAL__N_120softmax_warp_forwardIN3c104HalfES2_fLi3ELb0ELb1ELi32EEEvPT0_PKT_iiiPKbib.numbered_sgpr, 14
	.set _ZN12_GLOBAL__N_120softmax_warp_forwardIN3c104HalfES2_fLi3ELb0ELb1ELi32EEEvPT0_PKT_iiiPKbib.num_named_barrier, 0
	.set _ZN12_GLOBAL__N_120softmax_warp_forwardIN3c104HalfES2_fLi3ELb0ELb1ELi32EEEvPT0_PKT_iiiPKbib.private_seg_size, 0
	.set _ZN12_GLOBAL__N_120softmax_warp_forwardIN3c104HalfES2_fLi3ELb0ELb1ELi32EEEvPT0_PKT_iiiPKbib.uses_vcc, 1
	.set _ZN12_GLOBAL__N_120softmax_warp_forwardIN3c104HalfES2_fLi3ELb0ELb1ELi32EEEvPT0_PKT_iiiPKbib.uses_flat_scratch, 0
	.set _ZN12_GLOBAL__N_120softmax_warp_forwardIN3c104HalfES2_fLi3ELb0ELb1ELi32EEEvPT0_PKT_iiiPKbib.has_dyn_sized_stack, 0
	.set _ZN12_GLOBAL__N_120softmax_warp_forwardIN3c104HalfES2_fLi3ELb0ELb1ELi32EEEvPT0_PKT_iiiPKbib.has_recursion, 0
	.set _ZN12_GLOBAL__N_120softmax_warp_forwardIN3c104HalfES2_fLi3ELb0ELb1ELi32EEEvPT0_PKT_iiiPKbib.has_indirect_call, 0
	.section	.AMDGPU.csdata,"",@progbits
; Kernel info:
; codeLenInByte = 1760
; TotalNumSgprs: 16
; NumVgprs: 18
; ScratchSize: 0
; MemoryBound: 0
; FloatMode: 240
; IeeeMode: 1
; LDSByteSize: 0 bytes/workgroup (compile time only)
; SGPRBlocks: 0
; VGPRBlocks: 2
; NumSGPRsForWavesPerEU: 16
; NumVGPRsForWavesPerEU: 18
; Occupancy: 16
; WaveLimiterHint : 0
; COMPUTE_PGM_RSRC2:SCRATCH_EN: 0
; COMPUTE_PGM_RSRC2:USER_SGPR: 6
; COMPUTE_PGM_RSRC2:TRAP_HANDLER: 0
; COMPUTE_PGM_RSRC2:TGID_X_EN: 1
; COMPUTE_PGM_RSRC2:TGID_Y_EN: 0
; COMPUTE_PGM_RSRC2:TGID_Z_EN: 0
; COMPUTE_PGM_RSRC2:TIDIG_COMP_CNT: 1
	.section	.text._ZN12_GLOBAL__N_120softmax_warp_forwardIN3c104HalfES2_fLi4ELb0ELb1ELi64EEEvPT0_PKT_iiiPKbib,"axG",@progbits,_ZN12_GLOBAL__N_120softmax_warp_forwardIN3c104HalfES2_fLi4ELb0ELb1ELi64EEEvPT0_PKT_iiiPKbib,comdat
	.globl	_ZN12_GLOBAL__N_120softmax_warp_forwardIN3c104HalfES2_fLi4ELb0ELb1ELi64EEEvPT0_PKT_iiiPKbib ; -- Begin function _ZN12_GLOBAL__N_120softmax_warp_forwardIN3c104HalfES2_fLi4ELb0ELb1ELi64EEEvPT0_PKT_iiiPKbib
	.p2align	8
	.type	_ZN12_GLOBAL__N_120softmax_warp_forwardIN3c104HalfES2_fLi4ELb0ELb1ELi64EEEvPT0_PKT_iiiPKbib,@function
_ZN12_GLOBAL__N_120softmax_warp_forwardIN3c104HalfES2_fLi4ELb0ELb1ELi64EEEvPT0_PKT_iiiPKbib: ; @_ZN12_GLOBAL__N_120softmax_warp_forwardIN3c104HalfES2_fLi4ELb0ELb1ELi64EEEvPT0_PKT_iiiPKbib
; %bb.0:
	s_clause 0x2
	s_load_dwordx2 s[8:9], s[4:5], 0x28
	s_load_dword s10, s[4:5], 0x3c
	s_load_dwordx4 s[0:3], s[4:5], 0x10
	s_waitcnt lgkmcnt(0)
	s_bitcmp1_b32 s9, 0
	s_cselect_b32 s7, -1, 0
	s_lshr_b32 s3, s10, 16
	s_and_b32 s3, s3, 0xffff
	s_bitcmp0_b32 s9, 0
	s_mul_i32 s6, s6, s3
	v_add_lshl_u32 v5, s6, v1, 1
	v_mul_lo_u32 v6, v5, s1
	v_add_nc_u32_e32 v1, v6, v0
	v_ashrrev_i32_e32 v2, 31, v1
	v_mov_b32_e32 v4, v2
	v_mov_b32_e32 v3, v1
	s_cbranch_scc1 .LBB728_2
; %bb.1:
	s_abs_i32 s3, s8
	v_sub_nc_u32_e32 v7, 0, v6
	v_cvt_f32_u32_e32 v3, s3
	s_sub_i32 s6, 0, s3
	v_max_i32_e32 v7, v6, v7
	v_rcp_iflag_f32_e32 v3, v3
	v_xor_b32_e32 v6, s8, v6
	v_ashrrev_i32_e32 v6, 31, v6
	v_mul_f32_e32 v3, 0x4f7ffffe, v3
	v_cvt_u32_f32_e32 v3, v3
	v_mul_lo_u32 v4, s6, v3
	v_mul_hi_u32 v4, v3, v4
	v_add_nc_u32_e32 v3, v3, v4
	v_mul_hi_u32 v3, v7, v3
	v_mul_lo_u32 v4, v3, s3
	v_sub_nc_u32_e32 v4, v7, v4
	v_add_nc_u32_e32 v7, 1, v3
	v_subrev_nc_u32_e32 v8, s3, v4
	v_cmp_le_u32_e32 vcc_lo, s3, v4
	v_cndmask_b32_e32 v3, v3, v7, vcc_lo
	v_cndmask_b32_e32 v4, v4, v8, vcc_lo
	v_add_nc_u32_e32 v7, 1, v3
	v_cmp_le_u32_e32 vcc_lo, s3, v4
	v_cndmask_b32_e32 v3, v3, v7, vcc_lo
	v_xor_b32_e32 v3, v3, v6
	v_sub_nc_u32_e32 v3, v3, v6
	v_mad_u64_u32 v[3:4], null, v3, s1, v[0:1]
	v_ashrrev_i32_e32 v4, 31, v3
.LBB728_2:
	s_load_dwordx4 s[8:11], s[4:5], 0x0
	v_lshlrev_b64 v[1:2], 1, v[1:2]
	v_sub_nc_u32_e32 v11, s0, v5
	v_cmp_gt_i32_e64 s0, s2, v0
	v_mov_b32_e32 v6, 0xff800000
	v_mov_b32_e32 v5, 0xff800000
	v_cmp_lt_i32_e32 vcc_lo, 0, v11
	s_waitcnt lgkmcnt(0)
	v_add_co_u32 v7, s1, s10, v1
	v_add_co_ci_u32_e64 v8, null, s11, v2, s1
	s_and_b32 s10, s0, vcc_lo
	s_and_saveexec_b32 s1, s10
	s_cbranch_execz .LBB728_4
; %bb.3:
	global_load_ushort v0, v[7:8], off
	s_waitcnt vmcnt(0)
	v_cvt_f32_f16_e32 v5, v0
.LBB728_4:
	s_or_b32 exec_lo, exec_lo, s1
	v_cmp_lt_i32_e64 s1, 1, v11
	s_and_b32 s6, s0, s1
	s_and_saveexec_b32 s11, s6
	s_cbranch_execz .LBB728_6
; %bb.5:
	s_mov_b32 s3, 0
	s_lshl_b64 s[12:13], s[2:3], 1
	v_add_co_u32 v6, s1, v7, s12
	v_add_co_ci_u32_e64 v7, null, s13, v8, s1
	global_load_ushort v0, v[6:7], off
	s_waitcnt vmcnt(0)
	v_cvt_f32_f16_e32 v6, v0
.LBB728_6:
	s_or_b32 exec_lo, exec_lo, s11
	s_load_dwordx2 s[4:5], s[4:5], 0x20
	v_mov_b32_e32 v7, 0xff800000
	s_waitcnt lgkmcnt(0)
	v_add_co_u32 v3, s1, s4, v3
	v_add_co_ci_u32_e64 v4, null, s5, v4, s1
	s_and_saveexec_b32 s3, s10
	s_cbranch_execz .LBB728_8
; %bb.7:
	global_load_ubyte v0, v[3:4], off
	s_waitcnt vmcnt(0)
	v_and_b32_e32 v0, 1, v0
	v_cmp_eq_u32_e64 s1, 1, v0
	v_cndmask_b32_e64 v7, v5, 0xff800000, s1
.LBB728_8:
	s_or_b32 exec_lo, exec_lo, s3
	s_xor_b32 s3, s10, -1
	s_mov_b32 s5, 0
	s_and_saveexec_b32 s4, s6
	s_cbranch_execz .LBB728_12
; %bb.9:
	s_and_b32 s1, s7, exec_lo
	s_cselect_b32 s1, 0, s2
	s_cselect_b32 s5, 0, 0
	v_add_co_u32 v8, s1, v3, s1
	v_add_co_ci_u32_e64 v9, null, s5, v4, s1
	s_mov_b32 s5, 0
	global_load_ubyte v0, v[8:9], off
	s_waitcnt vmcnt(0)
	v_and_b32_e32 v0, 1, v0
	v_cmp_eq_u32_e64 s1, 1, v0
	s_xor_b32 s10, s1, -1
	s_and_saveexec_b32 s1, s10
; %bb.10:
	s_mov_b32 s5, exec_lo
; %bb.11:
	s_or_b32 exec_lo, exec_lo, s1
	s_and_b32 s5, s5, exec_lo
.LBB728_12:
	s_or_b32 exec_lo, exec_lo, s4
	v_mbcnt_lo_u32_b32 v8, -1, 0
	v_and_b32_e32 v0, 16, v8
	v_xor_b32_e32 v9, 8, v8
	v_xor_b32_e32 v12, 4, v8
	v_add_nc_u32_e32 v10, 16, v0
	v_cmp_lt_i32_e64 s1, v9, v10
	v_cndmask_b32_e64 v0, v8, v9, s1
	v_cndmask_b32_e64 v9, 0xff800000, v6, s5
	v_cmp_lt_i32_e64 s1, v12, v10
	v_lshlrev_b32_e32 v0, 2, v0
	v_cndmask_b32_e64 v12, v8, v12, s1
	ds_bpermute_b32 v13, v0, v7
	ds_bpermute_b32 v14, v0, v9
	v_lshlrev_b32_e32 v12, 2, v12
	s_waitcnt lgkmcnt(1)
	v_cmp_lt_f32_e64 s1, v7, v13
	v_cndmask_b32_e64 v7, v7, v13, s1
	s_waitcnt lgkmcnt(0)
	v_cmp_lt_f32_e64 s1, v9, v14
	v_xor_b32_e32 v13, 2, v8
	v_cndmask_b32_e64 v9, v9, v14, s1
	ds_bpermute_b32 v14, v12, v7
	v_cmp_lt_i32_e64 s1, v13, v10
	ds_bpermute_b32 v15, v12, v9
	v_cndmask_b32_e64 v13, v8, v13, s1
	v_lshlrev_b32_e32 v13, 2, v13
	s_waitcnt lgkmcnt(1)
	v_cmp_lt_f32_e64 s1, v7, v14
	v_cndmask_b32_e64 v7, v7, v14, s1
	s_waitcnt lgkmcnt(0)
	v_cmp_lt_f32_e64 s1, v9, v15
	v_xor_b32_e32 v14, 1, v8
	v_cndmask_b32_e64 v9, v9, v15, s1
	ds_bpermute_b32 v15, v13, v7
	v_cmp_lt_i32_e64 s1, v14, v10
	ds_bpermute_b32 v16, v13, v9
	v_cndmask_b32_e64 v8, v8, v14, s1
	v_lshlrev_b32_e32 v14, 2, v8
	s_waitcnt lgkmcnt(1)
	v_cmp_lt_f32_e64 s1, v7, v15
	v_cndmask_b32_e64 v17, v7, v15, s1
	s_waitcnt lgkmcnt(0)
	v_cmp_lt_f32_e64 s1, v9, v16
	ds_bpermute_b32 v18, v14, v17
	v_cndmask_b32_e64 v15, v9, v16, s1
                                        ; implicit-def: $vgpr9_vgpr10
	ds_bpermute_b32 v16, v14, v15
	s_and_saveexec_b32 s1, s3
	s_xor_b32 s1, exec_lo, s1
; %bb.13:
	v_mov_b32_e32 v5, 0
	v_mov_b32_e32 v10, v6
                                        ; implicit-def: $vgpr17
                                        ; implicit-def: $vgpr18
	v_mov_b32_e32 v9, v5
                                        ; implicit-def: $vgpr6
                                        ; implicit-def: $vgpr5
; %bb.14:
	s_or_saveexec_b32 s3, s1
	v_mov_b32_e32 v7, 0
	s_xor_b32 s4, s6, -1
	v_mov_b32_e32 v8, v7
	s_xor_b32 exec_lo, exec_lo, s3
	s_cbranch_execz .LBB728_20
; %bb.15:
	global_load_ubyte v8, v[3:4], off
	s_waitcnt vmcnt(0)
	v_and_b32_e32 v9, 1, v8
	v_mov_b32_e32 v8, v6
	v_cmp_eq_u32_e64 s1, 1, v9
	v_mov_b32_e32 v10, v8
	v_mov_b32_e32 v9, v7
	s_xor_b32 s1, s1, -1
	s_and_saveexec_b32 s5, s1
	s_xor_b32 s5, exec_lo, s5
	s_cbranch_execz .LBB728_17
; %bb.16:
	s_waitcnt lgkmcnt(1)
	v_cmp_lt_f32_e64 s1, v17, v18
	v_cndmask_b32_e64 v8, v17, v18, s1
	v_mov_b32_e32 v18, v7
	v_sub_f32_e32 v5, v5, v8
	v_mul_f32_e32 v8, 0x3fb8aa3b, v5
	v_cmp_ngt_f32_e64 s1, 0xc2ce8ed0, v5
	v_fma_f32 v9, 0x3fb8aa3b, v5, -v8
	v_rndne_f32_e32 v10, v8
	v_fmamk_f32 v9, v5, 0x32a5705f, v9
	v_sub_f32_e32 v8, v8, v10
	v_add_f32_e32 v8, v8, v9
	v_cvt_i32_f32_e32 v9, v10
	v_exp_f32_e32 v8, v8
	v_ldexp_f32 v8, v8, v9
	v_cndmask_b32_e64 v8, 0, v8, s1
	v_cmp_nlt_f32_e64 s1, 0x42b17218, v5
	v_cndmask_b32_e64 v5, 0x7f800000, v8, s1
	v_mov_b32_e32 v10, v6
	v_mov_b32_e32 v17, v5
	;; [unrolled: 1-line block ×5, first 2 shown]
.LBB728_17:
	s_andn2_saveexec_b32 s1, s5
; %bb.18:
	v_mov_b32_e32 v7, 0
	v_mov_b32_e32 v8, v7
; %bb.19:
	s_or_b32 exec_lo, exec_lo, s1
.LBB728_20:
	s_or_b32 exec_lo, exec_lo, s3
                                        ; implicit-def: $vgpr5_vgpr6
	s_and_saveexec_b32 s1, s4
	s_xor_b32 s1, exec_lo, s1
	s_cbranch_execz .LBB728_22
; %bb.21:
	v_mov_b32_e32 v10, 0
	v_mov_b32_e32 v5, v9
                                        ; implicit-def: $vgpr3
                                        ; implicit-def: $vgpr15
                                        ; implicit-def: $vgpr16
	v_mov_b32_e32 v6, v10
                                        ; implicit-def: $vgpr9_vgpr10
	s_andn2_saveexec_b32 s3, s1
	s_cbranch_execz .LBB728_26
	s_branch .LBB728_23
.LBB728_22:
	s_andn2_saveexec_b32 s3, s1
	s_cbranch_execz .LBB728_26
.LBB728_23:
	s_and_b32 s1, s7, exec_lo
	s_cselect_b32 s1, 0, s2
	s_cselect_b32 s4, 0, 0
	v_add_co_u32 v3, s1, v3, s1
	v_add_co_ci_u32_e64 v4, null, s4, v4, s1
	v_mov_b32_e32 v6, 0
	v_mov_b32_e32 v5, v9
	global_load_ubyte v3, v[3:4], off
	s_waitcnt vmcnt(0)
	v_and_b32_e32 v3, 1, v3
	v_cmp_eq_u32_e64 s1, 1, v3
	s_xor_b32 s1, s1, -1
	s_and_saveexec_b32 s4, s1
	s_xor_b32 s4, exec_lo, s4
	s_cbranch_execz .LBB728_25
; %bb.24:
	s_waitcnt lgkmcnt(0)
	v_cmp_lt_f32_e64 s1, v15, v16
	v_cndmask_b32_e64 v3, v15, v16, s1
	v_sub_f32_e32 v3, v10, v3
	v_mul_f32_e32 v4, 0x3fb8aa3b, v3
	v_cmp_ngt_f32_e64 s1, 0xc2ce8ed0, v3
	v_fma_f32 v5, 0x3fb8aa3b, v3, -v4
	v_rndne_f32_e32 v6, v4
	v_fmamk_f32 v5, v3, 0x32a5705f, v5
	v_sub_f32_e32 v4, v4, v6
	v_add_f32_e32 v4, v4, v5
	v_cvt_i32_f32_e32 v5, v6
	v_exp_f32_e32 v4, v4
	v_ldexp_f32 v4, v4, v5
	v_cndmask_b32_e64 v4, 0, v4, s1
	v_cmp_nlt_f32_e64 s1, 0x42b17218, v3
	v_cndmask_b32_e64 v10, 0x7f800000, v4, s1
	v_mov_b32_e32 v5, v9
	v_add_f32_e32 v8, v8, v10
	v_mov_b32_e32 v6, v10
.LBB728_25:
	s_andn2_saveexec_b32 s1, s4
	s_or_b32 exec_lo, exec_lo, s1
.LBB728_26:
	s_or_b32 exec_lo, exec_lo, s3
	ds_bpermute_b32 v3, v0, v7
	ds_bpermute_b32 v0, v0, v8
	s_waitcnt lgkmcnt(1)
	v_add_f32_e32 v3, v7, v3
	s_waitcnt lgkmcnt(0)
	v_add_f32_e32 v0, v8, v0
	ds_bpermute_b32 v4, v12, v3
	ds_bpermute_b32 v7, v12, v0
	s_waitcnt lgkmcnt(1)
	v_add_f32_e32 v3, v3, v4
	s_waitcnt lgkmcnt(0)
	v_add_f32_e32 v0, v0, v7
	;; [unrolled: 6-line block ×3, first 2 shown]
	ds_bpermute_b32 v8, v14, v7
	ds_bpermute_b32 v4, v14, v3
	s_and_saveexec_b32 s1, vcc_lo
	s_cbranch_execz .LBB728_37
; %bb.27:
	v_add_co_u32 v0, vcc_lo, s8, v1
	v_add_co_ci_u32_e64 v1, null, s9, v2, vcc_lo
	s_and_saveexec_b32 s1, s0
	s_cbranch_execz .LBB728_32
; %bb.28:
	s_waitcnt lgkmcnt(1)
	v_add_f32_e32 v2, v7, v8
	s_mov_b32 s3, exec_lo
	v_cmpx_neq_f32_e32 0, v2
	s_xor_b32 s3, exec_lo, s3
	s_cbranch_execz .LBB728_30
; %bb.29:
	v_div_scale_f32 v7, null, v2, v2, v5
	v_rcp_f32_e32 v8, v7
	v_fma_f32 v9, -v7, v8, 1.0
	v_fmac_f32_e32 v8, v9, v8
	v_div_scale_f32 v9, vcc_lo, v5, v2, v5
	v_mul_f32_e32 v10, v9, v8
	v_fma_f32 v12, -v7, v10, v9
	v_fmac_f32_e32 v10, v12, v8
	v_fma_f32 v7, -v7, v10, v9
	v_div_fmas_f32 v7, v7, v8, v10
	v_div_fixup_f32 v2, v7, v2, v5
	v_cvt_f16_f32_e32 v2, v2
	global_store_short v[0:1], v2, off
.LBB728_30:
	s_andn2_saveexec_b32 s3, s3
	s_cbranch_execz .LBB728_32
; %bb.31:
	v_mov_b32_e32 v2, 0x7e00
	global_store_short v[0:1], v2, off
.LBB728_32:
	s_or_b32 exec_lo, exec_lo, s1
	v_cmp_ne_u32_e32 vcc_lo, 1, v11
	s_and_b32 s0, vcc_lo, s0
	s_and_b32 exec_lo, exec_lo, s0
	s_cbranch_execz .LBB728_37
; %bb.33:
	s_mov_b32 s3, 0
	s_waitcnt lgkmcnt(0)
	v_add_f32_e32 v2, v3, v4
	s_lshl_b64 s[0:1], s[2:3], 1
	v_add_co_u32 v0, s0, v0, s0
	v_add_co_ci_u32_e64 v1, null, s1, v1, s0
	s_mov_b32 s0, exec_lo
	v_cmpx_neq_f32_e32 0, v2
	s_xor_b32 s0, exec_lo, s0
	s_cbranch_execz .LBB728_35
; %bb.34:
	v_div_scale_f32 v3, null, v2, v2, v6
	v_rcp_f32_e32 v4, v3
	v_fma_f32 v5, -v3, v4, 1.0
	v_fmac_f32_e32 v4, v5, v4
	v_div_scale_f32 v5, vcc_lo, v6, v2, v6
	v_mul_f32_e32 v7, v5, v4
	v_fma_f32 v8, -v3, v7, v5
	v_fmac_f32_e32 v7, v8, v4
	v_fma_f32 v3, -v3, v7, v5
	v_div_fmas_f32 v3, v3, v4, v7
	v_div_fixup_f32 v2, v3, v2, v6
	v_cvt_f16_f32_e32 v2, v2
	global_store_short v[0:1], v2, off
                                        ; implicit-def: $vgpr0_vgpr1
.LBB728_35:
	s_andn2_saveexec_b32 s0, s0
	s_cbranch_execz .LBB728_37
; %bb.36:
	v_mov_b32_e32 v2, 0x7e00
	global_store_short v[0:1], v2, off
.LBB728_37:
	s_endpgm
	.section	.rodata,"a",@progbits
	.p2align	6, 0x0
	.amdhsa_kernel _ZN12_GLOBAL__N_120softmax_warp_forwardIN3c104HalfES2_fLi4ELb0ELb1ELi64EEEvPT0_PKT_iiiPKbib
		.amdhsa_group_segment_fixed_size 0
		.amdhsa_private_segment_fixed_size 0
		.amdhsa_kernarg_size 304
		.amdhsa_user_sgpr_count 6
		.amdhsa_user_sgpr_private_segment_buffer 1
		.amdhsa_user_sgpr_dispatch_ptr 0
		.amdhsa_user_sgpr_queue_ptr 0
		.amdhsa_user_sgpr_kernarg_segment_ptr 1
		.amdhsa_user_sgpr_dispatch_id 0
		.amdhsa_user_sgpr_flat_scratch_init 0
		.amdhsa_user_sgpr_private_segment_size 0
		.amdhsa_wavefront_size32 1
		.amdhsa_uses_dynamic_stack 0
		.amdhsa_system_sgpr_private_segment_wavefront_offset 0
		.amdhsa_system_sgpr_workgroup_id_x 1
		.amdhsa_system_sgpr_workgroup_id_y 0
		.amdhsa_system_sgpr_workgroup_id_z 0
		.amdhsa_system_sgpr_workgroup_info 0
		.amdhsa_system_vgpr_workitem_id 1
		.amdhsa_next_free_vgpr 19
		.amdhsa_next_free_sgpr 14
		.amdhsa_reserve_vcc 1
		.amdhsa_reserve_flat_scratch 0
		.amdhsa_float_round_mode_32 0
		.amdhsa_float_round_mode_16_64 0
		.amdhsa_float_denorm_mode_32 3
		.amdhsa_float_denorm_mode_16_64 3
		.amdhsa_dx10_clamp 1
		.amdhsa_ieee_mode 1
		.amdhsa_fp16_overflow 0
		.amdhsa_workgroup_processor_mode 1
		.amdhsa_memory_ordered 1
		.amdhsa_forward_progress 1
		.amdhsa_shared_vgpr_count 0
		.amdhsa_exception_fp_ieee_invalid_op 0
		.amdhsa_exception_fp_denorm_src 0
		.amdhsa_exception_fp_ieee_div_zero 0
		.amdhsa_exception_fp_ieee_overflow 0
		.amdhsa_exception_fp_ieee_underflow 0
		.amdhsa_exception_fp_ieee_inexact 0
		.amdhsa_exception_int_div_zero 0
	.end_amdhsa_kernel
	.section	.text._ZN12_GLOBAL__N_120softmax_warp_forwardIN3c104HalfES2_fLi4ELb0ELb1ELi64EEEvPT0_PKT_iiiPKbib,"axG",@progbits,_ZN12_GLOBAL__N_120softmax_warp_forwardIN3c104HalfES2_fLi4ELb0ELb1ELi64EEEvPT0_PKT_iiiPKbib,comdat
.Lfunc_end728:
	.size	_ZN12_GLOBAL__N_120softmax_warp_forwardIN3c104HalfES2_fLi4ELb0ELb1ELi64EEEvPT0_PKT_iiiPKbib, .Lfunc_end728-_ZN12_GLOBAL__N_120softmax_warp_forwardIN3c104HalfES2_fLi4ELb0ELb1ELi64EEEvPT0_PKT_iiiPKbib
                                        ; -- End function
	.set _ZN12_GLOBAL__N_120softmax_warp_forwardIN3c104HalfES2_fLi4ELb0ELb1ELi64EEEvPT0_PKT_iiiPKbib.num_vgpr, 19
	.set _ZN12_GLOBAL__N_120softmax_warp_forwardIN3c104HalfES2_fLi4ELb0ELb1ELi64EEEvPT0_PKT_iiiPKbib.num_agpr, 0
	.set _ZN12_GLOBAL__N_120softmax_warp_forwardIN3c104HalfES2_fLi4ELb0ELb1ELi64EEEvPT0_PKT_iiiPKbib.numbered_sgpr, 14
	.set _ZN12_GLOBAL__N_120softmax_warp_forwardIN3c104HalfES2_fLi4ELb0ELb1ELi64EEEvPT0_PKT_iiiPKbib.num_named_barrier, 0
	.set _ZN12_GLOBAL__N_120softmax_warp_forwardIN3c104HalfES2_fLi4ELb0ELb1ELi64EEEvPT0_PKT_iiiPKbib.private_seg_size, 0
	.set _ZN12_GLOBAL__N_120softmax_warp_forwardIN3c104HalfES2_fLi4ELb0ELb1ELi64EEEvPT0_PKT_iiiPKbib.uses_vcc, 1
	.set _ZN12_GLOBAL__N_120softmax_warp_forwardIN3c104HalfES2_fLi4ELb0ELb1ELi64EEEvPT0_PKT_iiiPKbib.uses_flat_scratch, 0
	.set _ZN12_GLOBAL__N_120softmax_warp_forwardIN3c104HalfES2_fLi4ELb0ELb1ELi64EEEvPT0_PKT_iiiPKbib.has_dyn_sized_stack, 0
	.set _ZN12_GLOBAL__N_120softmax_warp_forwardIN3c104HalfES2_fLi4ELb0ELb1ELi64EEEvPT0_PKT_iiiPKbib.has_recursion, 0
	.set _ZN12_GLOBAL__N_120softmax_warp_forwardIN3c104HalfES2_fLi4ELb0ELb1ELi64EEEvPT0_PKT_iiiPKbib.has_indirect_call, 0
	.section	.AMDGPU.csdata,"",@progbits
; Kernel info:
; codeLenInByte = 1872
; TotalNumSgprs: 16
; NumVgprs: 19
; ScratchSize: 0
; MemoryBound: 0
; FloatMode: 240
; IeeeMode: 1
; LDSByteSize: 0 bytes/workgroup (compile time only)
; SGPRBlocks: 0
; VGPRBlocks: 2
; NumSGPRsForWavesPerEU: 16
; NumVGPRsForWavesPerEU: 19
; Occupancy: 16
; WaveLimiterHint : 0
; COMPUTE_PGM_RSRC2:SCRATCH_EN: 0
; COMPUTE_PGM_RSRC2:USER_SGPR: 6
; COMPUTE_PGM_RSRC2:TRAP_HANDLER: 0
; COMPUTE_PGM_RSRC2:TGID_X_EN: 1
; COMPUTE_PGM_RSRC2:TGID_Y_EN: 0
; COMPUTE_PGM_RSRC2:TGID_Z_EN: 0
; COMPUTE_PGM_RSRC2:TIDIG_COMP_CNT: 1
	.section	.text._ZN12_GLOBAL__N_120softmax_warp_forwardIN3c104HalfES2_fLi4ELb0ELb1ELi32EEEvPT0_PKT_iiiPKbib,"axG",@progbits,_ZN12_GLOBAL__N_120softmax_warp_forwardIN3c104HalfES2_fLi4ELb0ELb1ELi32EEEvPT0_PKT_iiiPKbib,comdat
	.globl	_ZN12_GLOBAL__N_120softmax_warp_forwardIN3c104HalfES2_fLi4ELb0ELb1ELi32EEEvPT0_PKT_iiiPKbib ; -- Begin function _ZN12_GLOBAL__N_120softmax_warp_forwardIN3c104HalfES2_fLi4ELb0ELb1ELi32EEEvPT0_PKT_iiiPKbib
	.p2align	8
	.type	_ZN12_GLOBAL__N_120softmax_warp_forwardIN3c104HalfES2_fLi4ELb0ELb1ELi32EEEvPT0_PKT_iiiPKbib,@function
_ZN12_GLOBAL__N_120softmax_warp_forwardIN3c104HalfES2_fLi4ELb0ELb1ELi32EEEvPT0_PKT_iiiPKbib: ; @_ZN12_GLOBAL__N_120softmax_warp_forwardIN3c104HalfES2_fLi4ELb0ELb1ELi32EEEvPT0_PKT_iiiPKbib
; %bb.0:
	s_clause 0x2
	s_load_dwordx2 s[8:9], s[4:5], 0x28
	s_load_dword s10, s[4:5], 0x3c
	s_load_dwordx4 s[0:3], s[4:5], 0x10
	s_waitcnt lgkmcnt(0)
	s_bitcmp1_b32 s9, 0
	s_cselect_b32 s7, -1, 0
	s_lshr_b32 s3, s10, 16
	s_and_b32 s3, s3, 0xffff
	s_bitcmp0_b32 s9, 0
	s_mul_i32 s6, s6, s3
	v_add_lshl_u32 v5, s6, v1, 1
	v_mul_lo_u32 v6, v5, s1
	v_add_nc_u32_e32 v1, v6, v0
	v_ashrrev_i32_e32 v2, 31, v1
	v_mov_b32_e32 v4, v2
	v_mov_b32_e32 v3, v1
	s_cbranch_scc1 .LBB729_2
; %bb.1:
	s_abs_i32 s3, s8
	v_sub_nc_u32_e32 v7, 0, v6
	v_cvt_f32_u32_e32 v3, s3
	s_sub_i32 s6, 0, s3
	v_max_i32_e32 v7, v6, v7
	v_rcp_iflag_f32_e32 v3, v3
	v_xor_b32_e32 v6, s8, v6
	v_ashrrev_i32_e32 v6, 31, v6
	v_mul_f32_e32 v3, 0x4f7ffffe, v3
	v_cvt_u32_f32_e32 v3, v3
	v_mul_lo_u32 v4, s6, v3
	v_mul_hi_u32 v4, v3, v4
	v_add_nc_u32_e32 v3, v3, v4
	v_mul_hi_u32 v3, v7, v3
	v_mul_lo_u32 v4, v3, s3
	v_sub_nc_u32_e32 v4, v7, v4
	v_add_nc_u32_e32 v7, 1, v3
	v_subrev_nc_u32_e32 v8, s3, v4
	v_cmp_le_u32_e32 vcc_lo, s3, v4
	v_cndmask_b32_e32 v3, v3, v7, vcc_lo
	v_cndmask_b32_e32 v4, v4, v8, vcc_lo
	v_add_nc_u32_e32 v7, 1, v3
	v_cmp_le_u32_e32 vcc_lo, s3, v4
	v_cndmask_b32_e32 v3, v3, v7, vcc_lo
	v_xor_b32_e32 v3, v3, v6
	v_sub_nc_u32_e32 v3, v3, v6
	v_mad_u64_u32 v[3:4], null, v3, s1, v[0:1]
	v_ashrrev_i32_e32 v4, 31, v3
.LBB729_2:
	s_load_dwordx4 s[8:11], s[4:5], 0x0
	v_lshlrev_b64 v[1:2], 1, v[1:2]
	v_sub_nc_u32_e32 v11, s0, v5
	v_cmp_gt_i32_e64 s0, s2, v0
	v_mov_b32_e32 v6, 0xff800000
	v_mov_b32_e32 v5, 0xff800000
	v_cmp_lt_i32_e32 vcc_lo, 0, v11
	s_waitcnt lgkmcnt(0)
	v_add_co_u32 v7, s1, s10, v1
	v_add_co_ci_u32_e64 v8, null, s11, v2, s1
	s_and_b32 s10, s0, vcc_lo
	s_and_saveexec_b32 s1, s10
	s_cbranch_execz .LBB729_4
; %bb.3:
	global_load_ushort v0, v[7:8], off
	s_waitcnt vmcnt(0)
	v_cvt_f32_f16_e32 v5, v0
.LBB729_4:
	s_or_b32 exec_lo, exec_lo, s1
	v_cmp_lt_i32_e64 s1, 1, v11
	s_and_b32 s6, s0, s1
	s_and_saveexec_b32 s11, s6
	s_cbranch_execz .LBB729_6
; %bb.5:
	s_mov_b32 s3, 0
	s_lshl_b64 s[12:13], s[2:3], 1
	v_add_co_u32 v6, s1, v7, s12
	v_add_co_ci_u32_e64 v7, null, s13, v8, s1
	global_load_ushort v0, v[6:7], off
	s_waitcnt vmcnt(0)
	v_cvt_f32_f16_e32 v6, v0
.LBB729_6:
	s_or_b32 exec_lo, exec_lo, s11
	s_load_dwordx2 s[4:5], s[4:5], 0x20
	v_mov_b32_e32 v7, 0xff800000
	s_waitcnt lgkmcnt(0)
	v_add_co_u32 v3, s1, s4, v3
	v_add_co_ci_u32_e64 v4, null, s5, v4, s1
	s_and_saveexec_b32 s3, s10
	s_cbranch_execz .LBB729_8
; %bb.7:
	global_load_ubyte v0, v[3:4], off
	s_waitcnt vmcnt(0)
	v_and_b32_e32 v0, 1, v0
	v_cmp_eq_u32_e64 s1, 1, v0
	v_cndmask_b32_e64 v7, v5, 0xff800000, s1
.LBB729_8:
	s_or_b32 exec_lo, exec_lo, s3
	s_xor_b32 s3, s10, -1
	s_mov_b32 s5, 0
	s_and_saveexec_b32 s4, s6
	s_cbranch_execz .LBB729_12
; %bb.9:
	s_and_b32 s1, s7, exec_lo
	s_cselect_b32 s1, 0, s2
	s_cselect_b32 s5, 0, 0
	v_add_co_u32 v8, s1, v3, s1
	v_add_co_ci_u32_e64 v9, null, s5, v4, s1
	s_mov_b32 s5, 0
	global_load_ubyte v0, v[8:9], off
	s_waitcnt vmcnt(0)
	v_and_b32_e32 v0, 1, v0
	v_cmp_eq_u32_e64 s1, 1, v0
	s_xor_b32 s10, s1, -1
	s_and_saveexec_b32 s1, s10
; %bb.10:
	s_mov_b32 s5, exec_lo
; %bb.11:
	s_or_b32 exec_lo, exec_lo, s1
	s_and_b32 s5, s5, exec_lo
.LBB729_12:
	s_or_b32 exec_lo, exec_lo, s4
	v_mbcnt_lo_u32_b32 v8, -1, 0
	v_and_b32_e32 v0, 16, v8
	v_xor_b32_e32 v9, 8, v8
	v_xor_b32_e32 v12, 4, v8
	v_add_nc_u32_e32 v10, 16, v0
	v_cmp_lt_i32_e64 s1, v9, v10
	v_cndmask_b32_e64 v0, v8, v9, s1
	v_cndmask_b32_e64 v9, 0xff800000, v6, s5
	v_cmp_lt_i32_e64 s1, v12, v10
	v_lshlrev_b32_e32 v0, 2, v0
	v_cndmask_b32_e64 v12, v8, v12, s1
	ds_bpermute_b32 v13, v0, v7
	ds_bpermute_b32 v14, v0, v9
	v_lshlrev_b32_e32 v12, 2, v12
	s_waitcnt lgkmcnt(1)
	v_cmp_lt_f32_e64 s1, v7, v13
	v_cndmask_b32_e64 v7, v7, v13, s1
	s_waitcnt lgkmcnt(0)
	v_cmp_lt_f32_e64 s1, v9, v14
	v_xor_b32_e32 v13, 2, v8
	v_cndmask_b32_e64 v9, v9, v14, s1
	ds_bpermute_b32 v14, v12, v7
	v_cmp_lt_i32_e64 s1, v13, v10
	ds_bpermute_b32 v15, v12, v9
	v_cndmask_b32_e64 v13, v8, v13, s1
	v_lshlrev_b32_e32 v13, 2, v13
	s_waitcnt lgkmcnt(1)
	v_cmp_lt_f32_e64 s1, v7, v14
	v_cndmask_b32_e64 v7, v7, v14, s1
	s_waitcnt lgkmcnt(0)
	v_cmp_lt_f32_e64 s1, v9, v15
	v_xor_b32_e32 v14, 1, v8
	v_cndmask_b32_e64 v9, v9, v15, s1
	ds_bpermute_b32 v15, v13, v7
	v_cmp_lt_i32_e64 s1, v14, v10
	ds_bpermute_b32 v16, v13, v9
	v_cndmask_b32_e64 v8, v8, v14, s1
	v_lshlrev_b32_e32 v14, 2, v8
	s_waitcnt lgkmcnt(1)
	v_cmp_lt_f32_e64 s1, v7, v15
	v_cndmask_b32_e64 v17, v7, v15, s1
	s_waitcnt lgkmcnt(0)
	v_cmp_lt_f32_e64 s1, v9, v16
	ds_bpermute_b32 v18, v14, v17
	v_cndmask_b32_e64 v15, v9, v16, s1
                                        ; implicit-def: $vgpr9_vgpr10
	ds_bpermute_b32 v16, v14, v15
	s_and_saveexec_b32 s1, s3
	s_xor_b32 s1, exec_lo, s1
; %bb.13:
	v_mov_b32_e32 v5, 0
	v_mov_b32_e32 v10, v6
                                        ; implicit-def: $vgpr17
                                        ; implicit-def: $vgpr18
	v_mov_b32_e32 v9, v5
                                        ; implicit-def: $vgpr6
                                        ; implicit-def: $vgpr5
; %bb.14:
	s_or_saveexec_b32 s3, s1
	v_mov_b32_e32 v7, 0
	s_xor_b32 s4, s6, -1
	v_mov_b32_e32 v8, v7
	s_xor_b32 exec_lo, exec_lo, s3
	s_cbranch_execz .LBB729_20
; %bb.15:
	global_load_ubyte v8, v[3:4], off
	s_waitcnt vmcnt(0)
	v_and_b32_e32 v9, 1, v8
	v_mov_b32_e32 v8, v6
	v_cmp_eq_u32_e64 s1, 1, v9
	v_mov_b32_e32 v10, v8
	v_mov_b32_e32 v9, v7
	s_xor_b32 s1, s1, -1
	s_and_saveexec_b32 s5, s1
	s_xor_b32 s5, exec_lo, s5
	s_cbranch_execz .LBB729_17
; %bb.16:
	s_waitcnt lgkmcnt(1)
	v_cmp_lt_f32_e64 s1, v17, v18
	v_cndmask_b32_e64 v8, v17, v18, s1
	v_mov_b32_e32 v18, v7
	v_sub_f32_e32 v5, v5, v8
	v_mul_f32_e32 v8, 0x3fb8aa3b, v5
	v_cmp_ngt_f32_e64 s1, 0xc2ce8ed0, v5
	v_fma_f32 v9, 0x3fb8aa3b, v5, -v8
	v_rndne_f32_e32 v10, v8
	v_fmamk_f32 v9, v5, 0x32a5705f, v9
	v_sub_f32_e32 v8, v8, v10
	v_add_f32_e32 v8, v8, v9
	v_cvt_i32_f32_e32 v9, v10
	v_exp_f32_e32 v8, v8
	v_ldexp_f32 v8, v8, v9
	v_cndmask_b32_e64 v8, 0, v8, s1
	v_cmp_nlt_f32_e64 s1, 0x42b17218, v5
	v_cndmask_b32_e64 v5, 0x7f800000, v8, s1
	v_mov_b32_e32 v10, v6
	v_mov_b32_e32 v17, v5
	v_mov_b32_e32 v9, v5
	v_mov_b32_e32 v7, v17
	v_mov_b32_e32 v8, v18
.LBB729_17:
	s_andn2_saveexec_b32 s1, s5
; %bb.18:
	v_mov_b32_e32 v7, 0
	v_mov_b32_e32 v8, v7
; %bb.19:
	s_or_b32 exec_lo, exec_lo, s1
.LBB729_20:
	s_or_b32 exec_lo, exec_lo, s3
                                        ; implicit-def: $vgpr5_vgpr6
	s_and_saveexec_b32 s1, s4
	s_xor_b32 s1, exec_lo, s1
	s_cbranch_execz .LBB729_22
; %bb.21:
	v_mov_b32_e32 v10, 0
	v_mov_b32_e32 v5, v9
                                        ; implicit-def: $vgpr3
                                        ; implicit-def: $vgpr15
                                        ; implicit-def: $vgpr16
	v_mov_b32_e32 v6, v10
                                        ; implicit-def: $vgpr9_vgpr10
	s_andn2_saveexec_b32 s3, s1
	s_cbranch_execz .LBB729_26
	s_branch .LBB729_23
.LBB729_22:
	s_andn2_saveexec_b32 s3, s1
	s_cbranch_execz .LBB729_26
.LBB729_23:
	s_and_b32 s1, s7, exec_lo
	s_cselect_b32 s1, 0, s2
	s_cselect_b32 s4, 0, 0
	v_add_co_u32 v3, s1, v3, s1
	v_add_co_ci_u32_e64 v4, null, s4, v4, s1
	v_mov_b32_e32 v6, 0
	v_mov_b32_e32 v5, v9
	global_load_ubyte v3, v[3:4], off
	s_waitcnt vmcnt(0)
	v_and_b32_e32 v3, 1, v3
	v_cmp_eq_u32_e64 s1, 1, v3
	s_xor_b32 s1, s1, -1
	s_and_saveexec_b32 s4, s1
	s_xor_b32 s4, exec_lo, s4
	s_cbranch_execz .LBB729_25
; %bb.24:
	s_waitcnt lgkmcnt(0)
	v_cmp_lt_f32_e64 s1, v15, v16
	v_cndmask_b32_e64 v3, v15, v16, s1
	v_sub_f32_e32 v3, v10, v3
	v_mul_f32_e32 v4, 0x3fb8aa3b, v3
	v_cmp_ngt_f32_e64 s1, 0xc2ce8ed0, v3
	v_fma_f32 v5, 0x3fb8aa3b, v3, -v4
	v_rndne_f32_e32 v6, v4
	v_fmamk_f32 v5, v3, 0x32a5705f, v5
	v_sub_f32_e32 v4, v4, v6
	v_add_f32_e32 v4, v4, v5
	v_cvt_i32_f32_e32 v5, v6
	v_exp_f32_e32 v4, v4
	v_ldexp_f32 v4, v4, v5
	v_cndmask_b32_e64 v4, 0, v4, s1
	v_cmp_nlt_f32_e64 s1, 0x42b17218, v3
	v_cndmask_b32_e64 v10, 0x7f800000, v4, s1
	v_mov_b32_e32 v5, v9
	v_add_f32_e32 v8, v8, v10
	v_mov_b32_e32 v6, v10
.LBB729_25:
	s_andn2_saveexec_b32 s1, s4
	s_or_b32 exec_lo, exec_lo, s1
.LBB729_26:
	s_or_b32 exec_lo, exec_lo, s3
	ds_bpermute_b32 v3, v0, v7
	ds_bpermute_b32 v0, v0, v8
	s_waitcnt lgkmcnt(1)
	v_add_f32_e32 v3, v7, v3
	s_waitcnt lgkmcnt(0)
	v_add_f32_e32 v0, v8, v0
	ds_bpermute_b32 v4, v12, v3
	ds_bpermute_b32 v7, v12, v0
	s_waitcnt lgkmcnt(1)
	v_add_f32_e32 v3, v3, v4
	s_waitcnt lgkmcnt(0)
	v_add_f32_e32 v0, v0, v7
	;; [unrolled: 6-line block ×3, first 2 shown]
	ds_bpermute_b32 v8, v14, v7
	ds_bpermute_b32 v4, v14, v3
	s_and_saveexec_b32 s1, vcc_lo
	s_cbranch_execz .LBB729_37
; %bb.27:
	v_add_co_u32 v0, vcc_lo, s8, v1
	v_add_co_ci_u32_e64 v1, null, s9, v2, vcc_lo
	s_and_saveexec_b32 s1, s0
	s_cbranch_execz .LBB729_32
; %bb.28:
	s_waitcnt lgkmcnt(1)
	v_add_f32_e32 v2, v7, v8
	s_mov_b32 s3, exec_lo
	v_cmpx_neq_f32_e32 0, v2
	s_xor_b32 s3, exec_lo, s3
	s_cbranch_execz .LBB729_30
; %bb.29:
	v_div_scale_f32 v7, null, v2, v2, v5
	v_rcp_f32_e32 v8, v7
	v_fma_f32 v9, -v7, v8, 1.0
	v_fmac_f32_e32 v8, v9, v8
	v_div_scale_f32 v9, vcc_lo, v5, v2, v5
	v_mul_f32_e32 v10, v9, v8
	v_fma_f32 v12, -v7, v10, v9
	v_fmac_f32_e32 v10, v12, v8
	v_fma_f32 v7, -v7, v10, v9
	v_div_fmas_f32 v7, v7, v8, v10
	v_div_fixup_f32 v2, v7, v2, v5
	v_cvt_f16_f32_e32 v2, v2
	global_store_short v[0:1], v2, off
.LBB729_30:
	s_andn2_saveexec_b32 s3, s3
	s_cbranch_execz .LBB729_32
; %bb.31:
	v_mov_b32_e32 v2, 0x7e00
	global_store_short v[0:1], v2, off
.LBB729_32:
	s_or_b32 exec_lo, exec_lo, s1
	v_cmp_ne_u32_e32 vcc_lo, 1, v11
	s_and_b32 s0, vcc_lo, s0
	s_and_b32 exec_lo, exec_lo, s0
	s_cbranch_execz .LBB729_37
; %bb.33:
	s_mov_b32 s3, 0
	s_waitcnt lgkmcnt(0)
	v_add_f32_e32 v2, v3, v4
	s_lshl_b64 s[0:1], s[2:3], 1
	v_add_co_u32 v0, s0, v0, s0
	v_add_co_ci_u32_e64 v1, null, s1, v1, s0
	s_mov_b32 s0, exec_lo
	v_cmpx_neq_f32_e32 0, v2
	s_xor_b32 s0, exec_lo, s0
	s_cbranch_execz .LBB729_35
; %bb.34:
	v_div_scale_f32 v3, null, v2, v2, v6
	v_rcp_f32_e32 v4, v3
	v_fma_f32 v5, -v3, v4, 1.0
	v_fmac_f32_e32 v4, v5, v4
	v_div_scale_f32 v5, vcc_lo, v6, v2, v6
	v_mul_f32_e32 v7, v5, v4
	v_fma_f32 v8, -v3, v7, v5
	v_fmac_f32_e32 v7, v8, v4
	v_fma_f32 v3, -v3, v7, v5
	v_div_fmas_f32 v3, v3, v4, v7
	v_div_fixup_f32 v2, v3, v2, v6
	v_cvt_f16_f32_e32 v2, v2
	global_store_short v[0:1], v2, off
                                        ; implicit-def: $vgpr0_vgpr1
.LBB729_35:
	s_andn2_saveexec_b32 s0, s0
	s_cbranch_execz .LBB729_37
; %bb.36:
	v_mov_b32_e32 v2, 0x7e00
	global_store_short v[0:1], v2, off
.LBB729_37:
	s_endpgm
	.section	.rodata,"a",@progbits
	.p2align	6, 0x0
	.amdhsa_kernel _ZN12_GLOBAL__N_120softmax_warp_forwardIN3c104HalfES2_fLi4ELb0ELb1ELi32EEEvPT0_PKT_iiiPKbib
		.amdhsa_group_segment_fixed_size 0
		.amdhsa_private_segment_fixed_size 0
		.amdhsa_kernarg_size 304
		.amdhsa_user_sgpr_count 6
		.amdhsa_user_sgpr_private_segment_buffer 1
		.amdhsa_user_sgpr_dispatch_ptr 0
		.amdhsa_user_sgpr_queue_ptr 0
		.amdhsa_user_sgpr_kernarg_segment_ptr 1
		.amdhsa_user_sgpr_dispatch_id 0
		.amdhsa_user_sgpr_flat_scratch_init 0
		.amdhsa_user_sgpr_private_segment_size 0
		.amdhsa_wavefront_size32 1
		.amdhsa_uses_dynamic_stack 0
		.amdhsa_system_sgpr_private_segment_wavefront_offset 0
		.amdhsa_system_sgpr_workgroup_id_x 1
		.amdhsa_system_sgpr_workgroup_id_y 0
		.amdhsa_system_sgpr_workgroup_id_z 0
		.amdhsa_system_sgpr_workgroup_info 0
		.amdhsa_system_vgpr_workitem_id 1
		.amdhsa_next_free_vgpr 19
		.amdhsa_next_free_sgpr 14
		.amdhsa_reserve_vcc 1
		.amdhsa_reserve_flat_scratch 0
		.amdhsa_float_round_mode_32 0
		.amdhsa_float_round_mode_16_64 0
		.amdhsa_float_denorm_mode_32 3
		.amdhsa_float_denorm_mode_16_64 3
		.amdhsa_dx10_clamp 1
		.amdhsa_ieee_mode 1
		.amdhsa_fp16_overflow 0
		.amdhsa_workgroup_processor_mode 1
		.amdhsa_memory_ordered 1
		.amdhsa_forward_progress 1
		.amdhsa_shared_vgpr_count 0
		.amdhsa_exception_fp_ieee_invalid_op 0
		.amdhsa_exception_fp_denorm_src 0
		.amdhsa_exception_fp_ieee_div_zero 0
		.amdhsa_exception_fp_ieee_overflow 0
		.amdhsa_exception_fp_ieee_underflow 0
		.amdhsa_exception_fp_ieee_inexact 0
		.amdhsa_exception_int_div_zero 0
	.end_amdhsa_kernel
	.section	.text._ZN12_GLOBAL__N_120softmax_warp_forwardIN3c104HalfES2_fLi4ELb0ELb1ELi32EEEvPT0_PKT_iiiPKbib,"axG",@progbits,_ZN12_GLOBAL__N_120softmax_warp_forwardIN3c104HalfES2_fLi4ELb0ELb1ELi32EEEvPT0_PKT_iiiPKbib,comdat
.Lfunc_end729:
	.size	_ZN12_GLOBAL__N_120softmax_warp_forwardIN3c104HalfES2_fLi4ELb0ELb1ELi32EEEvPT0_PKT_iiiPKbib, .Lfunc_end729-_ZN12_GLOBAL__N_120softmax_warp_forwardIN3c104HalfES2_fLi4ELb0ELb1ELi32EEEvPT0_PKT_iiiPKbib
                                        ; -- End function
	.set _ZN12_GLOBAL__N_120softmax_warp_forwardIN3c104HalfES2_fLi4ELb0ELb1ELi32EEEvPT0_PKT_iiiPKbib.num_vgpr, 19
	.set _ZN12_GLOBAL__N_120softmax_warp_forwardIN3c104HalfES2_fLi4ELb0ELb1ELi32EEEvPT0_PKT_iiiPKbib.num_agpr, 0
	.set _ZN12_GLOBAL__N_120softmax_warp_forwardIN3c104HalfES2_fLi4ELb0ELb1ELi32EEEvPT0_PKT_iiiPKbib.numbered_sgpr, 14
	.set _ZN12_GLOBAL__N_120softmax_warp_forwardIN3c104HalfES2_fLi4ELb0ELb1ELi32EEEvPT0_PKT_iiiPKbib.num_named_barrier, 0
	.set _ZN12_GLOBAL__N_120softmax_warp_forwardIN3c104HalfES2_fLi4ELb0ELb1ELi32EEEvPT0_PKT_iiiPKbib.private_seg_size, 0
	.set _ZN12_GLOBAL__N_120softmax_warp_forwardIN3c104HalfES2_fLi4ELb0ELb1ELi32EEEvPT0_PKT_iiiPKbib.uses_vcc, 1
	.set _ZN12_GLOBAL__N_120softmax_warp_forwardIN3c104HalfES2_fLi4ELb0ELb1ELi32EEEvPT0_PKT_iiiPKbib.uses_flat_scratch, 0
	.set _ZN12_GLOBAL__N_120softmax_warp_forwardIN3c104HalfES2_fLi4ELb0ELb1ELi32EEEvPT0_PKT_iiiPKbib.has_dyn_sized_stack, 0
	.set _ZN12_GLOBAL__N_120softmax_warp_forwardIN3c104HalfES2_fLi4ELb0ELb1ELi32EEEvPT0_PKT_iiiPKbib.has_recursion, 0
	.set _ZN12_GLOBAL__N_120softmax_warp_forwardIN3c104HalfES2_fLi4ELb0ELb1ELi32EEEvPT0_PKT_iiiPKbib.has_indirect_call, 0
	.section	.AMDGPU.csdata,"",@progbits
; Kernel info:
; codeLenInByte = 1872
; TotalNumSgprs: 16
; NumVgprs: 19
; ScratchSize: 0
; MemoryBound: 0
; FloatMode: 240
; IeeeMode: 1
; LDSByteSize: 0 bytes/workgroup (compile time only)
; SGPRBlocks: 0
; VGPRBlocks: 2
; NumSGPRsForWavesPerEU: 16
; NumVGPRsForWavesPerEU: 19
; Occupancy: 16
; WaveLimiterHint : 0
; COMPUTE_PGM_RSRC2:SCRATCH_EN: 0
; COMPUTE_PGM_RSRC2:USER_SGPR: 6
; COMPUTE_PGM_RSRC2:TRAP_HANDLER: 0
; COMPUTE_PGM_RSRC2:TGID_X_EN: 1
; COMPUTE_PGM_RSRC2:TGID_Y_EN: 0
; COMPUTE_PGM_RSRC2:TGID_Z_EN: 0
; COMPUTE_PGM_RSRC2:TIDIG_COMP_CNT: 1
	.section	.text._ZN12_GLOBAL__N_120softmax_warp_forwardIN3c104HalfES2_fLi5ELb0ELb1ELi64EEEvPT0_PKT_iiiPKbib,"axG",@progbits,_ZN12_GLOBAL__N_120softmax_warp_forwardIN3c104HalfES2_fLi5ELb0ELb1ELi64EEEvPT0_PKT_iiiPKbib,comdat
	.globl	_ZN12_GLOBAL__N_120softmax_warp_forwardIN3c104HalfES2_fLi5ELb0ELb1ELi64EEEvPT0_PKT_iiiPKbib ; -- Begin function _ZN12_GLOBAL__N_120softmax_warp_forwardIN3c104HalfES2_fLi5ELb0ELb1ELi64EEEvPT0_PKT_iiiPKbib
	.p2align	8
	.type	_ZN12_GLOBAL__N_120softmax_warp_forwardIN3c104HalfES2_fLi5ELb0ELb1ELi64EEEvPT0_PKT_iiiPKbib,@function
_ZN12_GLOBAL__N_120softmax_warp_forwardIN3c104HalfES2_fLi5ELb0ELb1ELi64EEEvPT0_PKT_iiiPKbib: ; @_ZN12_GLOBAL__N_120softmax_warp_forwardIN3c104HalfES2_fLi5ELb0ELb1ELi64EEEvPT0_PKT_iiiPKbib
; %bb.0:
	s_clause 0x2
	s_load_dwordx2 s[8:9], s[4:5], 0x28
	s_load_dword s10, s[4:5], 0x3c
	s_load_dwordx4 s[0:3], s[4:5], 0x10
	s_waitcnt lgkmcnt(0)
	s_bitcmp1_b32 s9, 0
	s_cselect_b32 s7, -1, 0
	s_lshr_b32 s3, s10, 16
	s_and_b32 s3, s3, 0xffff
	s_bitcmp0_b32 s9, 0
	s_mul_i32 s6, s6, s3
	v_add_lshl_u32 v5, s6, v1, 1
	v_mul_lo_u32 v6, v5, s1
	v_add_nc_u32_e32 v1, v6, v0
	v_ashrrev_i32_e32 v2, 31, v1
	v_mov_b32_e32 v4, v2
	v_mov_b32_e32 v3, v1
	s_cbranch_scc1 .LBB730_2
; %bb.1:
	s_abs_i32 s3, s8
	v_sub_nc_u32_e32 v7, 0, v6
	v_cvt_f32_u32_e32 v3, s3
	s_sub_i32 s6, 0, s3
	v_max_i32_e32 v7, v6, v7
	v_rcp_iflag_f32_e32 v3, v3
	v_xor_b32_e32 v6, s8, v6
	v_ashrrev_i32_e32 v6, 31, v6
	v_mul_f32_e32 v3, 0x4f7ffffe, v3
	v_cvt_u32_f32_e32 v3, v3
	v_mul_lo_u32 v4, s6, v3
	v_mul_hi_u32 v4, v3, v4
	v_add_nc_u32_e32 v3, v3, v4
	v_mul_hi_u32 v3, v7, v3
	v_mul_lo_u32 v4, v3, s3
	v_sub_nc_u32_e32 v4, v7, v4
	v_add_nc_u32_e32 v7, 1, v3
	v_subrev_nc_u32_e32 v8, s3, v4
	v_cmp_le_u32_e32 vcc_lo, s3, v4
	v_cndmask_b32_e32 v3, v3, v7, vcc_lo
	v_cndmask_b32_e32 v4, v4, v8, vcc_lo
	v_add_nc_u32_e32 v7, 1, v3
	v_cmp_le_u32_e32 vcc_lo, s3, v4
	v_cndmask_b32_e32 v3, v3, v7, vcc_lo
	v_xor_b32_e32 v3, v3, v6
	v_sub_nc_u32_e32 v3, v3, v6
	v_mad_u64_u32 v[3:4], null, v3, s1, v[0:1]
	v_ashrrev_i32_e32 v4, 31, v3
.LBB730_2:
	s_load_dwordx4 s[8:11], s[4:5], 0x0
	v_lshlrev_b64 v[1:2], 1, v[1:2]
	v_sub_nc_u32_e32 v11, s0, v5
	v_cmp_gt_i32_e64 s0, s2, v0
	v_mov_b32_e32 v6, 0xff800000
	v_mov_b32_e32 v5, 0xff800000
	v_cmp_lt_i32_e32 vcc_lo, 0, v11
	s_waitcnt lgkmcnt(0)
	v_add_co_u32 v7, s1, s10, v1
	v_add_co_ci_u32_e64 v8, null, s11, v2, s1
	s_and_b32 s10, s0, vcc_lo
	s_and_saveexec_b32 s1, s10
	s_cbranch_execz .LBB730_4
; %bb.3:
	global_load_ushort v0, v[7:8], off
	s_waitcnt vmcnt(0)
	v_cvt_f32_f16_e32 v5, v0
.LBB730_4:
	s_or_b32 exec_lo, exec_lo, s1
	v_cmp_lt_i32_e64 s1, 1, v11
	s_and_b32 s6, s0, s1
	s_and_saveexec_b32 s11, s6
	s_cbranch_execz .LBB730_6
; %bb.5:
	s_mov_b32 s3, 0
	s_lshl_b64 s[12:13], s[2:3], 1
	v_add_co_u32 v6, s1, v7, s12
	v_add_co_ci_u32_e64 v7, null, s13, v8, s1
	global_load_ushort v0, v[6:7], off
	s_waitcnt vmcnt(0)
	v_cvt_f32_f16_e32 v6, v0
.LBB730_6:
	s_or_b32 exec_lo, exec_lo, s11
	s_load_dwordx2 s[4:5], s[4:5], 0x20
	v_mov_b32_e32 v7, 0xff800000
	s_waitcnt lgkmcnt(0)
	v_add_co_u32 v3, s1, s4, v3
	v_add_co_ci_u32_e64 v4, null, s5, v4, s1
	s_and_saveexec_b32 s3, s10
	s_cbranch_execz .LBB730_8
; %bb.7:
	global_load_ubyte v0, v[3:4], off
	s_waitcnt vmcnt(0)
	v_and_b32_e32 v0, 1, v0
	v_cmp_eq_u32_e64 s1, 1, v0
	v_cndmask_b32_e64 v7, v5, 0xff800000, s1
.LBB730_8:
	s_or_b32 exec_lo, exec_lo, s3
	s_xor_b32 s3, s10, -1
	s_mov_b32 s5, 0
	s_and_saveexec_b32 s4, s6
	s_cbranch_execz .LBB730_12
; %bb.9:
	s_and_b32 s1, s7, exec_lo
	s_cselect_b32 s1, 0, s2
	s_cselect_b32 s5, 0, 0
	v_add_co_u32 v8, s1, v3, s1
	v_add_co_ci_u32_e64 v9, null, s5, v4, s1
	s_mov_b32 s5, 0
	global_load_ubyte v0, v[8:9], off
	s_waitcnt vmcnt(0)
	v_and_b32_e32 v0, 1, v0
	v_cmp_eq_u32_e64 s1, 1, v0
	s_xor_b32 s10, s1, -1
	s_and_saveexec_b32 s1, s10
; %bb.10:
	s_mov_b32 s5, exec_lo
; %bb.11:
	s_or_b32 exec_lo, exec_lo, s1
	s_and_b32 s5, s5, exec_lo
.LBB730_12:
	s_or_b32 exec_lo, exec_lo, s4
	v_mbcnt_lo_u32_b32 v8, -1, 0
	v_cndmask_b32_e64 v9, 0xff800000, v6, s5
	v_xor_b32_e32 v0, 16, v8
	v_xor_b32_e32 v12, 8, v8
	v_cmp_gt_i32_e64 s1, 32, v0
	v_cndmask_b32_e64 v0, v8, v0, s1
	v_cmp_gt_i32_e64 s1, 32, v12
	v_lshlrev_b32_e32 v0, 2, v0
	v_cndmask_b32_e64 v12, v8, v12, s1
	ds_bpermute_b32 v10, v0, v7
	ds_bpermute_b32 v13, v0, v9
	v_lshlrev_b32_e32 v12, 2, v12
	s_waitcnt lgkmcnt(1)
	v_cmp_lt_f32_e64 s1, v7, v10
	v_cndmask_b32_e64 v7, v7, v10, s1
	s_waitcnt lgkmcnt(0)
	v_cmp_lt_f32_e64 s1, v9, v13
	ds_bpermute_b32 v10, v12, v7
	v_cndmask_b32_e64 v9, v9, v13, s1
	v_xor_b32_e32 v13, 4, v8
	ds_bpermute_b32 v14, v12, v9
	v_cmp_gt_i32_e64 s1, 32, v13
	v_cndmask_b32_e64 v13, v8, v13, s1
	v_lshlrev_b32_e32 v13, 2, v13
	s_waitcnt lgkmcnt(1)
	v_cmp_lt_f32_e64 s1, v7, v10
	v_cndmask_b32_e64 v7, v7, v10, s1
	s_waitcnt lgkmcnt(0)
	v_cmp_lt_f32_e64 s1, v9, v14
	ds_bpermute_b32 v10, v13, v7
	v_cndmask_b32_e64 v9, v9, v14, s1
	v_xor_b32_e32 v14, 2, v8
	ds_bpermute_b32 v15, v13, v9
	v_cmp_gt_i32_e64 s1, 32, v14
	v_cndmask_b32_e64 v14, v8, v14, s1
	;; [unrolled: 12-line block ×3, first 2 shown]
	v_lshlrev_b32_e32 v15, 2, v8
	s_waitcnt lgkmcnt(1)
	v_cmp_lt_f32_e64 s1, v7, v10
	v_cndmask_b32_e64 v18, v7, v10, s1
	s_waitcnt lgkmcnt(0)
	v_cmp_lt_f32_e64 s1, v9, v16
	ds_bpermute_b32 v19, v15, v18
	v_cndmask_b32_e64 v16, v9, v16, s1
                                        ; implicit-def: $vgpr9_vgpr10
	ds_bpermute_b32 v17, v15, v16
	s_and_saveexec_b32 s1, s3
	s_xor_b32 s1, exec_lo, s1
; %bb.13:
	v_mov_b32_e32 v5, 0
	v_mov_b32_e32 v10, v6
                                        ; implicit-def: $vgpr18
                                        ; implicit-def: $vgpr19
	v_mov_b32_e32 v9, v5
                                        ; implicit-def: $vgpr6
                                        ; implicit-def: $vgpr5
; %bb.14:
	s_or_saveexec_b32 s3, s1
	v_mov_b32_e32 v7, 0
	s_xor_b32 s4, s6, -1
	v_mov_b32_e32 v8, v7
	s_xor_b32 exec_lo, exec_lo, s3
	s_cbranch_execz .LBB730_20
; %bb.15:
	global_load_ubyte v8, v[3:4], off
	s_waitcnt vmcnt(0)
	v_and_b32_e32 v9, 1, v8
	v_mov_b32_e32 v8, v6
	v_cmp_eq_u32_e64 s1, 1, v9
	v_mov_b32_e32 v10, v8
	v_mov_b32_e32 v9, v7
	s_xor_b32 s1, s1, -1
	s_and_saveexec_b32 s5, s1
	s_xor_b32 s5, exec_lo, s5
	s_cbranch_execz .LBB730_17
; %bb.16:
	s_waitcnt lgkmcnt(1)
	v_cmp_lt_f32_e64 s1, v18, v19
	v_cndmask_b32_e64 v8, v18, v19, s1
	v_mov_b32_e32 v19, v7
	v_sub_f32_e32 v5, v5, v8
	v_mul_f32_e32 v8, 0x3fb8aa3b, v5
	v_cmp_ngt_f32_e64 s1, 0xc2ce8ed0, v5
	v_fma_f32 v9, 0x3fb8aa3b, v5, -v8
	v_rndne_f32_e32 v10, v8
	v_fmamk_f32 v9, v5, 0x32a5705f, v9
	v_sub_f32_e32 v8, v8, v10
	v_add_f32_e32 v8, v8, v9
	v_cvt_i32_f32_e32 v9, v10
	v_exp_f32_e32 v8, v8
	v_ldexp_f32 v8, v8, v9
	v_cndmask_b32_e64 v8, 0, v8, s1
	v_cmp_nlt_f32_e64 s1, 0x42b17218, v5
	v_cndmask_b32_e64 v5, 0x7f800000, v8, s1
	v_mov_b32_e32 v10, v6
	v_mov_b32_e32 v18, v5
	;; [unrolled: 1-line block ×5, first 2 shown]
.LBB730_17:
	s_andn2_saveexec_b32 s1, s5
; %bb.18:
	v_mov_b32_e32 v7, 0
	v_mov_b32_e32 v8, v7
; %bb.19:
	s_or_b32 exec_lo, exec_lo, s1
.LBB730_20:
	s_or_b32 exec_lo, exec_lo, s3
                                        ; implicit-def: $vgpr5_vgpr6
	s_and_saveexec_b32 s1, s4
	s_xor_b32 s1, exec_lo, s1
	s_cbranch_execz .LBB730_22
; %bb.21:
	v_mov_b32_e32 v10, 0
	v_mov_b32_e32 v5, v9
                                        ; implicit-def: $vgpr3
                                        ; implicit-def: $vgpr16
                                        ; implicit-def: $vgpr17
	v_mov_b32_e32 v6, v10
                                        ; implicit-def: $vgpr9_vgpr10
	s_andn2_saveexec_b32 s3, s1
	s_cbranch_execz .LBB730_26
	s_branch .LBB730_23
.LBB730_22:
	s_andn2_saveexec_b32 s3, s1
	s_cbranch_execz .LBB730_26
.LBB730_23:
	s_and_b32 s1, s7, exec_lo
	s_cselect_b32 s1, 0, s2
	s_cselect_b32 s4, 0, 0
	v_add_co_u32 v3, s1, v3, s1
	v_add_co_ci_u32_e64 v4, null, s4, v4, s1
	v_mov_b32_e32 v6, 0
	v_mov_b32_e32 v5, v9
	global_load_ubyte v3, v[3:4], off
	s_waitcnt vmcnt(0)
	v_and_b32_e32 v3, 1, v3
	v_cmp_eq_u32_e64 s1, 1, v3
	s_xor_b32 s1, s1, -1
	s_and_saveexec_b32 s4, s1
	s_xor_b32 s4, exec_lo, s4
	s_cbranch_execz .LBB730_25
; %bb.24:
	s_waitcnt lgkmcnt(0)
	v_cmp_lt_f32_e64 s1, v16, v17
	v_cndmask_b32_e64 v3, v16, v17, s1
	v_sub_f32_e32 v3, v10, v3
	v_mul_f32_e32 v4, 0x3fb8aa3b, v3
	v_cmp_ngt_f32_e64 s1, 0xc2ce8ed0, v3
	v_fma_f32 v5, 0x3fb8aa3b, v3, -v4
	v_rndne_f32_e32 v6, v4
	v_fmamk_f32 v5, v3, 0x32a5705f, v5
	v_sub_f32_e32 v4, v4, v6
	v_add_f32_e32 v4, v4, v5
	v_cvt_i32_f32_e32 v5, v6
	v_exp_f32_e32 v4, v4
	v_ldexp_f32 v4, v4, v5
	v_cndmask_b32_e64 v4, 0, v4, s1
	v_cmp_nlt_f32_e64 s1, 0x42b17218, v3
	v_cndmask_b32_e64 v10, 0x7f800000, v4, s1
	v_mov_b32_e32 v5, v9
	v_add_f32_e32 v8, v8, v10
	v_mov_b32_e32 v6, v10
.LBB730_25:
	s_andn2_saveexec_b32 s1, s4
	s_or_b32 exec_lo, exec_lo, s1
.LBB730_26:
	s_or_b32 exec_lo, exec_lo, s3
	ds_bpermute_b32 v3, v0, v7
	ds_bpermute_b32 v0, v0, v8
	s_waitcnt lgkmcnt(1)
	v_add_f32_e32 v3, v7, v3
	s_waitcnt lgkmcnt(0)
	v_add_f32_e32 v0, v8, v0
	ds_bpermute_b32 v4, v12, v3
	ds_bpermute_b32 v7, v12, v0
	s_waitcnt lgkmcnt(1)
	v_add_f32_e32 v3, v3, v4
	s_waitcnt lgkmcnt(0)
	v_add_f32_e32 v0, v0, v7
	;; [unrolled: 6-line block ×4, first 2 shown]
	ds_bpermute_b32 v8, v15, v7
	ds_bpermute_b32 v4, v15, v3
	s_and_saveexec_b32 s1, vcc_lo
	s_cbranch_execz .LBB730_37
; %bb.27:
	v_add_co_u32 v0, vcc_lo, s8, v1
	v_add_co_ci_u32_e64 v1, null, s9, v2, vcc_lo
	s_and_saveexec_b32 s1, s0
	s_cbranch_execz .LBB730_32
; %bb.28:
	s_waitcnt lgkmcnt(1)
	v_add_f32_e32 v2, v7, v8
	s_mov_b32 s3, exec_lo
	v_cmpx_neq_f32_e32 0, v2
	s_xor_b32 s3, exec_lo, s3
	s_cbranch_execz .LBB730_30
; %bb.29:
	v_div_scale_f32 v7, null, v2, v2, v5
	v_rcp_f32_e32 v8, v7
	v_fma_f32 v9, -v7, v8, 1.0
	v_fmac_f32_e32 v8, v9, v8
	v_div_scale_f32 v9, vcc_lo, v5, v2, v5
	v_mul_f32_e32 v10, v9, v8
	v_fma_f32 v12, -v7, v10, v9
	v_fmac_f32_e32 v10, v12, v8
	v_fma_f32 v7, -v7, v10, v9
	v_div_fmas_f32 v7, v7, v8, v10
	v_div_fixup_f32 v2, v7, v2, v5
	v_cvt_f16_f32_e32 v2, v2
	global_store_short v[0:1], v2, off
.LBB730_30:
	s_andn2_saveexec_b32 s3, s3
	s_cbranch_execz .LBB730_32
; %bb.31:
	v_mov_b32_e32 v2, 0x7e00
	global_store_short v[0:1], v2, off
.LBB730_32:
	s_or_b32 exec_lo, exec_lo, s1
	v_cmp_ne_u32_e32 vcc_lo, 1, v11
	s_and_b32 s0, vcc_lo, s0
	s_and_b32 exec_lo, exec_lo, s0
	s_cbranch_execz .LBB730_37
; %bb.33:
	s_mov_b32 s3, 0
	s_waitcnt lgkmcnt(0)
	v_add_f32_e32 v2, v3, v4
	s_lshl_b64 s[0:1], s[2:3], 1
	v_add_co_u32 v0, s0, v0, s0
	v_add_co_ci_u32_e64 v1, null, s1, v1, s0
	s_mov_b32 s0, exec_lo
	v_cmpx_neq_f32_e32 0, v2
	s_xor_b32 s0, exec_lo, s0
	s_cbranch_execz .LBB730_35
; %bb.34:
	v_div_scale_f32 v3, null, v2, v2, v6
	v_rcp_f32_e32 v4, v3
	v_fma_f32 v5, -v3, v4, 1.0
	v_fmac_f32_e32 v4, v5, v4
	v_div_scale_f32 v5, vcc_lo, v6, v2, v6
	v_mul_f32_e32 v7, v5, v4
	v_fma_f32 v8, -v3, v7, v5
	v_fmac_f32_e32 v7, v8, v4
	v_fma_f32 v3, -v3, v7, v5
	v_div_fmas_f32 v3, v3, v4, v7
	v_div_fixup_f32 v2, v3, v2, v6
	v_cvt_f16_f32_e32 v2, v2
	global_store_short v[0:1], v2, off
                                        ; implicit-def: $vgpr0_vgpr1
.LBB730_35:
	s_andn2_saveexec_b32 s0, s0
	s_cbranch_execz .LBB730_37
; %bb.36:
	v_mov_b32_e32 v2, 0x7e00
	global_store_short v[0:1], v2, off
.LBB730_37:
	s_endpgm
	.section	.rodata,"a",@progbits
	.p2align	6, 0x0
	.amdhsa_kernel _ZN12_GLOBAL__N_120softmax_warp_forwardIN3c104HalfES2_fLi5ELb0ELb1ELi64EEEvPT0_PKT_iiiPKbib
		.amdhsa_group_segment_fixed_size 0
		.amdhsa_private_segment_fixed_size 0
		.amdhsa_kernarg_size 304
		.amdhsa_user_sgpr_count 6
		.amdhsa_user_sgpr_private_segment_buffer 1
		.amdhsa_user_sgpr_dispatch_ptr 0
		.amdhsa_user_sgpr_queue_ptr 0
		.amdhsa_user_sgpr_kernarg_segment_ptr 1
		.amdhsa_user_sgpr_dispatch_id 0
		.amdhsa_user_sgpr_flat_scratch_init 0
		.amdhsa_user_sgpr_private_segment_size 0
		.amdhsa_wavefront_size32 1
		.amdhsa_uses_dynamic_stack 0
		.amdhsa_system_sgpr_private_segment_wavefront_offset 0
		.amdhsa_system_sgpr_workgroup_id_x 1
		.amdhsa_system_sgpr_workgroup_id_y 0
		.amdhsa_system_sgpr_workgroup_id_z 0
		.amdhsa_system_sgpr_workgroup_info 0
		.amdhsa_system_vgpr_workitem_id 1
		.amdhsa_next_free_vgpr 20
		.amdhsa_next_free_sgpr 14
		.amdhsa_reserve_vcc 1
		.amdhsa_reserve_flat_scratch 0
		.amdhsa_float_round_mode_32 0
		.amdhsa_float_round_mode_16_64 0
		.amdhsa_float_denorm_mode_32 3
		.amdhsa_float_denorm_mode_16_64 3
		.amdhsa_dx10_clamp 1
		.amdhsa_ieee_mode 1
		.amdhsa_fp16_overflow 0
		.amdhsa_workgroup_processor_mode 1
		.amdhsa_memory_ordered 1
		.amdhsa_forward_progress 1
		.amdhsa_shared_vgpr_count 0
		.amdhsa_exception_fp_ieee_invalid_op 0
		.amdhsa_exception_fp_denorm_src 0
		.amdhsa_exception_fp_ieee_div_zero 0
		.amdhsa_exception_fp_ieee_overflow 0
		.amdhsa_exception_fp_ieee_underflow 0
		.amdhsa_exception_fp_ieee_inexact 0
		.amdhsa_exception_int_div_zero 0
	.end_amdhsa_kernel
	.section	.text._ZN12_GLOBAL__N_120softmax_warp_forwardIN3c104HalfES2_fLi5ELb0ELb1ELi64EEEvPT0_PKT_iiiPKbib,"axG",@progbits,_ZN12_GLOBAL__N_120softmax_warp_forwardIN3c104HalfES2_fLi5ELb0ELb1ELi64EEEvPT0_PKT_iiiPKbib,comdat
.Lfunc_end730:
	.size	_ZN12_GLOBAL__N_120softmax_warp_forwardIN3c104HalfES2_fLi5ELb0ELb1ELi64EEEvPT0_PKT_iiiPKbib, .Lfunc_end730-_ZN12_GLOBAL__N_120softmax_warp_forwardIN3c104HalfES2_fLi5ELb0ELb1ELi64EEEvPT0_PKT_iiiPKbib
                                        ; -- End function
	.set _ZN12_GLOBAL__N_120softmax_warp_forwardIN3c104HalfES2_fLi5ELb0ELb1ELi64EEEvPT0_PKT_iiiPKbib.num_vgpr, 20
	.set _ZN12_GLOBAL__N_120softmax_warp_forwardIN3c104HalfES2_fLi5ELb0ELb1ELi64EEEvPT0_PKT_iiiPKbib.num_agpr, 0
	.set _ZN12_GLOBAL__N_120softmax_warp_forwardIN3c104HalfES2_fLi5ELb0ELb1ELi64EEEvPT0_PKT_iiiPKbib.numbered_sgpr, 14
	.set _ZN12_GLOBAL__N_120softmax_warp_forwardIN3c104HalfES2_fLi5ELb0ELb1ELi64EEEvPT0_PKT_iiiPKbib.num_named_barrier, 0
	.set _ZN12_GLOBAL__N_120softmax_warp_forwardIN3c104HalfES2_fLi5ELb0ELb1ELi64EEEvPT0_PKT_iiiPKbib.private_seg_size, 0
	.set _ZN12_GLOBAL__N_120softmax_warp_forwardIN3c104HalfES2_fLi5ELb0ELb1ELi64EEEvPT0_PKT_iiiPKbib.uses_vcc, 1
	.set _ZN12_GLOBAL__N_120softmax_warp_forwardIN3c104HalfES2_fLi5ELb0ELb1ELi64EEEvPT0_PKT_iiiPKbib.uses_flat_scratch, 0
	.set _ZN12_GLOBAL__N_120softmax_warp_forwardIN3c104HalfES2_fLi5ELb0ELb1ELi64EEEvPT0_PKT_iiiPKbib.has_dyn_sized_stack, 0
	.set _ZN12_GLOBAL__N_120softmax_warp_forwardIN3c104HalfES2_fLi5ELb0ELb1ELi64EEEvPT0_PKT_iiiPKbib.has_recursion, 0
	.set _ZN12_GLOBAL__N_120softmax_warp_forwardIN3c104HalfES2_fLi5ELb0ELb1ELi64EEEvPT0_PKT_iiiPKbib.has_indirect_call, 0
	.section	.AMDGPU.csdata,"",@progbits
; Kernel info:
; codeLenInByte = 1976
; TotalNumSgprs: 16
; NumVgprs: 20
; ScratchSize: 0
; MemoryBound: 0
; FloatMode: 240
; IeeeMode: 1
; LDSByteSize: 0 bytes/workgroup (compile time only)
; SGPRBlocks: 0
; VGPRBlocks: 2
; NumSGPRsForWavesPerEU: 16
; NumVGPRsForWavesPerEU: 20
; Occupancy: 16
; WaveLimiterHint : 0
; COMPUTE_PGM_RSRC2:SCRATCH_EN: 0
; COMPUTE_PGM_RSRC2:USER_SGPR: 6
; COMPUTE_PGM_RSRC2:TRAP_HANDLER: 0
; COMPUTE_PGM_RSRC2:TGID_X_EN: 1
; COMPUTE_PGM_RSRC2:TGID_Y_EN: 0
; COMPUTE_PGM_RSRC2:TGID_Z_EN: 0
; COMPUTE_PGM_RSRC2:TIDIG_COMP_CNT: 1
	.section	.text._ZN12_GLOBAL__N_120softmax_warp_forwardIN3c104HalfES2_fLi5ELb0ELb1ELi32EEEvPT0_PKT_iiiPKbib,"axG",@progbits,_ZN12_GLOBAL__N_120softmax_warp_forwardIN3c104HalfES2_fLi5ELb0ELb1ELi32EEEvPT0_PKT_iiiPKbib,comdat
	.globl	_ZN12_GLOBAL__N_120softmax_warp_forwardIN3c104HalfES2_fLi5ELb0ELb1ELi32EEEvPT0_PKT_iiiPKbib ; -- Begin function _ZN12_GLOBAL__N_120softmax_warp_forwardIN3c104HalfES2_fLi5ELb0ELb1ELi32EEEvPT0_PKT_iiiPKbib
	.p2align	8
	.type	_ZN12_GLOBAL__N_120softmax_warp_forwardIN3c104HalfES2_fLi5ELb0ELb1ELi32EEEvPT0_PKT_iiiPKbib,@function
_ZN12_GLOBAL__N_120softmax_warp_forwardIN3c104HalfES2_fLi5ELb0ELb1ELi32EEEvPT0_PKT_iiiPKbib: ; @_ZN12_GLOBAL__N_120softmax_warp_forwardIN3c104HalfES2_fLi5ELb0ELb1ELi32EEEvPT0_PKT_iiiPKbib
; %bb.0:
	s_clause 0x2
	s_load_dwordx2 s[8:9], s[4:5], 0x28
	s_load_dword s10, s[4:5], 0x3c
	s_load_dwordx4 s[0:3], s[4:5], 0x10
	s_waitcnt lgkmcnt(0)
	s_bitcmp1_b32 s9, 0
	s_cselect_b32 s7, -1, 0
	s_lshr_b32 s3, s10, 16
	s_and_b32 s3, s3, 0xffff
	s_bitcmp0_b32 s9, 0
	s_mul_i32 s6, s6, s3
	v_add_lshl_u32 v5, s6, v1, 1
	v_mul_lo_u32 v6, v5, s1
	v_add_nc_u32_e32 v1, v6, v0
	v_ashrrev_i32_e32 v2, 31, v1
	v_mov_b32_e32 v4, v2
	v_mov_b32_e32 v3, v1
	s_cbranch_scc1 .LBB731_2
; %bb.1:
	s_abs_i32 s3, s8
	v_sub_nc_u32_e32 v7, 0, v6
	v_cvt_f32_u32_e32 v3, s3
	s_sub_i32 s6, 0, s3
	v_max_i32_e32 v7, v6, v7
	v_rcp_iflag_f32_e32 v3, v3
	v_xor_b32_e32 v6, s8, v6
	v_ashrrev_i32_e32 v6, 31, v6
	v_mul_f32_e32 v3, 0x4f7ffffe, v3
	v_cvt_u32_f32_e32 v3, v3
	v_mul_lo_u32 v4, s6, v3
	v_mul_hi_u32 v4, v3, v4
	v_add_nc_u32_e32 v3, v3, v4
	v_mul_hi_u32 v3, v7, v3
	v_mul_lo_u32 v4, v3, s3
	v_sub_nc_u32_e32 v4, v7, v4
	v_add_nc_u32_e32 v7, 1, v3
	v_subrev_nc_u32_e32 v8, s3, v4
	v_cmp_le_u32_e32 vcc_lo, s3, v4
	v_cndmask_b32_e32 v3, v3, v7, vcc_lo
	v_cndmask_b32_e32 v4, v4, v8, vcc_lo
	v_add_nc_u32_e32 v7, 1, v3
	v_cmp_le_u32_e32 vcc_lo, s3, v4
	v_cndmask_b32_e32 v3, v3, v7, vcc_lo
	v_xor_b32_e32 v3, v3, v6
	v_sub_nc_u32_e32 v3, v3, v6
	v_mad_u64_u32 v[3:4], null, v3, s1, v[0:1]
	v_ashrrev_i32_e32 v4, 31, v3
.LBB731_2:
	s_load_dwordx4 s[8:11], s[4:5], 0x0
	v_lshlrev_b64 v[1:2], 1, v[1:2]
	v_sub_nc_u32_e32 v11, s0, v5
	v_cmp_gt_i32_e64 s0, s2, v0
	v_mov_b32_e32 v6, 0xff800000
	v_mov_b32_e32 v5, 0xff800000
	v_cmp_lt_i32_e32 vcc_lo, 0, v11
	s_waitcnt lgkmcnt(0)
	v_add_co_u32 v7, s1, s10, v1
	v_add_co_ci_u32_e64 v8, null, s11, v2, s1
	s_and_b32 s10, s0, vcc_lo
	s_and_saveexec_b32 s1, s10
	s_cbranch_execz .LBB731_4
; %bb.3:
	global_load_ushort v0, v[7:8], off
	s_waitcnt vmcnt(0)
	v_cvt_f32_f16_e32 v5, v0
.LBB731_4:
	s_or_b32 exec_lo, exec_lo, s1
	v_cmp_lt_i32_e64 s1, 1, v11
	s_and_b32 s6, s0, s1
	s_and_saveexec_b32 s11, s6
	s_cbranch_execz .LBB731_6
; %bb.5:
	s_mov_b32 s3, 0
	s_lshl_b64 s[12:13], s[2:3], 1
	v_add_co_u32 v6, s1, v7, s12
	v_add_co_ci_u32_e64 v7, null, s13, v8, s1
	global_load_ushort v0, v[6:7], off
	s_waitcnt vmcnt(0)
	v_cvt_f32_f16_e32 v6, v0
.LBB731_6:
	s_or_b32 exec_lo, exec_lo, s11
	s_load_dwordx2 s[4:5], s[4:5], 0x20
	v_mov_b32_e32 v7, 0xff800000
	s_waitcnt lgkmcnt(0)
	v_add_co_u32 v3, s1, s4, v3
	v_add_co_ci_u32_e64 v4, null, s5, v4, s1
	s_and_saveexec_b32 s3, s10
	s_cbranch_execz .LBB731_8
; %bb.7:
	global_load_ubyte v0, v[3:4], off
	s_waitcnt vmcnt(0)
	v_and_b32_e32 v0, 1, v0
	v_cmp_eq_u32_e64 s1, 1, v0
	v_cndmask_b32_e64 v7, v5, 0xff800000, s1
.LBB731_8:
	s_or_b32 exec_lo, exec_lo, s3
	s_xor_b32 s3, s10, -1
	s_mov_b32 s5, 0
	s_and_saveexec_b32 s4, s6
	s_cbranch_execz .LBB731_12
; %bb.9:
	s_and_b32 s1, s7, exec_lo
	s_cselect_b32 s1, 0, s2
	s_cselect_b32 s5, 0, 0
	v_add_co_u32 v8, s1, v3, s1
	v_add_co_ci_u32_e64 v9, null, s5, v4, s1
	s_mov_b32 s5, 0
	global_load_ubyte v0, v[8:9], off
	s_waitcnt vmcnt(0)
	v_and_b32_e32 v0, 1, v0
	v_cmp_eq_u32_e64 s1, 1, v0
	s_xor_b32 s10, s1, -1
	s_and_saveexec_b32 s1, s10
; %bb.10:
	s_mov_b32 s5, exec_lo
; %bb.11:
	s_or_b32 exec_lo, exec_lo, s1
	s_and_b32 s5, s5, exec_lo
.LBB731_12:
	s_or_b32 exec_lo, exec_lo, s4
	v_mbcnt_lo_u32_b32 v8, -1, 0
	v_cndmask_b32_e64 v9, 0xff800000, v6, s5
	v_xor_b32_e32 v0, 16, v8
	v_xor_b32_e32 v12, 8, v8
	v_cmp_gt_i32_e64 s1, 32, v0
	v_cndmask_b32_e64 v0, v8, v0, s1
	v_cmp_gt_i32_e64 s1, 32, v12
	v_lshlrev_b32_e32 v0, 2, v0
	v_cndmask_b32_e64 v12, v8, v12, s1
	ds_bpermute_b32 v10, v0, v7
	ds_bpermute_b32 v13, v0, v9
	v_lshlrev_b32_e32 v12, 2, v12
	s_waitcnt lgkmcnt(1)
	v_cmp_lt_f32_e64 s1, v7, v10
	v_cndmask_b32_e64 v7, v7, v10, s1
	s_waitcnt lgkmcnt(0)
	v_cmp_lt_f32_e64 s1, v9, v13
	ds_bpermute_b32 v10, v12, v7
	v_cndmask_b32_e64 v9, v9, v13, s1
	v_xor_b32_e32 v13, 4, v8
	ds_bpermute_b32 v14, v12, v9
	v_cmp_gt_i32_e64 s1, 32, v13
	v_cndmask_b32_e64 v13, v8, v13, s1
	v_lshlrev_b32_e32 v13, 2, v13
	s_waitcnt lgkmcnt(1)
	v_cmp_lt_f32_e64 s1, v7, v10
	v_cndmask_b32_e64 v7, v7, v10, s1
	s_waitcnt lgkmcnt(0)
	v_cmp_lt_f32_e64 s1, v9, v14
	ds_bpermute_b32 v10, v13, v7
	v_cndmask_b32_e64 v9, v9, v14, s1
	v_xor_b32_e32 v14, 2, v8
	ds_bpermute_b32 v15, v13, v9
	v_cmp_gt_i32_e64 s1, 32, v14
	v_cndmask_b32_e64 v14, v8, v14, s1
	;; [unrolled: 12-line block ×3, first 2 shown]
	v_lshlrev_b32_e32 v15, 2, v8
	s_waitcnt lgkmcnt(1)
	v_cmp_lt_f32_e64 s1, v7, v10
	v_cndmask_b32_e64 v18, v7, v10, s1
	s_waitcnt lgkmcnt(0)
	v_cmp_lt_f32_e64 s1, v9, v16
	ds_bpermute_b32 v19, v15, v18
	v_cndmask_b32_e64 v16, v9, v16, s1
                                        ; implicit-def: $vgpr9_vgpr10
	ds_bpermute_b32 v17, v15, v16
	s_and_saveexec_b32 s1, s3
	s_xor_b32 s1, exec_lo, s1
; %bb.13:
	v_mov_b32_e32 v5, 0
	v_mov_b32_e32 v10, v6
                                        ; implicit-def: $vgpr18
                                        ; implicit-def: $vgpr19
	v_mov_b32_e32 v9, v5
                                        ; implicit-def: $vgpr6
                                        ; implicit-def: $vgpr5
; %bb.14:
	s_or_saveexec_b32 s3, s1
	v_mov_b32_e32 v7, 0
	s_xor_b32 s4, s6, -1
	v_mov_b32_e32 v8, v7
	s_xor_b32 exec_lo, exec_lo, s3
	s_cbranch_execz .LBB731_20
; %bb.15:
	global_load_ubyte v8, v[3:4], off
	s_waitcnt vmcnt(0)
	v_and_b32_e32 v9, 1, v8
	v_mov_b32_e32 v8, v6
	v_cmp_eq_u32_e64 s1, 1, v9
	v_mov_b32_e32 v10, v8
	v_mov_b32_e32 v9, v7
	s_xor_b32 s1, s1, -1
	s_and_saveexec_b32 s5, s1
	s_xor_b32 s5, exec_lo, s5
	s_cbranch_execz .LBB731_17
; %bb.16:
	s_waitcnt lgkmcnt(1)
	v_cmp_lt_f32_e64 s1, v18, v19
	v_cndmask_b32_e64 v8, v18, v19, s1
	v_mov_b32_e32 v19, v7
	v_sub_f32_e32 v5, v5, v8
	v_mul_f32_e32 v8, 0x3fb8aa3b, v5
	v_cmp_ngt_f32_e64 s1, 0xc2ce8ed0, v5
	v_fma_f32 v9, 0x3fb8aa3b, v5, -v8
	v_rndne_f32_e32 v10, v8
	v_fmamk_f32 v9, v5, 0x32a5705f, v9
	v_sub_f32_e32 v8, v8, v10
	v_add_f32_e32 v8, v8, v9
	v_cvt_i32_f32_e32 v9, v10
	v_exp_f32_e32 v8, v8
	v_ldexp_f32 v8, v8, v9
	v_cndmask_b32_e64 v8, 0, v8, s1
	v_cmp_nlt_f32_e64 s1, 0x42b17218, v5
	v_cndmask_b32_e64 v5, 0x7f800000, v8, s1
	v_mov_b32_e32 v10, v6
	v_mov_b32_e32 v18, v5
	;; [unrolled: 1-line block ×5, first 2 shown]
.LBB731_17:
	s_andn2_saveexec_b32 s1, s5
; %bb.18:
	v_mov_b32_e32 v7, 0
	v_mov_b32_e32 v8, v7
; %bb.19:
	s_or_b32 exec_lo, exec_lo, s1
.LBB731_20:
	s_or_b32 exec_lo, exec_lo, s3
                                        ; implicit-def: $vgpr5_vgpr6
	s_and_saveexec_b32 s1, s4
	s_xor_b32 s1, exec_lo, s1
	s_cbranch_execz .LBB731_22
; %bb.21:
	v_mov_b32_e32 v10, 0
	v_mov_b32_e32 v5, v9
                                        ; implicit-def: $vgpr3
                                        ; implicit-def: $vgpr16
                                        ; implicit-def: $vgpr17
	v_mov_b32_e32 v6, v10
                                        ; implicit-def: $vgpr9_vgpr10
	s_andn2_saveexec_b32 s3, s1
	s_cbranch_execz .LBB731_26
	s_branch .LBB731_23
.LBB731_22:
	s_andn2_saveexec_b32 s3, s1
	s_cbranch_execz .LBB731_26
.LBB731_23:
	s_and_b32 s1, s7, exec_lo
	s_cselect_b32 s1, 0, s2
	s_cselect_b32 s4, 0, 0
	v_add_co_u32 v3, s1, v3, s1
	v_add_co_ci_u32_e64 v4, null, s4, v4, s1
	v_mov_b32_e32 v6, 0
	v_mov_b32_e32 v5, v9
	global_load_ubyte v3, v[3:4], off
	s_waitcnt vmcnt(0)
	v_and_b32_e32 v3, 1, v3
	v_cmp_eq_u32_e64 s1, 1, v3
	s_xor_b32 s1, s1, -1
	s_and_saveexec_b32 s4, s1
	s_xor_b32 s4, exec_lo, s4
	s_cbranch_execz .LBB731_25
; %bb.24:
	s_waitcnt lgkmcnt(0)
	v_cmp_lt_f32_e64 s1, v16, v17
	v_cndmask_b32_e64 v3, v16, v17, s1
	v_sub_f32_e32 v3, v10, v3
	v_mul_f32_e32 v4, 0x3fb8aa3b, v3
	v_cmp_ngt_f32_e64 s1, 0xc2ce8ed0, v3
	v_fma_f32 v5, 0x3fb8aa3b, v3, -v4
	v_rndne_f32_e32 v6, v4
	v_fmamk_f32 v5, v3, 0x32a5705f, v5
	v_sub_f32_e32 v4, v4, v6
	v_add_f32_e32 v4, v4, v5
	v_cvt_i32_f32_e32 v5, v6
	v_exp_f32_e32 v4, v4
	v_ldexp_f32 v4, v4, v5
	v_cndmask_b32_e64 v4, 0, v4, s1
	v_cmp_nlt_f32_e64 s1, 0x42b17218, v3
	v_cndmask_b32_e64 v10, 0x7f800000, v4, s1
	v_mov_b32_e32 v5, v9
	v_add_f32_e32 v8, v8, v10
	v_mov_b32_e32 v6, v10
.LBB731_25:
	s_andn2_saveexec_b32 s1, s4
	s_or_b32 exec_lo, exec_lo, s1
.LBB731_26:
	s_or_b32 exec_lo, exec_lo, s3
	ds_bpermute_b32 v3, v0, v7
	ds_bpermute_b32 v0, v0, v8
	s_waitcnt lgkmcnt(1)
	v_add_f32_e32 v3, v7, v3
	s_waitcnt lgkmcnt(0)
	v_add_f32_e32 v0, v8, v0
	ds_bpermute_b32 v4, v12, v3
	ds_bpermute_b32 v7, v12, v0
	s_waitcnt lgkmcnt(1)
	v_add_f32_e32 v3, v3, v4
	s_waitcnt lgkmcnt(0)
	v_add_f32_e32 v0, v0, v7
	;; [unrolled: 6-line block ×4, first 2 shown]
	ds_bpermute_b32 v8, v15, v7
	ds_bpermute_b32 v4, v15, v3
	s_and_saveexec_b32 s1, vcc_lo
	s_cbranch_execz .LBB731_37
; %bb.27:
	v_add_co_u32 v0, vcc_lo, s8, v1
	v_add_co_ci_u32_e64 v1, null, s9, v2, vcc_lo
	s_and_saveexec_b32 s1, s0
	s_cbranch_execz .LBB731_32
; %bb.28:
	s_waitcnt lgkmcnt(1)
	v_add_f32_e32 v2, v7, v8
	s_mov_b32 s3, exec_lo
	v_cmpx_neq_f32_e32 0, v2
	s_xor_b32 s3, exec_lo, s3
	s_cbranch_execz .LBB731_30
; %bb.29:
	v_div_scale_f32 v7, null, v2, v2, v5
	v_rcp_f32_e32 v8, v7
	v_fma_f32 v9, -v7, v8, 1.0
	v_fmac_f32_e32 v8, v9, v8
	v_div_scale_f32 v9, vcc_lo, v5, v2, v5
	v_mul_f32_e32 v10, v9, v8
	v_fma_f32 v12, -v7, v10, v9
	v_fmac_f32_e32 v10, v12, v8
	v_fma_f32 v7, -v7, v10, v9
	v_div_fmas_f32 v7, v7, v8, v10
	v_div_fixup_f32 v2, v7, v2, v5
	v_cvt_f16_f32_e32 v2, v2
	global_store_short v[0:1], v2, off
.LBB731_30:
	s_andn2_saveexec_b32 s3, s3
	s_cbranch_execz .LBB731_32
; %bb.31:
	v_mov_b32_e32 v2, 0x7e00
	global_store_short v[0:1], v2, off
.LBB731_32:
	s_or_b32 exec_lo, exec_lo, s1
	v_cmp_ne_u32_e32 vcc_lo, 1, v11
	s_and_b32 s0, vcc_lo, s0
	s_and_b32 exec_lo, exec_lo, s0
	s_cbranch_execz .LBB731_37
; %bb.33:
	s_mov_b32 s3, 0
	s_waitcnt lgkmcnt(0)
	v_add_f32_e32 v2, v3, v4
	s_lshl_b64 s[0:1], s[2:3], 1
	v_add_co_u32 v0, s0, v0, s0
	v_add_co_ci_u32_e64 v1, null, s1, v1, s0
	s_mov_b32 s0, exec_lo
	v_cmpx_neq_f32_e32 0, v2
	s_xor_b32 s0, exec_lo, s0
	s_cbranch_execz .LBB731_35
; %bb.34:
	v_div_scale_f32 v3, null, v2, v2, v6
	v_rcp_f32_e32 v4, v3
	v_fma_f32 v5, -v3, v4, 1.0
	v_fmac_f32_e32 v4, v5, v4
	v_div_scale_f32 v5, vcc_lo, v6, v2, v6
	v_mul_f32_e32 v7, v5, v4
	v_fma_f32 v8, -v3, v7, v5
	v_fmac_f32_e32 v7, v8, v4
	v_fma_f32 v3, -v3, v7, v5
	v_div_fmas_f32 v3, v3, v4, v7
	v_div_fixup_f32 v2, v3, v2, v6
	v_cvt_f16_f32_e32 v2, v2
	global_store_short v[0:1], v2, off
                                        ; implicit-def: $vgpr0_vgpr1
.LBB731_35:
	s_andn2_saveexec_b32 s0, s0
	s_cbranch_execz .LBB731_37
; %bb.36:
	v_mov_b32_e32 v2, 0x7e00
	global_store_short v[0:1], v2, off
.LBB731_37:
	s_endpgm
	.section	.rodata,"a",@progbits
	.p2align	6, 0x0
	.amdhsa_kernel _ZN12_GLOBAL__N_120softmax_warp_forwardIN3c104HalfES2_fLi5ELb0ELb1ELi32EEEvPT0_PKT_iiiPKbib
		.amdhsa_group_segment_fixed_size 0
		.amdhsa_private_segment_fixed_size 0
		.amdhsa_kernarg_size 304
		.amdhsa_user_sgpr_count 6
		.amdhsa_user_sgpr_private_segment_buffer 1
		.amdhsa_user_sgpr_dispatch_ptr 0
		.amdhsa_user_sgpr_queue_ptr 0
		.amdhsa_user_sgpr_kernarg_segment_ptr 1
		.amdhsa_user_sgpr_dispatch_id 0
		.amdhsa_user_sgpr_flat_scratch_init 0
		.amdhsa_user_sgpr_private_segment_size 0
		.amdhsa_wavefront_size32 1
		.amdhsa_uses_dynamic_stack 0
		.amdhsa_system_sgpr_private_segment_wavefront_offset 0
		.amdhsa_system_sgpr_workgroup_id_x 1
		.amdhsa_system_sgpr_workgroup_id_y 0
		.amdhsa_system_sgpr_workgroup_id_z 0
		.amdhsa_system_sgpr_workgroup_info 0
		.amdhsa_system_vgpr_workitem_id 1
		.amdhsa_next_free_vgpr 20
		.amdhsa_next_free_sgpr 14
		.amdhsa_reserve_vcc 1
		.amdhsa_reserve_flat_scratch 0
		.amdhsa_float_round_mode_32 0
		.amdhsa_float_round_mode_16_64 0
		.amdhsa_float_denorm_mode_32 3
		.amdhsa_float_denorm_mode_16_64 3
		.amdhsa_dx10_clamp 1
		.amdhsa_ieee_mode 1
		.amdhsa_fp16_overflow 0
		.amdhsa_workgroup_processor_mode 1
		.amdhsa_memory_ordered 1
		.amdhsa_forward_progress 1
		.amdhsa_shared_vgpr_count 0
		.amdhsa_exception_fp_ieee_invalid_op 0
		.amdhsa_exception_fp_denorm_src 0
		.amdhsa_exception_fp_ieee_div_zero 0
		.amdhsa_exception_fp_ieee_overflow 0
		.amdhsa_exception_fp_ieee_underflow 0
		.amdhsa_exception_fp_ieee_inexact 0
		.amdhsa_exception_int_div_zero 0
	.end_amdhsa_kernel
	.section	.text._ZN12_GLOBAL__N_120softmax_warp_forwardIN3c104HalfES2_fLi5ELb0ELb1ELi32EEEvPT0_PKT_iiiPKbib,"axG",@progbits,_ZN12_GLOBAL__N_120softmax_warp_forwardIN3c104HalfES2_fLi5ELb0ELb1ELi32EEEvPT0_PKT_iiiPKbib,comdat
.Lfunc_end731:
	.size	_ZN12_GLOBAL__N_120softmax_warp_forwardIN3c104HalfES2_fLi5ELb0ELb1ELi32EEEvPT0_PKT_iiiPKbib, .Lfunc_end731-_ZN12_GLOBAL__N_120softmax_warp_forwardIN3c104HalfES2_fLi5ELb0ELb1ELi32EEEvPT0_PKT_iiiPKbib
                                        ; -- End function
	.set _ZN12_GLOBAL__N_120softmax_warp_forwardIN3c104HalfES2_fLi5ELb0ELb1ELi32EEEvPT0_PKT_iiiPKbib.num_vgpr, 20
	.set _ZN12_GLOBAL__N_120softmax_warp_forwardIN3c104HalfES2_fLi5ELb0ELb1ELi32EEEvPT0_PKT_iiiPKbib.num_agpr, 0
	.set _ZN12_GLOBAL__N_120softmax_warp_forwardIN3c104HalfES2_fLi5ELb0ELb1ELi32EEEvPT0_PKT_iiiPKbib.numbered_sgpr, 14
	.set _ZN12_GLOBAL__N_120softmax_warp_forwardIN3c104HalfES2_fLi5ELb0ELb1ELi32EEEvPT0_PKT_iiiPKbib.num_named_barrier, 0
	.set _ZN12_GLOBAL__N_120softmax_warp_forwardIN3c104HalfES2_fLi5ELb0ELb1ELi32EEEvPT0_PKT_iiiPKbib.private_seg_size, 0
	.set _ZN12_GLOBAL__N_120softmax_warp_forwardIN3c104HalfES2_fLi5ELb0ELb1ELi32EEEvPT0_PKT_iiiPKbib.uses_vcc, 1
	.set _ZN12_GLOBAL__N_120softmax_warp_forwardIN3c104HalfES2_fLi5ELb0ELb1ELi32EEEvPT0_PKT_iiiPKbib.uses_flat_scratch, 0
	.set _ZN12_GLOBAL__N_120softmax_warp_forwardIN3c104HalfES2_fLi5ELb0ELb1ELi32EEEvPT0_PKT_iiiPKbib.has_dyn_sized_stack, 0
	.set _ZN12_GLOBAL__N_120softmax_warp_forwardIN3c104HalfES2_fLi5ELb0ELb1ELi32EEEvPT0_PKT_iiiPKbib.has_recursion, 0
	.set _ZN12_GLOBAL__N_120softmax_warp_forwardIN3c104HalfES2_fLi5ELb0ELb1ELi32EEEvPT0_PKT_iiiPKbib.has_indirect_call, 0
	.section	.AMDGPU.csdata,"",@progbits
; Kernel info:
; codeLenInByte = 1976
; TotalNumSgprs: 16
; NumVgprs: 20
; ScratchSize: 0
; MemoryBound: 0
; FloatMode: 240
; IeeeMode: 1
; LDSByteSize: 0 bytes/workgroup (compile time only)
; SGPRBlocks: 0
; VGPRBlocks: 2
; NumSGPRsForWavesPerEU: 16
; NumVGPRsForWavesPerEU: 20
; Occupancy: 16
; WaveLimiterHint : 0
; COMPUTE_PGM_RSRC2:SCRATCH_EN: 0
; COMPUTE_PGM_RSRC2:USER_SGPR: 6
; COMPUTE_PGM_RSRC2:TRAP_HANDLER: 0
; COMPUTE_PGM_RSRC2:TGID_X_EN: 1
; COMPUTE_PGM_RSRC2:TGID_Y_EN: 0
; COMPUTE_PGM_RSRC2:TGID_Z_EN: 0
; COMPUTE_PGM_RSRC2:TIDIG_COMP_CNT: 1
	.section	.text._ZN12_GLOBAL__N_120softmax_warp_forwardIN3c104HalfES2_fLi6ELb0ELb1ELi64EEEvPT0_PKT_iiiPKbib,"axG",@progbits,_ZN12_GLOBAL__N_120softmax_warp_forwardIN3c104HalfES2_fLi6ELb0ELb1ELi64EEEvPT0_PKT_iiiPKbib,comdat
	.globl	_ZN12_GLOBAL__N_120softmax_warp_forwardIN3c104HalfES2_fLi6ELb0ELb1ELi64EEEvPT0_PKT_iiiPKbib ; -- Begin function _ZN12_GLOBAL__N_120softmax_warp_forwardIN3c104HalfES2_fLi6ELb0ELb1ELi64EEEvPT0_PKT_iiiPKbib
	.p2align	8
	.type	_ZN12_GLOBAL__N_120softmax_warp_forwardIN3c104HalfES2_fLi6ELb0ELb1ELi64EEEvPT0_PKT_iiiPKbib,@function
_ZN12_GLOBAL__N_120softmax_warp_forwardIN3c104HalfES2_fLi6ELb0ELb1ELi64EEEvPT0_PKT_iiiPKbib: ; @_ZN12_GLOBAL__N_120softmax_warp_forwardIN3c104HalfES2_fLi6ELb0ELb1ELi64EEEvPT0_PKT_iiiPKbib
; %bb.0:
	s_clause 0x2
	s_load_dwordx2 s[8:9], s[4:5], 0x28
	s_load_dword s10, s[4:5], 0x3c
	s_load_dwordx4 s[0:3], s[4:5], 0x10
	s_waitcnt lgkmcnt(0)
	s_bitcmp1_b32 s9, 0
	s_cselect_b32 s7, -1, 0
	s_lshr_b32 s3, s10, 16
	s_and_b32 s3, s3, 0xffff
	s_bitcmp0_b32 s9, 0
	s_mul_i32 s6, s6, s3
	v_add_lshl_u32 v5, s6, v1, 1
	v_mul_lo_u32 v6, v5, s1
	v_add_nc_u32_e32 v1, v6, v0
	v_ashrrev_i32_e32 v2, 31, v1
	v_mov_b32_e32 v4, v2
	v_mov_b32_e32 v3, v1
	s_cbranch_scc1 .LBB732_2
; %bb.1:
	s_abs_i32 s3, s8
	v_sub_nc_u32_e32 v7, 0, v6
	v_cvt_f32_u32_e32 v3, s3
	s_sub_i32 s6, 0, s3
	v_max_i32_e32 v7, v6, v7
	v_rcp_iflag_f32_e32 v3, v3
	v_xor_b32_e32 v6, s8, v6
	v_ashrrev_i32_e32 v6, 31, v6
	v_mul_f32_e32 v3, 0x4f7ffffe, v3
	v_cvt_u32_f32_e32 v3, v3
	v_mul_lo_u32 v4, s6, v3
	v_mul_hi_u32 v4, v3, v4
	v_add_nc_u32_e32 v3, v3, v4
	v_mul_hi_u32 v3, v7, v3
	v_mul_lo_u32 v4, v3, s3
	v_sub_nc_u32_e32 v4, v7, v4
	v_add_nc_u32_e32 v7, 1, v3
	v_subrev_nc_u32_e32 v8, s3, v4
	v_cmp_le_u32_e32 vcc_lo, s3, v4
	v_cndmask_b32_e32 v3, v3, v7, vcc_lo
	v_cndmask_b32_e32 v4, v4, v8, vcc_lo
	v_add_nc_u32_e32 v7, 1, v3
	v_cmp_le_u32_e32 vcc_lo, s3, v4
	v_cndmask_b32_e32 v3, v3, v7, vcc_lo
	v_xor_b32_e32 v3, v3, v6
	v_sub_nc_u32_e32 v3, v3, v6
	v_mad_u64_u32 v[3:4], null, v3, s1, v[0:1]
	v_ashrrev_i32_e32 v4, 31, v3
.LBB732_2:
	s_load_dwordx4 s[8:11], s[4:5], 0x0
	v_lshlrev_b64 v[1:2], 1, v[1:2]
	v_sub_nc_u32_e32 v11, s0, v5
	v_cmp_gt_i32_e64 s0, s2, v0
	v_mov_b32_e32 v6, 0xff800000
	v_mov_b32_e32 v5, 0xff800000
	v_cmp_lt_i32_e32 vcc_lo, 0, v11
	s_waitcnt lgkmcnt(0)
	v_add_co_u32 v7, s1, s10, v1
	v_add_co_ci_u32_e64 v8, null, s11, v2, s1
	s_and_b32 s10, s0, vcc_lo
	s_and_saveexec_b32 s1, s10
	s_cbranch_execz .LBB732_4
; %bb.3:
	global_load_ushort v0, v[7:8], off
	s_waitcnt vmcnt(0)
	v_cvt_f32_f16_e32 v5, v0
.LBB732_4:
	s_or_b32 exec_lo, exec_lo, s1
	v_cmp_lt_i32_e64 s1, 1, v11
	s_and_b32 s6, s0, s1
	s_and_saveexec_b32 s11, s6
	s_cbranch_execz .LBB732_6
; %bb.5:
	s_mov_b32 s3, 0
	s_lshl_b64 s[12:13], s[2:3], 1
	v_add_co_u32 v6, s1, v7, s12
	v_add_co_ci_u32_e64 v7, null, s13, v8, s1
	global_load_ushort v0, v[6:7], off
	s_waitcnt vmcnt(0)
	v_cvt_f32_f16_e32 v6, v0
.LBB732_6:
	s_or_b32 exec_lo, exec_lo, s11
	s_load_dwordx2 s[4:5], s[4:5], 0x20
	v_mov_b32_e32 v7, 0xff800000
	s_waitcnt lgkmcnt(0)
	v_add_co_u32 v3, s1, s4, v3
	v_add_co_ci_u32_e64 v4, null, s5, v4, s1
	s_and_saveexec_b32 s3, s10
	s_cbranch_execz .LBB732_8
; %bb.7:
	global_load_ubyte v0, v[3:4], off
	s_waitcnt vmcnt(0)
	v_and_b32_e32 v0, 1, v0
	v_cmp_eq_u32_e64 s1, 1, v0
	v_cndmask_b32_e64 v7, v5, 0xff800000, s1
.LBB732_8:
	s_or_b32 exec_lo, exec_lo, s3
	s_xor_b32 s3, s10, -1
	s_mov_b32 s5, 0
	s_and_saveexec_b32 s4, s6
	s_cbranch_execz .LBB732_12
; %bb.9:
	s_and_b32 s1, s7, exec_lo
	s_cselect_b32 s1, 0, s2
	s_cselect_b32 s5, 0, 0
	v_add_co_u32 v8, s1, v3, s1
	v_add_co_ci_u32_e64 v9, null, s5, v4, s1
	s_mov_b32 s5, 0
	global_load_ubyte v0, v[8:9], off
	s_waitcnt vmcnt(0)
	v_and_b32_e32 v0, 1, v0
	v_cmp_eq_u32_e64 s1, 1, v0
	s_xor_b32 s10, s1, -1
	s_and_saveexec_b32 s1, s10
; %bb.10:
	s_mov_b32 s5, exec_lo
; %bb.11:
	s_or_b32 exec_lo, exec_lo, s1
	s_and_b32 s5, s5, exec_lo
.LBB732_12:
	s_or_b32 exec_lo, exec_lo, s4
	v_mbcnt_lo_u32_b32 v8, -1, 0
	v_cndmask_b32_e64 v9, 0xff800000, v6, s5
	v_or_b32_e32 v0, 32, v8
	v_xor_b32_e32 v12, 16, v8
	v_cmp_gt_i32_e64 s1, 64, v0
	v_cndmask_b32_e64 v0, v8, v0, s1
	v_cmp_gt_i32_e64 s1, 64, v12
	v_lshlrev_b32_e32 v0, 2, v0
	v_cndmask_b32_e64 v12, v8, v12, s1
	ds_bpermute_b32 v10, v0, v7
	ds_bpermute_b32 v13, v0, v9
	v_lshlrev_b32_e32 v12, 2, v12
	s_waitcnt lgkmcnt(1)
	v_cmp_lt_f32_e64 s1, v7, v10
	v_cndmask_b32_e64 v7, v7, v10, s1
	s_waitcnt lgkmcnt(0)
	v_cmp_lt_f32_e64 s1, v9, v13
	ds_bpermute_b32 v10, v12, v7
	v_cndmask_b32_e64 v9, v9, v13, s1
	v_xor_b32_e32 v13, 8, v8
	ds_bpermute_b32 v14, v12, v9
	v_cmp_gt_i32_e64 s1, 64, v13
	v_cndmask_b32_e64 v13, v8, v13, s1
	v_lshlrev_b32_e32 v13, 2, v13
	s_waitcnt lgkmcnt(1)
	v_cmp_lt_f32_e64 s1, v7, v10
	v_cndmask_b32_e64 v7, v7, v10, s1
	s_waitcnt lgkmcnt(0)
	v_cmp_lt_f32_e64 s1, v9, v14
	ds_bpermute_b32 v10, v13, v7
	v_cndmask_b32_e64 v9, v9, v14, s1
	v_xor_b32_e32 v14, 4, v8
	ds_bpermute_b32 v15, v13, v9
	v_cmp_gt_i32_e64 s1, 64, v14
	v_cndmask_b32_e64 v14, v8, v14, s1
	;; [unrolled: 12-line block ×4, first 2 shown]
	v_lshlrev_b32_e32 v16, 2, v8
	s_waitcnt lgkmcnt(1)
	v_cmp_lt_f32_e64 s1, v7, v10
	v_cndmask_b32_e64 v19, v7, v10, s1
	s_waitcnt lgkmcnt(0)
	v_cmp_lt_f32_e64 s1, v9, v17
	ds_bpermute_b32 v20, v16, v19
	v_cndmask_b32_e64 v17, v9, v17, s1
                                        ; implicit-def: $vgpr9_vgpr10
	ds_bpermute_b32 v18, v16, v17
	s_and_saveexec_b32 s1, s3
	s_xor_b32 s1, exec_lo, s1
; %bb.13:
	v_mov_b32_e32 v5, 0
	v_mov_b32_e32 v10, v6
                                        ; implicit-def: $vgpr19
                                        ; implicit-def: $vgpr20
	v_mov_b32_e32 v9, v5
                                        ; implicit-def: $vgpr6
                                        ; implicit-def: $vgpr5
; %bb.14:
	s_or_saveexec_b32 s3, s1
	v_mov_b32_e32 v7, 0
	s_xor_b32 s4, s6, -1
	v_mov_b32_e32 v8, v7
	s_xor_b32 exec_lo, exec_lo, s3
	s_cbranch_execz .LBB732_20
; %bb.15:
	global_load_ubyte v8, v[3:4], off
	s_waitcnt vmcnt(0)
	v_and_b32_e32 v9, 1, v8
	v_mov_b32_e32 v8, v6
	v_cmp_eq_u32_e64 s1, 1, v9
	v_mov_b32_e32 v10, v8
	v_mov_b32_e32 v9, v7
	s_xor_b32 s1, s1, -1
	s_and_saveexec_b32 s5, s1
	s_xor_b32 s5, exec_lo, s5
	s_cbranch_execz .LBB732_17
; %bb.16:
	s_waitcnt lgkmcnt(1)
	v_cmp_lt_f32_e64 s1, v19, v20
	v_cndmask_b32_e64 v8, v19, v20, s1
	v_mov_b32_e32 v20, v7
	v_sub_f32_e32 v5, v5, v8
	v_mul_f32_e32 v8, 0x3fb8aa3b, v5
	v_cmp_ngt_f32_e64 s1, 0xc2ce8ed0, v5
	v_fma_f32 v9, 0x3fb8aa3b, v5, -v8
	v_rndne_f32_e32 v10, v8
	v_fmamk_f32 v9, v5, 0x32a5705f, v9
	v_sub_f32_e32 v8, v8, v10
	v_add_f32_e32 v8, v8, v9
	v_cvt_i32_f32_e32 v9, v10
	v_exp_f32_e32 v8, v8
	v_ldexp_f32 v8, v8, v9
	v_cndmask_b32_e64 v8, 0, v8, s1
	v_cmp_nlt_f32_e64 s1, 0x42b17218, v5
	v_cndmask_b32_e64 v5, 0x7f800000, v8, s1
	v_mov_b32_e32 v10, v6
	v_mov_b32_e32 v19, v5
	;; [unrolled: 1-line block ×5, first 2 shown]
.LBB732_17:
	s_andn2_saveexec_b32 s1, s5
; %bb.18:
	v_mov_b32_e32 v7, 0
	v_mov_b32_e32 v8, v7
; %bb.19:
	s_or_b32 exec_lo, exec_lo, s1
.LBB732_20:
	s_or_b32 exec_lo, exec_lo, s3
                                        ; implicit-def: $vgpr5_vgpr6
	s_and_saveexec_b32 s1, s4
	s_xor_b32 s1, exec_lo, s1
	s_cbranch_execz .LBB732_22
; %bb.21:
	v_mov_b32_e32 v10, 0
	v_mov_b32_e32 v5, v9
                                        ; implicit-def: $vgpr3
                                        ; implicit-def: $vgpr17
                                        ; implicit-def: $vgpr18
	v_mov_b32_e32 v6, v10
                                        ; implicit-def: $vgpr9_vgpr10
	s_andn2_saveexec_b32 s3, s1
	s_cbranch_execz .LBB732_26
	s_branch .LBB732_23
.LBB732_22:
	s_andn2_saveexec_b32 s3, s1
	s_cbranch_execz .LBB732_26
.LBB732_23:
	s_and_b32 s1, s7, exec_lo
	s_cselect_b32 s1, 0, s2
	s_cselect_b32 s4, 0, 0
	v_add_co_u32 v3, s1, v3, s1
	v_add_co_ci_u32_e64 v4, null, s4, v4, s1
	v_mov_b32_e32 v6, 0
	v_mov_b32_e32 v5, v9
	global_load_ubyte v3, v[3:4], off
	s_waitcnt vmcnt(0)
	v_and_b32_e32 v3, 1, v3
	v_cmp_eq_u32_e64 s1, 1, v3
	s_xor_b32 s1, s1, -1
	s_and_saveexec_b32 s4, s1
	s_xor_b32 s4, exec_lo, s4
	s_cbranch_execz .LBB732_25
; %bb.24:
	s_waitcnt lgkmcnt(0)
	v_cmp_lt_f32_e64 s1, v17, v18
	v_cndmask_b32_e64 v3, v17, v18, s1
	v_sub_f32_e32 v3, v10, v3
	v_mul_f32_e32 v4, 0x3fb8aa3b, v3
	v_cmp_ngt_f32_e64 s1, 0xc2ce8ed0, v3
	v_fma_f32 v5, 0x3fb8aa3b, v3, -v4
	v_rndne_f32_e32 v6, v4
	v_fmamk_f32 v5, v3, 0x32a5705f, v5
	v_sub_f32_e32 v4, v4, v6
	v_add_f32_e32 v4, v4, v5
	v_cvt_i32_f32_e32 v5, v6
	v_exp_f32_e32 v4, v4
	v_ldexp_f32 v4, v4, v5
	v_cndmask_b32_e64 v4, 0, v4, s1
	v_cmp_nlt_f32_e64 s1, 0x42b17218, v3
	v_cndmask_b32_e64 v10, 0x7f800000, v4, s1
	v_mov_b32_e32 v5, v9
	v_add_f32_e32 v8, v8, v10
	v_mov_b32_e32 v6, v10
.LBB732_25:
	s_andn2_saveexec_b32 s1, s4
	s_or_b32 exec_lo, exec_lo, s1
.LBB732_26:
	s_or_b32 exec_lo, exec_lo, s3
	ds_bpermute_b32 v3, v0, v7
	ds_bpermute_b32 v0, v0, v8
	s_waitcnt lgkmcnt(1)
	v_add_f32_e32 v3, v7, v3
	s_waitcnt lgkmcnt(0)
	v_add_f32_e32 v0, v8, v0
	ds_bpermute_b32 v4, v12, v3
	ds_bpermute_b32 v7, v12, v0
	s_waitcnt lgkmcnt(1)
	v_add_f32_e32 v3, v3, v4
	s_waitcnt lgkmcnt(0)
	v_add_f32_e32 v0, v0, v7
	;; [unrolled: 6-line block ×5, first 2 shown]
	ds_bpermute_b32 v8, v16, v7
	ds_bpermute_b32 v4, v16, v3
	s_and_saveexec_b32 s1, vcc_lo
	s_cbranch_execz .LBB732_37
; %bb.27:
	v_add_co_u32 v0, vcc_lo, s8, v1
	v_add_co_ci_u32_e64 v1, null, s9, v2, vcc_lo
	s_and_saveexec_b32 s1, s0
	s_cbranch_execz .LBB732_32
; %bb.28:
	s_waitcnt lgkmcnt(1)
	v_add_f32_e32 v2, v7, v8
	s_mov_b32 s3, exec_lo
	v_cmpx_neq_f32_e32 0, v2
	s_xor_b32 s3, exec_lo, s3
	s_cbranch_execz .LBB732_30
; %bb.29:
	v_div_scale_f32 v7, null, v2, v2, v5
	v_rcp_f32_e32 v8, v7
	v_fma_f32 v9, -v7, v8, 1.0
	v_fmac_f32_e32 v8, v9, v8
	v_div_scale_f32 v9, vcc_lo, v5, v2, v5
	v_mul_f32_e32 v10, v9, v8
	v_fma_f32 v12, -v7, v10, v9
	v_fmac_f32_e32 v10, v12, v8
	v_fma_f32 v7, -v7, v10, v9
	v_div_fmas_f32 v7, v7, v8, v10
	v_div_fixup_f32 v2, v7, v2, v5
	v_cvt_f16_f32_e32 v2, v2
	global_store_short v[0:1], v2, off
.LBB732_30:
	s_andn2_saveexec_b32 s3, s3
	s_cbranch_execz .LBB732_32
; %bb.31:
	v_mov_b32_e32 v2, 0x7e00
	global_store_short v[0:1], v2, off
.LBB732_32:
	s_or_b32 exec_lo, exec_lo, s1
	v_cmp_ne_u32_e32 vcc_lo, 1, v11
	s_and_b32 s0, vcc_lo, s0
	s_and_b32 exec_lo, exec_lo, s0
	s_cbranch_execz .LBB732_37
; %bb.33:
	s_mov_b32 s3, 0
	s_waitcnt lgkmcnt(0)
	v_add_f32_e32 v2, v3, v4
	s_lshl_b64 s[0:1], s[2:3], 1
	v_add_co_u32 v0, s0, v0, s0
	v_add_co_ci_u32_e64 v1, null, s1, v1, s0
	s_mov_b32 s0, exec_lo
	v_cmpx_neq_f32_e32 0, v2
	s_xor_b32 s0, exec_lo, s0
	s_cbranch_execz .LBB732_35
; %bb.34:
	v_div_scale_f32 v3, null, v2, v2, v6
	v_rcp_f32_e32 v4, v3
	v_fma_f32 v5, -v3, v4, 1.0
	v_fmac_f32_e32 v4, v5, v4
	v_div_scale_f32 v5, vcc_lo, v6, v2, v6
	v_mul_f32_e32 v7, v5, v4
	v_fma_f32 v8, -v3, v7, v5
	v_fmac_f32_e32 v7, v8, v4
	v_fma_f32 v3, -v3, v7, v5
	v_div_fmas_f32 v3, v3, v4, v7
	v_div_fixup_f32 v2, v3, v2, v6
	v_cvt_f16_f32_e32 v2, v2
	global_store_short v[0:1], v2, off
                                        ; implicit-def: $vgpr0_vgpr1
.LBB732_35:
	s_andn2_saveexec_b32 s0, s0
	s_cbranch_execz .LBB732_37
; %bb.36:
	v_mov_b32_e32 v2, 0x7e00
	global_store_short v[0:1], v2, off
.LBB732_37:
	s_endpgm
	.section	.rodata,"a",@progbits
	.p2align	6, 0x0
	.amdhsa_kernel _ZN12_GLOBAL__N_120softmax_warp_forwardIN3c104HalfES2_fLi6ELb0ELb1ELi64EEEvPT0_PKT_iiiPKbib
		.amdhsa_group_segment_fixed_size 0
		.amdhsa_private_segment_fixed_size 0
		.amdhsa_kernarg_size 304
		.amdhsa_user_sgpr_count 6
		.amdhsa_user_sgpr_private_segment_buffer 1
		.amdhsa_user_sgpr_dispatch_ptr 0
		.amdhsa_user_sgpr_queue_ptr 0
		.amdhsa_user_sgpr_kernarg_segment_ptr 1
		.amdhsa_user_sgpr_dispatch_id 0
		.amdhsa_user_sgpr_flat_scratch_init 0
		.amdhsa_user_sgpr_private_segment_size 0
		.amdhsa_wavefront_size32 1
		.amdhsa_uses_dynamic_stack 0
		.amdhsa_system_sgpr_private_segment_wavefront_offset 0
		.amdhsa_system_sgpr_workgroup_id_x 1
		.amdhsa_system_sgpr_workgroup_id_y 0
		.amdhsa_system_sgpr_workgroup_id_z 0
		.amdhsa_system_sgpr_workgroup_info 0
		.amdhsa_system_vgpr_workitem_id 1
		.amdhsa_next_free_vgpr 21
		.amdhsa_next_free_sgpr 14
		.amdhsa_reserve_vcc 1
		.amdhsa_reserve_flat_scratch 0
		.amdhsa_float_round_mode_32 0
		.amdhsa_float_round_mode_16_64 0
		.amdhsa_float_denorm_mode_32 3
		.amdhsa_float_denorm_mode_16_64 3
		.amdhsa_dx10_clamp 1
		.amdhsa_ieee_mode 1
		.amdhsa_fp16_overflow 0
		.amdhsa_workgroup_processor_mode 1
		.amdhsa_memory_ordered 1
		.amdhsa_forward_progress 1
		.amdhsa_shared_vgpr_count 0
		.amdhsa_exception_fp_ieee_invalid_op 0
		.amdhsa_exception_fp_denorm_src 0
		.amdhsa_exception_fp_ieee_div_zero 0
		.amdhsa_exception_fp_ieee_overflow 0
		.amdhsa_exception_fp_ieee_underflow 0
		.amdhsa_exception_fp_ieee_inexact 0
		.amdhsa_exception_int_div_zero 0
	.end_amdhsa_kernel
	.section	.text._ZN12_GLOBAL__N_120softmax_warp_forwardIN3c104HalfES2_fLi6ELb0ELb1ELi64EEEvPT0_PKT_iiiPKbib,"axG",@progbits,_ZN12_GLOBAL__N_120softmax_warp_forwardIN3c104HalfES2_fLi6ELb0ELb1ELi64EEEvPT0_PKT_iiiPKbib,comdat
.Lfunc_end732:
	.size	_ZN12_GLOBAL__N_120softmax_warp_forwardIN3c104HalfES2_fLi6ELb0ELb1ELi64EEEvPT0_PKT_iiiPKbib, .Lfunc_end732-_ZN12_GLOBAL__N_120softmax_warp_forwardIN3c104HalfES2_fLi6ELb0ELb1ELi64EEEvPT0_PKT_iiiPKbib
                                        ; -- End function
	.set _ZN12_GLOBAL__N_120softmax_warp_forwardIN3c104HalfES2_fLi6ELb0ELb1ELi64EEEvPT0_PKT_iiiPKbib.num_vgpr, 21
	.set _ZN12_GLOBAL__N_120softmax_warp_forwardIN3c104HalfES2_fLi6ELb0ELb1ELi64EEEvPT0_PKT_iiiPKbib.num_agpr, 0
	.set _ZN12_GLOBAL__N_120softmax_warp_forwardIN3c104HalfES2_fLi6ELb0ELb1ELi64EEEvPT0_PKT_iiiPKbib.numbered_sgpr, 14
	.set _ZN12_GLOBAL__N_120softmax_warp_forwardIN3c104HalfES2_fLi6ELb0ELb1ELi64EEEvPT0_PKT_iiiPKbib.num_named_barrier, 0
	.set _ZN12_GLOBAL__N_120softmax_warp_forwardIN3c104HalfES2_fLi6ELb0ELb1ELi64EEEvPT0_PKT_iiiPKbib.private_seg_size, 0
	.set _ZN12_GLOBAL__N_120softmax_warp_forwardIN3c104HalfES2_fLi6ELb0ELb1ELi64EEEvPT0_PKT_iiiPKbib.uses_vcc, 1
	.set _ZN12_GLOBAL__N_120softmax_warp_forwardIN3c104HalfES2_fLi6ELb0ELb1ELi64EEEvPT0_PKT_iiiPKbib.uses_flat_scratch, 0
	.set _ZN12_GLOBAL__N_120softmax_warp_forwardIN3c104HalfES2_fLi6ELb0ELb1ELi64EEEvPT0_PKT_iiiPKbib.has_dyn_sized_stack, 0
	.set _ZN12_GLOBAL__N_120softmax_warp_forwardIN3c104HalfES2_fLi6ELb0ELb1ELi64EEEvPT0_PKT_iiiPKbib.has_recursion, 0
	.set _ZN12_GLOBAL__N_120softmax_warp_forwardIN3c104HalfES2_fLi6ELb0ELb1ELi64EEEvPT0_PKT_iiiPKbib.has_indirect_call, 0
	.section	.AMDGPU.csdata,"",@progbits
; Kernel info:
; codeLenInByte = 2088
; TotalNumSgprs: 16
; NumVgprs: 21
; ScratchSize: 0
; MemoryBound: 0
; FloatMode: 240
; IeeeMode: 1
; LDSByteSize: 0 bytes/workgroup (compile time only)
; SGPRBlocks: 0
; VGPRBlocks: 2
; NumSGPRsForWavesPerEU: 16
; NumVGPRsForWavesPerEU: 21
; Occupancy: 16
; WaveLimiterHint : 0
; COMPUTE_PGM_RSRC2:SCRATCH_EN: 0
; COMPUTE_PGM_RSRC2:USER_SGPR: 6
; COMPUTE_PGM_RSRC2:TRAP_HANDLER: 0
; COMPUTE_PGM_RSRC2:TGID_X_EN: 1
; COMPUTE_PGM_RSRC2:TGID_Y_EN: 0
; COMPUTE_PGM_RSRC2:TGID_Z_EN: 0
; COMPUTE_PGM_RSRC2:TIDIG_COMP_CNT: 1
	.section	.text._ZN12_GLOBAL__N_120softmax_warp_forwardIN3c104HalfES2_fLi6ELb0ELb1ELi32EEEvPT0_PKT_iiiPKbib,"axG",@progbits,_ZN12_GLOBAL__N_120softmax_warp_forwardIN3c104HalfES2_fLi6ELb0ELb1ELi32EEEvPT0_PKT_iiiPKbib,comdat
	.globl	_ZN12_GLOBAL__N_120softmax_warp_forwardIN3c104HalfES2_fLi6ELb0ELb1ELi32EEEvPT0_PKT_iiiPKbib ; -- Begin function _ZN12_GLOBAL__N_120softmax_warp_forwardIN3c104HalfES2_fLi6ELb0ELb1ELi32EEEvPT0_PKT_iiiPKbib
	.p2align	8
	.type	_ZN12_GLOBAL__N_120softmax_warp_forwardIN3c104HalfES2_fLi6ELb0ELb1ELi32EEEvPT0_PKT_iiiPKbib,@function
_ZN12_GLOBAL__N_120softmax_warp_forwardIN3c104HalfES2_fLi6ELb0ELb1ELi32EEEvPT0_PKT_iiiPKbib: ; @_ZN12_GLOBAL__N_120softmax_warp_forwardIN3c104HalfES2_fLi6ELb0ELb1ELi32EEEvPT0_PKT_iiiPKbib
; %bb.0:
	s_clause 0x2
	s_load_dwordx2 s[0:1], s[4:5], 0x28
	s_load_dword s2, s[4:5], 0x3c
	s_load_dwordx4 s[8:11], s[4:5], 0x10
	s_waitcnt lgkmcnt(0)
	s_bitcmp1_b32 s1, 0
	s_cselect_b32 s16, -1, 0
	s_lshr_b32 s2, s2, 16
	s_and_b32 s2, s2, 0xffff
	s_bitcmp0_b32 s1, 0
	s_mul_i32 s6, s6, s2
	v_add_lshl_u32 v5, s6, v1, 1
	v_mul_lo_u32 v6, v5, s9
	v_add_nc_u32_e32 v1, v6, v0
	v_ashrrev_i32_e32 v2, 31, v1
	v_mov_b32_e32 v4, v2
	v_mov_b32_e32 v3, v1
	s_cbranch_scc1 .LBB733_2
; %bb.1:
	s_abs_i32 s1, s0
	v_sub_nc_u32_e32 v7, 0, v6
	v_cvt_f32_u32_e32 v3, s1
	s_sub_i32 s2, 0, s1
	v_max_i32_e32 v7, v6, v7
	v_rcp_iflag_f32_e32 v3, v3
	v_xor_b32_e32 v6, s0, v6
	v_ashrrev_i32_e32 v6, 31, v6
	v_mul_f32_e32 v3, 0x4f7ffffe, v3
	v_cvt_u32_f32_e32 v3, v3
	v_mul_lo_u32 v4, s2, v3
	v_mul_hi_u32 v4, v3, v4
	v_add_nc_u32_e32 v3, v3, v4
	v_mul_hi_u32 v3, v7, v3
	v_mul_lo_u32 v4, v3, s1
	v_sub_nc_u32_e32 v4, v7, v4
	v_add_nc_u32_e32 v7, 1, v3
	v_subrev_nc_u32_e32 v8, s1, v4
	v_cmp_le_u32_e32 vcc_lo, s1, v4
	v_cndmask_b32_e32 v3, v3, v7, vcc_lo
	v_cndmask_b32_e32 v4, v4, v8, vcc_lo
	v_add_nc_u32_e32 v7, 1, v3
	v_cmp_le_u32_e32 vcc_lo, s1, v4
	v_cndmask_b32_e32 v3, v3, v7, vcc_lo
	v_xor_b32_e32 v3, v3, v6
	v_sub_nc_u32_e32 v3, v3, v6
	v_mad_u64_u32 v[3:4], null, v3, s9, v[0:1]
	v_ashrrev_i32_e32 v4, 31, v3
.LBB733_2:
	s_load_dwordx4 s[12:15], s[4:5], 0x0
	v_lshlrev_b64 v[1:2], 1, v[1:2]
	v_sub_nc_u32_e32 v11, s8, v5
	v_cmp_gt_i32_e64 s1, s10, v0
	v_mov_b32_e32 v12, 0xff800000
	v_mov_b32_e32 v7, 0xff800000
	v_cmp_lt_i32_e32 vcc_lo, 0, v11
	s_and_b32 s8, vcc_lo, s1
	s_waitcnt lgkmcnt(0)
	v_add_co_u32 v8, s0, s14, v1
	v_add_co_ci_u32_e64 v9, null, s15, v2, s0
	s_and_saveexec_b32 s0, s8
	s_cbranch_execz .LBB733_4
; %bb.3:
	global_load_ushort v5, v[8:9], off
	s_waitcnt vmcnt(0)
	v_cvt_f32_f16_e32 v7, v5
.LBB733_4:
	s_or_b32 exec_lo, exec_lo, s0
	v_add_nc_u32_e32 v0, 32, v0
	v_cmp_gt_i32_e64 s0, s10, v0
	s_and_b32 s7, vcc_lo, s0
	s_and_saveexec_b32 s2, s7
	s_cbranch_execz .LBB733_6
; %bb.5:
	global_load_ushort v0, v[8:9], off offset:64
	s_waitcnt vmcnt(0)
	v_cvt_f32_f16_e32 v12, v0
.LBB733_6:
	s_or_b32 exec_lo, exec_lo, s2
	v_cmp_lt_i32_e64 s2, 1, v11
	v_mov_b32_e32 v0, 0xff800000
	v_mov_b32_e32 v6, 0xff800000
	s_and_b32 s6, s2, s1
	s_and_saveexec_b32 s9, s6
	s_cbranch_execz .LBB733_8
; %bb.7:
	s_mov_b32 s11, 0
	s_lshl_b64 s[14:15], s[10:11], 1
	v_add_co_u32 v5, s3, v8, s14
	v_add_co_ci_u32_e64 v6, null, s15, v9, s3
	global_load_ushort v5, v[5:6], off
	s_waitcnt vmcnt(0)
	v_cvt_f32_f16_e32 v6, v5
.LBB733_8:
	s_or_b32 exec_lo, exec_lo, s9
	s_and_b32 s3, s2, s0
	s_and_saveexec_b32 s9, s3
	s_cbranch_execz .LBB733_10
; %bb.9:
	s_mov_b32 s11, 0
	s_lshl_b64 s[14:15], s[10:11], 1
	v_add_co_u32 v8, s2, v8, s14
	v_add_co_ci_u32_e64 v9, null, s15, v9, s2
	global_load_ushort v0, v[8:9], off offset:64
	s_waitcnt vmcnt(0)
	v_cvt_f32_f16_e32 v0, v0
.LBB733_10:
	s_or_b32 exec_lo, exec_lo, s9
	s_load_dwordx2 s[4:5], s[4:5], 0x20
	v_mov_b32_e32 v9, v8
	v_mov_b32_e32 v8, v7
	s_waitcnt lgkmcnt(0)
	v_add_co_u32 v3, s2, s4, v3
	v_add_co_ci_u32_e64 v4, null, s5, v4, s2
	s_mov_b32 s4, 0
	s_and_saveexec_b32 s5, s8
	s_cbranch_execz .LBB733_14
; %bb.11:
	global_load_ubyte v5, v[3:4], off
	v_mov_b32_e32 v9, v8
	v_mov_b32_e32 v8, v7
	s_waitcnt vmcnt(0)
	v_and_b32_e32 v5, 1, v5
	v_cmp_eq_u32_e64 s2, 1, v5
	s_xor_b32 s9, s2, -1
	s_and_saveexec_b32 s2, s9
; %bb.12:
	v_mov_b32_e32 v9, v8
	v_mov_b32_e32 v8, v7
	s_mov_b32 s4, exec_lo
; %bb.13:
	s_or_b32 exec_lo, exec_lo, s2
	s_and_b32 s4, s4, exec_lo
.LBB733_14:
	s_or_b32 exec_lo, exec_lo, s5
	s_and_saveexec_b32 s5, s7
	s_cbranch_execz .LBB733_18
; %bb.15:
	global_load_ubyte v5, v[3:4], off offset:32
	s_waitcnt vmcnt(0)
	v_and_b32_e32 v5, 1, v5
	v_cmp_eq_u32_e64 s2, 1, v5
	s_xor_b32 s11, s2, -1
	s_mov_b32 s2, s4
	s_and_saveexec_b32 s9, s11
; %bb.16:
	v_cmp_gt_f32_e64 s2, v8, v12
	s_and_b32 s2, s4, s2
	v_cndmask_b32_e64 v8, v12, v8, s2
	s_or_b32 s2, s4, exec_lo
; %bb.17:
	s_or_b32 exec_lo, exec_lo, s9
	s_andn2_b32 s4, s4, exec_lo
	s_and_b32 s2, s2, exec_lo
	s_or_b32 s4, s4, s2
.LBB733_18:
	s_or_b32 exec_lo, exec_lo, s5
	v_cndmask_b32_e64 v5, 0xff800000, v8, s4
	v_mov_b32_e32 v9, v6
	s_and_b32 s2, s16, exec_lo
	s_mov_b32 s5, 0
	s_cselect_b32 s4, 0, s10
	v_mov_b32_e32 v8, v5
	s_and_saveexec_b32 s9, s6
	s_cbranch_execz .LBB733_22
; %bb.19:
	s_ashr_i32 s5, s4, 31
	v_add_co_u32 v8, s2, v3, s4
	v_add_co_ci_u32_e64 v9, null, s5, v4, s2
	s_mov_b32 s5, 0
	global_load_ubyte v8, v[8:9], off
	s_waitcnt vmcnt(0)
	v_and_b32_e32 v8, 1, v8
	v_cmp_eq_u32_e64 s2, 1, v8
	v_mov_b32_e32 v9, v6
	v_mov_b32_e32 v8, v5
	s_xor_b32 s11, s2, -1
	s_and_saveexec_b32 s2, s11
; %bb.20:
	v_mov_b32_e32 v9, v6
	v_mov_b32_e32 v8, v5
	s_mov_b32 s5, exec_lo
; %bb.21:
	s_or_b32 exec_lo, exec_lo, s2
	s_and_b32 s5, s5, exec_lo
.LBB733_22:
	s_or_b32 exec_lo, exec_lo, s9
	s_and_saveexec_b32 s9, s3
	s_cbranch_execz .LBB733_26
; %bb.23:
	s_ashr_i32 s11, s4, 31
	v_add_co_u32 v13, s2, v3, s4
	v_add_co_ci_u32_e64 v14, null, s11, v4, s2
	global_load_ubyte v5, v[13:14], off offset:32
	s_waitcnt vmcnt(0)
	v_and_b32_e32 v5, 1, v5
	v_cmp_eq_u32_e64 s2, 1, v5
	s_xor_b32 s14, s2, -1
	s_mov_b32 s2, s5
	s_and_saveexec_b32 s11, s14
; %bb.24:
	v_cmp_gt_f32_e64 s2, v9, v0
	s_and_b32 s2, s5, s2
	v_cndmask_b32_e64 v9, v0, v9, s2
	s_or_b32 s2, s5, exec_lo
; %bb.25:
	s_or_b32 exec_lo, exec_lo, s11
	s_andn2_b32 s5, s5, exec_lo
	s_and_b32 s2, s2, exec_lo
	s_or_b32 s5, s5, s2
.LBB733_26:
	s_or_b32 exec_lo, exec_lo, s9
	v_mbcnt_lo_u32_b32 v10, -1, 0
	v_cndmask_b32_e64 v9, 0xff800000, v9, s5
	v_xor_b32_e32 v5, 16, v10
	v_xor_b32_e32 v13, 8, v10
	v_cmp_gt_i32_e64 s2, 32, v5
	v_cndmask_b32_e64 v5, v10, v5, s2
	v_cmp_gt_i32_e64 s2, 32, v13
	v_lshlrev_b32_e32 v5, 2, v5
	v_cndmask_b32_e64 v13, v10, v13, s2
	ds_bpermute_b32 v14, v5, v8
	ds_bpermute_b32 v15, v5, v9
	v_lshlrev_b32_e32 v13, 2, v13
	s_waitcnt lgkmcnt(1)
	v_cmp_lt_f32_e64 s2, v8, v14
	v_cndmask_b32_e64 v8, v8, v14, s2
	s_waitcnt lgkmcnt(0)
	v_cmp_lt_f32_e64 s2, v9, v15
	v_xor_b32_e32 v14, 4, v10
	ds_bpermute_b32 v16, v13, v8
	v_cndmask_b32_e64 v9, v9, v15, s2
	v_cmp_gt_i32_e64 s2, 32, v14
	ds_bpermute_b32 v15, v13, v9
	v_cndmask_b32_e64 v14, v10, v14, s2
	v_lshlrev_b32_e32 v14, 2, v14
	s_waitcnt lgkmcnt(1)
	v_cmp_lt_f32_e64 s2, v8, v16
	v_cndmask_b32_e64 v8, v8, v16, s2
	s_waitcnt lgkmcnt(0)
	v_cmp_lt_f32_e64 s2, v9, v15
	ds_bpermute_b32 v16, v14, v8
	v_cndmask_b32_e64 v9, v9, v15, s2
	v_xor_b32_e32 v15, 2, v10
	ds_bpermute_b32 v17, v14, v9
	v_cmp_gt_i32_e64 s2, 32, v15
	v_cndmask_b32_e64 v15, v10, v15, s2
	v_lshlrev_b32_e32 v15, 2, v15
	s_waitcnt lgkmcnt(1)
	v_cmp_lt_f32_e64 s2, v8, v16
	v_cndmask_b32_e64 v8, v8, v16, s2
	s_waitcnt lgkmcnt(0)
	v_cmp_lt_f32_e64 s2, v9, v17
	v_xor_b32_e32 v16, 1, v10
	ds_bpermute_b32 v18, v15, v8
	v_cndmask_b32_e64 v9, v9, v17, s2
	v_cmp_gt_i32_e64 s2, 32, v16
	ds_bpermute_b32 v17, v15, v9
	v_cndmask_b32_e64 v10, v10, v16, s2
	v_lshlrev_b32_e32 v16, 2, v10
	s_waitcnt lgkmcnt(1)
	v_cmp_lt_f32_e64 s2, v8, v18
	v_cndmask_b32_e64 v10, v8, v18, s2
	s_waitcnt lgkmcnt(0)
	v_cmp_lt_f32_e64 s2, v9, v17
	v_mov_b32_e32 v8, 0
	ds_bpermute_b32 v20, v16, v10
	v_cndmask_b32_e64 v18, v9, v17, s2
	v_mov_b32_e32 v9, v8
	v_mov_b32_e32 v17, 0
	ds_bpermute_b32 v19, v16, v18
	s_waitcnt lgkmcnt(1)
	v_cmp_lt_f32_e64 s2, v10, v20
	v_cndmask_b32_e64 v20, v10, v20, s2
	v_mov_b32_e32 v10, v9
	v_mov_b32_e32 v9, v8
	s_and_saveexec_b32 s5, s8
	s_cbranch_execz .LBB733_30
; %bb.27:
	global_load_ubyte v9, v[3:4], off
	s_waitcnt vmcnt(0)
	v_and_b32_e32 v10, 1, v9
	v_mov_b32_e32 v9, 0
	v_cmp_eq_u32_e64 s2, 1, v10
	v_mov_b32_e32 v10, v9
	v_mov_b32_e32 v17, v9
	s_xor_b32 s2, s2, -1
	s_and_saveexec_b32 s8, s2
	s_cbranch_execz .LBB733_29
; %bb.28:
	v_sub_f32_e32 v7, v7, v20
	v_mul_f32_e32 v9, 0x3fb8aa3b, v7
	v_cmp_ngt_f32_e64 s2, 0xc2ce8ed0, v7
	v_fma_f32 v10, 0x3fb8aa3b, v7, -v9
	v_rndne_f32_e32 v17, v9
	v_fmamk_f32 v10, v7, 0x32a5705f, v10
	v_sub_f32_e32 v9, v9, v17
	v_add_f32_e32 v9, v9, v10
	v_cvt_i32_f32_e32 v10, v17
	v_exp_f32_e32 v9, v9
	v_ldexp_f32 v9, v9, v10
	v_mov_b32_e32 v10, 0
	v_cndmask_b32_e64 v9, 0, v9, s2
	v_cmp_nlt_f32_e64 s2, 0x42b17218, v7
	v_cndmask_b32_e64 v9, 0x7f800000, v9, s2
	v_mov_b32_e32 v17, v9
.LBB733_29:
	s_or_b32 exec_lo, exec_lo, s8
.LBB733_30:
	s_or_b32 exec_lo, exec_lo, s5
	v_mov_b32_e32 v7, 0
	s_and_saveexec_b32 s5, s7
	s_cbranch_execz .LBB733_34
; %bb.31:
	global_load_ubyte v7, v[3:4], off offset:32
	s_waitcnt vmcnt(0)
	v_and_b32_e32 v7, 1, v7
	v_cmp_eq_u32_e64 s2, 1, v7
	v_mov_b32_e32 v7, 0
	s_xor_b32 s2, s2, -1
	s_and_saveexec_b32 s7, s2
	s_cbranch_execz .LBB733_33
; %bb.32:
	v_sub_f32_e32 v7, v12, v20
	v_mul_f32_e32 v12, 0x3fb8aa3b, v7
	v_cmp_ngt_f32_e64 s2, 0xc2ce8ed0, v7
	v_fma_f32 v20, 0x3fb8aa3b, v7, -v12
	v_rndne_f32_e32 v21, v12
	v_fmamk_f32 v20, v7, 0x32a5705f, v20
	v_sub_f32_e32 v12, v12, v21
	v_add_f32_e32 v12, v12, v20
	v_cvt_i32_f32_e32 v20, v21
	v_exp_f32_e32 v12, v12
	v_ldexp_f32 v12, v12, v20
	v_cndmask_b32_e64 v12, 0, v12, s2
	v_cmp_nlt_f32_e64 s2, 0x42b17218, v7
	v_cndmask_b32_e64 v7, 0x7f800000, v12, s2
	v_add_f32_e32 v9, v9, v7
.LBB733_33:
	s_or_b32 exec_lo, exec_lo, s7
.LBB733_34:
	s_or_b32 exec_lo, exec_lo, s5
	s_waitcnt lgkmcnt(0)
	v_cmp_lt_f32_e64 s2, v18, v19
	v_cndmask_b32_e64 v12, v18, v19, s2
	s_and_saveexec_b32 s5, s6
	s_cbranch_execz .LBB733_38
; %bb.35:
	s_ashr_i32 s6, s4, 31
	v_add_co_u32 v18, s2, v3, s4
	v_add_co_ci_u32_e64 v19, null, s6, v4, s2
	global_load_ubyte v8, v[18:19], off
	s_waitcnt vmcnt(0)
	v_and_b32_e32 v8, 1, v8
	v_cmp_eq_u32_e64 s2, 1, v8
	v_mov_b32_e32 v8, 0
	s_xor_b32 s2, s2, -1
	s_and_saveexec_b32 s6, s2
	s_cbranch_execz .LBB733_37
; %bb.36:
	v_sub_f32_e32 v6, v6, v12
	v_mul_f32_e32 v8, 0x3fb8aa3b, v6
	v_cmp_ngt_f32_e64 s2, 0xc2ce8ed0, v6
	v_fma_f32 v18, 0x3fb8aa3b, v6, -v8
	v_rndne_f32_e32 v19, v8
	v_fmamk_f32 v18, v6, 0x32a5705f, v18
	v_sub_f32_e32 v8, v8, v19
	v_add_f32_e32 v8, v8, v18
	v_cvt_i32_f32_e32 v18, v19
	v_exp_f32_e32 v8, v8
	v_ldexp_f32 v8, v8, v18
	v_cndmask_b32_e64 v8, 0, v8, s2
	v_cmp_nlt_f32_e64 s2, 0x42b17218, v6
	v_cndmask_b32_e64 v8, 0x7f800000, v8, s2
	v_add_f32_e32 v10, v10, v8
.LBB733_37:
	s_or_b32 exec_lo, exec_lo, s6
.LBB733_38:
	s_or_b32 exec_lo, exec_lo, s5
	v_mov_b32_e32 v6, 0
	s_and_saveexec_b32 s5, s3
	s_cbranch_execz .LBB733_42
; %bb.39:
	s_ashr_i32 s3, s4, 31
	v_add_co_u32 v3, s2, v3, s4
	v_add_co_ci_u32_e64 v4, null, s3, v4, s2
	v_mov_b32_e32 v6, 0
	global_load_ubyte v3, v[3:4], off offset:32
	s_waitcnt vmcnt(0)
	v_and_b32_e32 v3, 1, v3
	v_cmp_eq_u32_e64 s2, 1, v3
	s_xor_b32 s2, s2, -1
	s_and_saveexec_b32 s3, s2
	s_cbranch_execz .LBB733_41
; %bb.40:
	v_sub_f32_e32 v0, v0, v12
	v_mul_f32_e32 v3, 0x3fb8aa3b, v0
	v_cmp_ngt_f32_e64 s2, 0xc2ce8ed0, v0
	v_fma_f32 v4, 0x3fb8aa3b, v0, -v3
	v_rndne_f32_e32 v6, v3
	v_fmamk_f32 v4, v0, 0x32a5705f, v4
	v_sub_f32_e32 v3, v3, v6
	v_add_f32_e32 v3, v3, v4
	v_cvt_i32_f32_e32 v4, v6
	v_exp_f32_e32 v3, v3
	v_ldexp_f32 v3, v3, v4
	v_cndmask_b32_e64 v3, 0, v3, s2
	v_cmp_nlt_f32_e64 s2, 0x42b17218, v0
	v_cndmask_b32_e64 v6, 0x7f800000, v3, s2
	v_add_f32_e32 v10, v10, v6
.LBB733_41:
	s_or_b32 exec_lo, exec_lo, s3
.LBB733_42:
	s_or_b32 exec_lo, exec_lo, s5
	ds_bpermute_b32 v0, v5, v9
	ds_bpermute_b32 v3, v5, v10
	s_waitcnt lgkmcnt(1)
	v_add_f32_e32 v0, v9, v0
	s_waitcnt lgkmcnt(0)
	v_add_f32_e32 v3, v10, v3
	ds_bpermute_b32 v4, v13, v0
	ds_bpermute_b32 v5, v13, v3
	s_waitcnt lgkmcnt(1)
	v_add_f32_e32 v0, v0, v4
	s_waitcnt lgkmcnt(0)
	v_add_f32_e32 v3, v3, v5
	;; [unrolled: 6-line block ×4, first 2 shown]
	ds_bpermute_b32 v9, v16, v5
	ds_bpermute_b32 v4, v16, v3
	s_and_saveexec_b32 s2, vcc_lo
	s_cbranch_execz .LBB733_55
; %bb.43:
	v_add_co_u32 v0, vcc_lo, s12, v1
	v_add_co_ci_u32_e64 v1, null, s13, v2, vcc_lo
	s_and_saveexec_b32 s3, s1
	s_cbranch_execz .LBB733_50
; %bb.44:
	s_waitcnt lgkmcnt(1)
	v_add_f32_e32 v2, v5, v9
	v_mov_b32_e32 v5, 0x7e00
	v_cmp_neq_f32_e64 s2, 0, v2
	s_and_saveexec_b32 s4, s2
	s_cbranch_execz .LBB733_46
; %bb.45:
	v_div_scale_f32 v5, null, v2, v2, v17
	v_rcp_f32_e32 v9, v5
	v_fma_f32 v10, -v5, v9, 1.0
	v_fmac_f32_e32 v9, v10, v9
	v_div_scale_f32 v10, vcc_lo, v17, v2, v17
	v_mul_f32_e32 v12, v10, v9
	v_fma_f32 v13, -v5, v12, v10
	v_fmac_f32_e32 v12, v13, v9
	v_fma_f32 v5, -v5, v12, v10
	v_div_fmas_f32 v5, v5, v9, v12
	v_div_fixup_f32 v5, v5, v2, v17
	v_cvt_f16_f32_e32 v5, v5
.LBB733_46:
	s_or_b32 exec_lo, exec_lo, s4
	global_store_short v[0:1], v5, off
	s_and_b32 exec_lo, exec_lo, s0
	s_cbranch_execz .LBB733_50
; %bb.47:
	v_mov_b32_e32 v5, 0x7e00
	s_and_saveexec_b32 s4, s2
	s_cbranch_execz .LBB733_49
; %bb.48:
	v_div_scale_f32 v5, null, v2, v2, v7
	v_rcp_f32_e32 v9, v5
	v_fma_f32 v10, -v5, v9, 1.0
	v_fmac_f32_e32 v9, v10, v9
	v_div_scale_f32 v10, vcc_lo, v7, v2, v7
	v_mul_f32_e32 v12, v10, v9
	v_fma_f32 v13, -v5, v12, v10
	v_fmac_f32_e32 v12, v13, v9
	v_fma_f32 v5, -v5, v12, v10
	v_div_fmas_f32 v5, v5, v9, v12
	v_div_fixup_f32 v2, v5, v2, v7
	v_cvt_f16_f32_e32 v5, v2
.LBB733_49:
	s_or_b32 exec_lo, exec_lo, s4
	global_store_short v[0:1], v5, off offset:64
.LBB733_50:
	s_or_b32 exec_lo, exec_lo, s3
	v_cmp_ne_u32_e32 vcc_lo, 1, v11
	s_and_b32 exec_lo, exec_lo, vcc_lo
	s_cbranch_execz .LBB733_55
; %bb.51:
	s_and_b32 exec_lo, exec_lo, s1
	s_cbranch_execz .LBB733_55
; %bb.52:
	s_waitcnt lgkmcnt(0)
	v_add_f32_e32 v2, v3, v4
	s_mov_b32 s11, 0
	v_cmp_neq_f32_e64 s1, 0, v2
	s_and_saveexec_b32 s2, s1
	s_xor_b32 s2, exec_lo, s2
	s_cbranch_execnz .LBB733_56
; %bb.53:
	s_andn2_saveexec_b32 s2, s2
	s_cbranch_execnz .LBB733_57
.LBB733_54:
	s_or_b32 exec_lo, exec_lo, s2
	s_and_b32 exec_lo, exec_lo, s0
	s_cbranch_execnz .LBB733_58
.LBB733_55:
	s_endpgm
.LBB733_56:
	v_div_scale_f32 v3, null, v2, v2, v8
	v_div_scale_f32 v7, vcc_lo, v8, v2, v8
	s_lshl_b64 s[4:5], s[10:11], 1
	v_rcp_f32_e32 v4, v3
	v_fma_f32 v5, -v3, v4, 1.0
	v_fmac_f32_e32 v4, v5, v4
	v_mul_f32_e32 v5, v7, v4
	v_fma_f32 v9, -v3, v5, v7
	v_fmac_f32_e32 v5, v9, v4
	v_fma_f32 v3, -v3, v5, v7
	v_div_fmas_f32 v3, v3, v4, v5
	v_div_fixup_f32 v3, v3, v2, v8
	v_cvt_f16_f32_e32 v5, v3
	v_add_co_u32 v3, vcc_lo, v0, s4
	v_add_co_ci_u32_e64 v4, null, s5, v1, vcc_lo
	global_store_short v[3:4], v5, off
	s_andn2_saveexec_b32 s2, s2
	s_cbranch_execz .LBB733_54
.LBB733_57:
	s_lshl_b64 s[4:5], s[10:11], 1
	v_mov_b32_e32 v5, 0x7e00
	v_add_co_u32 v3, vcc_lo, v0, s4
	v_add_co_ci_u32_e64 v4, null, s5, v1, vcc_lo
	global_store_short v[3:4], v5, off
	s_or_b32 exec_lo, exec_lo, s2
	s_and_b32 exec_lo, exec_lo, s0
	s_cbranch_execz .LBB733_55
.LBB733_58:
	s_and_saveexec_b32 s0, s1
	s_xor_b32 s0, exec_lo, s0
	s_cbranch_execz .LBB733_60
; %bb.59:
	v_div_scale_f32 v3, null, v2, v2, v6
	v_div_scale_f32 v7, vcc_lo, v6, v2, v6
	s_lshl_b64 s[2:3], s[10:11], 1
	v_rcp_f32_e32 v4, v3
	v_fma_f32 v5, -v3, v4, 1.0
	v_fmac_f32_e32 v4, v5, v4
	v_mul_f32_e32 v5, v7, v4
	v_fma_f32 v8, -v3, v5, v7
	v_fmac_f32_e32 v5, v8, v4
	v_fma_f32 v3, -v3, v5, v7
	v_div_fmas_f32 v3, v3, v4, v5
	v_add_co_u32 v0, vcc_lo, v0, s2
	v_add_co_ci_u32_e64 v1, null, s3, v1, vcc_lo
	v_div_fixup_f32 v2, v3, v2, v6
	v_cvt_f16_f32_e32 v2, v2
	global_store_short v[0:1], v2, off offset:64
                                        ; implicit-def: $vgpr0
.LBB733_60:
	s_andn2_saveexec_b32 s0, s0
	s_cbranch_execz .LBB733_55
; %bb.61:
	s_lshl_b64 s[0:1], s[10:11], 1
	v_mov_b32_e32 v2, 0x7e00
	v_add_co_u32 v0, vcc_lo, v0, s0
	v_add_co_ci_u32_e64 v1, null, s1, v1, vcc_lo
	global_store_short v[0:1], v2, off offset:64
	s_endpgm
	.section	.rodata,"a",@progbits
	.p2align	6, 0x0
	.amdhsa_kernel _ZN12_GLOBAL__N_120softmax_warp_forwardIN3c104HalfES2_fLi6ELb0ELb1ELi32EEEvPT0_PKT_iiiPKbib
		.amdhsa_group_segment_fixed_size 0
		.amdhsa_private_segment_fixed_size 0
		.amdhsa_kernarg_size 304
		.amdhsa_user_sgpr_count 6
		.amdhsa_user_sgpr_private_segment_buffer 1
		.amdhsa_user_sgpr_dispatch_ptr 0
		.amdhsa_user_sgpr_queue_ptr 0
		.amdhsa_user_sgpr_kernarg_segment_ptr 1
		.amdhsa_user_sgpr_dispatch_id 0
		.amdhsa_user_sgpr_flat_scratch_init 0
		.amdhsa_user_sgpr_private_segment_size 0
		.amdhsa_wavefront_size32 1
		.amdhsa_uses_dynamic_stack 0
		.amdhsa_system_sgpr_private_segment_wavefront_offset 0
		.amdhsa_system_sgpr_workgroup_id_x 1
		.amdhsa_system_sgpr_workgroup_id_y 0
		.amdhsa_system_sgpr_workgroup_id_z 0
		.amdhsa_system_sgpr_workgroup_info 0
		.amdhsa_system_vgpr_workitem_id 1
		.amdhsa_next_free_vgpr 22
		.amdhsa_next_free_sgpr 17
		.amdhsa_reserve_vcc 1
		.amdhsa_reserve_flat_scratch 0
		.amdhsa_float_round_mode_32 0
		.amdhsa_float_round_mode_16_64 0
		.amdhsa_float_denorm_mode_32 3
		.amdhsa_float_denorm_mode_16_64 3
		.amdhsa_dx10_clamp 1
		.amdhsa_ieee_mode 1
		.amdhsa_fp16_overflow 0
		.amdhsa_workgroup_processor_mode 1
		.amdhsa_memory_ordered 1
		.amdhsa_forward_progress 1
		.amdhsa_shared_vgpr_count 0
		.amdhsa_exception_fp_ieee_invalid_op 0
		.amdhsa_exception_fp_denorm_src 0
		.amdhsa_exception_fp_ieee_div_zero 0
		.amdhsa_exception_fp_ieee_overflow 0
		.amdhsa_exception_fp_ieee_underflow 0
		.amdhsa_exception_fp_ieee_inexact 0
		.amdhsa_exception_int_div_zero 0
	.end_amdhsa_kernel
	.section	.text._ZN12_GLOBAL__N_120softmax_warp_forwardIN3c104HalfES2_fLi6ELb0ELb1ELi32EEEvPT0_PKT_iiiPKbib,"axG",@progbits,_ZN12_GLOBAL__N_120softmax_warp_forwardIN3c104HalfES2_fLi6ELb0ELb1ELi32EEEvPT0_PKT_iiiPKbib,comdat
.Lfunc_end733:
	.size	_ZN12_GLOBAL__N_120softmax_warp_forwardIN3c104HalfES2_fLi6ELb0ELb1ELi32EEEvPT0_PKT_iiiPKbib, .Lfunc_end733-_ZN12_GLOBAL__N_120softmax_warp_forwardIN3c104HalfES2_fLi6ELb0ELb1ELi32EEEvPT0_PKT_iiiPKbib
                                        ; -- End function
	.set _ZN12_GLOBAL__N_120softmax_warp_forwardIN3c104HalfES2_fLi6ELb0ELb1ELi32EEEvPT0_PKT_iiiPKbib.num_vgpr, 22
	.set _ZN12_GLOBAL__N_120softmax_warp_forwardIN3c104HalfES2_fLi6ELb0ELb1ELi32EEEvPT0_PKT_iiiPKbib.num_agpr, 0
	.set _ZN12_GLOBAL__N_120softmax_warp_forwardIN3c104HalfES2_fLi6ELb0ELb1ELi32EEEvPT0_PKT_iiiPKbib.numbered_sgpr, 17
	.set _ZN12_GLOBAL__N_120softmax_warp_forwardIN3c104HalfES2_fLi6ELb0ELb1ELi32EEEvPT0_PKT_iiiPKbib.num_named_barrier, 0
	.set _ZN12_GLOBAL__N_120softmax_warp_forwardIN3c104HalfES2_fLi6ELb0ELb1ELi32EEEvPT0_PKT_iiiPKbib.private_seg_size, 0
	.set _ZN12_GLOBAL__N_120softmax_warp_forwardIN3c104HalfES2_fLi6ELb0ELb1ELi32EEEvPT0_PKT_iiiPKbib.uses_vcc, 1
	.set _ZN12_GLOBAL__N_120softmax_warp_forwardIN3c104HalfES2_fLi6ELb0ELb1ELi32EEEvPT0_PKT_iiiPKbib.uses_flat_scratch, 0
	.set _ZN12_GLOBAL__N_120softmax_warp_forwardIN3c104HalfES2_fLi6ELb0ELb1ELi32EEEvPT0_PKT_iiiPKbib.has_dyn_sized_stack, 0
	.set _ZN12_GLOBAL__N_120softmax_warp_forwardIN3c104HalfES2_fLi6ELb0ELb1ELi32EEEvPT0_PKT_iiiPKbib.has_recursion, 0
	.set _ZN12_GLOBAL__N_120softmax_warp_forwardIN3c104HalfES2_fLi6ELb0ELb1ELi32EEEvPT0_PKT_iiiPKbib.has_indirect_call, 0
	.section	.AMDGPU.csdata,"",@progbits
; Kernel info:
; codeLenInByte = 2916
; TotalNumSgprs: 19
; NumVgprs: 22
; ScratchSize: 0
; MemoryBound: 0
; FloatMode: 240
; IeeeMode: 1
; LDSByteSize: 0 bytes/workgroup (compile time only)
; SGPRBlocks: 0
; VGPRBlocks: 2
; NumSGPRsForWavesPerEU: 19
; NumVGPRsForWavesPerEU: 22
; Occupancy: 16
; WaveLimiterHint : 0
; COMPUTE_PGM_RSRC2:SCRATCH_EN: 0
; COMPUTE_PGM_RSRC2:USER_SGPR: 6
; COMPUTE_PGM_RSRC2:TRAP_HANDLER: 0
; COMPUTE_PGM_RSRC2:TGID_X_EN: 1
; COMPUTE_PGM_RSRC2:TGID_Y_EN: 0
; COMPUTE_PGM_RSRC2:TGID_Z_EN: 0
; COMPUTE_PGM_RSRC2:TIDIG_COMP_CNT: 1
	.section	.text._ZN12_GLOBAL__N_120softmax_warp_forwardIN3c104HalfES2_fLi7ELb0ELb1ELi64EEEvPT0_PKT_iiiPKbib,"axG",@progbits,_ZN12_GLOBAL__N_120softmax_warp_forwardIN3c104HalfES2_fLi7ELb0ELb1ELi64EEEvPT0_PKT_iiiPKbib,comdat
	.globl	_ZN12_GLOBAL__N_120softmax_warp_forwardIN3c104HalfES2_fLi7ELb0ELb1ELi64EEEvPT0_PKT_iiiPKbib ; -- Begin function _ZN12_GLOBAL__N_120softmax_warp_forwardIN3c104HalfES2_fLi7ELb0ELb1ELi64EEEvPT0_PKT_iiiPKbib
	.p2align	8
	.type	_ZN12_GLOBAL__N_120softmax_warp_forwardIN3c104HalfES2_fLi7ELb0ELb1ELi64EEEvPT0_PKT_iiiPKbib,@function
_ZN12_GLOBAL__N_120softmax_warp_forwardIN3c104HalfES2_fLi7ELb0ELb1ELi64EEEvPT0_PKT_iiiPKbib: ; @_ZN12_GLOBAL__N_120softmax_warp_forwardIN3c104HalfES2_fLi7ELb0ELb1ELi64EEEvPT0_PKT_iiiPKbib
; %bb.0:
	s_clause 0x2
	s_load_dwordx2 s[0:1], s[4:5], 0x28
	s_load_dword s2, s[4:5], 0x3c
	s_load_dwordx4 s[8:11], s[4:5], 0x10
	s_waitcnt lgkmcnt(0)
	s_bitcmp1_b32 s1, 0
	s_cselect_b32 s16, -1, 0
	s_lshr_b32 s2, s2, 16
	s_and_b32 s2, s2, 0xffff
	s_bitcmp0_b32 s1, 0
	s_mul_i32 s6, s6, s2
	v_add_lshl_u32 v5, s6, v1, 1
	v_mul_lo_u32 v6, v5, s9
	v_add_nc_u32_e32 v1, v6, v0
	v_ashrrev_i32_e32 v2, 31, v1
	v_mov_b32_e32 v4, v2
	v_mov_b32_e32 v3, v1
	s_cbranch_scc1 .LBB734_2
; %bb.1:
	s_abs_i32 s1, s0
	v_sub_nc_u32_e32 v7, 0, v6
	v_cvt_f32_u32_e32 v3, s1
	s_sub_i32 s2, 0, s1
	v_max_i32_e32 v7, v6, v7
	v_rcp_iflag_f32_e32 v3, v3
	v_xor_b32_e32 v6, s0, v6
	v_ashrrev_i32_e32 v6, 31, v6
	v_mul_f32_e32 v3, 0x4f7ffffe, v3
	v_cvt_u32_f32_e32 v3, v3
	v_mul_lo_u32 v4, s2, v3
	v_mul_hi_u32 v4, v3, v4
	v_add_nc_u32_e32 v3, v3, v4
	v_mul_hi_u32 v3, v7, v3
	v_mul_lo_u32 v4, v3, s1
	v_sub_nc_u32_e32 v4, v7, v4
	v_add_nc_u32_e32 v7, 1, v3
	v_subrev_nc_u32_e32 v8, s1, v4
	v_cmp_le_u32_e32 vcc_lo, s1, v4
	v_cndmask_b32_e32 v3, v3, v7, vcc_lo
	v_cndmask_b32_e32 v4, v4, v8, vcc_lo
	v_add_nc_u32_e32 v7, 1, v3
	v_cmp_le_u32_e32 vcc_lo, s1, v4
	v_cndmask_b32_e32 v3, v3, v7, vcc_lo
	v_xor_b32_e32 v3, v3, v6
	v_sub_nc_u32_e32 v3, v3, v6
	v_mad_u64_u32 v[3:4], null, v3, s9, v[0:1]
	v_ashrrev_i32_e32 v4, 31, v3
.LBB734_2:
	s_load_dwordx4 s[12:15], s[4:5], 0x0
	v_lshlrev_b64 v[1:2], 1, v[1:2]
	v_sub_nc_u32_e32 v11, s8, v5
	v_cmp_gt_i32_e64 s1, s10, v0
	v_mov_b32_e32 v12, 0xff800000
	v_mov_b32_e32 v7, 0xff800000
	v_cmp_lt_i32_e32 vcc_lo, 0, v11
	s_and_b32 s8, vcc_lo, s1
	s_waitcnt lgkmcnt(0)
	v_add_co_u32 v8, s0, s14, v1
	v_add_co_ci_u32_e64 v9, null, s15, v2, s0
	s_and_saveexec_b32 s0, s8
	s_cbranch_execz .LBB734_4
; %bb.3:
	global_load_ushort v5, v[8:9], off
	s_waitcnt vmcnt(0)
	v_cvt_f32_f16_e32 v7, v5
.LBB734_4:
	s_or_b32 exec_lo, exec_lo, s0
	v_add_nc_u32_e32 v0, 64, v0
	v_cmp_gt_i32_e64 s0, s10, v0
	s_and_b32 s7, vcc_lo, s0
	s_and_saveexec_b32 s2, s7
	s_cbranch_execz .LBB734_6
; %bb.5:
	global_load_ushort v0, v[8:9], off offset:128
	s_waitcnt vmcnt(0)
	v_cvt_f32_f16_e32 v12, v0
.LBB734_6:
	s_or_b32 exec_lo, exec_lo, s2
	v_cmp_lt_i32_e64 s2, 1, v11
	v_mov_b32_e32 v0, 0xff800000
	v_mov_b32_e32 v6, 0xff800000
	s_and_b32 s6, s2, s1
	s_and_saveexec_b32 s9, s6
	s_cbranch_execz .LBB734_8
; %bb.7:
	s_mov_b32 s11, 0
	s_lshl_b64 s[14:15], s[10:11], 1
	v_add_co_u32 v5, s3, v8, s14
	v_add_co_ci_u32_e64 v6, null, s15, v9, s3
	global_load_ushort v5, v[5:6], off
	s_waitcnt vmcnt(0)
	v_cvt_f32_f16_e32 v6, v5
.LBB734_8:
	s_or_b32 exec_lo, exec_lo, s9
	s_and_b32 s3, s2, s0
	s_and_saveexec_b32 s9, s3
	s_cbranch_execz .LBB734_10
; %bb.9:
	s_mov_b32 s11, 0
	s_lshl_b64 s[14:15], s[10:11], 1
	v_add_co_u32 v8, s2, v8, s14
	v_add_co_ci_u32_e64 v9, null, s15, v9, s2
	global_load_ushort v0, v[8:9], off offset:128
	s_waitcnt vmcnt(0)
	v_cvt_f32_f16_e32 v0, v0
.LBB734_10:
	s_or_b32 exec_lo, exec_lo, s9
	s_load_dwordx2 s[4:5], s[4:5], 0x20
	v_mov_b32_e32 v9, v8
	v_mov_b32_e32 v8, v7
	s_waitcnt lgkmcnt(0)
	v_add_co_u32 v3, s2, s4, v3
	v_add_co_ci_u32_e64 v4, null, s5, v4, s2
	s_mov_b32 s4, 0
	s_and_saveexec_b32 s5, s8
	s_cbranch_execz .LBB734_14
; %bb.11:
	global_load_ubyte v5, v[3:4], off
	v_mov_b32_e32 v9, v8
	v_mov_b32_e32 v8, v7
	s_waitcnt vmcnt(0)
	v_and_b32_e32 v5, 1, v5
	v_cmp_eq_u32_e64 s2, 1, v5
	s_xor_b32 s9, s2, -1
	s_and_saveexec_b32 s2, s9
; %bb.12:
	v_mov_b32_e32 v9, v8
	v_mov_b32_e32 v8, v7
	s_mov_b32 s4, exec_lo
; %bb.13:
	s_or_b32 exec_lo, exec_lo, s2
	s_and_b32 s4, s4, exec_lo
.LBB734_14:
	s_or_b32 exec_lo, exec_lo, s5
	s_and_saveexec_b32 s5, s7
	s_cbranch_execz .LBB734_18
; %bb.15:
	global_load_ubyte v5, v[3:4], off offset:64
	s_waitcnt vmcnt(0)
	v_and_b32_e32 v5, 1, v5
	v_cmp_eq_u32_e64 s2, 1, v5
	s_xor_b32 s11, s2, -1
	s_mov_b32 s2, s4
	s_and_saveexec_b32 s9, s11
; %bb.16:
	v_cmp_gt_f32_e64 s2, v8, v12
	s_and_b32 s2, s4, s2
	v_cndmask_b32_e64 v8, v12, v8, s2
	s_or_b32 s2, s4, exec_lo
; %bb.17:
	s_or_b32 exec_lo, exec_lo, s9
	s_andn2_b32 s4, s4, exec_lo
	s_and_b32 s2, s2, exec_lo
	s_or_b32 s4, s4, s2
.LBB734_18:
	s_or_b32 exec_lo, exec_lo, s5
	v_cndmask_b32_e64 v5, 0xff800000, v8, s4
	v_mov_b32_e32 v9, v6
	s_and_b32 s2, s16, exec_lo
	s_mov_b32 s5, 0
	s_cselect_b32 s4, 0, s10
	v_mov_b32_e32 v8, v5
	s_and_saveexec_b32 s9, s6
	s_cbranch_execz .LBB734_22
; %bb.19:
	s_ashr_i32 s5, s4, 31
	v_add_co_u32 v8, s2, v3, s4
	v_add_co_ci_u32_e64 v9, null, s5, v4, s2
	s_mov_b32 s5, 0
	global_load_ubyte v8, v[8:9], off
	s_waitcnt vmcnt(0)
	v_and_b32_e32 v8, 1, v8
	v_cmp_eq_u32_e64 s2, 1, v8
	v_mov_b32_e32 v9, v6
	v_mov_b32_e32 v8, v5
	s_xor_b32 s11, s2, -1
	s_and_saveexec_b32 s2, s11
; %bb.20:
	v_mov_b32_e32 v9, v6
	v_mov_b32_e32 v8, v5
	s_mov_b32 s5, exec_lo
; %bb.21:
	s_or_b32 exec_lo, exec_lo, s2
	s_and_b32 s5, s5, exec_lo
.LBB734_22:
	s_or_b32 exec_lo, exec_lo, s9
	s_and_saveexec_b32 s9, s3
	s_cbranch_execz .LBB734_26
; %bb.23:
	s_ashr_i32 s11, s4, 31
	v_add_co_u32 v13, s2, v3, s4
	v_add_co_ci_u32_e64 v14, null, s11, v4, s2
	global_load_ubyte v5, v[13:14], off offset:64
	s_waitcnt vmcnt(0)
	v_and_b32_e32 v5, 1, v5
	v_cmp_eq_u32_e64 s2, 1, v5
	s_xor_b32 s14, s2, -1
	s_mov_b32 s2, s5
	s_and_saveexec_b32 s11, s14
; %bb.24:
	v_cmp_gt_f32_e64 s2, v9, v0
	s_and_b32 s2, s5, s2
	v_cndmask_b32_e64 v9, v0, v9, s2
	s_or_b32 s2, s5, exec_lo
; %bb.25:
	s_or_b32 exec_lo, exec_lo, s11
	s_andn2_b32 s5, s5, exec_lo
	s_and_b32 s2, s2, exec_lo
	s_or_b32 s5, s5, s2
.LBB734_26:
	s_or_b32 exec_lo, exec_lo, s9
	v_mbcnt_lo_u32_b32 v10, -1, 0
	v_cndmask_b32_e64 v9, 0xff800000, v9, s5
	v_or_b32_e32 v5, 32, v10
	v_xor_b32_e32 v13, 16, v10
	v_cmp_gt_i32_e64 s2, 64, v5
	v_cndmask_b32_e64 v5, v10, v5, s2
	v_cmp_gt_i32_e64 s2, 64, v13
	v_lshlrev_b32_e32 v5, 2, v5
	v_cndmask_b32_e64 v13, v10, v13, s2
	ds_bpermute_b32 v14, v5, v8
	ds_bpermute_b32 v15, v5, v9
	v_lshlrev_b32_e32 v13, 2, v13
	s_waitcnt lgkmcnt(1)
	v_cmp_lt_f32_e64 s2, v8, v14
	v_cndmask_b32_e64 v8, v8, v14, s2
	s_waitcnt lgkmcnt(0)
	v_cmp_lt_f32_e64 s2, v9, v15
	v_xor_b32_e32 v14, 8, v10
	ds_bpermute_b32 v16, v13, v8
	v_cndmask_b32_e64 v9, v9, v15, s2
	v_cmp_gt_i32_e64 s2, 64, v14
	ds_bpermute_b32 v15, v13, v9
	v_cndmask_b32_e64 v14, v10, v14, s2
	v_lshlrev_b32_e32 v14, 2, v14
	s_waitcnt lgkmcnt(1)
	v_cmp_lt_f32_e64 s2, v8, v16
	v_cndmask_b32_e64 v8, v8, v16, s2
	s_waitcnt lgkmcnt(0)
	v_cmp_lt_f32_e64 s2, v9, v15
	ds_bpermute_b32 v16, v14, v8
	v_cndmask_b32_e64 v9, v9, v15, s2
	v_xor_b32_e32 v15, 4, v10
	ds_bpermute_b32 v17, v14, v9
	v_cmp_gt_i32_e64 s2, 64, v15
	v_cndmask_b32_e64 v15, v10, v15, s2
	v_lshlrev_b32_e32 v15, 2, v15
	s_waitcnt lgkmcnt(1)
	v_cmp_lt_f32_e64 s2, v8, v16
	v_cndmask_b32_e64 v8, v8, v16, s2
	s_waitcnt lgkmcnt(0)
	v_cmp_lt_f32_e64 s2, v9, v17
	v_xor_b32_e32 v16, 2, v10
	ds_bpermute_b32 v18, v15, v8
	v_cndmask_b32_e64 v9, v9, v17, s2
	v_cmp_gt_i32_e64 s2, 64, v16
	ds_bpermute_b32 v17, v15, v9
	v_cndmask_b32_e64 v16, v10, v16, s2
	v_lshlrev_b32_e32 v16, 2, v16
	s_waitcnt lgkmcnt(1)
	v_cmp_lt_f32_e64 s2, v8, v18
	v_cndmask_b32_e64 v8, v8, v18, s2
	s_waitcnt lgkmcnt(0)
	v_cmp_lt_f32_e64 s2, v9, v17
	ds_bpermute_b32 v18, v16, v8
	v_cndmask_b32_e64 v9, v9, v17, s2
	v_xor_b32_e32 v17, 1, v10
	ds_bpermute_b32 v19, v16, v9
	v_cmp_gt_i32_e64 s2, 64, v17
	v_cndmask_b32_e64 v10, v10, v17, s2
	v_lshlrev_b32_e32 v17, 2, v10
	s_waitcnt lgkmcnt(1)
	v_cmp_lt_f32_e64 s2, v8, v18
	v_cndmask_b32_e64 v10, v8, v18, s2
	s_waitcnt lgkmcnt(0)
	v_cmp_lt_f32_e64 s2, v9, v19
	v_mov_b32_e32 v8, 0
	v_mov_b32_e32 v18, 0
	ds_bpermute_b32 v21, v17, v10
	v_cndmask_b32_e64 v19, v9, v19, s2
	v_mov_b32_e32 v9, v8
	ds_bpermute_b32 v20, v17, v19
	s_waitcnt lgkmcnt(1)
	v_cmp_lt_f32_e64 s2, v10, v21
	v_cndmask_b32_e64 v21, v10, v21, s2
	v_mov_b32_e32 v10, v9
	v_mov_b32_e32 v9, v8
	s_and_saveexec_b32 s5, s8
	s_cbranch_execz .LBB734_30
; %bb.27:
	global_load_ubyte v9, v[3:4], off
	s_waitcnt vmcnt(0)
	v_and_b32_e32 v10, 1, v9
	v_mov_b32_e32 v9, 0
	v_cmp_eq_u32_e64 s2, 1, v10
	v_mov_b32_e32 v10, v9
	v_mov_b32_e32 v18, v9
	s_xor_b32 s2, s2, -1
	s_and_saveexec_b32 s8, s2
	s_cbranch_execz .LBB734_29
; %bb.28:
	v_sub_f32_e32 v7, v7, v21
	v_mul_f32_e32 v9, 0x3fb8aa3b, v7
	v_cmp_ngt_f32_e64 s2, 0xc2ce8ed0, v7
	v_fma_f32 v10, 0x3fb8aa3b, v7, -v9
	v_rndne_f32_e32 v18, v9
	v_fmamk_f32 v10, v7, 0x32a5705f, v10
	v_sub_f32_e32 v9, v9, v18
	v_add_f32_e32 v9, v9, v10
	v_cvt_i32_f32_e32 v10, v18
	v_exp_f32_e32 v9, v9
	v_ldexp_f32 v9, v9, v10
	v_mov_b32_e32 v10, 0
	v_cndmask_b32_e64 v9, 0, v9, s2
	v_cmp_nlt_f32_e64 s2, 0x42b17218, v7
	v_cndmask_b32_e64 v9, 0x7f800000, v9, s2
	v_mov_b32_e32 v18, v9
.LBB734_29:
	s_or_b32 exec_lo, exec_lo, s8
.LBB734_30:
	s_or_b32 exec_lo, exec_lo, s5
	v_mov_b32_e32 v7, 0
	s_and_saveexec_b32 s5, s7
	s_cbranch_execz .LBB734_34
; %bb.31:
	global_load_ubyte v7, v[3:4], off offset:64
	s_waitcnt vmcnt(0)
	v_and_b32_e32 v7, 1, v7
	v_cmp_eq_u32_e64 s2, 1, v7
	v_mov_b32_e32 v7, 0
	s_xor_b32 s2, s2, -1
	s_and_saveexec_b32 s7, s2
	s_cbranch_execz .LBB734_33
; %bb.32:
	v_sub_f32_e32 v7, v12, v21
	v_mul_f32_e32 v12, 0x3fb8aa3b, v7
	v_cmp_ngt_f32_e64 s2, 0xc2ce8ed0, v7
	v_fma_f32 v21, 0x3fb8aa3b, v7, -v12
	v_rndne_f32_e32 v22, v12
	v_fmamk_f32 v21, v7, 0x32a5705f, v21
	v_sub_f32_e32 v12, v12, v22
	v_add_f32_e32 v12, v12, v21
	v_cvt_i32_f32_e32 v21, v22
	v_exp_f32_e32 v12, v12
	v_ldexp_f32 v12, v12, v21
	v_cndmask_b32_e64 v12, 0, v12, s2
	v_cmp_nlt_f32_e64 s2, 0x42b17218, v7
	v_cndmask_b32_e64 v7, 0x7f800000, v12, s2
	v_add_f32_e32 v9, v9, v7
.LBB734_33:
	s_or_b32 exec_lo, exec_lo, s7
.LBB734_34:
	s_or_b32 exec_lo, exec_lo, s5
	s_waitcnt lgkmcnt(0)
	v_cmp_lt_f32_e64 s2, v19, v20
	v_cndmask_b32_e64 v12, v19, v20, s2
	s_and_saveexec_b32 s5, s6
	s_cbranch_execz .LBB734_38
; %bb.35:
	s_ashr_i32 s6, s4, 31
	v_add_co_u32 v19, s2, v3, s4
	v_add_co_ci_u32_e64 v20, null, s6, v4, s2
	global_load_ubyte v8, v[19:20], off
	s_waitcnt vmcnt(0)
	v_and_b32_e32 v8, 1, v8
	v_cmp_eq_u32_e64 s2, 1, v8
	v_mov_b32_e32 v8, 0
	s_xor_b32 s2, s2, -1
	s_and_saveexec_b32 s6, s2
	s_cbranch_execz .LBB734_37
; %bb.36:
	v_sub_f32_e32 v6, v6, v12
	v_mul_f32_e32 v8, 0x3fb8aa3b, v6
	v_cmp_ngt_f32_e64 s2, 0xc2ce8ed0, v6
	v_fma_f32 v19, 0x3fb8aa3b, v6, -v8
	v_rndne_f32_e32 v20, v8
	v_fmamk_f32 v19, v6, 0x32a5705f, v19
	v_sub_f32_e32 v8, v8, v20
	v_add_f32_e32 v8, v8, v19
	v_cvt_i32_f32_e32 v19, v20
	v_exp_f32_e32 v8, v8
	v_ldexp_f32 v8, v8, v19
	v_cndmask_b32_e64 v8, 0, v8, s2
	v_cmp_nlt_f32_e64 s2, 0x42b17218, v6
	v_cndmask_b32_e64 v8, 0x7f800000, v8, s2
	v_add_f32_e32 v10, v10, v8
.LBB734_37:
	s_or_b32 exec_lo, exec_lo, s6
.LBB734_38:
	s_or_b32 exec_lo, exec_lo, s5
	v_mov_b32_e32 v6, 0
	s_and_saveexec_b32 s5, s3
	s_cbranch_execz .LBB734_42
; %bb.39:
	s_ashr_i32 s3, s4, 31
	v_add_co_u32 v3, s2, v3, s4
	v_add_co_ci_u32_e64 v4, null, s3, v4, s2
	v_mov_b32_e32 v6, 0
	global_load_ubyte v3, v[3:4], off offset:64
	s_waitcnt vmcnt(0)
	v_and_b32_e32 v3, 1, v3
	v_cmp_eq_u32_e64 s2, 1, v3
	s_xor_b32 s2, s2, -1
	s_and_saveexec_b32 s3, s2
	s_cbranch_execz .LBB734_41
; %bb.40:
	v_sub_f32_e32 v0, v0, v12
	v_mul_f32_e32 v3, 0x3fb8aa3b, v0
	v_cmp_ngt_f32_e64 s2, 0xc2ce8ed0, v0
	v_fma_f32 v4, 0x3fb8aa3b, v0, -v3
	v_rndne_f32_e32 v6, v3
	v_fmamk_f32 v4, v0, 0x32a5705f, v4
	v_sub_f32_e32 v3, v3, v6
	v_add_f32_e32 v3, v3, v4
	v_cvt_i32_f32_e32 v4, v6
	v_exp_f32_e32 v3, v3
	v_ldexp_f32 v3, v3, v4
	v_cndmask_b32_e64 v3, 0, v3, s2
	v_cmp_nlt_f32_e64 s2, 0x42b17218, v0
	v_cndmask_b32_e64 v6, 0x7f800000, v3, s2
	v_add_f32_e32 v10, v10, v6
.LBB734_41:
	s_or_b32 exec_lo, exec_lo, s3
.LBB734_42:
	s_or_b32 exec_lo, exec_lo, s5
	ds_bpermute_b32 v0, v5, v9
	ds_bpermute_b32 v3, v5, v10
	s_waitcnt lgkmcnt(1)
	v_add_f32_e32 v0, v9, v0
	s_waitcnt lgkmcnt(0)
	v_add_f32_e32 v3, v10, v3
	ds_bpermute_b32 v4, v13, v0
	ds_bpermute_b32 v5, v13, v3
	s_waitcnt lgkmcnt(1)
	v_add_f32_e32 v0, v0, v4
	s_waitcnt lgkmcnt(0)
	v_add_f32_e32 v3, v3, v5
	;; [unrolled: 6-line block ×5, first 2 shown]
	ds_bpermute_b32 v9, v17, v5
	ds_bpermute_b32 v4, v17, v3
	s_and_saveexec_b32 s2, vcc_lo
	s_cbranch_execz .LBB734_55
; %bb.43:
	v_add_co_u32 v0, vcc_lo, s12, v1
	v_add_co_ci_u32_e64 v1, null, s13, v2, vcc_lo
	s_and_saveexec_b32 s3, s1
	s_cbranch_execz .LBB734_50
; %bb.44:
	s_waitcnt lgkmcnt(1)
	v_add_f32_e32 v2, v5, v9
	v_mov_b32_e32 v5, 0x7e00
	v_cmp_neq_f32_e64 s2, 0, v2
	s_and_saveexec_b32 s4, s2
	s_cbranch_execz .LBB734_46
; %bb.45:
	v_div_scale_f32 v5, null, v2, v2, v18
	v_rcp_f32_e32 v9, v5
	v_fma_f32 v10, -v5, v9, 1.0
	v_fmac_f32_e32 v9, v10, v9
	v_div_scale_f32 v10, vcc_lo, v18, v2, v18
	v_mul_f32_e32 v12, v10, v9
	v_fma_f32 v13, -v5, v12, v10
	v_fmac_f32_e32 v12, v13, v9
	v_fma_f32 v5, -v5, v12, v10
	v_div_fmas_f32 v5, v5, v9, v12
	v_div_fixup_f32 v5, v5, v2, v18
	v_cvt_f16_f32_e32 v5, v5
.LBB734_46:
	s_or_b32 exec_lo, exec_lo, s4
	global_store_short v[0:1], v5, off
	s_and_b32 exec_lo, exec_lo, s0
	s_cbranch_execz .LBB734_50
; %bb.47:
	v_mov_b32_e32 v5, 0x7e00
	s_and_saveexec_b32 s4, s2
	s_cbranch_execz .LBB734_49
; %bb.48:
	v_div_scale_f32 v5, null, v2, v2, v7
	v_rcp_f32_e32 v9, v5
	v_fma_f32 v10, -v5, v9, 1.0
	v_fmac_f32_e32 v9, v10, v9
	v_div_scale_f32 v10, vcc_lo, v7, v2, v7
	v_mul_f32_e32 v12, v10, v9
	v_fma_f32 v13, -v5, v12, v10
	v_fmac_f32_e32 v12, v13, v9
	v_fma_f32 v5, -v5, v12, v10
	v_div_fmas_f32 v5, v5, v9, v12
	v_div_fixup_f32 v2, v5, v2, v7
	v_cvt_f16_f32_e32 v5, v2
.LBB734_49:
	s_or_b32 exec_lo, exec_lo, s4
	global_store_short v[0:1], v5, off offset:128
.LBB734_50:
	s_or_b32 exec_lo, exec_lo, s3
	v_cmp_ne_u32_e32 vcc_lo, 1, v11
	s_and_b32 exec_lo, exec_lo, vcc_lo
	s_cbranch_execz .LBB734_55
; %bb.51:
	s_and_b32 exec_lo, exec_lo, s1
	s_cbranch_execz .LBB734_55
; %bb.52:
	s_waitcnt lgkmcnt(0)
	v_add_f32_e32 v2, v3, v4
	s_mov_b32 s11, 0
	v_cmp_neq_f32_e64 s1, 0, v2
	s_and_saveexec_b32 s2, s1
	s_xor_b32 s2, exec_lo, s2
	s_cbranch_execnz .LBB734_56
; %bb.53:
	s_andn2_saveexec_b32 s2, s2
	s_cbranch_execnz .LBB734_57
.LBB734_54:
	s_or_b32 exec_lo, exec_lo, s2
	s_and_b32 exec_lo, exec_lo, s0
	s_cbranch_execnz .LBB734_58
.LBB734_55:
	s_endpgm
.LBB734_56:
	v_div_scale_f32 v3, null, v2, v2, v8
	v_div_scale_f32 v7, vcc_lo, v8, v2, v8
	s_lshl_b64 s[4:5], s[10:11], 1
	v_rcp_f32_e32 v4, v3
	v_fma_f32 v5, -v3, v4, 1.0
	v_fmac_f32_e32 v4, v5, v4
	v_mul_f32_e32 v5, v7, v4
	v_fma_f32 v9, -v3, v5, v7
	v_fmac_f32_e32 v5, v9, v4
	v_fma_f32 v3, -v3, v5, v7
	v_div_fmas_f32 v3, v3, v4, v5
	v_div_fixup_f32 v3, v3, v2, v8
	v_cvt_f16_f32_e32 v5, v3
	v_add_co_u32 v3, vcc_lo, v0, s4
	v_add_co_ci_u32_e64 v4, null, s5, v1, vcc_lo
	global_store_short v[3:4], v5, off
	s_andn2_saveexec_b32 s2, s2
	s_cbranch_execz .LBB734_54
.LBB734_57:
	s_lshl_b64 s[4:5], s[10:11], 1
	v_mov_b32_e32 v5, 0x7e00
	v_add_co_u32 v3, vcc_lo, v0, s4
	v_add_co_ci_u32_e64 v4, null, s5, v1, vcc_lo
	global_store_short v[3:4], v5, off
	s_or_b32 exec_lo, exec_lo, s2
	s_and_b32 exec_lo, exec_lo, s0
	s_cbranch_execz .LBB734_55
.LBB734_58:
	s_and_saveexec_b32 s0, s1
	s_xor_b32 s0, exec_lo, s0
	s_cbranch_execz .LBB734_60
; %bb.59:
	v_div_scale_f32 v3, null, v2, v2, v6
	v_div_scale_f32 v7, vcc_lo, v6, v2, v6
	s_lshl_b64 s[2:3], s[10:11], 1
	v_rcp_f32_e32 v4, v3
	v_fma_f32 v5, -v3, v4, 1.0
	v_fmac_f32_e32 v4, v5, v4
	v_mul_f32_e32 v5, v7, v4
	v_fma_f32 v8, -v3, v5, v7
	v_fmac_f32_e32 v5, v8, v4
	v_fma_f32 v3, -v3, v5, v7
	v_div_fmas_f32 v3, v3, v4, v5
	v_add_co_u32 v0, vcc_lo, v0, s2
	v_add_co_ci_u32_e64 v1, null, s3, v1, vcc_lo
	v_div_fixup_f32 v2, v3, v2, v6
	v_cvt_f16_f32_e32 v2, v2
	global_store_short v[0:1], v2, off offset:128
                                        ; implicit-def: $vgpr0
.LBB734_60:
	s_andn2_saveexec_b32 s0, s0
	s_cbranch_execz .LBB734_55
; %bb.61:
	s_lshl_b64 s[0:1], s[10:11], 1
	v_mov_b32_e32 v2, 0x7e00
	v_add_co_u32 v0, vcc_lo, v0, s0
	v_add_co_ci_u32_e64 v1, null, s1, v1, vcc_lo
	global_store_short v[0:1], v2, off offset:128
	s_endpgm
	.section	.rodata,"a",@progbits
	.p2align	6, 0x0
	.amdhsa_kernel _ZN12_GLOBAL__N_120softmax_warp_forwardIN3c104HalfES2_fLi7ELb0ELb1ELi64EEEvPT0_PKT_iiiPKbib
		.amdhsa_group_segment_fixed_size 0
		.amdhsa_private_segment_fixed_size 0
		.amdhsa_kernarg_size 304
		.amdhsa_user_sgpr_count 6
		.amdhsa_user_sgpr_private_segment_buffer 1
		.amdhsa_user_sgpr_dispatch_ptr 0
		.amdhsa_user_sgpr_queue_ptr 0
		.amdhsa_user_sgpr_kernarg_segment_ptr 1
		.amdhsa_user_sgpr_dispatch_id 0
		.amdhsa_user_sgpr_flat_scratch_init 0
		.amdhsa_user_sgpr_private_segment_size 0
		.amdhsa_wavefront_size32 1
		.amdhsa_uses_dynamic_stack 0
		.amdhsa_system_sgpr_private_segment_wavefront_offset 0
		.amdhsa_system_sgpr_workgroup_id_x 1
		.amdhsa_system_sgpr_workgroup_id_y 0
		.amdhsa_system_sgpr_workgroup_id_z 0
		.amdhsa_system_sgpr_workgroup_info 0
		.amdhsa_system_vgpr_workitem_id 1
		.amdhsa_next_free_vgpr 23
		.amdhsa_next_free_sgpr 17
		.amdhsa_reserve_vcc 1
		.amdhsa_reserve_flat_scratch 0
		.amdhsa_float_round_mode_32 0
		.amdhsa_float_round_mode_16_64 0
		.amdhsa_float_denorm_mode_32 3
		.amdhsa_float_denorm_mode_16_64 3
		.amdhsa_dx10_clamp 1
		.amdhsa_ieee_mode 1
		.amdhsa_fp16_overflow 0
		.amdhsa_workgroup_processor_mode 1
		.amdhsa_memory_ordered 1
		.amdhsa_forward_progress 1
		.amdhsa_shared_vgpr_count 0
		.amdhsa_exception_fp_ieee_invalid_op 0
		.amdhsa_exception_fp_denorm_src 0
		.amdhsa_exception_fp_ieee_div_zero 0
		.amdhsa_exception_fp_ieee_overflow 0
		.amdhsa_exception_fp_ieee_underflow 0
		.amdhsa_exception_fp_ieee_inexact 0
		.amdhsa_exception_int_div_zero 0
	.end_amdhsa_kernel
	.section	.text._ZN12_GLOBAL__N_120softmax_warp_forwardIN3c104HalfES2_fLi7ELb0ELb1ELi64EEEvPT0_PKT_iiiPKbib,"axG",@progbits,_ZN12_GLOBAL__N_120softmax_warp_forwardIN3c104HalfES2_fLi7ELb0ELb1ELi64EEEvPT0_PKT_iiiPKbib,comdat
.Lfunc_end734:
	.size	_ZN12_GLOBAL__N_120softmax_warp_forwardIN3c104HalfES2_fLi7ELb0ELb1ELi64EEEvPT0_PKT_iiiPKbib, .Lfunc_end734-_ZN12_GLOBAL__N_120softmax_warp_forwardIN3c104HalfES2_fLi7ELb0ELb1ELi64EEEvPT0_PKT_iiiPKbib
                                        ; -- End function
	.set _ZN12_GLOBAL__N_120softmax_warp_forwardIN3c104HalfES2_fLi7ELb0ELb1ELi64EEEvPT0_PKT_iiiPKbib.num_vgpr, 23
	.set _ZN12_GLOBAL__N_120softmax_warp_forwardIN3c104HalfES2_fLi7ELb0ELb1ELi64EEEvPT0_PKT_iiiPKbib.num_agpr, 0
	.set _ZN12_GLOBAL__N_120softmax_warp_forwardIN3c104HalfES2_fLi7ELb0ELb1ELi64EEEvPT0_PKT_iiiPKbib.numbered_sgpr, 17
	.set _ZN12_GLOBAL__N_120softmax_warp_forwardIN3c104HalfES2_fLi7ELb0ELb1ELi64EEEvPT0_PKT_iiiPKbib.num_named_barrier, 0
	.set _ZN12_GLOBAL__N_120softmax_warp_forwardIN3c104HalfES2_fLi7ELb0ELb1ELi64EEEvPT0_PKT_iiiPKbib.private_seg_size, 0
	.set _ZN12_GLOBAL__N_120softmax_warp_forwardIN3c104HalfES2_fLi7ELb0ELb1ELi64EEEvPT0_PKT_iiiPKbib.uses_vcc, 1
	.set _ZN12_GLOBAL__N_120softmax_warp_forwardIN3c104HalfES2_fLi7ELb0ELb1ELi64EEEvPT0_PKT_iiiPKbib.uses_flat_scratch, 0
	.set _ZN12_GLOBAL__N_120softmax_warp_forwardIN3c104HalfES2_fLi7ELb0ELb1ELi64EEEvPT0_PKT_iiiPKbib.has_dyn_sized_stack, 0
	.set _ZN12_GLOBAL__N_120softmax_warp_forwardIN3c104HalfES2_fLi7ELb0ELb1ELi64EEEvPT0_PKT_iiiPKbib.has_recursion, 0
	.set _ZN12_GLOBAL__N_120softmax_warp_forwardIN3c104HalfES2_fLi7ELb0ELb1ELi64EEEvPT0_PKT_iiiPKbib.has_indirect_call, 0
	.section	.AMDGPU.csdata,"",@progbits
; Kernel info:
; codeLenInByte = 3028
; TotalNumSgprs: 19
; NumVgprs: 23
; ScratchSize: 0
; MemoryBound: 0
; FloatMode: 240
; IeeeMode: 1
; LDSByteSize: 0 bytes/workgroup (compile time only)
; SGPRBlocks: 0
; VGPRBlocks: 2
; NumSGPRsForWavesPerEU: 19
; NumVGPRsForWavesPerEU: 23
; Occupancy: 16
; WaveLimiterHint : 0
; COMPUTE_PGM_RSRC2:SCRATCH_EN: 0
; COMPUTE_PGM_RSRC2:USER_SGPR: 6
; COMPUTE_PGM_RSRC2:TRAP_HANDLER: 0
; COMPUTE_PGM_RSRC2:TGID_X_EN: 1
; COMPUTE_PGM_RSRC2:TGID_Y_EN: 0
; COMPUTE_PGM_RSRC2:TGID_Z_EN: 0
; COMPUTE_PGM_RSRC2:TIDIG_COMP_CNT: 1
	.section	.text._ZN12_GLOBAL__N_120softmax_warp_forwardIN3c104HalfES2_fLi7ELb0ELb1ELi32EEEvPT0_PKT_iiiPKbib,"axG",@progbits,_ZN12_GLOBAL__N_120softmax_warp_forwardIN3c104HalfES2_fLi7ELb0ELb1ELi32EEEvPT0_PKT_iiiPKbib,comdat
	.globl	_ZN12_GLOBAL__N_120softmax_warp_forwardIN3c104HalfES2_fLi7ELb0ELb1ELi32EEEvPT0_PKT_iiiPKbib ; -- Begin function _ZN12_GLOBAL__N_120softmax_warp_forwardIN3c104HalfES2_fLi7ELb0ELb1ELi32EEEvPT0_PKT_iiiPKbib
	.p2align	8
	.type	_ZN12_GLOBAL__N_120softmax_warp_forwardIN3c104HalfES2_fLi7ELb0ELb1ELi32EEEvPT0_PKT_iiiPKbib,@function
_ZN12_GLOBAL__N_120softmax_warp_forwardIN3c104HalfES2_fLi7ELb0ELb1ELi32EEEvPT0_PKT_iiiPKbib: ; @_ZN12_GLOBAL__N_120softmax_warp_forwardIN3c104HalfES2_fLi7ELb0ELb1ELi32EEEvPT0_PKT_iiiPKbib
; %bb.0:
	s_clause 0x2
	s_load_dwordx2 s[0:1], s[4:5], 0x28
	s_load_dword s2, s[4:5], 0x3c
	s_load_dwordx4 s[8:11], s[4:5], 0x10
	s_waitcnt lgkmcnt(0)
	s_bitcmp1_b32 s1, 0
	s_cselect_b32 s19, -1, 0
	s_lshr_b32 s2, s2, 16
	s_and_b32 s2, s2, 0xffff
	s_bitcmp0_b32 s1, 0
	s_mul_i32 s6, s6, s2
	v_add_lshl_u32 v5, s6, v1, 1
	v_mul_lo_u32 v6, v5, s9
	v_add_nc_u32_e32 v1, v6, v0
	v_ashrrev_i32_e32 v2, 31, v1
	v_mov_b32_e32 v4, v2
	v_mov_b32_e32 v3, v1
	s_cbranch_scc1 .LBB735_2
; %bb.1:
	s_abs_i32 s1, s0
	v_sub_nc_u32_e32 v7, 0, v6
	v_cvt_f32_u32_e32 v3, s1
	s_sub_i32 s2, 0, s1
	v_max_i32_e32 v7, v6, v7
	v_rcp_iflag_f32_e32 v3, v3
	v_xor_b32_e32 v6, s0, v6
	v_ashrrev_i32_e32 v6, 31, v6
	v_mul_f32_e32 v3, 0x4f7ffffe, v3
	v_cvt_u32_f32_e32 v3, v3
	v_mul_lo_u32 v4, s2, v3
	v_mul_hi_u32 v4, v3, v4
	v_add_nc_u32_e32 v3, v3, v4
	v_mul_hi_u32 v3, v7, v3
	v_mul_lo_u32 v4, v3, s1
	v_sub_nc_u32_e32 v4, v7, v4
	v_add_nc_u32_e32 v7, 1, v3
	v_subrev_nc_u32_e32 v8, s1, v4
	v_cmp_le_u32_e32 vcc_lo, s1, v4
	v_cndmask_b32_e32 v3, v3, v7, vcc_lo
	v_cndmask_b32_e32 v4, v4, v8, vcc_lo
	v_add_nc_u32_e32 v7, 1, v3
	v_cmp_le_u32_e32 vcc_lo, s1, v4
	v_cndmask_b32_e32 v3, v3, v7, vcc_lo
	v_xor_b32_e32 v3, v3, v6
	v_sub_nc_u32_e32 v3, v3, v6
	v_mad_u64_u32 v[3:4], null, v3, s9, v[0:1]
	v_ashrrev_i32_e32 v4, 31, v3
.LBB735_2:
	s_load_dwordx4 s[12:15], s[4:5], 0x0
	v_lshlrev_b64 v[1:2], 1, v[1:2]
	v_sub_nc_u32_e32 v11, s8, v5
	v_cmp_gt_i32_e64 s3, s10, v0
	v_mov_b32_e32 v16, 0xff800000
	v_mov_b32_e32 v7, 0xff800000
	v_cmp_lt_i32_e32 vcc_lo, 0, v11
	s_and_b32 s18, vcc_lo, s3
	s_waitcnt lgkmcnt(0)
	v_add_co_u32 v8, s0, s14, v1
	v_add_co_ci_u32_e64 v9, null, s15, v2, s0
	s_and_saveexec_b32 s0, s18
	s_cbranch_execz .LBB735_4
; %bb.3:
	global_load_ushort v5, v[8:9], off
	s_waitcnt vmcnt(0)
	v_cvt_f32_f16_e32 v7, v5
.LBB735_4:
	s_or_b32 exec_lo, exec_lo, s0
	v_add_nc_u32_e32 v5, 32, v0
	v_cmp_gt_i32_e64 s2, s10, v5
	s_and_b32 s17, vcc_lo, s2
	s_and_saveexec_b32 s0, s17
	s_cbranch_execz .LBB735_6
; %bb.5:
	global_load_ushort v5, v[8:9], off offset:64
	s_waitcnt vmcnt(0)
	v_cvt_f32_f16_e32 v16, v5
.LBB735_6:
	s_or_b32 exec_lo, exec_lo, s0
	v_add_nc_u32_e32 v5, 64, v0
	v_mov_b32_e32 v14, 0xff800000
	v_mov_b32_e32 v15, 0xff800000
	v_cmp_gt_i32_e64 s1, s10, v5
	s_and_b32 s16, vcc_lo, s1
	s_and_saveexec_b32 s0, s16
	s_cbranch_execz .LBB735_8
; %bb.7:
	global_load_ushort v5, v[8:9], off offset:128
	s_waitcnt vmcnt(0)
	v_cvt_f32_f16_e32 v15, v5
.LBB735_8:
	s_or_b32 exec_lo, exec_lo, s0
	v_add_nc_u32_e32 v0, 0x60, v0
	v_cmp_gt_i32_e64 s0, s10, v0
	s_and_b32 s15, vcc_lo, s0
	s_and_saveexec_b32 s6, s15
	s_cbranch_execz .LBB735_10
; %bb.9:
	global_load_ushort v0, v[8:9], off offset:192
	s_waitcnt vmcnt(0)
	v_cvt_f32_f16_e32 v14, v0
.LBB735_10:
	s_or_b32 exec_lo, exec_lo, s6
	v_cmp_lt_i32_e64 s6, 1, v11
	v_mov_b32_e32 v13, 0xff800000
	v_mov_b32_e32 v6, 0xff800000
	s_and_b32 s14, s6, s3
	s_and_saveexec_b32 s8, s14
	s_cbranch_execz .LBB735_12
; %bb.11:
	s_mov_b32 s11, 0
	s_lshl_b64 s[20:21], s[10:11], 1
	v_add_co_u32 v5, s7, v8, s20
	v_add_co_ci_u32_e64 v6, null, s21, v9, s7
	global_load_ushort v0, v[5:6], off
	s_waitcnt vmcnt(0)
	v_cvt_f32_f16_e32 v6, v0
.LBB735_12:
	s_or_b32 exec_lo, exec_lo, s8
	s_and_b32 s9, s6, s2
	s_and_saveexec_b32 s8, s9
	s_cbranch_execz .LBB735_14
; %bb.13:
	s_mov_b32 s11, 0
	s_lshl_b64 s[20:21], s[10:11], 1
	v_add_co_u32 v12, s7, v8, s20
	v_add_co_ci_u32_e64 v13, null, s21, v9, s7
	global_load_ushort v0, v[12:13], off offset:64
	s_waitcnt vmcnt(0)
	v_cvt_f32_f16_e32 v13, v0
.LBB735_14:
	s_or_b32 exec_lo, exec_lo, s8
	v_mov_b32_e32 v0, 0xff800000
	v_mov_b32_e32 v12, 0xff800000
	s_and_b32 s8, s6, s1
	s_and_saveexec_b32 s20, s8
	s_cbranch_execz .LBB735_16
; %bb.15:
	s_mov_b32 s11, 0
	s_lshl_b64 s[22:23], s[10:11], 1
	v_add_co_u32 v17, s7, v8, s22
	v_add_co_ci_u32_e64 v18, null, s23, v9, s7
	global_load_ushort v5, v[17:18], off offset:128
	s_waitcnt vmcnt(0)
	v_cvt_f32_f16_e32 v12, v5
.LBB735_16:
	s_or_b32 exec_lo, exec_lo, s20
	s_and_b32 s7, s6, s0
	s_and_saveexec_b32 s20, s7
	s_cbranch_execz .LBB735_18
; %bb.17:
	s_mov_b32 s11, 0
	s_lshl_b64 s[22:23], s[10:11], 1
	v_add_co_u32 v8, s6, v8, s22
	v_add_co_ci_u32_e64 v9, null, s23, v9, s6
	global_load_ushort v0, v[8:9], off offset:192
	s_waitcnt vmcnt(0)
	v_cvt_f32_f16_e32 v0, v0
.LBB735_18:
	s_or_b32 exec_lo, exec_lo, s20
	s_load_dwordx2 s[4:5], s[4:5], 0x20
	v_mov_b32_e32 v9, v8
	v_mov_b32_e32 v8, v7
	s_waitcnt lgkmcnt(0)
	v_add_co_u32 v3, s4, s4, v3
	v_add_co_ci_u32_e64 v4, null, s5, v4, s4
	s_mov_b32 s5, 0
	s_and_saveexec_b32 s6, s18
	s_cbranch_execnz .LBB735_22
; %bb.19:
	s_or_b32 exec_lo, exec_lo, s6
	s_and_saveexec_b32 s6, s17
	s_cbranch_execnz .LBB735_25
.LBB735_20:
	s_or_b32 exec_lo, exec_lo, s6
	s_and_saveexec_b32 s6, s16
	s_cbranch_execnz .LBB735_28
.LBB735_21:
	s_or_b32 exec_lo, exec_lo, s6
	s_and_saveexec_b32 s6, s15
	s_cbranch_execnz .LBB735_31
	s_branch .LBB735_34
.LBB735_22:
	global_load_ubyte v5, v[3:4], off
	v_mov_b32_e32 v9, v8
	v_mov_b32_e32 v8, v7
	s_waitcnt vmcnt(0)
	v_and_b32_e32 v5, 1, v5
	v_cmp_eq_u32_e64 s4, 1, v5
	s_xor_b32 s11, s4, -1
	s_and_saveexec_b32 s4, s11
; %bb.23:
	v_mov_b32_e32 v9, v8
	v_mov_b32_e32 v8, v7
	s_mov_b32 s5, exec_lo
; %bb.24:
	s_or_b32 exec_lo, exec_lo, s4
	s_and_b32 s5, s5, exec_lo
	s_or_b32 exec_lo, exec_lo, s6
	s_and_saveexec_b32 s6, s17
	s_cbranch_execz .LBB735_20
.LBB735_25:
	global_load_ubyte v5, v[3:4], off offset:32
	s_waitcnt vmcnt(0)
	v_and_b32_e32 v5, 1, v5
	v_cmp_eq_u32_e64 s4, 1, v5
	s_xor_b32 s20, s4, -1
	s_mov_b32 s4, s5
	s_and_saveexec_b32 s11, s20
; %bb.26:
	v_cmp_gt_f32_e64 s4, v8, v16
	s_and_b32 s4, s5, s4
	v_cndmask_b32_e64 v8, v16, v8, s4
	s_or_b32 s4, s5, exec_lo
; %bb.27:
	s_or_b32 exec_lo, exec_lo, s11
	s_andn2_b32 s5, s5, exec_lo
	s_and_b32 s4, s4, exec_lo
	s_or_b32 s5, s5, s4
	s_or_b32 exec_lo, exec_lo, s6
	s_and_saveexec_b32 s6, s16
	s_cbranch_execz .LBB735_21
.LBB735_28:
	global_load_ubyte v5, v[3:4], off offset:64
	s_waitcnt vmcnt(0)
	v_and_b32_e32 v5, 1, v5
	v_cmp_eq_u32_e64 s4, 1, v5
	s_xor_b32 s20, s4, -1
	s_mov_b32 s4, s5
	s_and_saveexec_b32 s11, s20
; %bb.29:
	v_cmp_gt_f32_e64 s4, v8, v15
	s_and_b32 s4, s5, s4
	v_cndmask_b32_e64 v8, v15, v8, s4
	s_or_b32 s4, s5, exec_lo
; %bb.30:
	s_or_b32 exec_lo, exec_lo, s11
	s_andn2_b32 s5, s5, exec_lo
	s_and_b32 s4, s4, exec_lo
	s_or_b32 s5, s5, s4
	s_or_b32 exec_lo, exec_lo, s6
	s_and_saveexec_b32 s6, s15
	s_cbranch_execz .LBB735_34
.LBB735_31:
	global_load_ubyte v5, v[3:4], off offset:96
	s_waitcnt vmcnt(0)
	v_and_b32_e32 v5, 1, v5
	v_cmp_eq_u32_e64 s4, 1, v5
	s_xor_b32 s20, s4, -1
	s_mov_b32 s4, s5
	s_and_saveexec_b32 s11, s20
; %bb.32:
	v_cmp_gt_f32_e64 s4, v8, v14
	s_and_b32 s4, s5, s4
	v_cndmask_b32_e64 v8, v14, v8, s4
	s_or_b32 s4, s5, exec_lo
; %bb.33:
	s_or_b32 exec_lo, exec_lo, s11
	s_andn2_b32 s5, s5, exec_lo
	s_and_b32 s4, s4, exec_lo
	s_or_b32 s5, s5, s4
.LBB735_34:
	s_or_b32 exec_lo, exec_lo, s6
	v_cndmask_b32_e64 v5, 0xff800000, v8, s5
	v_mov_b32_e32 v9, v6
	s_and_b32 s4, s19, exec_lo
	s_mov_b32 s6, 0
	s_cselect_b32 s5, 0, s10
	v_mov_b32_e32 v8, v5
	s_and_saveexec_b32 s11, s14
	s_cbranch_execnz .LBB735_38
; %bb.35:
	s_or_b32 exec_lo, exec_lo, s11
	s_and_saveexec_b32 s11, s9
	s_cbranch_execnz .LBB735_41
.LBB735_36:
	s_or_b32 exec_lo, exec_lo, s11
	s_and_saveexec_b32 s11, s8
	s_cbranch_execnz .LBB735_44
.LBB735_37:
	s_or_b32 exec_lo, exec_lo, s11
	s_and_saveexec_b32 s11, s7
	s_cbranch_execnz .LBB735_47
	s_branch .LBB735_50
.LBB735_38:
	s_ashr_i32 s6, s5, 31
	v_add_co_u32 v8, s4, v3, s5
	v_add_co_ci_u32_e64 v9, null, s6, v4, s4
	s_mov_b32 s6, 0
	global_load_ubyte v8, v[8:9], off
	s_waitcnt vmcnt(0)
	v_and_b32_e32 v8, 1, v8
	v_cmp_eq_u32_e64 s4, 1, v8
	v_mov_b32_e32 v9, v6
	v_mov_b32_e32 v8, v5
	s_xor_b32 s19, s4, -1
	s_and_saveexec_b32 s4, s19
; %bb.39:
	v_mov_b32_e32 v9, v6
	v_mov_b32_e32 v8, v5
	s_mov_b32 s6, exec_lo
; %bb.40:
	s_or_b32 exec_lo, exec_lo, s4
	s_and_b32 s6, s6, exec_lo
	s_or_b32 exec_lo, exec_lo, s11
	s_and_saveexec_b32 s11, s9
	s_cbranch_execz .LBB735_36
.LBB735_41:
	s_ashr_i32 s19, s5, 31
	v_add_co_u32 v17, s4, v3, s5
	v_add_co_ci_u32_e64 v18, null, s19, v4, s4
	global_load_ubyte v5, v[17:18], off offset:32
	s_waitcnt vmcnt(0)
	v_and_b32_e32 v5, 1, v5
	v_cmp_eq_u32_e64 s4, 1, v5
	s_xor_b32 s20, s4, -1
	s_mov_b32 s4, s6
	s_and_saveexec_b32 s19, s20
; %bb.42:
	v_cmp_gt_f32_e64 s4, v9, v13
	s_and_b32 s4, s6, s4
	v_cndmask_b32_e64 v9, v13, v9, s4
	s_or_b32 s4, s6, exec_lo
; %bb.43:
	s_or_b32 exec_lo, exec_lo, s19
	s_andn2_b32 s6, s6, exec_lo
	s_and_b32 s4, s4, exec_lo
	s_or_b32 s6, s6, s4
	s_or_b32 exec_lo, exec_lo, s11
	s_and_saveexec_b32 s11, s8
	s_cbranch_execz .LBB735_37
.LBB735_44:
	s_ashr_i32 s19, s5, 31
	v_add_co_u32 v17, s4, v3, s5
	v_add_co_ci_u32_e64 v18, null, s19, v4, s4
	global_load_ubyte v5, v[17:18], off offset:64
	s_waitcnt vmcnt(0)
	v_and_b32_e32 v5, 1, v5
	v_cmp_eq_u32_e64 s4, 1, v5
	s_xor_b32 s20, s4, -1
	s_mov_b32 s4, s6
	s_and_saveexec_b32 s19, s20
; %bb.45:
	v_cmp_gt_f32_e64 s4, v9, v12
	s_and_b32 s4, s6, s4
	v_cndmask_b32_e64 v9, v12, v9, s4
	s_or_b32 s4, s6, exec_lo
; %bb.46:
	s_or_b32 exec_lo, exec_lo, s19
	s_andn2_b32 s6, s6, exec_lo
	s_and_b32 s4, s4, exec_lo
	s_or_b32 s6, s6, s4
	s_or_b32 exec_lo, exec_lo, s11
	s_and_saveexec_b32 s11, s7
	s_cbranch_execz .LBB735_50
.LBB735_47:
	s_ashr_i32 s19, s5, 31
	v_add_co_u32 v17, s4, v3, s5
	v_add_co_ci_u32_e64 v18, null, s19, v4, s4
	global_load_ubyte v5, v[17:18], off offset:96
	s_waitcnt vmcnt(0)
	v_and_b32_e32 v5, 1, v5
	v_cmp_eq_u32_e64 s4, 1, v5
	s_xor_b32 s20, s4, -1
	s_mov_b32 s4, s6
	s_and_saveexec_b32 s19, s20
; %bb.48:
	v_cmp_gt_f32_e64 s4, v9, v0
	s_and_b32 s4, s6, s4
	v_cndmask_b32_e64 v9, v0, v9, s4
	s_or_b32 s4, s6, exec_lo
; %bb.49:
	s_or_b32 exec_lo, exec_lo, s19
	s_andn2_b32 s6, s6, exec_lo
	s_and_b32 s4, s4, exec_lo
	s_or_b32 s6, s6, s4
.LBB735_50:
	s_or_b32 exec_lo, exec_lo, s11
	v_mbcnt_lo_u32_b32 v10, -1, 0
	v_cndmask_b32_e64 v9, 0xff800000, v9, s6
	v_xor_b32_e32 v5, 16, v10
	v_xor_b32_e32 v17, 8, v10
	v_cmp_gt_i32_e64 s4, 32, v5
	v_cndmask_b32_e64 v5, v10, v5, s4
	v_cmp_gt_i32_e64 s4, 32, v17
	v_lshlrev_b32_e32 v5, 2, v5
	v_cndmask_b32_e64 v17, v10, v17, s4
	ds_bpermute_b32 v18, v5, v8
	ds_bpermute_b32 v19, v5, v9
	v_lshlrev_b32_e32 v17, 2, v17
	s_waitcnt lgkmcnt(1)
	v_cmp_lt_f32_e64 s4, v8, v18
	v_cndmask_b32_e64 v8, v8, v18, s4
	s_waitcnt lgkmcnt(0)
	v_cmp_lt_f32_e64 s4, v9, v19
	v_xor_b32_e32 v18, 4, v10
	ds_bpermute_b32 v20, v17, v8
	v_cndmask_b32_e64 v9, v9, v19, s4
	v_cmp_gt_i32_e64 s4, 32, v18
	ds_bpermute_b32 v19, v17, v9
	v_cndmask_b32_e64 v18, v10, v18, s4
	v_lshlrev_b32_e32 v18, 2, v18
	s_waitcnt lgkmcnt(1)
	v_cmp_lt_f32_e64 s4, v8, v20
	v_cndmask_b32_e64 v8, v8, v20, s4
	s_waitcnt lgkmcnt(0)
	v_cmp_lt_f32_e64 s4, v9, v19
	ds_bpermute_b32 v20, v18, v8
	v_cndmask_b32_e64 v9, v9, v19, s4
	v_xor_b32_e32 v19, 2, v10
	ds_bpermute_b32 v21, v18, v9
	v_cmp_gt_i32_e64 s4, 32, v19
	v_cndmask_b32_e64 v19, v10, v19, s4
	v_lshlrev_b32_e32 v19, 2, v19
	s_waitcnt lgkmcnt(1)
	v_cmp_lt_f32_e64 s4, v8, v20
	v_cndmask_b32_e64 v8, v8, v20, s4
	s_waitcnt lgkmcnt(0)
	v_cmp_lt_f32_e64 s4, v9, v21
	v_xor_b32_e32 v20, 1, v10
	ds_bpermute_b32 v22, v19, v8
	v_cndmask_b32_e64 v9, v9, v21, s4
	v_cmp_gt_i32_e64 s4, 32, v20
	ds_bpermute_b32 v21, v19, v9
	v_cndmask_b32_e64 v10, v10, v20, s4
	v_lshlrev_b32_e32 v20, 2, v10
	s_waitcnt lgkmcnt(1)
	v_cmp_lt_f32_e64 s4, v8, v22
	v_cndmask_b32_e64 v10, v8, v22, s4
	s_waitcnt lgkmcnt(0)
	v_cmp_lt_f32_e64 s4, v9, v21
	v_mov_b32_e32 v8, 0
	ds_bpermute_b32 v22, v20, v10
	v_cndmask_b32_e64 v23, v9, v21, s4
	v_mov_b32_e32 v9, v8
	v_mov_b32_e32 v21, 0
	ds_bpermute_b32 v24, v20, v23
	s_waitcnt lgkmcnt(1)
	v_cmp_lt_f32_e64 s4, v10, v22
	v_cndmask_b32_e64 v25, v10, v22, s4
	v_mov_b32_e32 v10, v9
	v_mov_b32_e32 v9, v8
	s_and_saveexec_b32 s6, s18
	s_cbranch_execnz .LBB735_53
; %bb.51:
	s_or_b32 exec_lo, exec_lo, s6
	v_mov_b32_e32 v22, 0
	s_and_saveexec_b32 s6, s17
	s_cbranch_execnz .LBB735_56
.LBB735_52:
	s_or_b32 exec_lo, exec_lo, s6
	s_and_saveexec_b32 s6, s16
	s_cbranch_execnz .LBB735_59
	s_branch .LBB735_62
.LBB735_53:
	global_load_ubyte v9, v[3:4], off
	s_waitcnt vmcnt(0)
	v_and_b32_e32 v10, 1, v9
	v_mov_b32_e32 v9, 0
	v_cmp_eq_u32_e64 s4, 1, v10
	v_mov_b32_e32 v10, v9
	v_mov_b32_e32 v21, v9
	s_xor_b32 s4, s4, -1
	s_and_saveexec_b32 s11, s4
	s_cbranch_execz .LBB735_55
; %bb.54:
	v_sub_f32_e32 v7, v7, v25
	v_mul_f32_e32 v9, 0x3fb8aa3b, v7
	v_cmp_ngt_f32_e64 s4, 0xc2ce8ed0, v7
	v_fma_f32 v10, 0x3fb8aa3b, v7, -v9
	v_rndne_f32_e32 v21, v9
	v_fmamk_f32 v10, v7, 0x32a5705f, v10
	v_sub_f32_e32 v9, v9, v21
	v_add_f32_e32 v9, v9, v10
	v_cvt_i32_f32_e32 v10, v21
	v_exp_f32_e32 v9, v9
	v_ldexp_f32 v9, v9, v10
	v_mov_b32_e32 v10, 0
	v_cndmask_b32_e64 v9, 0, v9, s4
	v_cmp_nlt_f32_e64 s4, 0x42b17218, v7
	v_cndmask_b32_e64 v9, 0x7f800000, v9, s4
	v_mov_b32_e32 v21, v9
.LBB735_55:
	s_or_b32 exec_lo, exec_lo, s11
	s_or_b32 exec_lo, exec_lo, s6
	v_mov_b32_e32 v22, 0
	s_and_saveexec_b32 s6, s17
	s_cbranch_execz .LBB735_52
.LBB735_56:
	global_load_ubyte v7, v[3:4], off offset:32
	v_mov_b32_e32 v22, 0
	s_waitcnt vmcnt(0)
	v_and_b32_e32 v7, 1, v7
	v_cmp_eq_u32_e64 s4, 1, v7
	s_xor_b32 s4, s4, -1
	s_and_saveexec_b32 s11, s4
	s_cbranch_execz .LBB735_58
; %bb.57:
	v_sub_f32_e32 v7, v16, v25
	v_mul_f32_e32 v16, 0x3fb8aa3b, v7
	v_cmp_ngt_f32_e64 s4, 0xc2ce8ed0, v7
	v_fma_f32 v22, 0x3fb8aa3b, v7, -v16
	v_rndne_f32_e32 v26, v16
	v_fmamk_f32 v22, v7, 0x32a5705f, v22
	v_sub_f32_e32 v16, v16, v26
	v_add_f32_e32 v16, v16, v22
	v_cvt_i32_f32_e32 v22, v26
	v_exp_f32_e32 v16, v16
	v_ldexp_f32 v16, v16, v22
	v_cndmask_b32_e64 v16, 0, v16, s4
	v_cmp_nlt_f32_e64 s4, 0x42b17218, v7
	v_cndmask_b32_e64 v22, 0x7f800000, v16, s4
	v_add_f32_e32 v9, v9, v22
.LBB735_58:
	s_or_b32 exec_lo, exec_lo, s11
	s_or_b32 exec_lo, exec_lo, s6
	s_and_saveexec_b32 s6, s16
	s_cbranch_execz .LBB735_62
.LBB735_59:
	global_load_ubyte v7, v[3:4], off offset:64
	v_mov_b32_e32 v8, 0
	s_waitcnt vmcnt(0)
	v_and_b32_e32 v7, 1, v7
	v_cmp_eq_u32_e64 s4, 1, v7
	s_xor_b32 s4, s4, -1
	s_and_saveexec_b32 s11, s4
	s_cbranch_execz .LBB735_61
; %bb.60:
	v_sub_f32_e32 v7, v15, v25
	v_mul_f32_e32 v8, 0x3fb8aa3b, v7
	v_cmp_ngt_f32_e64 s4, 0xc2ce8ed0, v7
	v_fma_f32 v15, 0x3fb8aa3b, v7, -v8
	v_rndne_f32_e32 v16, v8
	v_fmamk_f32 v15, v7, 0x32a5705f, v15
	v_sub_f32_e32 v8, v8, v16
	v_add_f32_e32 v8, v8, v15
	v_cvt_i32_f32_e32 v15, v16
	v_exp_f32_e32 v8, v8
	v_ldexp_f32 v8, v8, v15
	v_cndmask_b32_e64 v8, 0, v8, s4
	v_cmp_nlt_f32_e64 s4, 0x42b17218, v7
	v_cndmask_b32_e64 v8, 0x7f800000, v8, s4
	v_add_f32_e32 v9, v9, v8
.LBB735_61:
	s_or_b32 exec_lo, exec_lo, s11
.LBB735_62:
	s_or_b32 exec_lo, exec_lo, s6
	v_mov_b32_e32 v7, 0
	v_mov_b32_e32 v15, 0
	s_and_saveexec_b32 s6, s15
	s_cbranch_execz .LBB735_66
; %bb.63:
	global_load_ubyte v15, v[3:4], off offset:96
	s_waitcnt vmcnt(0)
	v_and_b32_e32 v15, 1, v15
	v_cmp_eq_u32_e64 s4, 1, v15
	v_mov_b32_e32 v15, 0
	s_xor_b32 s4, s4, -1
	s_and_saveexec_b32 s11, s4
	s_cbranch_execz .LBB735_65
; %bb.64:
	v_sub_f32_e32 v14, v14, v25
	v_mul_f32_e32 v15, 0x3fb8aa3b, v14
	v_cmp_ngt_f32_e64 s4, 0xc2ce8ed0, v14
	v_fma_f32 v16, 0x3fb8aa3b, v14, -v15
	v_rndne_f32_e32 v25, v15
	v_fmamk_f32 v16, v14, 0x32a5705f, v16
	v_sub_f32_e32 v15, v15, v25
	v_add_f32_e32 v15, v15, v16
	v_cvt_i32_f32_e32 v16, v25
	v_exp_f32_e32 v15, v15
	v_ldexp_f32 v15, v15, v16
	v_cndmask_b32_e64 v15, 0, v15, s4
	v_cmp_nlt_f32_e64 s4, 0x42b17218, v14
	v_cndmask_b32_e64 v15, 0x7f800000, v15, s4
	v_add_f32_e32 v9, v9, v15
.LBB735_65:
	s_or_b32 exec_lo, exec_lo, s11
.LBB735_66:
	s_or_b32 exec_lo, exec_lo, s6
	s_waitcnt lgkmcnt(0)
	v_cmp_lt_f32_e64 s4, v23, v24
	v_cndmask_b32_e64 v16, v23, v24, s4
	s_and_saveexec_b32 s6, s14
	s_cbranch_execz .LBB735_70
; %bb.67:
	s_ashr_i32 s11, s5, 31
	v_add_co_u32 v23, s4, v3, s5
	v_add_co_ci_u32_e64 v24, null, s11, v4, s4
	global_load_ubyte v7, v[23:24], off
	s_waitcnt vmcnt(0)
	v_and_b32_e32 v7, 1, v7
	v_cmp_eq_u32_e64 s4, 1, v7
	v_mov_b32_e32 v7, 0
	s_xor_b32 s4, s4, -1
	s_and_saveexec_b32 s11, s4
	s_cbranch_execz .LBB735_69
; %bb.68:
	v_sub_f32_e32 v6, v6, v16
	v_mul_f32_e32 v7, 0x3fb8aa3b, v6
	v_cmp_ngt_f32_e64 s4, 0xc2ce8ed0, v6
	v_fma_f32 v14, 0x3fb8aa3b, v6, -v7
	v_rndne_f32_e32 v23, v7
	v_fmamk_f32 v14, v6, 0x32a5705f, v14
	v_sub_f32_e32 v7, v7, v23
	v_add_f32_e32 v7, v7, v14
	v_cvt_i32_f32_e32 v14, v23
	v_exp_f32_e32 v7, v7
	v_ldexp_f32 v7, v7, v14
	v_cndmask_b32_e64 v7, 0, v7, s4
	v_cmp_nlt_f32_e64 s4, 0x42b17218, v6
	v_cndmask_b32_e64 v7, 0x7f800000, v7, s4
	v_add_f32_e32 v10, v10, v7
.LBB735_69:
	s_or_b32 exec_lo, exec_lo, s11
.LBB735_70:
	s_or_b32 exec_lo, exec_lo, s6
	v_mov_b32_e32 v6, 0
	v_mov_b32_e32 v14, 0
	s_and_saveexec_b32 s6, s9
	s_cbranch_execnz .LBB735_73
; %bb.71:
	s_or_b32 exec_lo, exec_lo, s6
	s_and_saveexec_b32 s6, s8
	s_cbranch_execnz .LBB735_76
.LBB735_72:
	s_or_b32 exec_lo, exec_lo, s6
	v_mov_b32_e32 v12, 0
	s_and_saveexec_b32 s6, s7
	s_cbranch_execnz .LBB735_79
	s_branch .LBB735_82
.LBB735_73:
	s_ashr_i32 s9, s5, 31
	v_add_co_u32 v23, s4, v3, s5
	v_add_co_ci_u32_e64 v24, null, s9, v4, s4
	global_load_ubyte v14, v[23:24], off offset:32
	s_waitcnt vmcnt(0)
	v_and_b32_e32 v14, 1, v14
	v_cmp_eq_u32_e64 s4, 1, v14
	v_mov_b32_e32 v14, 0
	s_xor_b32 s4, s4, -1
	s_and_saveexec_b32 s9, s4
	s_cbranch_execz .LBB735_75
; %bb.74:
	v_sub_f32_e32 v13, v13, v16
	v_mul_f32_e32 v14, 0x3fb8aa3b, v13
	v_cmp_ngt_f32_e64 s4, 0xc2ce8ed0, v13
	v_fma_f32 v23, 0x3fb8aa3b, v13, -v14
	v_rndne_f32_e32 v24, v14
	v_fmamk_f32 v23, v13, 0x32a5705f, v23
	v_sub_f32_e32 v14, v14, v24
	v_add_f32_e32 v14, v14, v23
	v_cvt_i32_f32_e32 v23, v24
	v_exp_f32_e32 v14, v14
	v_ldexp_f32 v14, v14, v23
	v_cndmask_b32_e64 v14, 0, v14, s4
	v_cmp_nlt_f32_e64 s4, 0x42b17218, v13
	v_cndmask_b32_e64 v14, 0x7f800000, v14, s4
	v_add_f32_e32 v10, v10, v14
.LBB735_75:
	s_or_b32 exec_lo, exec_lo, s9
	s_or_b32 exec_lo, exec_lo, s6
	s_and_saveexec_b32 s6, s8
	s_cbranch_execz .LBB735_72
.LBB735_76:
	s_ashr_i32 s8, s5, 31
	v_add_co_u32 v23, s4, v3, s5
	v_add_co_ci_u32_e64 v24, null, s8, v4, s4
	global_load_ubyte v6, v[23:24], off offset:64
	s_waitcnt vmcnt(0)
	v_and_b32_e32 v6, 1, v6
	v_cmp_eq_u32_e64 s4, 1, v6
	v_mov_b32_e32 v6, 0
	s_xor_b32 s4, s4, -1
	s_and_saveexec_b32 s8, s4
	s_cbranch_execz .LBB735_78
; %bb.77:
	v_sub_f32_e32 v6, v12, v16
	v_mul_f32_e32 v12, 0x3fb8aa3b, v6
	v_cmp_ngt_f32_e64 s4, 0xc2ce8ed0, v6
	v_fma_f32 v13, 0x3fb8aa3b, v6, -v12
	v_rndne_f32_e32 v23, v12
	v_fmamk_f32 v13, v6, 0x32a5705f, v13
	v_sub_f32_e32 v12, v12, v23
	v_add_f32_e32 v12, v12, v13
	v_cvt_i32_f32_e32 v13, v23
	v_exp_f32_e32 v12, v12
	v_ldexp_f32 v12, v12, v13
	v_cndmask_b32_e64 v12, 0, v12, s4
	v_cmp_nlt_f32_e64 s4, 0x42b17218, v6
	v_cndmask_b32_e64 v6, 0x7f800000, v12, s4
	v_add_f32_e32 v10, v10, v6
.LBB735_78:
	s_or_b32 exec_lo, exec_lo, s8
	s_or_b32 exec_lo, exec_lo, s6
	v_mov_b32_e32 v12, 0
	s_and_saveexec_b32 s6, s7
	s_cbranch_execz .LBB735_82
.LBB735_79:
	s_ashr_i32 s7, s5, 31
	v_add_co_u32 v3, s4, v3, s5
	v_add_co_ci_u32_e64 v4, null, s7, v4, s4
	v_mov_b32_e32 v12, 0
	global_load_ubyte v3, v[3:4], off offset:96
	s_waitcnt vmcnt(0)
	v_and_b32_e32 v3, 1, v3
	v_cmp_eq_u32_e64 s4, 1, v3
	s_xor_b32 s4, s4, -1
	s_and_saveexec_b32 s5, s4
	s_cbranch_execz .LBB735_81
; %bb.80:
	v_sub_f32_e32 v0, v0, v16
	v_mul_f32_e32 v3, 0x3fb8aa3b, v0
	v_cmp_ngt_f32_e64 s4, 0xc2ce8ed0, v0
	v_fma_f32 v4, 0x3fb8aa3b, v0, -v3
	v_rndne_f32_e32 v12, v3
	v_fmamk_f32 v4, v0, 0x32a5705f, v4
	v_sub_f32_e32 v3, v3, v12
	v_add_f32_e32 v3, v3, v4
	v_cvt_i32_f32_e32 v4, v12
	v_exp_f32_e32 v3, v3
	v_ldexp_f32 v3, v3, v4
	v_cndmask_b32_e64 v3, 0, v3, s4
	v_cmp_nlt_f32_e64 s4, 0x42b17218, v0
	v_cndmask_b32_e64 v12, 0x7f800000, v3, s4
	v_add_f32_e32 v10, v10, v12
.LBB735_81:
	s_or_b32 exec_lo, exec_lo, s5
.LBB735_82:
	s_or_b32 exec_lo, exec_lo, s6
	ds_bpermute_b32 v0, v5, v9
	ds_bpermute_b32 v3, v5, v10
	s_waitcnt lgkmcnt(1)
	v_add_f32_e32 v0, v9, v0
	s_waitcnt lgkmcnt(0)
	v_add_f32_e32 v3, v10, v3
	ds_bpermute_b32 v4, v17, v0
	ds_bpermute_b32 v5, v17, v3
	s_waitcnt lgkmcnt(1)
	v_add_f32_e32 v0, v0, v4
	s_waitcnt lgkmcnt(0)
	v_add_f32_e32 v3, v3, v5
	;; [unrolled: 6-line block ×4, first 2 shown]
	ds_bpermute_b32 v9, v20, v5
	ds_bpermute_b32 v4, v20, v3
	s_and_saveexec_b32 s4, vcc_lo
	s_cbranch_execz .LBB735_101
; %bb.83:
	v_add_co_u32 v0, vcc_lo, s12, v1
	v_add_co_ci_u32_e64 v1, null, s13, v2, vcc_lo
	s_and_saveexec_b32 s5, s3
	s_cbranch_execz .LBB735_96
; %bb.84:
	s_waitcnt lgkmcnt(1)
	v_add_f32_e32 v2, v5, v9
	v_mov_b32_e32 v5, 0x7e00
	v_cmp_neq_f32_e64 s4, 0, v2
	s_and_saveexec_b32 s6, s4
	s_cbranch_execz .LBB735_86
; %bb.85:
	v_div_scale_f32 v5, null, v2, v2, v21
	v_rcp_f32_e32 v9, v5
	v_fma_f32 v10, -v5, v9, 1.0
	v_fmac_f32_e32 v9, v10, v9
	v_div_scale_f32 v10, vcc_lo, v21, v2, v21
	v_mul_f32_e32 v13, v10, v9
	v_fma_f32 v16, -v5, v13, v10
	v_fmac_f32_e32 v13, v16, v9
	v_fma_f32 v5, -v5, v13, v10
	v_div_fmas_f32 v5, v5, v9, v13
	v_div_fixup_f32 v5, v5, v2, v21
	v_cvt_f16_f32_e32 v5, v5
.LBB735_86:
	s_or_b32 exec_lo, exec_lo, s6
	global_store_short v[0:1], v5, off
	s_and_b32 exec_lo, exec_lo, s2
	s_cbranch_execz .LBB735_96
; %bb.87:
	v_mov_b32_e32 v5, 0x7e00
	s_and_saveexec_b32 s6, s4
	s_cbranch_execz .LBB735_89
; %bb.88:
	v_div_scale_f32 v5, null, v2, v2, v22
	v_rcp_f32_e32 v9, v5
	v_fma_f32 v10, -v5, v9, 1.0
	v_fmac_f32_e32 v9, v10, v9
	v_div_scale_f32 v10, vcc_lo, v22, v2, v22
	v_mul_f32_e32 v13, v10, v9
	v_fma_f32 v16, -v5, v13, v10
	v_fmac_f32_e32 v13, v16, v9
	v_fma_f32 v5, -v5, v13, v10
	v_div_fmas_f32 v5, v5, v9, v13
	v_div_fixup_f32 v5, v5, v2, v22
	v_cvt_f16_f32_e32 v5, v5
.LBB735_89:
	s_or_b32 exec_lo, exec_lo, s6
	global_store_short v[0:1], v5, off offset:64
	s_and_b32 exec_lo, exec_lo, s1
	s_cbranch_execz .LBB735_96
; %bb.90:
	v_mov_b32_e32 v5, 0x7e00
	s_and_saveexec_b32 s6, s4
	s_cbranch_execz .LBB735_92
; %bb.91:
	v_div_scale_f32 v5, null, v2, v2, v8
	v_rcp_f32_e32 v9, v5
	v_fma_f32 v10, -v5, v9, 1.0
	v_fmac_f32_e32 v9, v10, v9
	v_div_scale_f32 v10, vcc_lo, v8, v2, v8
	v_mul_f32_e32 v13, v10, v9
	v_fma_f32 v16, -v5, v13, v10
	v_fmac_f32_e32 v13, v16, v9
	v_fma_f32 v5, -v5, v13, v10
	v_div_fmas_f32 v5, v5, v9, v13
	v_div_fixup_f32 v5, v5, v2, v8
	v_cvt_f16_f32_e32 v5, v5
.LBB735_92:
	s_or_b32 exec_lo, exec_lo, s6
	global_store_short v[0:1], v5, off offset:128
	;; [unrolled: 22-line block ×3, first 2 shown]
.LBB735_96:
	s_or_b32 exec_lo, exec_lo, s5
	v_cmp_ne_u32_e32 vcc_lo, 1, v11
	s_and_b32 exec_lo, exec_lo, vcc_lo
	s_cbranch_execz .LBB735_101
; %bb.97:
	s_and_b32 exec_lo, exec_lo, s3
	s_cbranch_execz .LBB735_101
; %bb.98:
	s_waitcnt lgkmcnt(0)
	v_add_f32_e32 v2, v3, v4
	s_mov_b32 s11, 0
	v_cmp_neq_f32_e64 s3, 0, v2
	s_and_saveexec_b32 s4, s3
	s_xor_b32 s4, exec_lo, s4
	s_cbranch_execnz .LBB735_102
; %bb.99:
	s_andn2_saveexec_b32 s4, s4
	s_cbranch_execnz .LBB735_103
.LBB735_100:
	s_or_b32 exec_lo, exec_lo, s4
	s_and_b32 exec_lo, exec_lo, s2
	s_cbranch_execnz .LBB735_104
.LBB735_101:
	s_endpgm
.LBB735_102:
	v_div_scale_f32 v3, null, v2, v2, v7
	v_div_scale_f32 v8, vcc_lo, v7, v2, v7
	s_lshl_b64 s[6:7], s[10:11], 1
	v_rcp_f32_e32 v4, v3
	v_fma_f32 v5, -v3, v4, 1.0
	v_fmac_f32_e32 v4, v5, v4
	v_mul_f32_e32 v5, v8, v4
	v_fma_f32 v9, -v3, v5, v8
	v_fmac_f32_e32 v5, v9, v4
	v_fma_f32 v3, -v3, v5, v8
	v_div_fmas_f32 v3, v3, v4, v5
	v_div_fixup_f32 v3, v3, v2, v7
	v_cvt_f16_f32_e32 v5, v3
	v_add_co_u32 v3, vcc_lo, v0, s6
	v_add_co_ci_u32_e64 v4, null, s7, v1, vcc_lo
	global_store_short v[3:4], v5, off
	s_andn2_saveexec_b32 s4, s4
	s_cbranch_execz .LBB735_100
.LBB735_103:
	s_lshl_b64 s[6:7], s[10:11], 1
	v_mov_b32_e32 v5, 0x7e00
	v_add_co_u32 v3, vcc_lo, v0, s6
	v_add_co_ci_u32_e64 v4, null, s7, v1, vcc_lo
	global_store_short v[3:4], v5, off
	s_or_b32 exec_lo, exec_lo, s4
	s_and_b32 exec_lo, exec_lo, s2
	s_cbranch_execz .LBB735_101
.LBB735_104:
	s_and_saveexec_b32 s2, s3
	s_xor_b32 s2, exec_lo, s2
	s_cbranch_execnz .LBB735_107
; %bb.105:
	s_andn2_saveexec_b32 s2, s2
	s_cbranch_execnz .LBB735_108
.LBB735_106:
	s_or_b32 exec_lo, exec_lo, s2
	s_and_b32 exec_lo, exec_lo, s1
	s_cbranch_execz .LBB735_101
	s_branch .LBB735_109
.LBB735_107:
	v_div_scale_f32 v3, null, v2, v2, v14
	v_div_scale_f32 v7, vcc_lo, v14, v2, v14
	s_lshl_b64 s[4:5], s[10:11], 1
	v_rcp_f32_e32 v4, v3
	v_fma_f32 v5, -v3, v4, 1.0
	v_fmac_f32_e32 v4, v5, v4
	v_mul_f32_e32 v5, v7, v4
	v_fma_f32 v8, -v3, v5, v7
	v_fmac_f32_e32 v5, v8, v4
	v_fma_f32 v3, -v3, v5, v7
	v_div_fmas_f32 v3, v3, v4, v5
	v_div_fixup_f32 v3, v3, v2, v14
	v_cvt_f16_f32_e32 v5, v3
	v_add_co_u32 v3, vcc_lo, v0, s4
	v_add_co_ci_u32_e64 v4, null, s5, v1, vcc_lo
	global_store_short v[3:4], v5, off offset:64
	s_andn2_saveexec_b32 s2, s2
	s_cbranch_execz .LBB735_106
.LBB735_108:
	s_lshl_b64 s[4:5], s[10:11], 1
	v_mov_b32_e32 v5, 0x7e00
	v_add_co_u32 v3, vcc_lo, v0, s4
	v_add_co_ci_u32_e64 v4, null, s5, v1, vcc_lo
	global_store_short v[3:4], v5, off offset:64
	s_or_b32 exec_lo, exec_lo, s2
	s_and_b32 exec_lo, exec_lo, s1
	s_cbranch_execz .LBB735_101
.LBB735_109:
	s_and_saveexec_b32 s1, s3
	s_xor_b32 s1, exec_lo, s1
	s_cbranch_execnz .LBB735_112
; %bb.110:
	s_andn2_saveexec_b32 s1, s1
	s_cbranch_execnz .LBB735_113
.LBB735_111:
	s_or_b32 exec_lo, exec_lo, s1
	s_and_b32 exec_lo, exec_lo, s0
	s_cbranch_execz .LBB735_101
	s_branch .LBB735_114
.LBB735_112:
	v_div_scale_f32 v3, null, v2, v2, v6
	v_div_scale_f32 v7, vcc_lo, v6, v2, v6
	s_lshl_b64 s[4:5], s[10:11], 1
	v_rcp_f32_e32 v4, v3
	v_fma_f32 v5, -v3, v4, 1.0
	v_fmac_f32_e32 v4, v5, v4
	v_mul_f32_e32 v5, v7, v4
	v_fma_f32 v8, -v3, v5, v7
	v_fmac_f32_e32 v5, v8, v4
	v_fma_f32 v3, -v3, v5, v7
	v_div_fmas_f32 v3, v3, v4, v5
	v_div_fixup_f32 v3, v3, v2, v6
	v_cvt_f16_f32_e32 v5, v3
	v_add_co_u32 v3, vcc_lo, v0, s4
	v_add_co_ci_u32_e64 v4, null, s5, v1, vcc_lo
	global_store_short v[3:4], v5, off offset:128
	s_andn2_saveexec_b32 s1, s1
	s_cbranch_execz .LBB735_111
.LBB735_113:
	s_lshl_b64 s[4:5], s[10:11], 1
	v_mov_b32_e32 v5, 0x7e00
	v_add_co_u32 v3, vcc_lo, v0, s4
	v_add_co_ci_u32_e64 v4, null, s5, v1, vcc_lo
	global_store_short v[3:4], v5, off offset:128
	s_or_b32 exec_lo, exec_lo, s1
	s_and_b32 exec_lo, exec_lo, s0
	s_cbranch_execz .LBB735_101
.LBB735_114:
	s_and_saveexec_b32 s0, s3
	s_xor_b32 s0, exec_lo, s0
	s_cbranch_execz .LBB735_116
; %bb.115:
	v_div_scale_f32 v3, null, v2, v2, v12
	v_div_scale_f32 v6, vcc_lo, v12, v2, v12
	s_lshl_b64 s[2:3], s[10:11], 1
	v_rcp_f32_e32 v4, v3
	v_fma_f32 v5, -v3, v4, 1.0
	v_fmac_f32_e32 v4, v5, v4
	v_mul_f32_e32 v5, v6, v4
	v_fma_f32 v7, -v3, v5, v6
	v_fmac_f32_e32 v5, v7, v4
	v_fma_f32 v3, -v3, v5, v6
	v_div_fmas_f32 v3, v3, v4, v5
	v_add_co_u32 v0, vcc_lo, v0, s2
	v_add_co_ci_u32_e64 v1, null, s3, v1, vcc_lo
	v_div_fixup_f32 v2, v3, v2, v12
	v_cvt_f16_f32_e32 v2, v2
	global_store_short v[0:1], v2, off offset:192
                                        ; implicit-def: $vgpr0
.LBB735_116:
	s_andn2_saveexec_b32 s0, s0
	s_cbranch_execz .LBB735_101
; %bb.117:
	s_lshl_b64 s[0:1], s[10:11], 1
	v_mov_b32_e32 v2, 0x7e00
	v_add_co_u32 v0, vcc_lo, v0, s0
	v_add_co_ci_u32_e64 v1, null, s1, v1, vcc_lo
	global_store_short v[0:1], v2, off offset:192
	s_endpgm
	.section	.rodata,"a",@progbits
	.p2align	6, 0x0
	.amdhsa_kernel _ZN12_GLOBAL__N_120softmax_warp_forwardIN3c104HalfES2_fLi7ELb0ELb1ELi32EEEvPT0_PKT_iiiPKbib
		.amdhsa_group_segment_fixed_size 0
		.amdhsa_private_segment_fixed_size 0
		.amdhsa_kernarg_size 304
		.amdhsa_user_sgpr_count 6
		.amdhsa_user_sgpr_private_segment_buffer 1
		.amdhsa_user_sgpr_dispatch_ptr 0
		.amdhsa_user_sgpr_queue_ptr 0
		.amdhsa_user_sgpr_kernarg_segment_ptr 1
		.amdhsa_user_sgpr_dispatch_id 0
		.amdhsa_user_sgpr_flat_scratch_init 0
		.amdhsa_user_sgpr_private_segment_size 0
		.amdhsa_wavefront_size32 1
		.amdhsa_uses_dynamic_stack 0
		.amdhsa_system_sgpr_private_segment_wavefront_offset 0
		.amdhsa_system_sgpr_workgroup_id_x 1
		.amdhsa_system_sgpr_workgroup_id_y 0
		.amdhsa_system_sgpr_workgroup_id_z 0
		.amdhsa_system_sgpr_workgroup_info 0
		.amdhsa_system_vgpr_workitem_id 1
		.amdhsa_next_free_vgpr 27
		.amdhsa_next_free_sgpr 24
		.amdhsa_reserve_vcc 1
		.amdhsa_reserve_flat_scratch 0
		.amdhsa_float_round_mode_32 0
		.amdhsa_float_round_mode_16_64 0
		.amdhsa_float_denorm_mode_32 3
		.amdhsa_float_denorm_mode_16_64 3
		.amdhsa_dx10_clamp 1
		.amdhsa_ieee_mode 1
		.amdhsa_fp16_overflow 0
		.amdhsa_workgroup_processor_mode 1
		.amdhsa_memory_ordered 1
		.amdhsa_forward_progress 1
		.amdhsa_shared_vgpr_count 0
		.amdhsa_exception_fp_ieee_invalid_op 0
		.amdhsa_exception_fp_denorm_src 0
		.amdhsa_exception_fp_ieee_div_zero 0
		.amdhsa_exception_fp_ieee_overflow 0
		.amdhsa_exception_fp_ieee_underflow 0
		.amdhsa_exception_fp_ieee_inexact 0
		.amdhsa_exception_int_div_zero 0
	.end_amdhsa_kernel
	.section	.text._ZN12_GLOBAL__N_120softmax_warp_forwardIN3c104HalfES2_fLi7ELb0ELb1ELi32EEEvPT0_PKT_iiiPKbib,"axG",@progbits,_ZN12_GLOBAL__N_120softmax_warp_forwardIN3c104HalfES2_fLi7ELb0ELb1ELi32EEEvPT0_PKT_iiiPKbib,comdat
.Lfunc_end735:
	.size	_ZN12_GLOBAL__N_120softmax_warp_forwardIN3c104HalfES2_fLi7ELb0ELb1ELi32EEEvPT0_PKT_iiiPKbib, .Lfunc_end735-_ZN12_GLOBAL__N_120softmax_warp_forwardIN3c104HalfES2_fLi7ELb0ELb1ELi32EEEvPT0_PKT_iiiPKbib
                                        ; -- End function
	.set _ZN12_GLOBAL__N_120softmax_warp_forwardIN3c104HalfES2_fLi7ELb0ELb1ELi32EEEvPT0_PKT_iiiPKbib.num_vgpr, 27
	.set _ZN12_GLOBAL__N_120softmax_warp_forwardIN3c104HalfES2_fLi7ELb0ELb1ELi32EEEvPT0_PKT_iiiPKbib.num_agpr, 0
	.set _ZN12_GLOBAL__N_120softmax_warp_forwardIN3c104HalfES2_fLi7ELb0ELb1ELi32EEEvPT0_PKT_iiiPKbib.numbered_sgpr, 24
	.set _ZN12_GLOBAL__N_120softmax_warp_forwardIN3c104HalfES2_fLi7ELb0ELb1ELi32EEEvPT0_PKT_iiiPKbib.num_named_barrier, 0
	.set _ZN12_GLOBAL__N_120softmax_warp_forwardIN3c104HalfES2_fLi7ELb0ELb1ELi32EEEvPT0_PKT_iiiPKbib.private_seg_size, 0
	.set _ZN12_GLOBAL__N_120softmax_warp_forwardIN3c104HalfES2_fLi7ELb0ELb1ELi32EEEvPT0_PKT_iiiPKbib.uses_vcc, 1
	.set _ZN12_GLOBAL__N_120softmax_warp_forwardIN3c104HalfES2_fLi7ELb0ELb1ELi32EEEvPT0_PKT_iiiPKbib.uses_flat_scratch, 0
	.set _ZN12_GLOBAL__N_120softmax_warp_forwardIN3c104HalfES2_fLi7ELb0ELb1ELi32EEEvPT0_PKT_iiiPKbib.has_dyn_sized_stack, 0
	.set _ZN12_GLOBAL__N_120softmax_warp_forwardIN3c104HalfES2_fLi7ELb0ELb1ELi32EEEvPT0_PKT_iiiPKbib.has_recursion, 0
	.set _ZN12_GLOBAL__N_120softmax_warp_forwardIN3c104HalfES2_fLi7ELb0ELb1ELi32EEEvPT0_PKT_iiiPKbib.has_indirect_call, 0
	.section	.AMDGPU.csdata,"",@progbits
; Kernel info:
; codeLenInByte = 5016
; TotalNumSgprs: 26
; NumVgprs: 27
; ScratchSize: 0
; MemoryBound: 0
; FloatMode: 240
; IeeeMode: 1
; LDSByteSize: 0 bytes/workgroup (compile time only)
; SGPRBlocks: 0
; VGPRBlocks: 3
; NumSGPRsForWavesPerEU: 26
; NumVGPRsForWavesPerEU: 27
; Occupancy: 16
; WaveLimiterHint : 0
; COMPUTE_PGM_RSRC2:SCRATCH_EN: 0
; COMPUTE_PGM_RSRC2:USER_SGPR: 6
; COMPUTE_PGM_RSRC2:TRAP_HANDLER: 0
; COMPUTE_PGM_RSRC2:TGID_X_EN: 1
; COMPUTE_PGM_RSRC2:TGID_Y_EN: 0
; COMPUTE_PGM_RSRC2:TGID_Z_EN: 0
; COMPUTE_PGM_RSRC2:TIDIG_COMP_CNT: 1
	.section	.text._ZN12_GLOBAL__N_120softmax_warp_forwardIN3c104HalfES2_fLi8ELb0ELb1ELi64EEEvPT0_PKT_iiiPKbib,"axG",@progbits,_ZN12_GLOBAL__N_120softmax_warp_forwardIN3c104HalfES2_fLi8ELb0ELb1ELi64EEEvPT0_PKT_iiiPKbib,comdat
	.globl	_ZN12_GLOBAL__N_120softmax_warp_forwardIN3c104HalfES2_fLi8ELb0ELb1ELi64EEEvPT0_PKT_iiiPKbib ; -- Begin function _ZN12_GLOBAL__N_120softmax_warp_forwardIN3c104HalfES2_fLi8ELb0ELb1ELi64EEEvPT0_PKT_iiiPKbib
	.p2align	8
	.type	_ZN12_GLOBAL__N_120softmax_warp_forwardIN3c104HalfES2_fLi8ELb0ELb1ELi64EEEvPT0_PKT_iiiPKbib,@function
_ZN12_GLOBAL__N_120softmax_warp_forwardIN3c104HalfES2_fLi8ELb0ELb1ELi64EEEvPT0_PKT_iiiPKbib: ; @_ZN12_GLOBAL__N_120softmax_warp_forwardIN3c104HalfES2_fLi8ELb0ELb1ELi64EEEvPT0_PKT_iiiPKbib
; %bb.0:
	s_clause 0x1
	s_load_dword s0, s[4:5], 0x3c
	s_load_dwordx4 s[12:15], s[4:5], 0x10
	s_waitcnt lgkmcnt(0)
	s_lshr_b32 s0, s0, 16
	v_mad_u64_u32 v[1:2], null, s6, s0, v[1:2]
	s_load_dwordx2 s[0:1], s[4:5], 0x28
	v_mul_lo_u32 v6, v1, s13
	v_add_nc_u32_e32 v2, v6, v0
	v_ashrrev_i32_e32 v3, 31, v2
	s_waitcnt lgkmcnt(0)
	s_bitcmp0_b32 s1, 0
	v_mov_b32_e32 v5, v3
	v_mov_b32_e32 v4, v2
	s_cbranch_scc1 .LBB736_2
; %bb.1:
	s_abs_i32 s1, s0
	v_sub_nc_u32_e32 v7, 0, v6
	v_cvt_f32_u32_e32 v4, s1
	s_sub_i32 s2, 0, s1
	v_max_i32_e32 v7, v6, v7
	v_rcp_iflag_f32_e32 v4, v4
	v_xor_b32_e32 v6, s0, v6
	v_ashrrev_i32_e32 v6, 31, v6
	v_mul_f32_e32 v4, 0x4f7ffffe, v4
	v_cvt_u32_f32_e32 v4, v4
	v_mul_lo_u32 v5, s2, v4
	v_mul_hi_u32 v5, v4, v5
	v_add_nc_u32_e32 v4, v4, v5
	v_mul_hi_u32 v4, v7, v4
	v_mul_lo_u32 v5, v4, s1
	v_sub_nc_u32_e32 v5, v7, v5
	v_add_nc_u32_e32 v7, 1, v4
	v_subrev_nc_u32_e32 v8, s1, v5
	v_cmp_le_u32_e32 vcc_lo, s1, v5
	v_cndmask_b32_e32 v4, v4, v7, vcc_lo
	v_cndmask_b32_e32 v5, v5, v8, vcc_lo
	v_add_nc_u32_e32 v7, 1, v4
	v_cmp_le_u32_e32 vcc_lo, s1, v5
	v_cndmask_b32_e32 v4, v4, v7, vcc_lo
	v_xor_b32_e32 v4, v4, v6
	v_sub_nc_u32_e32 v4, v4, v6
	v_mad_u64_u32 v[4:5], null, v4, s13, v[0:1]
	v_ashrrev_i32_e32 v5, 31, v4
.LBB736_2:
	s_load_dwordx4 s[8:11], s[4:5], 0x0
	v_lshlrev_b64 v[13:14], 1, v[2:3]
	v_sub_nc_u32_e32 v17, s12, v1
	v_cmp_gt_i32_e32 vcc_lo, s14, v0
	v_mov_b32_e32 v8, 0xff800000
	v_mov_b32_e32 v1, 0xff800000
	v_cmp_lt_i32_e64 s3, 0, v17
	s_waitcnt lgkmcnt(0)
	v_add_co_u32 v6, s0, s10, v13
	v_add_co_ci_u32_e64 v7, null, s11, v14, s0
	s_and_b32 s10, s3, vcc_lo
	s_and_saveexec_b32 s0, s10
	s_cbranch_execz .LBB736_4
; %bb.3:
	global_load_ushort v1, v[6:7], off
	s_waitcnt vmcnt(0)
	v_cvt_f32_f16_e32 v1, v1
.LBB736_4:
	s_or_b32 exec_lo, exec_lo, s0
	v_add_nc_u32_e32 v2, 64, v0
	v_cmp_gt_i32_e64 s2, s14, v2
	s_and_b32 s11, s3, s2
	s_and_saveexec_b32 s0, s11
	s_cbranch_execz .LBB736_6
; %bb.5:
	global_load_ushort v2, v[6:7], off offset:128
	s_waitcnt vmcnt(0)
	v_cvt_f32_f16_e32 v8, v2
.LBB736_6:
	s_or_b32 exec_lo, exec_lo, s0
	v_add_nc_u32_e32 v2, 0x80, v0
	v_mov_b32_e32 v3, 0xff800000
	v_cmp_gt_i32_e64 s1, s14, v2
	v_mov_b32_e32 v2, 0xff800000
	s_and_b32 s7, s3, s1
	s_and_saveexec_b32 s0, s7
	s_cbranch_execz .LBB736_8
; %bb.7:
	global_load_ushort v2, v[6:7], off offset:256
	s_waitcnt vmcnt(0)
	v_cvt_f32_f16_e32 v2, v2
.LBB736_8:
	s_or_b32 exec_lo, exec_lo, s0
	v_add_nc_u32_e32 v0, 0xc0, v0
	v_cmp_gt_i32_e64 s0, s14, v0
	s_and_b32 s6, s3, s0
	s_and_saveexec_b32 s3, s6
	s_cbranch_execz .LBB736_10
; %bb.9:
	global_load_ushort v0, v[6:7], off offset:384
	s_waitcnt vmcnt(0)
	v_cvt_f32_f16_e32 v3, v0
.LBB736_10:
	s_or_b32 exec_lo, exec_lo, s3
	s_load_dwordx2 s[4:5], s[4:5], 0x20
	s_waitcnt lgkmcnt(0)
	v_add_co_u32 v15, s3, s4, v4
	v_add_co_ci_u32_e64 v16, null, s5, v5, s3
	s_mov_b32 s4, 0
	s_and_saveexec_b32 s5, s10
	s_cbranch_execz .LBB736_16
; %bb.11:
	global_load_ubyte v0, v[15:16], off
	s_waitcnt vmcnt(0)
	v_and_b32_e32 v0, 1, v0
	v_cmp_eq_u32_e64 s3, 1, v0
	s_xor_b32 s3, s3, -1
	s_and_b32 s4, s3, exec_lo
	s_or_b32 exec_lo, exec_lo, s5
	v_mov_b32_e32 v0, v1
	s_and_saveexec_b32 s5, s11
	s_cbranch_execnz .LBB736_17
.LBB736_12:
	s_or_b32 exec_lo, exec_lo, s5
	s_and_saveexec_b32 s5, s7
	s_cbranch_execz .LBB736_20
.LBB736_13:
	global_load_ubyte v4, v[15:16], off offset:128
	s_waitcnt vmcnt(0)
	v_and_b32_e32 v4, 1, v4
	v_cmp_eq_u32_e64 s3, 1, v4
	s_xor_b32 s13, s3, -1
	s_mov_b32 s3, s4
	s_and_saveexec_b32 s12, s13
; %bb.14:
	v_cmp_gt_f32_e64 s3, v0, v2
	s_and_b32 s3, s4, s3
	v_cndmask_b32_e64 v0, v2, v0, s3
	s_or_b32 s3, s4, exec_lo
; %bb.15:
	s_or_b32 exec_lo, exec_lo, s12
	s_andn2_b32 s4, s4, exec_lo
	s_and_b32 s3, s3, exec_lo
	s_or_b32 s4, s4, s3
	s_or_b32 exec_lo, exec_lo, s5
	s_and_saveexec_b32 s5, s6
	s_cbranch_execz .LBB736_24
	s_branch .LBB736_21
.LBB736_16:
	s_or_b32 exec_lo, exec_lo, s5
	v_mov_b32_e32 v0, v1
	s_and_saveexec_b32 s5, s11
	s_cbranch_execz .LBB736_12
.LBB736_17:
	global_load_ubyte v0, v[15:16], off offset:64
	s_waitcnt vmcnt(0)
	v_and_b32_e32 v0, 1, v0
	v_cmp_eq_u32_e64 s3, 1, v0
	v_mov_b32_e32 v0, v1
	s_xor_b32 s13, s3, -1
	s_mov_b32 s3, s4
	s_and_saveexec_b32 s12, s13
; %bb.18:
	v_cmp_gt_f32_e64 s3, v1, v8
	s_and_b32 s3, s4, s3
	v_cndmask_b32_e64 v0, v8, v1, s3
	s_or_b32 s3, s4, exec_lo
; %bb.19:
	s_or_b32 exec_lo, exec_lo, s12
	s_andn2_b32 s4, s4, exec_lo
	s_and_b32 s3, s3, exec_lo
	s_or_b32 s4, s4, s3
	s_or_b32 exec_lo, exec_lo, s5
	s_and_saveexec_b32 s5, s7
	s_cbranch_execnz .LBB736_13
.LBB736_20:
	s_or_b32 exec_lo, exec_lo, s5
	s_and_saveexec_b32 s5, s6
	s_cbranch_execz .LBB736_24
.LBB736_21:
	global_load_ubyte v4, v[15:16], off offset:192
	s_waitcnt vmcnt(0)
	v_and_b32_e32 v4, 1, v4
	v_cmp_eq_u32_e64 s3, 1, v4
	s_xor_b32 s13, s3, -1
	s_mov_b32 s3, s4
	s_and_saveexec_b32 s12, s13
; %bb.22:
	v_cmp_gt_f32_e64 s3, v0, v3
	s_and_b32 s3, s4, s3
	v_cndmask_b32_e64 v0, v3, v0, s3
	s_or_b32 s3, s4, exec_lo
; %bb.23:
	s_or_b32 exec_lo, exec_lo, s12
	s_andn2_b32 s4, s4, exec_lo
	s_and_b32 s3, s3, exec_lo
	s_or_b32 s4, s4, s3
.LBB736_24:
	s_or_b32 exec_lo, exec_lo, s5
	v_mbcnt_lo_u32_b32 v4, -1, 0
	v_cndmask_b32_e64 v0, 0xff800000, v0, s4
	s_xor_b32 s4, s11, -1
	v_or_b32_e32 v5, 32, v4
	v_xor_b32_e32 v6, 16, v4
	v_cmp_gt_i32_e64 s3, 64, v5
	v_cndmask_b32_e64 v5, v4, v5, s3
	v_cmp_gt_i32_e64 s3, 64, v6
	v_lshlrev_b32_e32 v18, 2, v5
	v_cndmask_b32_e64 v6, v4, v6, s3
	ds_bpermute_b32 v5, v18, v0
	v_lshlrev_b32_e32 v19, 2, v6
	v_xor_b32_e32 v6, 8, v4
	s_waitcnt lgkmcnt(0)
	v_cmp_lt_f32_e64 s3, v0, v5
	v_cndmask_b32_e64 v0, v0, v5, s3
	v_cmp_gt_i32_e64 s3, 64, v6
	ds_bpermute_b32 v5, v19, v0
	v_cndmask_b32_e64 v6, v4, v6, s3
	v_lshlrev_b32_e32 v20, 2, v6
	v_xor_b32_e32 v6, 4, v4
	s_waitcnt lgkmcnt(0)
	v_cmp_lt_f32_e64 s3, v0, v5
	v_cndmask_b32_e64 v0, v0, v5, s3
	v_cmp_gt_i32_e64 s3, 64, v6
	ds_bpermute_b32 v5, v20, v0
	v_cndmask_b32_e64 v6, v4, v6, s3
	;; [unrolled: 8-line block ×4, first 2 shown]
	v_lshlrev_b32_e32 v23, 2, v4
	s_waitcnt lgkmcnt(0)
	v_cmp_lt_f32_e64 s3, v0, v5
	v_cndmask_b32_e64 v0, v0, v5, s3
	ds_bpermute_b32 v4, v23, v0
	s_waitcnt lgkmcnt(0)
	v_cmp_lt_f32_e64 s3, v0, v4
	v_cndmask_b32_e64 v24, v0, v4, s3
	v_mov_b32_e32 v0, 0
	s_and_saveexec_b32 s5, s10
	s_cbranch_execz .LBB736_28
; %bb.25:
	global_load_ubyte v0, v[15:16], off
	s_waitcnt vmcnt(0)
	v_and_b32_e32 v0, 1, v0
	v_cmp_eq_u32_e64 s3, 1, v0
	v_mov_b32_e32 v0, 0
	s_xor_b32 s3, s3, -1
	s_and_saveexec_b32 s10, s3
	s_cbranch_execz .LBB736_27
; %bb.26:
	v_sub_f32_e32 v0, v1, v24
	v_mul_f32_e32 v1, 0x3fb8aa3b, v0
	v_cmp_ngt_f32_e64 s3, 0xc2ce8ed0, v0
	v_fma_f32 v4, 0x3fb8aa3b, v0, -v1
	v_rndne_f32_e32 v5, v1
	v_fmamk_f32 v4, v0, 0x32a5705f, v4
	v_sub_f32_e32 v1, v1, v5
	v_add_f32_e32 v1, v1, v4
	v_cvt_i32_f32_e32 v4, v5
	v_exp_f32_e32 v1, v1
	v_ldexp_f32 v1, v1, v4
	v_cndmask_b32_e64 v1, 0, v1, s3
	v_cmp_nlt_f32_e64 s3, 0x42b17218, v0
	v_cndmask_b32_e64 v0, 0x7f800000, v1, s3
.LBB736_27:
	s_or_b32 exec_lo, exec_lo, s10
.LBB736_28:
	s_or_b32 exec_lo, exec_lo, s5
                                        ; implicit-def: $vgpr9_vgpr10_vgpr11_vgpr12
	s_and_saveexec_b32 s3, s4
	s_xor_b32 s3, exec_lo, s3
	s_cbranch_execz .LBB736_34
; %bb.29:
	s_mov_b32 s4, 0
                                        ; implicit-def: $vgpr8
	v_mov_b32_e32 v1, s4
	v_mov_b32_e32 v12, v3
	;; [unrolled: 1-line block ×5, first 2 shown]
	s_or_saveexec_b32 s5, s3
	s_xor_b32 s4, s7, -1
	s_xor_b32 exec_lo, exec_lo, s5
	s_cbranch_execnz .LBB736_35
.LBB736_30:
	s_or_b32 exec_lo, exec_lo, s5
                                        ; implicit-def: $vgpr5_vgpr6_vgpr7_vgpr8
	s_and_saveexec_b32 s3, s4
	s_xor_b32 s3, exec_lo, s3
	s_cbranch_execz .LBB736_38
.LBB736_31:
	s_mov_b32 s4, 0
	v_mov_b32_e32 v11, s4
	v_mov_b32_e32 v5, v9
	v_mov_b32_e32 v6, v10
	v_mov_b32_e32 v8, v12
	v_mov_b32_e32 v7, v11
                                        ; implicit-def: $vgpr9_vgpr10_vgpr11_vgpr12
	s_or_saveexec_b32 s5, s3
	s_xor_b32 s4, s6, -1
	s_xor_b32 exec_lo, exec_lo, s5
	s_cbranch_execnz .LBB736_39
.LBB736_32:
	s_or_b32 exec_lo, exec_lo, s5
                                        ; implicit-def: $vgpr1_vgpr2_vgpr3_vgpr4
	s_and_saveexec_b32 s3, s4
	s_xor_b32 s3, exec_lo, s3
	s_cbranch_execz .LBB736_42
.LBB736_33:
	s_mov_b32 s4, 0
                                        ; implicit-def: $vgpr15_vgpr16
                                        ; implicit-def: $vgpr24
	v_mov_b32_e32 v8, s4
	v_mov_b32_e32 v1, v5
	;; [unrolled: 1-line block ×5, first 2 shown]
                                        ; implicit-def: $vgpr5_vgpr6_vgpr7_vgpr8
	s_andn2_saveexec_b32 s4, s3
	s_cbranch_execz .LBB736_46
	s_branch .LBB736_43
.LBB736_34:
	s_or_saveexec_b32 s5, s3
	s_xor_b32 s4, s7, -1
	s_xor_b32 exec_lo, exec_lo, s5
	s_cbranch_execz .LBB736_30
.LBB736_35:
	global_load_ubyte v4, v[15:16], off offset:64
	s_mov_b32 s7, 0
	v_mov_b32_e32 v12, v3
	v_mov_b32_e32 v10, v1
	;; [unrolled: 1-line block ×5, first 2 shown]
	s_waitcnt vmcnt(0)
	v_and_b32_e32 v4, 1, v4
	v_cmp_eq_u32_e64 s3, 1, v4
	s_xor_b32 s3, s3, -1
	s_and_saveexec_b32 s7, s3
	s_xor_b32 s7, exec_lo, s7
	s_cbranch_execz .LBB736_37
; %bb.36:
	v_sub_f32_e32 v1, v8, v24
	v_mul_f32_e32 v4, 0x3fb8aa3b, v1
	v_cmp_ngt_f32_e64 s3, 0xc2ce8ed0, v1
	v_fma_f32 v5, 0x3fb8aa3b, v1, -v4
	v_rndne_f32_e32 v6, v4
	v_fmamk_f32 v5, v1, 0x32a5705f, v5
	v_sub_f32_e32 v4, v4, v6
	v_add_f32_e32 v4, v4, v5
	v_cvt_i32_f32_e32 v5, v6
	v_exp_f32_e32 v4, v4
	v_ldexp_f32 v4, v4, v5
	v_cndmask_b32_e64 v4, 0, v4, s3
	v_cmp_nlt_f32_e64 s3, 0x42b17218, v1
	v_cndmask_b32_e64 v1, 0x7f800000, v4, s3
	v_mov_b32_e32 v12, v3
	v_mov_b32_e32 v11, v2
	;; [unrolled: 1-line block ×3, first 2 shown]
	v_add_f32_e32 v4, v0, v1
	v_mov_b32_e32 v10, v1
	v_mov_b32_e32 v0, v4
.LBB736_37:
	s_andn2_saveexec_b32 s3, s7
	s_or_b32 exec_lo, exec_lo, s3
	s_or_b32 exec_lo, exec_lo, s5
                                        ; implicit-def: $vgpr5_vgpr6_vgpr7_vgpr8
	s_and_saveexec_b32 s3, s4
	s_xor_b32 s3, exec_lo, s3
	s_cbranch_execnz .LBB736_31
.LBB736_38:
	s_or_saveexec_b32 s5, s3
	s_xor_b32 s4, s6, -1
	s_xor_b32 exec_lo, exec_lo, s5
	s_cbranch_execz .LBB736_32
.LBB736_39:
	global_load_ubyte v1, v[15:16], off offset:128
	s_mov_b32 s6, 0
	v_mov_b32_e32 v5, v9
	v_mov_b32_e32 v7, v11
	;; [unrolled: 1-line block ×5, first 2 shown]
	s_waitcnt vmcnt(0)
	v_and_b32_e32 v1, 1, v1
	v_cmp_eq_u32_e64 s3, 1, v1
	s_xor_b32 s3, s3, -1
	s_and_saveexec_b32 s6, s3
	s_xor_b32 s6, exec_lo, s6
	s_cbranch_execz .LBB736_41
; %bb.40:
	v_sub_f32_e32 v1, v11, v24
	v_mul_f32_e32 v2, 0x3fb8aa3b, v1
	v_cmp_ngt_f32_e64 s3, 0xc2ce8ed0, v1
	v_fma_f32 v3, 0x3fb8aa3b, v1, -v2
	v_rndne_f32_e32 v4, v2
	v_fmamk_f32 v3, v1, 0x32a5705f, v3
	v_sub_f32_e32 v2, v2, v4
	v_add_f32_e32 v2, v2, v3
	v_cvt_i32_f32_e32 v3, v4
	v_exp_f32_e32 v2, v2
	v_ldexp_f32 v2, v2, v3
	v_cndmask_b32_e64 v2, 0, v2, s3
	v_cmp_nlt_f32_e64 s3, 0x42b17218, v1
	v_cndmask_b32_e64 v11, 0x7f800000, v2, s3
	v_mov_b32_e32 v5, v9
	v_mov_b32_e32 v6, v10
	;; [unrolled: 1-line block ×3, first 2 shown]
	v_add_f32_e32 v0, v0, v11
	v_mov_b32_e32 v7, v11
.LBB736_41:
	s_andn2_saveexec_b32 s3, s6
	s_or_b32 exec_lo, exec_lo, s3
	s_or_b32 exec_lo, exec_lo, s5
                                        ; implicit-def: $vgpr1_vgpr2_vgpr3_vgpr4
	s_and_saveexec_b32 s3, s4
	s_xor_b32 s3, exec_lo, s3
	s_cbranch_execnz .LBB736_33
.LBB736_42:
	s_andn2_saveexec_b32 s4, s3
	s_cbranch_execz .LBB736_46
.LBB736_43:
	global_load_ubyte v1, v[15:16], off offset:192
	s_mov_b32 s5, 0
	s_waitcnt vmcnt(0)
	v_and_b32_e32 v1, 1, v1
	v_cmp_eq_u32_e64 s3, 1, v1
	v_mov_b32_e32 v1, v5
	v_mov_b32_e32 v4, v8
	;; [unrolled: 1-line block ×5, first 2 shown]
	s_xor_b32 s3, s3, -1
	s_and_saveexec_b32 s5, s3
	s_xor_b32 s5, exec_lo, s5
	s_cbranch_execz .LBB736_45
; %bb.44:
	v_sub_f32_e32 v1, v8, v24
	v_mul_f32_e32 v2, 0x3fb8aa3b, v1
	v_cmp_ngt_f32_e64 s3, 0xc2ce8ed0, v1
	v_fma_f32 v3, 0x3fb8aa3b, v1, -v2
	v_rndne_f32_e32 v4, v2
	v_fmamk_f32 v3, v1, 0x32a5705f, v3
	v_sub_f32_e32 v2, v2, v4
	v_add_f32_e32 v2, v2, v3
	v_cvt_i32_f32_e32 v3, v4
	v_exp_f32_e32 v2, v2
	v_ldexp_f32 v2, v2, v3
	v_cndmask_b32_e64 v2, 0, v2, s3
	v_cmp_nlt_f32_e64 s3, 0x42b17218, v1
	v_cndmask_b32_e64 v8, 0x7f800000, v2, s3
	v_mov_b32_e32 v1, v5
	v_mov_b32_e32 v2, v6
	;; [unrolled: 1-line block ×3, first 2 shown]
	v_add_f32_e32 v0, v0, v8
	v_mov_b32_e32 v4, v8
.LBB736_45:
	s_andn2_saveexec_b32 s3, s5
	s_or_b32 exec_lo, exec_lo, s3
.LBB736_46:
	s_or_b32 exec_lo, exec_lo, s4
	ds_bpermute_b32 v5, v18, v0
	s_mov_b32 s4, exec_lo
	s_waitcnt lgkmcnt(0)
	v_add_f32_e32 v0, v0, v5
	ds_bpermute_b32 v5, v19, v0
	s_waitcnt lgkmcnt(0)
	v_add_f32_e32 v0, v0, v5
	ds_bpermute_b32 v5, v20, v0
	;; [unrolled: 3-line block ×5, first 2 shown]
	v_cmpx_lt_i32_e32 0, v17
	s_cbranch_execz .LBB736_60
; %bb.47:
	s_and_b32 exec_lo, exec_lo, vcc_lo
	s_cbranch_execz .LBB736_60
; %bb.48:
	s_waitcnt lgkmcnt(0)
	v_add_f32_e32 v5, v0, v5
	v_mov_b32_e32 v6, 0x7e00
	v_cmp_neq_f32_e64 s3, 0, v5
	s_and_saveexec_b32 s4, s3
	s_cbranch_execz .LBB736_50
; %bb.49:
	v_div_scale_f32 v0, null, v5, v5, v1
	v_rcp_f32_e32 v6, v0
	v_fma_f32 v7, -v0, v6, 1.0
	v_fmac_f32_e32 v6, v7, v6
	v_div_scale_f32 v7, vcc_lo, v1, v5, v1
	v_mul_f32_e32 v8, v7, v6
	v_fma_f32 v9, -v0, v8, v7
	v_fmac_f32_e32 v8, v9, v6
	v_fma_f32 v0, -v0, v8, v7
	v_div_fmas_f32 v0, v0, v6, v8
	v_div_fixup_f32 v0, v0, v5, v1
	v_cvt_f16_f32_e32 v6, v0
.LBB736_50:
	s_or_b32 exec_lo, exec_lo, s4
	v_add_co_u32 v0, vcc_lo, s8, v13
	v_add_co_ci_u32_e64 v1, null, s9, v14, vcc_lo
	global_store_short v[0:1], v6, off
	s_and_b32 exec_lo, exec_lo, s2
	s_cbranch_execz .LBB736_60
; %bb.51:
	v_mov_b32_e32 v6, 0x7e00
	s_and_saveexec_b32 s2, s3
	s_cbranch_execz .LBB736_53
; %bb.52:
	v_div_scale_f32 v6, null, v5, v5, v2
	v_rcp_f32_e32 v7, v6
	v_fma_f32 v8, -v6, v7, 1.0
	v_fmac_f32_e32 v7, v8, v7
	v_div_scale_f32 v8, vcc_lo, v2, v5, v2
	v_mul_f32_e32 v9, v8, v7
	v_fma_f32 v10, -v6, v9, v8
	v_fmac_f32_e32 v9, v10, v7
	v_fma_f32 v6, -v6, v9, v8
	v_div_fmas_f32 v6, v6, v7, v9
	v_div_fixup_f32 v2, v6, v5, v2
	v_cvt_f16_f32_e32 v6, v2
.LBB736_53:
	s_or_b32 exec_lo, exec_lo, s2
	global_store_short v[0:1], v6, off offset:128
	s_and_b32 exec_lo, exec_lo, s1
	s_cbranch_execz .LBB736_60
; %bb.54:
	v_mov_b32_e32 v2, 0x7e00
	s_and_saveexec_b32 s1, s3
	s_cbranch_execz .LBB736_56
; %bb.55:
	v_div_scale_f32 v2, null, v5, v5, v3
	v_rcp_f32_e32 v6, v2
	v_fma_f32 v7, -v2, v6, 1.0
	v_fmac_f32_e32 v6, v7, v6
	v_div_scale_f32 v7, vcc_lo, v3, v5, v3
	v_mul_f32_e32 v8, v7, v6
	v_fma_f32 v9, -v2, v8, v7
	v_fmac_f32_e32 v8, v9, v6
	v_fma_f32 v2, -v2, v8, v7
	v_div_fmas_f32 v2, v2, v6, v8
	v_div_fixup_f32 v2, v2, v5, v3
	v_cvt_f16_f32_e32 v2, v2
.LBB736_56:
	s_or_b32 exec_lo, exec_lo, s1
	global_store_short v[0:1], v2, off offset:256
	;; [unrolled: 22-line block ×3, first 2 shown]
.LBB736_60:
	s_endpgm
	.section	.rodata,"a",@progbits
	.p2align	6, 0x0
	.amdhsa_kernel _ZN12_GLOBAL__N_120softmax_warp_forwardIN3c104HalfES2_fLi8ELb0ELb1ELi64EEEvPT0_PKT_iiiPKbib
		.amdhsa_group_segment_fixed_size 0
		.amdhsa_private_segment_fixed_size 0
		.amdhsa_kernarg_size 304
		.amdhsa_user_sgpr_count 6
		.amdhsa_user_sgpr_private_segment_buffer 1
		.amdhsa_user_sgpr_dispatch_ptr 0
		.amdhsa_user_sgpr_queue_ptr 0
		.amdhsa_user_sgpr_kernarg_segment_ptr 1
		.amdhsa_user_sgpr_dispatch_id 0
		.amdhsa_user_sgpr_flat_scratch_init 0
		.amdhsa_user_sgpr_private_segment_size 0
		.amdhsa_wavefront_size32 1
		.amdhsa_uses_dynamic_stack 0
		.amdhsa_system_sgpr_private_segment_wavefront_offset 0
		.amdhsa_system_sgpr_workgroup_id_x 1
		.amdhsa_system_sgpr_workgroup_id_y 0
		.amdhsa_system_sgpr_workgroup_id_z 0
		.amdhsa_system_sgpr_workgroup_info 0
		.amdhsa_system_vgpr_workitem_id 1
		.amdhsa_next_free_vgpr 25
		.amdhsa_next_free_sgpr 16
		.amdhsa_reserve_vcc 1
		.amdhsa_reserve_flat_scratch 0
		.amdhsa_float_round_mode_32 0
		.amdhsa_float_round_mode_16_64 0
		.amdhsa_float_denorm_mode_32 3
		.amdhsa_float_denorm_mode_16_64 3
		.amdhsa_dx10_clamp 1
		.amdhsa_ieee_mode 1
		.amdhsa_fp16_overflow 0
		.amdhsa_workgroup_processor_mode 1
		.amdhsa_memory_ordered 1
		.amdhsa_forward_progress 1
		.amdhsa_shared_vgpr_count 0
		.amdhsa_exception_fp_ieee_invalid_op 0
		.amdhsa_exception_fp_denorm_src 0
		.amdhsa_exception_fp_ieee_div_zero 0
		.amdhsa_exception_fp_ieee_overflow 0
		.amdhsa_exception_fp_ieee_underflow 0
		.amdhsa_exception_fp_ieee_inexact 0
		.amdhsa_exception_int_div_zero 0
	.end_amdhsa_kernel
	.section	.text._ZN12_GLOBAL__N_120softmax_warp_forwardIN3c104HalfES2_fLi8ELb0ELb1ELi64EEEvPT0_PKT_iiiPKbib,"axG",@progbits,_ZN12_GLOBAL__N_120softmax_warp_forwardIN3c104HalfES2_fLi8ELb0ELb1ELi64EEEvPT0_PKT_iiiPKbib,comdat
.Lfunc_end736:
	.size	_ZN12_GLOBAL__N_120softmax_warp_forwardIN3c104HalfES2_fLi8ELb0ELb1ELi64EEEvPT0_PKT_iiiPKbib, .Lfunc_end736-_ZN12_GLOBAL__N_120softmax_warp_forwardIN3c104HalfES2_fLi8ELb0ELb1ELi64EEEvPT0_PKT_iiiPKbib
                                        ; -- End function
	.set _ZN12_GLOBAL__N_120softmax_warp_forwardIN3c104HalfES2_fLi8ELb0ELb1ELi64EEEvPT0_PKT_iiiPKbib.num_vgpr, 25
	.set _ZN12_GLOBAL__N_120softmax_warp_forwardIN3c104HalfES2_fLi8ELb0ELb1ELi64EEEvPT0_PKT_iiiPKbib.num_agpr, 0
	.set _ZN12_GLOBAL__N_120softmax_warp_forwardIN3c104HalfES2_fLi8ELb0ELb1ELi64EEEvPT0_PKT_iiiPKbib.numbered_sgpr, 16
	.set _ZN12_GLOBAL__N_120softmax_warp_forwardIN3c104HalfES2_fLi8ELb0ELb1ELi64EEEvPT0_PKT_iiiPKbib.num_named_barrier, 0
	.set _ZN12_GLOBAL__N_120softmax_warp_forwardIN3c104HalfES2_fLi8ELb0ELb1ELi64EEEvPT0_PKT_iiiPKbib.private_seg_size, 0
	.set _ZN12_GLOBAL__N_120softmax_warp_forwardIN3c104HalfES2_fLi8ELb0ELb1ELi64EEEvPT0_PKT_iiiPKbib.uses_vcc, 1
	.set _ZN12_GLOBAL__N_120softmax_warp_forwardIN3c104HalfES2_fLi8ELb0ELb1ELi64EEEvPT0_PKT_iiiPKbib.uses_flat_scratch, 0
	.set _ZN12_GLOBAL__N_120softmax_warp_forwardIN3c104HalfES2_fLi8ELb0ELb1ELi64EEEvPT0_PKT_iiiPKbib.has_dyn_sized_stack, 0
	.set _ZN12_GLOBAL__N_120softmax_warp_forwardIN3c104HalfES2_fLi8ELb0ELb1ELi64EEEvPT0_PKT_iiiPKbib.has_recursion, 0
	.set _ZN12_GLOBAL__N_120softmax_warp_forwardIN3c104HalfES2_fLi8ELb0ELb1ELi64EEEvPT0_PKT_iiiPKbib.has_indirect_call, 0
	.section	.AMDGPU.csdata,"",@progbits
; Kernel info:
; codeLenInByte = 2776
; TotalNumSgprs: 18
; NumVgprs: 25
; ScratchSize: 0
; MemoryBound: 0
; FloatMode: 240
; IeeeMode: 1
; LDSByteSize: 0 bytes/workgroup (compile time only)
; SGPRBlocks: 0
; VGPRBlocks: 3
; NumSGPRsForWavesPerEU: 18
; NumVGPRsForWavesPerEU: 25
; Occupancy: 16
; WaveLimiterHint : 0
; COMPUTE_PGM_RSRC2:SCRATCH_EN: 0
; COMPUTE_PGM_RSRC2:USER_SGPR: 6
; COMPUTE_PGM_RSRC2:TRAP_HANDLER: 0
; COMPUTE_PGM_RSRC2:TGID_X_EN: 1
; COMPUTE_PGM_RSRC2:TGID_Y_EN: 0
; COMPUTE_PGM_RSRC2:TGID_Z_EN: 0
; COMPUTE_PGM_RSRC2:TIDIG_COMP_CNT: 1
	.section	.text._ZN12_GLOBAL__N_120softmax_warp_forwardIN3c104HalfES2_fLi8ELb0ELb1ELi32EEEvPT0_PKT_iiiPKbib,"axG",@progbits,_ZN12_GLOBAL__N_120softmax_warp_forwardIN3c104HalfES2_fLi8ELb0ELb1ELi32EEEvPT0_PKT_iiiPKbib,comdat
	.globl	_ZN12_GLOBAL__N_120softmax_warp_forwardIN3c104HalfES2_fLi8ELb0ELb1ELi32EEEvPT0_PKT_iiiPKbib ; -- Begin function _ZN12_GLOBAL__N_120softmax_warp_forwardIN3c104HalfES2_fLi8ELb0ELb1ELi32EEEvPT0_PKT_iiiPKbib
	.p2align	8
	.type	_ZN12_GLOBAL__N_120softmax_warp_forwardIN3c104HalfES2_fLi8ELb0ELb1ELi32EEEvPT0_PKT_iiiPKbib,@function
_ZN12_GLOBAL__N_120softmax_warp_forwardIN3c104HalfES2_fLi8ELb0ELb1ELi32EEEvPT0_PKT_iiiPKbib: ; @_ZN12_GLOBAL__N_120softmax_warp_forwardIN3c104HalfES2_fLi8ELb0ELb1ELi32EEEvPT0_PKT_iiiPKbib
; %bb.0:
	s_clause 0x1
	s_load_dword s0, s[4:5], 0x3c
	s_load_dwordx4 s[8:11], s[4:5], 0x10
	s_waitcnt lgkmcnt(0)
	s_lshr_b32 s0, s0, 16
	v_mad_u64_u32 v[1:2], null, s6, s0, v[1:2]
	s_load_dwordx2 s[0:1], s[4:5], 0x28
	v_mul_lo_u32 v4, v1, s9
	v_add_nc_u32_e32 v2, v4, v0
	v_ashrrev_i32_e32 v3, 31, v2
	s_waitcnt lgkmcnt(0)
	s_bitcmp0_b32 s1, 0
	v_mov_b32_e32 v9, v3
	v_mov_b32_e32 v8, v2
	s_cbranch_scc1 .LBB737_2
; %bb.1:
	s_abs_i32 s1, s0
	v_sub_nc_u32_e32 v7, 0, v4
	v_cvt_f32_u32_e32 v5, s1
	s_sub_i32 s2, 0, s1
	v_max_i32_e32 v7, v4, v7
	v_rcp_iflag_f32_e32 v5, v5
	v_xor_b32_e32 v4, s0, v4
	v_ashrrev_i32_e32 v4, 31, v4
	v_mul_f32_e32 v5, 0x4f7ffffe, v5
	v_cvt_u32_f32_e32 v5, v5
	v_mul_lo_u32 v6, s2, v5
	v_mul_hi_u32 v6, v5, v6
	v_add_nc_u32_e32 v5, v5, v6
	v_mul_hi_u32 v5, v7, v5
	v_mul_lo_u32 v6, v5, s1
	v_sub_nc_u32_e32 v6, v7, v6
	v_add_nc_u32_e32 v7, 1, v5
	v_subrev_nc_u32_e32 v8, s1, v6
	v_cmp_le_u32_e32 vcc_lo, s1, v6
	v_cndmask_b32_e32 v5, v5, v7, vcc_lo
	v_cndmask_b32_e32 v6, v6, v8, vcc_lo
	v_add_nc_u32_e32 v7, 1, v5
	v_cmp_le_u32_e32 vcc_lo, s1, v6
	v_cndmask_b32_e32 v5, v5, v7, vcc_lo
	v_xor_b32_e32 v5, v5, v4
	v_sub_nc_u32_e32 v4, v5, v4
	v_mad_u64_u32 v[8:9], null, v4, s9, v[0:1]
	v_ashrrev_i32_e32 v9, 31, v8
.LBB737_2:
	s_load_dwordx4 s[12:15], s[4:5], 0x0
	v_lshlrev_b64 v[24:25], 1, v[2:3]
	v_sub_nc_u32_e32 v28, s8, v1
	v_cmp_gt_i32_e32 vcc_lo, s10, v0
	v_mov_b32_e32 v16, 0xff800000
	v_mov_b32_e32 v1, 0xff800000
	v_cmp_lt_i32_e64 s9, 0, v28
	s_and_b32 s18, s9, vcc_lo
	s_waitcnt lgkmcnt(0)
	v_add_co_u32 v10, s0, s14, v24
	v_add_co_ci_u32_e64 v11, null, s15, v25, s0
	s_and_saveexec_b32 s0, s18
	s_cbranch_execz .LBB737_4
; %bb.3:
	global_load_ushort v1, v[10:11], off
	s_waitcnt vmcnt(0)
	v_cvt_f32_f16_e32 v1, v1
.LBB737_4:
	s_or_b32 exec_lo, exec_lo, s0
	v_add_nc_u32_e32 v2, 32, v0
	v_cmp_gt_i32_e64 s8, s10, v2
	s_and_b32 s19, s9, s8
	s_and_saveexec_b32 s0, s19
	s_cbranch_execz .LBB737_6
; %bb.5:
	global_load_ushort v2, v[10:11], off offset:64
	s_waitcnt vmcnt(0)
	v_cvt_f32_f16_e32 v16, v2
.LBB737_6:
	s_or_b32 exec_lo, exec_lo, s0
	v_add_nc_u32_e32 v2, 64, v0
	v_mov_b32_e32 v3, 0xff800000
	v_cmp_gt_i32_e64 s7, s10, v2
	v_mov_b32_e32 v2, 0xff800000
	s_and_b32 s17, s9, s7
	s_and_saveexec_b32 s0, s17
	s_cbranch_execz .LBB737_8
; %bb.7:
	global_load_ushort v2, v[10:11], off offset:128
	s_waitcnt vmcnt(0)
	v_cvt_f32_f16_e32 v2, v2
.LBB737_8:
	s_or_b32 exec_lo, exec_lo, s0
	v_add_nc_u32_e32 v4, 0x60, v0
	v_cmp_gt_i32_e64 s6, s10, v4
	s_and_b32 s16, s9, s6
	s_and_saveexec_b32 s0, s16
	s_cbranch_execz .LBB737_10
; %bb.9:
	global_load_ushort v3, v[10:11], off offset:192
	s_waitcnt vmcnt(0)
	v_cvt_f32_f16_e32 v3, v3
.LBB737_10:
	s_or_b32 exec_lo, exec_lo, s0
	v_add_nc_u32_e32 v4, 0x80, v0
	v_mov_b32_e32 v5, 0xff800000
	v_cmp_gt_i32_e64 s3, s10, v4
	v_mov_b32_e32 v4, 0xff800000
	s_and_b32 s15, s9, s3
	s_and_saveexec_b32 s0, s15
	s_cbranch_execz .LBB737_12
; %bb.11:
	global_load_ushort v4, v[10:11], off offset:256
	s_waitcnt vmcnt(0)
	v_cvt_f32_f16_e32 v4, v4
.LBB737_12:
	;; [unrolled: 24-line block ×3, first 2 shown]
	s_or_b32 exec_lo, exec_lo, s0
	v_add_nc_u32_e32 v0, 0xe0, v0
	v_cmp_gt_i32_e64 s0, s10, v0
	s_and_b32 s9, s9, s0
	s_and_saveexec_b32 s10, s9
	s_cbranch_execz .LBB737_18
; %bb.17:
	global_load_ushort v0, v[10:11], off offset:448
	s_waitcnt vmcnt(0)
	v_cvt_f32_f16_e32 v7, v0
.LBB737_18:
	s_or_b32 exec_lo, exec_lo, s10
	s_load_dwordx2 s[4:5], s[4:5], 0x20
	s_waitcnt lgkmcnt(0)
	v_add_co_u32 v26, s4, s4, v8
	v_add_co_ci_u32_e64 v27, null, s5, v9, s4
	s_mov_b32 s5, 0
	s_and_saveexec_b32 s10, s18
	s_cbranch_execz .LBB737_32
; %bb.19:
	global_load_ubyte v0, v[26:27], off
	s_waitcnt vmcnt(0)
	v_and_b32_e32 v0, 1, v0
	v_cmp_eq_u32_e64 s4, 1, v0
	s_xor_b32 s4, s4, -1
	s_and_b32 s5, s4, exec_lo
	s_or_b32 exec_lo, exec_lo, s10
	v_mov_b32_e32 v0, v1
	s_and_saveexec_b32 s10, s19
	s_cbranch_execnz .LBB737_33
.LBB737_20:
	s_or_b32 exec_lo, exec_lo, s10
	s_and_saveexec_b32 s10, s17
	s_cbranch_execz .LBB737_36
.LBB737_21:
	global_load_ubyte v8, v[26:27], off offset:64
	s_waitcnt vmcnt(0)
	v_and_b32_e32 v8, 1, v8
	v_cmp_eq_u32_e64 s4, 1, v8
	s_xor_b32 s21, s4, -1
	s_mov_b32 s4, s5
	s_and_saveexec_b32 s20, s21
; %bb.22:
	v_cmp_gt_f32_e64 s4, v0, v2
	s_and_b32 s4, s5, s4
	v_cndmask_b32_e64 v0, v2, v0, s4
	s_or_b32 s4, s5, exec_lo
; %bb.23:
	s_or_b32 exec_lo, exec_lo, s20
	s_andn2_b32 s5, s5, exec_lo
	s_and_b32 s4, s4, exec_lo
	s_or_b32 s5, s5, s4
	s_or_b32 exec_lo, exec_lo, s10
	s_and_saveexec_b32 s10, s16
	s_cbranch_execnz .LBB737_37
.LBB737_24:
	s_or_b32 exec_lo, exec_lo, s10
	s_and_saveexec_b32 s10, s15
	s_cbranch_execz .LBB737_40
.LBB737_25:
	global_load_ubyte v8, v[26:27], off offset:128
	s_waitcnt vmcnt(0)
	v_and_b32_e32 v8, 1, v8
	v_cmp_eq_u32_e64 s4, 1, v8
	s_xor_b32 s21, s4, -1
	s_mov_b32 s4, s5
	s_and_saveexec_b32 s20, s21
; %bb.26:
	v_cmp_gt_f32_e64 s4, v0, v4
	s_and_b32 s4, s5, s4
	v_cndmask_b32_e64 v0, v4, v0, s4
	s_or_b32 s4, s5, exec_lo
; %bb.27:
	s_or_b32 exec_lo, exec_lo, s20
	s_andn2_b32 s5, s5, exec_lo
	s_and_b32 s4, s4, exec_lo
	s_or_b32 s5, s5, s4
	s_or_b32 exec_lo, exec_lo, s10
	s_and_saveexec_b32 s10, s14
	s_cbranch_execnz .LBB737_41
.LBB737_28:
	s_or_b32 exec_lo, exec_lo, s10
	s_and_saveexec_b32 s10, s11
	s_cbranch_execz .LBB737_44
.LBB737_29:
	global_load_ubyte v8, v[26:27], off offset:192
	s_waitcnt vmcnt(0)
	v_and_b32_e32 v8, 1, v8
	v_cmp_eq_u32_e64 s4, 1, v8
	s_xor_b32 s21, s4, -1
	s_mov_b32 s4, s5
	s_and_saveexec_b32 s20, s21
; %bb.30:
	v_cmp_gt_f32_e64 s4, v0, v6
	s_and_b32 s4, s5, s4
	v_cndmask_b32_e64 v0, v6, v0, s4
	s_or_b32 s4, s5, exec_lo
; %bb.31:
	s_or_b32 exec_lo, exec_lo, s20
	s_andn2_b32 s5, s5, exec_lo
	s_and_b32 s4, s4, exec_lo
	s_or_b32 s5, s5, s4
	s_or_b32 exec_lo, exec_lo, s10
	s_and_saveexec_b32 s10, s9
	s_cbranch_execz .LBB737_48
	s_branch .LBB737_45
.LBB737_32:
	s_or_b32 exec_lo, exec_lo, s10
	v_mov_b32_e32 v0, v1
	s_and_saveexec_b32 s10, s19
	s_cbranch_execz .LBB737_20
.LBB737_33:
	global_load_ubyte v0, v[26:27], off offset:32
	s_waitcnt vmcnt(0)
	v_and_b32_e32 v0, 1, v0
	v_cmp_eq_u32_e64 s4, 1, v0
	v_mov_b32_e32 v0, v1
	s_xor_b32 s21, s4, -1
	s_mov_b32 s4, s5
	s_and_saveexec_b32 s20, s21
; %bb.34:
	v_cmp_gt_f32_e64 s4, v1, v16
	s_and_b32 s4, s5, s4
	v_cndmask_b32_e64 v0, v16, v1, s4
	s_or_b32 s4, s5, exec_lo
; %bb.35:
	s_or_b32 exec_lo, exec_lo, s20
	s_andn2_b32 s5, s5, exec_lo
	s_and_b32 s4, s4, exec_lo
	s_or_b32 s5, s5, s4
	s_or_b32 exec_lo, exec_lo, s10
	s_and_saveexec_b32 s10, s17
	s_cbranch_execnz .LBB737_21
.LBB737_36:
	s_or_b32 exec_lo, exec_lo, s10
	s_and_saveexec_b32 s10, s16
	s_cbranch_execz .LBB737_24
.LBB737_37:
	global_load_ubyte v8, v[26:27], off offset:96
	s_waitcnt vmcnt(0)
	v_and_b32_e32 v8, 1, v8
	v_cmp_eq_u32_e64 s4, 1, v8
	s_xor_b32 s21, s4, -1
	s_mov_b32 s4, s5
	s_and_saveexec_b32 s20, s21
; %bb.38:
	v_cmp_gt_f32_e64 s4, v0, v3
	s_and_b32 s4, s5, s4
	v_cndmask_b32_e64 v0, v3, v0, s4
	s_or_b32 s4, s5, exec_lo
; %bb.39:
	s_or_b32 exec_lo, exec_lo, s20
	s_andn2_b32 s5, s5, exec_lo
	s_and_b32 s4, s4, exec_lo
	s_or_b32 s5, s5, s4
	s_or_b32 exec_lo, exec_lo, s10
	s_and_saveexec_b32 s10, s15
	s_cbranch_execnz .LBB737_25
.LBB737_40:
	s_or_b32 exec_lo, exec_lo, s10
	s_and_saveexec_b32 s10, s14
	s_cbranch_execz .LBB737_28
.LBB737_41:
	global_load_ubyte v8, v[26:27], off offset:160
	s_waitcnt vmcnt(0)
	v_and_b32_e32 v8, 1, v8
	v_cmp_eq_u32_e64 s4, 1, v8
	s_xor_b32 s21, s4, -1
	s_mov_b32 s4, s5
	s_and_saveexec_b32 s20, s21
; %bb.42:
	v_cmp_gt_f32_e64 s4, v0, v5
	s_and_b32 s4, s5, s4
	v_cndmask_b32_e64 v0, v5, v0, s4
	s_or_b32 s4, s5, exec_lo
; %bb.43:
	s_or_b32 exec_lo, exec_lo, s20
	s_andn2_b32 s5, s5, exec_lo
	s_and_b32 s4, s4, exec_lo
	s_or_b32 s5, s5, s4
	s_or_b32 exec_lo, exec_lo, s10
	s_and_saveexec_b32 s10, s11
	s_cbranch_execnz .LBB737_29
.LBB737_44:
	s_or_b32 exec_lo, exec_lo, s10
	s_and_saveexec_b32 s10, s9
	s_cbranch_execz .LBB737_48
.LBB737_45:
	global_load_ubyte v8, v[26:27], off offset:224
	s_waitcnt vmcnt(0)
	v_and_b32_e32 v8, 1, v8
	v_cmp_eq_u32_e64 s4, 1, v8
	s_xor_b32 s21, s4, -1
	s_mov_b32 s4, s5
	s_and_saveexec_b32 s20, s21
; %bb.46:
	v_cmp_gt_f32_e64 s4, v0, v7
	s_and_b32 s4, s5, s4
	v_cndmask_b32_e64 v0, v7, v0, s4
	s_or_b32 s4, s5, exec_lo
; %bb.47:
	s_or_b32 exec_lo, exec_lo, s20
	s_andn2_b32 s5, s5, exec_lo
	s_and_b32 s4, s4, exec_lo
	s_or_b32 s5, s5, s4
.LBB737_48:
	s_or_b32 exec_lo, exec_lo, s10
	v_mbcnt_lo_u32_b32 v8, -1, 0
	v_cndmask_b32_e64 v0, 0xff800000, v0, s5
	s_xor_b32 s5, s19, -1
	v_xor_b32_e32 v9, 16, v8
	v_xor_b32_e32 v10, 8, v8
	v_cmp_gt_i32_e64 s4, 32, v9
	v_cndmask_b32_e64 v9, v8, v9, s4
	v_cmp_gt_i32_e64 s4, 32, v10
	v_lshlrev_b32_e32 v29, 2, v9
	v_cndmask_b32_e64 v10, v8, v10, s4
	ds_bpermute_b32 v9, v29, v0
	v_lshlrev_b32_e32 v30, 2, v10
	v_xor_b32_e32 v10, 4, v8
	s_waitcnt lgkmcnt(0)
	v_cmp_lt_f32_e64 s4, v0, v9
	v_cndmask_b32_e64 v0, v0, v9, s4
	v_cmp_gt_i32_e64 s4, 32, v10
	ds_bpermute_b32 v9, v30, v0
	v_cndmask_b32_e64 v10, v8, v10, s4
	v_lshlrev_b32_e32 v31, 2, v10
	v_xor_b32_e32 v10, 2, v8
	s_waitcnt lgkmcnt(0)
	v_cmp_lt_f32_e64 s4, v0, v9
	v_cndmask_b32_e64 v0, v0, v9, s4
	v_cmp_gt_i32_e64 s4, 32, v10
	ds_bpermute_b32 v9, v31, v0
	v_cndmask_b32_e64 v10, v8, v10, s4
	;; [unrolled: 8-line block ×3, first 2 shown]
	v_lshlrev_b32_e32 v33, 2, v8
	s_waitcnt lgkmcnt(0)
	v_cmp_lt_f32_e64 s4, v0, v9
	v_cndmask_b32_e64 v0, v0, v9, s4
	ds_bpermute_b32 v8, v33, v0
	s_waitcnt lgkmcnt(0)
	v_cmp_lt_f32_e64 s4, v0, v8
	v_cndmask_b32_e64 v34, v0, v8, s4
	v_mov_b32_e32 v0, 0
	s_and_saveexec_b32 s10, s18
	s_cbranch_execz .LBB737_52
; %bb.49:
	global_load_ubyte v0, v[26:27], off
	s_waitcnt vmcnt(0)
	v_and_b32_e32 v0, 1, v0
	v_cmp_eq_u32_e64 s4, 1, v0
	v_mov_b32_e32 v0, 0
	s_xor_b32 s4, s4, -1
	s_and_saveexec_b32 s18, s4
	s_cbranch_execz .LBB737_51
; %bb.50:
	v_sub_f32_e32 v0, v1, v34
	v_mul_f32_e32 v1, 0x3fb8aa3b, v0
	v_cmp_ngt_f32_e64 s4, 0xc2ce8ed0, v0
	v_fma_f32 v8, 0x3fb8aa3b, v0, -v1
	v_rndne_f32_e32 v9, v1
	v_fmamk_f32 v8, v0, 0x32a5705f, v8
	v_sub_f32_e32 v1, v1, v9
	v_add_f32_e32 v1, v1, v8
	v_cvt_i32_f32_e32 v8, v9
	v_exp_f32_e32 v1, v1
	v_ldexp_f32 v1, v1, v8
	v_cndmask_b32_e64 v1, 0, v1, s4
	v_cmp_nlt_f32_e64 s4, 0x42b17218, v0
	v_cndmask_b32_e64 v0, 0x7f800000, v1, s4
.LBB737_51:
	s_or_b32 exec_lo, exec_lo, s18
.LBB737_52:
	s_or_b32 exec_lo, exec_lo, s10
                                        ; implicit-def: $vgpr8_vgpr9_vgpr10_vgpr11_vgpr12_vgpr13_vgpr14_vgpr15
	s_and_saveexec_b32 s4, s5
	s_xor_b32 s4, exec_lo, s4
	s_cbranch_execz .LBB737_66
; %bb.53:
	s_mov_b32 s5, 0
                                        ; implicit-def: $vgpr16
	v_mov_b32_e32 v1, s5
	v_mov_b32_e32 v15, v7
	;; [unrolled: 1-line block ×9, first 2 shown]
	s_or_saveexec_b32 s10, s4
	s_xor_b32 s5, s17, -1
	s_xor_b32 exec_lo, exec_lo, s10
	s_cbranch_execnz .LBB737_67
.LBB737_54:
	s_or_b32 exec_lo, exec_lo, s10
                                        ; implicit-def: $vgpr16_vgpr17_vgpr18_vgpr19_vgpr20_vgpr21_vgpr22_vgpr23
	s_and_saveexec_b32 s4, s5
	s_xor_b32 s4, exec_lo, s4
	s_cbranch_execz .LBB737_70
.LBB737_55:
	s_mov_b32 s5, 0
	v_mov_b32_e32 v10, s5
	v_mov_b32_e32 v23, v15
	;; [unrolled: 1-line block ×9, first 2 shown]
                                        ; implicit-def: $vgpr8_vgpr9_vgpr10_vgpr11_vgpr12_vgpr13_vgpr14_vgpr15
	s_or_saveexec_b32 s10, s4
	s_xor_b32 s5, s16, -1
	s_xor_b32 exec_lo, exec_lo, s10
	s_cbranch_execnz .LBB737_71
.LBB737_56:
	s_or_b32 exec_lo, exec_lo, s10
                                        ; implicit-def: $vgpr1_vgpr2_vgpr3_vgpr4_vgpr5_vgpr6_vgpr7_vgpr8
	s_and_saveexec_b32 s4, s5
	s_xor_b32 s4, exec_lo, s4
	s_cbranch_execz .LBB737_74
.LBB737_57:
	s_mov_b32 s5, 0
	v_mov_b32_e32 v19, s5
	v_mov_b32_e32 v1, v16
	;; [unrolled: 1-line block ×9, first 2 shown]
                                        ; implicit-def: $vgpr16_vgpr17_vgpr18_vgpr19_vgpr20_vgpr21_vgpr22_vgpr23
	s_or_saveexec_b32 s10, s4
	s_xor_b32 s5, s15, -1
	s_xor_b32 exec_lo, exec_lo, s10
	s_cbranch_execnz .LBB737_75
.LBB737_58:
	s_or_b32 exec_lo, exec_lo, s10
                                        ; implicit-def: $vgpr9_vgpr10_vgpr11_vgpr12_vgpr13_vgpr14_vgpr15_vgpr16
	s_and_saveexec_b32 s4, s5
	s_xor_b32 s4, exec_lo, s4
	s_cbranch_execz .LBB737_78
.LBB737_59:
	s_mov_b32 s5, 0
	v_mov_b32_e32 v5, s5
	v_mov_b32_e32 v16, v8
	;; [unrolled: 1-line block ×9, first 2 shown]
                                        ; implicit-def: $vgpr1_vgpr2_vgpr3_vgpr4_vgpr5_vgpr6_vgpr7_vgpr8
	s_or_saveexec_b32 s10, s4
	s_xor_b32 s5, s14, -1
	s_xor_b32 exec_lo, exec_lo, s10
	s_cbranch_execnz .LBB737_79
.LBB737_60:
	s_or_b32 exec_lo, exec_lo, s10
                                        ; implicit-def: $vgpr1_vgpr2_vgpr3_vgpr4_vgpr5_vgpr6_vgpr7_vgpr8
	s_and_saveexec_b32 s4, s5
	s_xor_b32 s4, exec_lo, s4
	s_cbranch_execz .LBB737_82
.LBB737_61:
	s_mov_b32 s5, 0
	v_mov_b32_e32 v14, s5
	v_mov_b32_e32 v1, v9
	;; [unrolled: 1-line block ×9, first 2 shown]
                                        ; implicit-def: $vgpr9_vgpr10_vgpr11_vgpr12_vgpr13_vgpr14_vgpr15_vgpr16
	s_or_saveexec_b32 s10, s4
	s_xor_b32 s5, s11, -1
	s_xor_b32 exec_lo, exec_lo, s10
	s_cbranch_execnz .LBB737_83
.LBB737_62:
	s_or_b32 exec_lo, exec_lo, s10
                                        ; implicit-def: $vgpr9_vgpr10_vgpr11_vgpr12_vgpr13_vgpr14_vgpr15_vgpr16
	s_and_saveexec_b32 s4, s5
	s_xor_b32 s4, exec_lo, s4
	s_cbranch_execz .LBB737_86
.LBB737_63:
	s_mov_b32 s5, 0
	v_mov_b32_e32 v7, s5
	v_mov_b32_e32 v16, v8
	;; [unrolled: 1-line block ×9, first 2 shown]
                                        ; implicit-def: $vgpr1_vgpr2_vgpr3_vgpr4_vgpr5_vgpr6_vgpr7_vgpr8
	s_or_saveexec_b32 s10, s4
	s_xor_b32 s5, s9, -1
	s_xor_b32 exec_lo, exec_lo, s10
	s_cbranch_execnz .LBB737_87
.LBB737_64:
	s_or_b32 exec_lo, exec_lo, s10
                                        ; implicit-def: $vgpr1_vgpr2_vgpr3_vgpr4_vgpr5_vgpr6_vgpr7_vgpr8
	s_and_saveexec_b32 s4, s5
	s_xor_b32 s4, exec_lo, s4
	s_cbranch_execz .LBB737_90
.LBB737_65:
	s_mov_b32 s5, 0
                                        ; implicit-def: $vgpr26_vgpr27
                                        ; implicit-def: $vgpr34
	v_mov_b32_e32 v16, s5
	v_mov_b32_e32 v1, v9
	;; [unrolled: 1-line block ×9, first 2 shown]
                                        ; implicit-def: $vgpr9_vgpr10_vgpr11_vgpr12_vgpr13_vgpr14_vgpr15_vgpr16
	s_andn2_saveexec_b32 s5, s4
	s_cbranch_execz .LBB737_94
	s_branch .LBB737_91
.LBB737_66:
	s_or_saveexec_b32 s10, s4
	s_xor_b32 s5, s17, -1
	s_xor_b32 exec_lo, exec_lo, s10
	s_cbranch_execz .LBB737_54
.LBB737_67:
	global_load_ubyte v8, v[26:27], off offset:32
	s_mov_b32 s17, 0
	s_waitcnt vmcnt(0)
	v_and_b32_e32 v8, 1, v8
	v_cmp_eq_u32_e64 s4, 1, v8
	v_mov_b32_e32 v15, v7
	v_mov_b32_e32 v9, v1
	;; [unrolled: 1-line block ×9, first 2 shown]
	s_xor_b32 s4, s4, -1
	s_and_saveexec_b32 s17, s4
	s_xor_b32 s17, exec_lo, s17
	s_cbranch_execz .LBB737_69
; %bb.68:
	v_sub_f32_e32 v1, v16, v34
	v_mul_f32_e32 v8, 0x3fb8aa3b, v1
	v_cmp_ngt_f32_e64 s4, 0xc2ce8ed0, v1
	v_fma_f32 v9, 0x3fb8aa3b, v1, -v8
	v_rndne_f32_e32 v10, v8
	v_fmamk_f32 v9, v1, 0x32a5705f, v9
	v_sub_f32_e32 v8, v8, v10
	v_add_f32_e32 v8, v8, v9
	v_cvt_i32_f32_e32 v9, v10
	v_exp_f32_e32 v8, v8
	v_ldexp_f32 v8, v8, v9
	v_cndmask_b32_e64 v8, 0, v8, s4
	v_cmp_nlt_f32_e64 s4, 0x42b17218, v1
	v_cndmask_b32_e64 v1, 0x7f800000, v8, s4
	v_mov_b32_e32 v15, v7
	v_mov_b32_e32 v14, v6
	;; [unrolled: 1-line block ×4, first 2 shown]
	v_add_f32_e32 v16, v0, v1
	v_mov_b32_e32 v11, v3
	v_mov_b32_e32 v10, v2
	;; [unrolled: 1-line block ×5, first 2 shown]
.LBB737_69:
	s_andn2_saveexec_b32 s4, s17
	s_or_b32 exec_lo, exec_lo, s4
	s_or_b32 exec_lo, exec_lo, s10
                                        ; implicit-def: $vgpr16_vgpr17_vgpr18_vgpr19_vgpr20_vgpr21_vgpr22_vgpr23
	s_and_saveexec_b32 s4, s5
	s_xor_b32 s4, exec_lo, s4
	s_cbranch_execnz .LBB737_55
.LBB737_70:
	s_or_saveexec_b32 s10, s4
	s_xor_b32 s5, s16, -1
	s_xor_b32 exec_lo, exec_lo, s10
	s_cbranch_execz .LBB737_56
.LBB737_71:
	global_load_ubyte v1, v[26:27], off offset:64
	s_mov_b32 s16, 0
	v_mov_b32_e32 v23, v15
	v_mov_b32_e32 v18, v10
	;; [unrolled: 1-line block ×9, first 2 shown]
	s_waitcnt vmcnt(0)
	v_and_b32_e32 v1, 1, v1
	v_cmp_eq_u32_e64 s4, 1, v1
	s_xor_b32 s4, s4, -1
	s_and_saveexec_b32 s16, s4
	s_xor_b32 s16, exec_lo, s16
	s_cbranch_execz .LBB737_73
; %bb.72:
	v_sub_f32_e32 v1, v10, v34
	v_mul_f32_e32 v2, 0x3fb8aa3b, v1
	v_cmp_ngt_f32_e64 s4, 0xc2ce8ed0, v1
	v_fma_f32 v3, 0x3fb8aa3b, v1, -v2
	v_rndne_f32_e32 v4, v2
	v_fmamk_f32 v3, v1, 0x32a5705f, v3
	v_sub_f32_e32 v2, v2, v4
	v_add_f32_e32 v2, v2, v3
	v_cvt_i32_f32_e32 v3, v4
	v_exp_f32_e32 v2, v2
	v_ldexp_f32 v2, v2, v3
	v_cndmask_b32_e64 v2, 0, v2, s4
	v_cmp_nlt_f32_e64 s4, 0x42b17218, v1
	v_cndmask_b32_e64 v10, 0x7f800000, v2, s4
	v_mov_b32_e32 v23, v15
	v_mov_b32_e32 v22, v14
	;; [unrolled: 1-line block ×4, first 2 shown]
	v_add_f32_e32 v0, v0, v10
	v_mov_b32_e32 v19, v11
	v_mov_b32_e32 v18, v10
	;; [unrolled: 1-line block ×4, first 2 shown]
.LBB737_73:
	s_andn2_saveexec_b32 s4, s16
	s_or_b32 exec_lo, exec_lo, s4
	s_or_b32 exec_lo, exec_lo, s10
                                        ; implicit-def: $vgpr1_vgpr2_vgpr3_vgpr4_vgpr5_vgpr6_vgpr7_vgpr8
	s_and_saveexec_b32 s4, s5
	s_xor_b32 s4, exec_lo, s4
	s_cbranch_execnz .LBB737_57
.LBB737_74:
	s_or_saveexec_b32 s10, s4
	s_xor_b32 s5, s15, -1
	s_xor_b32 exec_lo, exec_lo, s10
	s_cbranch_execz .LBB737_58
.LBB737_75:
	global_load_ubyte v1, v[26:27], off offset:96
	s_mov_b32 s15, 0
	s_waitcnt vmcnt(0)
	v_and_b32_e32 v1, 1, v1
	v_cmp_eq_u32_e64 s4, 1, v1
	v_mov_b32_e32 v1, v16
	v_mov_b32_e32 v4, v19
	v_mov_b32_e32 v2, v17
	v_mov_b32_e32 v3, v18
	v_mov_b32_e32 v5, v20
	v_mov_b32_e32 v6, v21
	v_mov_b32_e32 v7, v22
	v_mov_b32_e32 v8, v23
	v_mov_b32_e32 v4, s15
	s_xor_b32 s4, s4, -1
	s_and_saveexec_b32 s15, s4
	s_xor_b32 s15, exec_lo, s15
	s_cbranch_execz .LBB737_77
; %bb.76:
	v_sub_f32_e32 v1, v19, v34
	v_mul_f32_e32 v2, 0x3fb8aa3b, v1
	v_cmp_ngt_f32_e64 s4, 0xc2ce8ed0, v1
	v_fma_f32 v3, 0x3fb8aa3b, v1, -v2
	v_rndne_f32_e32 v4, v2
	v_fmamk_f32 v3, v1, 0x32a5705f, v3
	v_sub_f32_e32 v2, v2, v4
	v_add_f32_e32 v2, v2, v3
	v_cvt_i32_f32_e32 v3, v4
	v_exp_f32_e32 v2, v2
	v_ldexp_f32 v2, v2, v3
	v_cndmask_b32_e64 v2, 0, v2, s4
	v_cmp_nlt_f32_e64 s4, 0x42b17218, v1
	v_cndmask_b32_e64 v19, 0x7f800000, v2, s4
	v_mov_b32_e32 v1, v16
	v_mov_b32_e32 v2, v17
	;; [unrolled: 1-line block ×4, first 2 shown]
	v_add_f32_e32 v0, v0, v19
	v_mov_b32_e32 v4, v19
	v_mov_b32_e32 v6, v21
	;; [unrolled: 1-line block ×4, first 2 shown]
.LBB737_77:
	s_andn2_saveexec_b32 s4, s15
	s_or_b32 exec_lo, exec_lo, s4
	s_or_b32 exec_lo, exec_lo, s10
                                        ; implicit-def: $vgpr9_vgpr10_vgpr11_vgpr12_vgpr13_vgpr14_vgpr15_vgpr16
	s_and_saveexec_b32 s4, s5
	s_xor_b32 s4, exec_lo, s4
	s_cbranch_execnz .LBB737_59
.LBB737_78:
	s_or_saveexec_b32 s10, s4
	s_xor_b32 s5, s14, -1
	s_xor_b32 exec_lo, exec_lo, s10
	s_cbranch_execz .LBB737_60
.LBB737_79:
	global_load_ubyte v9, v[26:27], off offset:128
	s_mov_b32 s14, 0
	s_waitcnt vmcnt(0)
	v_and_b32_e32 v9, 1, v9
	v_cmp_eq_u32_e64 s4, 1, v9
	v_mov_b32_e32 v16, v8
	v_mov_b32_e32 v13, v5
	;; [unrolled: 1-line block ×9, first 2 shown]
	s_xor_b32 s4, s4, -1
	s_and_saveexec_b32 s14, s4
	s_xor_b32 s14, exec_lo, s14
	s_cbranch_execz .LBB737_81
; %bb.80:
	v_sub_f32_e32 v5, v5, v34
	v_mul_f32_e32 v9, 0x3fb8aa3b, v5
	v_cmp_ngt_f32_e64 s4, 0xc2ce8ed0, v5
	v_fma_f32 v10, 0x3fb8aa3b, v5, -v9
	v_rndne_f32_e32 v11, v9
	v_fmamk_f32 v10, v5, 0x32a5705f, v10
	v_sub_f32_e32 v9, v9, v11
	v_add_f32_e32 v9, v9, v10
	v_cvt_i32_f32_e32 v10, v11
	v_exp_f32_e32 v9, v9
	v_ldexp_f32 v9, v9, v10
	v_cndmask_b32_e64 v9, 0, v9, s4
	v_cmp_nlt_f32_e64 s4, 0x42b17218, v5
	v_cndmask_b32_e64 v5, 0x7f800000, v9, s4
	v_mov_b32_e32 v16, v8
	v_mov_b32_e32 v15, v7
	;; [unrolled: 1-line block ×4, first 2 shown]
	v_add_f32_e32 v0, v0, v5
	v_mov_b32_e32 v13, v5
	v_mov_b32_e32 v11, v3
	;; [unrolled: 1-line block ×4, first 2 shown]
.LBB737_81:
	s_andn2_saveexec_b32 s4, s14
	s_or_b32 exec_lo, exec_lo, s4
	s_or_b32 exec_lo, exec_lo, s10
                                        ; implicit-def: $vgpr1_vgpr2_vgpr3_vgpr4_vgpr5_vgpr6_vgpr7_vgpr8
	s_and_saveexec_b32 s4, s5
	s_xor_b32 s4, exec_lo, s4
	s_cbranch_execnz .LBB737_61
.LBB737_82:
	s_or_saveexec_b32 s10, s4
	s_xor_b32 s5, s11, -1
	s_xor_b32 exec_lo, exec_lo, s10
	s_cbranch_execz .LBB737_62
.LBB737_83:
	global_load_ubyte v1, v[26:27], off offset:160
	s_mov_b32 s11, 0
	s_waitcnt vmcnt(0)
	v_and_b32_e32 v1, 1, v1
	v_cmp_eq_u32_e64 s4, 1, v1
	v_mov_b32_e32 v1, v9
	v_mov_b32_e32 v6, v14
	;; [unrolled: 1-line block ×9, first 2 shown]
	s_xor_b32 s4, s4, -1
	s_and_saveexec_b32 s11, s4
	s_xor_b32 s11, exec_lo, s11
	s_cbranch_execz .LBB737_85
; %bb.84:
	v_sub_f32_e32 v1, v14, v34
	v_mul_f32_e32 v2, 0x3fb8aa3b, v1
	v_cmp_ngt_f32_e64 s4, 0xc2ce8ed0, v1
	v_fma_f32 v3, 0x3fb8aa3b, v1, -v2
	v_rndne_f32_e32 v4, v2
	v_fmamk_f32 v3, v1, 0x32a5705f, v3
	v_sub_f32_e32 v2, v2, v4
	v_add_f32_e32 v2, v2, v3
	v_cvt_i32_f32_e32 v3, v4
	v_exp_f32_e32 v2, v2
	v_ldexp_f32 v2, v2, v3
	v_cndmask_b32_e64 v2, 0, v2, s4
	v_cmp_nlt_f32_e64 s4, 0x42b17218, v1
	v_cndmask_b32_e64 v14, 0x7f800000, v2, s4
	v_mov_b32_e32 v1, v9
	v_mov_b32_e32 v2, v10
	;; [unrolled: 1-line block ×4, first 2 shown]
	v_add_f32_e32 v0, v0, v14
	v_mov_b32_e32 v5, v13
	v_mov_b32_e32 v6, v14
	v_mov_b32_e32 v7, v15
	v_mov_b32_e32 v8, v16
.LBB737_85:
	s_andn2_saveexec_b32 s4, s11
	s_or_b32 exec_lo, exec_lo, s4
	s_or_b32 exec_lo, exec_lo, s10
                                        ; implicit-def: $vgpr9_vgpr10_vgpr11_vgpr12_vgpr13_vgpr14_vgpr15_vgpr16
	s_and_saveexec_b32 s4, s5
	s_xor_b32 s4, exec_lo, s4
	s_cbranch_execnz .LBB737_63
.LBB737_86:
	s_or_saveexec_b32 s10, s4
	s_xor_b32 s5, s9, -1
	s_xor_b32 exec_lo, exec_lo, s10
	s_cbranch_execz .LBB737_64
.LBB737_87:
	global_load_ubyte v9, v[26:27], off offset:192
	s_mov_b32 s9, 0
	s_waitcnt vmcnt(0)
	v_and_b32_e32 v9, 1, v9
	v_cmp_eq_u32_e64 s4, 1, v9
	v_mov_b32_e32 v16, v8
	v_mov_b32_e32 v15, v7
	;; [unrolled: 1-line block ×9, first 2 shown]
	s_xor_b32 s4, s4, -1
	s_and_saveexec_b32 s9, s4
	s_xor_b32 s9, exec_lo, s9
	s_cbranch_execz .LBB737_89
; %bb.88:
	v_sub_f32_e32 v7, v7, v34
	v_mul_f32_e32 v9, 0x3fb8aa3b, v7
	v_cmp_ngt_f32_e64 s4, 0xc2ce8ed0, v7
	v_fma_f32 v10, 0x3fb8aa3b, v7, -v9
	v_rndne_f32_e32 v11, v9
	v_fmamk_f32 v10, v7, 0x32a5705f, v10
	v_sub_f32_e32 v9, v9, v11
	v_add_f32_e32 v9, v9, v10
	v_cvt_i32_f32_e32 v10, v11
	v_exp_f32_e32 v9, v9
	v_ldexp_f32 v9, v9, v10
	v_cndmask_b32_e64 v9, 0, v9, s4
	v_cmp_nlt_f32_e64 s4, 0x42b17218, v7
	v_cndmask_b32_e64 v7, 0x7f800000, v9, s4
	v_mov_b32_e32 v16, v8
	v_mov_b32_e32 v14, v6
	;; [unrolled: 1-line block ×4, first 2 shown]
	v_add_f32_e32 v0, v0, v7
	v_mov_b32_e32 v15, v7
	v_mov_b32_e32 v11, v3
	;; [unrolled: 1-line block ×4, first 2 shown]
.LBB737_89:
	s_andn2_saveexec_b32 s4, s9
	s_or_b32 exec_lo, exec_lo, s4
	s_or_b32 exec_lo, exec_lo, s10
                                        ; implicit-def: $vgpr1_vgpr2_vgpr3_vgpr4_vgpr5_vgpr6_vgpr7_vgpr8
	s_and_saveexec_b32 s4, s5
	s_xor_b32 s4, exec_lo, s4
	s_cbranch_execnz .LBB737_65
.LBB737_90:
	s_andn2_saveexec_b32 s5, s4
	s_cbranch_execz .LBB737_94
.LBB737_91:
	global_load_ubyte v1, v[26:27], off offset:224
	s_mov_b32 s9, 0
	s_waitcnt vmcnt(0)
	v_and_b32_e32 v1, 1, v1
	v_cmp_eq_u32_e64 s4, 1, v1
	v_mov_b32_e32 v1, v9
	v_mov_b32_e32 v8, v16
	;; [unrolled: 1-line block ×9, first 2 shown]
	s_xor_b32 s4, s4, -1
	s_and_saveexec_b32 s9, s4
	s_xor_b32 s9, exec_lo, s9
	s_cbranch_execz .LBB737_93
; %bb.92:
	v_sub_f32_e32 v1, v16, v34
	v_mul_f32_e32 v2, 0x3fb8aa3b, v1
	v_cmp_ngt_f32_e64 s4, 0xc2ce8ed0, v1
	v_fma_f32 v3, 0x3fb8aa3b, v1, -v2
	v_rndne_f32_e32 v4, v2
	v_fmamk_f32 v3, v1, 0x32a5705f, v3
	v_sub_f32_e32 v2, v2, v4
	v_add_f32_e32 v2, v2, v3
	v_cvt_i32_f32_e32 v3, v4
	v_exp_f32_e32 v2, v2
	v_ldexp_f32 v2, v2, v3
	v_cndmask_b32_e64 v2, 0, v2, s4
	v_cmp_nlt_f32_e64 s4, 0x42b17218, v1
	v_cndmask_b32_e64 v16, 0x7f800000, v2, s4
	v_mov_b32_e32 v1, v9
	v_mov_b32_e32 v2, v10
	;; [unrolled: 1-line block ×4, first 2 shown]
	v_add_f32_e32 v0, v0, v16
	v_mov_b32_e32 v5, v13
	v_mov_b32_e32 v6, v14
	;; [unrolled: 1-line block ×4, first 2 shown]
.LBB737_93:
	s_andn2_saveexec_b32 s4, s9
	s_or_b32 exec_lo, exec_lo, s4
.LBB737_94:
	s_or_b32 exec_lo, exec_lo, s5
	ds_bpermute_b32 v9, v29, v0
	s_mov_b32 s5, exec_lo
	s_waitcnt lgkmcnt(0)
	v_add_f32_e32 v0, v0, v9
	ds_bpermute_b32 v9, v30, v0
	s_waitcnt lgkmcnt(0)
	v_add_f32_e32 v0, v0, v9
	ds_bpermute_b32 v9, v31, v0
	;; [unrolled: 3-line block ×4, first 2 shown]
	v_cmpx_lt_i32_e32 0, v28
	s_cbranch_execz .LBB737_120
; %bb.95:
	s_and_b32 exec_lo, exec_lo, vcc_lo
	s_cbranch_execz .LBB737_120
; %bb.96:
	s_waitcnt lgkmcnt(0)
	v_add_f32_e32 v9, v0, v9
	v_mov_b32_e32 v10, 0x7e00
	v_cmp_neq_f32_e64 s4, 0, v9
	s_and_saveexec_b32 s5, s4
	s_cbranch_execz .LBB737_98
; %bb.97:
	v_div_scale_f32 v0, null, v9, v9, v1
	v_rcp_f32_e32 v10, v0
	v_fma_f32 v11, -v0, v10, 1.0
	v_fmac_f32_e32 v10, v11, v10
	v_div_scale_f32 v11, vcc_lo, v1, v9, v1
	v_mul_f32_e32 v12, v11, v10
	v_fma_f32 v13, -v0, v12, v11
	v_fmac_f32_e32 v12, v13, v10
	v_fma_f32 v0, -v0, v12, v11
	v_div_fmas_f32 v0, v0, v10, v12
	v_div_fixup_f32 v0, v0, v9, v1
	v_cvt_f16_f32_e32 v10, v0
.LBB737_98:
	s_or_b32 exec_lo, exec_lo, s5
	v_add_co_u32 v0, vcc_lo, s12, v24
	v_add_co_ci_u32_e64 v1, null, s13, v25, vcc_lo
	global_store_short v[0:1], v10, off
	s_and_b32 exec_lo, exec_lo, s8
	s_cbranch_execz .LBB737_120
; %bb.99:
	v_mov_b32_e32 v10, 0x7e00
	s_and_saveexec_b32 s5, s4
	s_cbranch_execz .LBB737_101
; %bb.100:
	v_div_scale_f32 v10, null, v9, v9, v2
	v_rcp_f32_e32 v11, v10
	v_fma_f32 v12, -v10, v11, 1.0
	v_fmac_f32_e32 v11, v12, v11
	v_div_scale_f32 v12, vcc_lo, v2, v9, v2
	v_mul_f32_e32 v13, v12, v11
	v_fma_f32 v14, -v10, v13, v12
	v_fmac_f32_e32 v13, v14, v11
	v_fma_f32 v10, -v10, v13, v12
	v_div_fmas_f32 v10, v10, v11, v13
	v_div_fixup_f32 v2, v10, v9, v2
	v_cvt_f16_f32_e32 v10, v2
.LBB737_101:
	s_or_b32 exec_lo, exec_lo, s5
	global_store_short v[0:1], v10, off offset:64
	s_and_b32 exec_lo, exec_lo, s7
	s_cbranch_execz .LBB737_120
; %bb.102:
	v_mov_b32_e32 v2, 0x7e00
	s_and_saveexec_b32 s5, s4
	s_cbranch_execz .LBB737_104
; %bb.103:
	v_div_scale_f32 v2, null, v9, v9, v3
	v_rcp_f32_e32 v10, v2
	v_fma_f32 v11, -v2, v10, 1.0
	v_fmac_f32_e32 v10, v11, v10
	v_div_scale_f32 v11, vcc_lo, v3, v9, v3
	v_mul_f32_e32 v12, v11, v10
	v_fma_f32 v13, -v2, v12, v11
	v_fmac_f32_e32 v12, v13, v10
	v_fma_f32 v2, -v2, v12, v11
	v_div_fmas_f32 v2, v2, v10, v12
	v_div_fixup_f32 v2, v2, v9, v3
	v_cvt_f16_f32_e32 v2, v2
.LBB737_104:
	s_or_b32 exec_lo, exec_lo, s5
	global_store_short v[0:1], v2, off offset:128
	;; [unrolled: 22-line block ×7, first 2 shown]
.LBB737_120:
	s_endpgm
	.section	.rodata,"a",@progbits
	.p2align	6, 0x0
	.amdhsa_kernel _ZN12_GLOBAL__N_120softmax_warp_forwardIN3c104HalfES2_fLi8ELb0ELb1ELi32EEEvPT0_PKT_iiiPKbib
		.amdhsa_group_segment_fixed_size 0
		.amdhsa_private_segment_fixed_size 0
		.amdhsa_kernarg_size 304
		.amdhsa_user_sgpr_count 6
		.amdhsa_user_sgpr_private_segment_buffer 1
		.amdhsa_user_sgpr_dispatch_ptr 0
		.amdhsa_user_sgpr_queue_ptr 0
		.amdhsa_user_sgpr_kernarg_segment_ptr 1
		.amdhsa_user_sgpr_dispatch_id 0
		.amdhsa_user_sgpr_flat_scratch_init 0
		.amdhsa_user_sgpr_private_segment_size 0
		.amdhsa_wavefront_size32 1
		.amdhsa_uses_dynamic_stack 0
		.amdhsa_system_sgpr_private_segment_wavefront_offset 0
		.amdhsa_system_sgpr_workgroup_id_x 1
		.amdhsa_system_sgpr_workgroup_id_y 0
		.amdhsa_system_sgpr_workgroup_id_z 0
		.amdhsa_system_sgpr_workgroup_info 0
		.amdhsa_system_vgpr_workitem_id 1
		.amdhsa_next_free_vgpr 35
		.amdhsa_next_free_sgpr 22
		.amdhsa_reserve_vcc 1
		.amdhsa_reserve_flat_scratch 0
		.amdhsa_float_round_mode_32 0
		.amdhsa_float_round_mode_16_64 0
		.amdhsa_float_denorm_mode_32 3
		.amdhsa_float_denorm_mode_16_64 3
		.amdhsa_dx10_clamp 1
		.amdhsa_ieee_mode 1
		.amdhsa_fp16_overflow 0
		.amdhsa_workgroup_processor_mode 1
		.amdhsa_memory_ordered 1
		.amdhsa_forward_progress 1
		.amdhsa_shared_vgpr_count 0
		.amdhsa_exception_fp_ieee_invalid_op 0
		.amdhsa_exception_fp_denorm_src 0
		.amdhsa_exception_fp_ieee_div_zero 0
		.amdhsa_exception_fp_ieee_overflow 0
		.amdhsa_exception_fp_ieee_underflow 0
		.amdhsa_exception_fp_ieee_inexact 0
		.amdhsa_exception_int_div_zero 0
	.end_amdhsa_kernel
	.section	.text._ZN12_GLOBAL__N_120softmax_warp_forwardIN3c104HalfES2_fLi8ELb0ELb1ELi32EEEvPT0_PKT_iiiPKbib,"axG",@progbits,_ZN12_GLOBAL__N_120softmax_warp_forwardIN3c104HalfES2_fLi8ELb0ELb1ELi32EEEvPT0_PKT_iiiPKbib,comdat
.Lfunc_end737:
	.size	_ZN12_GLOBAL__N_120softmax_warp_forwardIN3c104HalfES2_fLi8ELb0ELb1ELi32EEEvPT0_PKT_iiiPKbib, .Lfunc_end737-_ZN12_GLOBAL__N_120softmax_warp_forwardIN3c104HalfES2_fLi8ELb0ELb1ELi32EEEvPT0_PKT_iiiPKbib
                                        ; -- End function
	.set _ZN12_GLOBAL__N_120softmax_warp_forwardIN3c104HalfES2_fLi8ELb0ELb1ELi32EEEvPT0_PKT_iiiPKbib.num_vgpr, 35
	.set _ZN12_GLOBAL__N_120softmax_warp_forwardIN3c104HalfES2_fLi8ELb0ELb1ELi32EEEvPT0_PKT_iiiPKbib.num_agpr, 0
	.set _ZN12_GLOBAL__N_120softmax_warp_forwardIN3c104HalfES2_fLi8ELb0ELb1ELi32EEEvPT0_PKT_iiiPKbib.numbered_sgpr, 22
	.set _ZN12_GLOBAL__N_120softmax_warp_forwardIN3c104HalfES2_fLi8ELb0ELb1ELi32EEEvPT0_PKT_iiiPKbib.num_named_barrier, 0
	.set _ZN12_GLOBAL__N_120softmax_warp_forwardIN3c104HalfES2_fLi8ELb0ELb1ELi32EEEvPT0_PKT_iiiPKbib.private_seg_size, 0
	.set _ZN12_GLOBAL__N_120softmax_warp_forwardIN3c104HalfES2_fLi8ELb0ELb1ELi32EEEvPT0_PKT_iiiPKbib.uses_vcc, 1
	.set _ZN12_GLOBAL__N_120softmax_warp_forwardIN3c104HalfES2_fLi8ELb0ELb1ELi32EEEvPT0_PKT_iiiPKbib.uses_flat_scratch, 0
	.set _ZN12_GLOBAL__N_120softmax_warp_forwardIN3c104HalfES2_fLi8ELb0ELb1ELi32EEEvPT0_PKT_iiiPKbib.has_dyn_sized_stack, 0
	.set _ZN12_GLOBAL__N_120softmax_warp_forwardIN3c104HalfES2_fLi8ELb0ELb1ELi32EEEvPT0_PKT_iiiPKbib.has_recursion, 0
	.set _ZN12_GLOBAL__N_120softmax_warp_forwardIN3c104HalfES2_fLi8ELb0ELb1ELi32EEEvPT0_PKT_iiiPKbib.has_indirect_call, 0
	.section	.AMDGPU.csdata,"",@progbits
; Kernel info:
; codeLenInByte = 5248
; TotalNumSgprs: 24
; NumVgprs: 35
; ScratchSize: 0
; MemoryBound: 0
; FloatMode: 240
; IeeeMode: 1
; LDSByteSize: 0 bytes/workgroup (compile time only)
; SGPRBlocks: 0
; VGPRBlocks: 4
; NumSGPRsForWavesPerEU: 24
; NumVGPRsForWavesPerEU: 35
; Occupancy: 16
; WaveLimiterHint : 0
; COMPUTE_PGM_RSRC2:SCRATCH_EN: 0
; COMPUTE_PGM_RSRC2:USER_SGPR: 6
; COMPUTE_PGM_RSRC2:TRAP_HANDLER: 0
; COMPUTE_PGM_RSRC2:TGID_X_EN: 1
; COMPUTE_PGM_RSRC2:TGID_Y_EN: 0
; COMPUTE_PGM_RSRC2:TGID_Z_EN: 0
; COMPUTE_PGM_RSRC2:TIDIG_COMP_CNT: 1
	.section	.text._ZN12_GLOBAL__N_120softmax_warp_forwardIN3c104HalfES2_fLi9ELb0ELb1ELi64EEEvPT0_PKT_iiiPKbib,"axG",@progbits,_ZN12_GLOBAL__N_120softmax_warp_forwardIN3c104HalfES2_fLi9ELb0ELb1ELi64EEEvPT0_PKT_iiiPKbib,comdat
	.globl	_ZN12_GLOBAL__N_120softmax_warp_forwardIN3c104HalfES2_fLi9ELb0ELb1ELi64EEEvPT0_PKT_iiiPKbib ; -- Begin function _ZN12_GLOBAL__N_120softmax_warp_forwardIN3c104HalfES2_fLi9ELb0ELb1ELi64EEEvPT0_PKT_iiiPKbib
	.p2align	8
	.type	_ZN12_GLOBAL__N_120softmax_warp_forwardIN3c104HalfES2_fLi9ELb0ELb1ELi64EEEvPT0_PKT_iiiPKbib,@function
_ZN12_GLOBAL__N_120softmax_warp_forwardIN3c104HalfES2_fLi9ELb0ELb1ELi64EEEvPT0_PKT_iiiPKbib: ; @_ZN12_GLOBAL__N_120softmax_warp_forwardIN3c104HalfES2_fLi9ELb0ELb1ELi64EEEvPT0_PKT_iiiPKbib
; %bb.0:
	s_clause 0x1
	s_load_dword s0, s[4:5], 0x3c
	s_load_dwordx4 s[8:11], s[4:5], 0x10
	s_waitcnt lgkmcnt(0)
	s_lshr_b32 s0, s0, 16
	v_mad_u64_u32 v[1:2], null, s6, s0, v[1:2]
	s_load_dwordx2 s[0:1], s[4:5], 0x28
	v_mul_lo_u32 v4, v1, s9
	v_add_nc_u32_e32 v2, v4, v0
	v_ashrrev_i32_e32 v3, 31, v2
	s_waitcnt lgkmcnt(0)
	s_bitcmp0_b32 s1, 0
	v_mov_b32_e32 v9, v3
	v_mov_b32_e32 v8, v2
	s_cbranch_scc1 .LBB738_2
; %bb.1:
	s_abs_i32 s1, s0
	v_sub_nc_u32_e32 v7, 0, v4
	v_cvt_f32_u32_e32 v5, s1
	s_sub_i32 s2, 0, s1
	v_max_i32_e32 v7, v4, v7
	v_rcp_iflag_f32_e32 v5, v5
	v_xor_b32_e32 v4, s0, v4
	v_ashrrev_i32_e32 v4, 31, v4
	v_mul_f32_e32 v5, 0x4f7ffffe, v5
	v_cvt_u32_f32_e32 v5, v5
	v_mul_lo_u32 v6, s2, v5
	v_mul_hi_u32 v6, v5, v6
	v_add_nc_u32_e32 v5, v5, v6
	v_mul_hi_u32 v5, v7, v5
	v_mul_lo_u32 v6, v5, s1
	v_sub_nc_u32_e32 v6, v7, v6
	v_add_nc_u32_e32 v7, 1, v5
	v_subrev_nc_u32_e32 v8, s1, v6
	v_cmp_le_u32_e32 vcc_lo, s1, v6
	v_cndmask_b32_e32 v5, v5, v7, vcc_lo
	v_cndmask_b32_e32 v6, v6, v8, vcc_lo
	v_add_nc_u32_e32 v7, 1, v5
	v_cmp_le_u32_e32 vcc_lo, s1, v6
	v_cndmask_b32_e32 v5, v5, v7, vcc_lo
	v_xor_b32_e32 v5, v5, v4
	v_sub_nc_u32_e32 v4, v5, v4
	v_mad_u64_u32 v[8:9], null, v4, s9, v[0:1]
	v_ashrrev_i32_e32 v9, 31, v8
.LBB738_2:
	s_load_dwordx4 s[12:15], s[4:5], 0x0
	v_lshlrev_b64 v[24:25], 1, v[2:3]
	v_sub_nc_u32_e32 v28, s8, v1
	v_cmp_gt_i32_e32 vcc_lo, s10, v0
	v_mov_b32_e32 v16, 0xff800000
	v_mov_b32_e32 v1, 0xff800000
	v_cmp_lt_i32_e64 s9, 0, v28
	s_and_b32 s18, s9, vcc_lo
	s_waitcnt lgkmcnt(0)
	v_add_co_u32 v10, s0, s14, v24
	v_add_co_ci_u32_e64 v11, null, s15, v25, s0
	s_and_saveexec_b32 s0, s18
	s_cbranch_execz .LBB738_4
; %bb.3:
	global_load_ushort v1, v[10:11], off
	s_waitcnt vmcnt(0)
	v_cvt_f32_f16_e32 v1, v1
.LBB738_4:
	s_or_b32 exec_lo, exec_lo, s0
	v_add_nc_u32_e32 v2, 64, v0
	v_cmp_gt_i32_e64 s8, s10, v2
	s_and_b32 s19, s9, s8
	s_and_saveexec_b32 s0, s19
	s_cbranch_execz .LBB738_6
; %bb.5:
	global_load_ushort v2, v[10:11], off offset:128
	s_waitcnt vmcnt(0)
	v_cvt_f32_f16_e32 v16, v2
.LBB738_6:
	s_or_b32 exec_lo, exec_lo, s0
	v_add_nc_u32_e32 v2, 0x80, v0
	v_mov_b32_e32 v3, 0xff800000
	v_cmp_gt_i32_e64 s7, s10, v2
	v_mov_b32_e32 v2, 0xff800000
	s_and_b32 s17, s9, s7
	s_and_saveexec_b32 s0, s17
	s_cbranch_execz .LBB738_8
; %bb.7:
	global_load_ushort v2, v[10:11], off offset:256
	s_waitcnt vmcnt(0)
	v_cvt_f32_f16_e32 v2, v2
.LBB738_8:
	s_or_b32 exec_lo, exec_lo, s0
	v_add_nc_u32_e32 v4, 0xc0, v0
	v_cmp_gt_i32_e64 s6, s10, v4
	s_and_b32 s16, s9, s6
	s_and_saveexec_b32 s0, s16
	s_cbranch_execz .LBB738_10
; %bb.9:
	global_load_ushort v3, v[10:11], off offset:384
	s_waitcnt vmcnt(0)
	v_cvt_f32_f16_e32 v3, v3
.LBB738_10:
	s_or_b32 exec_lo, exec_lo, s0
	v_add_nc_u32_e32 v4, 0x100, v0
	v_mov_b32_e32 v5, 0xff800000
	v_cmp_gt_i32_e64 s3, s10, v4
	v_mov_b32_e32 v4, 0xff800000
	s_and_b32 s15, s9, s3
	s_and_saveexec_b32 s0, s15
	s_cbranch_execz .LBB738_12
; %bb.11:
	global_load_ushort v4, v[10:11], off offset:512
	s_waitcnt vmcnt(0)
	v_cvt_f32_f16_e32 v4, v4
.LBB738_12:
	;; [unrolled: 24-line block ×3, first 2 shown]
	s_or_b32 exec_lo, exec_lo, s0
	v_add_nc_u32_e32 v0, 0x1c0, v0
	v_cmp_gt_i32_e64 s0, s10, v0
	s_and_b32 s9, s9, s0
	s_and_saveexec_b32 s10, s9
	s_cbranch_execz .LBB738_18
; %bb.17:
	global_load_ushort v0, v[10:11], off offset:896
	s_waitcnt vmcnt(0)
	v_cvt_f32_f16_e32 v7, v0
.LBB738_18:
	s_or_b32 exec_lo, exec_lo, s10
	s_load_dwordx2 s[4:5], s[4:5], 0x20
	s_waitcnt lgkmcnt(0)
	v_add_co_u32 v26, s4, s4, v8
	v_add_co_ci_u32_e64 v27, null, s5, v9, s4
	s_mov_b32 s5, 0
	s_and_saveexec_b32 s10, s18
	s_cbranch_execz .LBB738_32
; %bb.19:
	global_load_ubyte v0, v[26:27], off
	s_waitcnt vmcnt(0)
	v_and_b32_e32 v0, 1, v0
	v_cmp_eq_u32_e64 s4, 1, v0
	s_xor_b32 s4, s4, -1
	s_and_b32 s5, s4, exec_lo
	s_or_b32 exec_lo, exec_lo, s10
	v_mov_b32_e32 v0, v1
	s_and_saveexec_b32 s10, s19
	s_cbranch_execnz .LBB738_33
.LBB738_20:
	s_or_b32 exec_lo, exec_lo, s10
	s_and_saveexec_b32 s10, s17
	s_cbranch_execz .LBB738_36
.LBB738_21:
	global_load_ubyte v8, v[26:27], off offset:128
	s_waitcnt vmcnt(0)
	v_and_b32_e32 v8, 1, v8
	v_cmp_eq_u32_e64 s4, 1, v8
	s_xor_b32 s21, s4, -1
	s_mov_b32 s4, s5
	s_and_saveexec_b32 s20, s21
; %bb.22:
	v_cmp_gt_f32_e64 s4, v0, v2
	s_and_b32 s4, s5, s4
	v_cndmask_b32_e64 v0, v2, v0, s4
	s_or_b32 s4, s5, exec_lo
; %bb.23:
	s_or_b32 exec_lo, exec_lo, s20
	s_andn2_b32 s5, s5, exec_lo
	s_and_b32 s4, s4, exec_lo
	s_or_b32 s5, s5, s4
	s_or_b32 exec_lo, exec_lo, s10
	s_and_saveexec_b32 s10, s16
	s_cbranch_execnz .LBB738_37
.LBB738_24:
	s_or_b32 exec_lo, exec_lo, s10
	s_and_saveexec_b32 s10, s15
	s_cbranch_execz .LBB738_40
.LBB738_25:
	global_load_ubyte v8, v[26:27], off offset:256
	s_waitcnt vmcnt(0)
	v_and_b32_e32 v8, 1, v8
	v_cmp_eq_u32_e64 s4, 1, v8
	s_xor_b32 s21, s4, -1
	s_mov_b32 s4, s5
	s_and_saveexec_b32 s20, s21
; %bb.26:
	v_cmp_gt_f32_e64 s4, v0, v4
	s_and_b32 s4, s5, s4
	v_cndmask_b32_e64 v0, v4, v0, s4
	s_or_b32 s4, s5, exec_lo
; %bb.27:
	s_or_b32 exec_lo, exec_lo, s20
	s_andn2_b32 s5, s5, exec_lo
	s_and_b32 s4, s4, exec_lo
	s_or_b32 s5, s5, s4
	s_or_b32 exec_lo, exec_lo, s10
	s_and_saveexec_b32 s10, s14
	s_cbranch_execnz .LBB738_41
.LBB738_28:
	s_or_b32 exec_lo, exec_lo, s10
	s_and_saveexec_b32 s10, s11
	s_cbranch_execz .LBB738_44
.LBB738_29:
	global_load_ubyte v8, v[26:27], off offset:384
	s_waitcnt vmcnt(0)
	v_and_b32_e32 v8, 1, v8
	v_cmp_eq_u32_e64 s4, 1, v8
	s_xor_b32 s21, s4, -1
	s_mov_b32 s4, s5
	s_and_saveexec_b32 s20, s21
; %bb.30:
	v_cmp_gt_f32_e64 s4, v0, v6
	s_and_b32 s4, s5, s4
	v_cndmask_b32_e64 v0, v6, v0, s4
	s_or_b32 s4, s5, exec_lo
; %bb.31:
	s_or_b32 exec_lo, exec_lo, s20
	s_andn2_b32 s5, s5, exec_lo
	s_and_b32 s4, s4, exec_lo
	s_or_b32 s5, s5, s4
	s_or_b32 exec_lo, exec_lo, s10
	s_and_saveexec_b32 s10, s9
	s_cbranch_execz .LBB738_48
	s_branch .LBB738_45
.LBB738_32:
	s_or_b32 exec_lo, exec_lo, s10
	v_mov_b32_e32 v0, v1
	s_and_saveexec_b32 s10, s19
	s_cbranch_execz .LBB738_20
.LBB738_33:
	global_load_ubyte v0, v[26:27], off offset:64
	s_waitcnt vmcnt(0)
	v_and_b32_e32 v0, 1, v0
	v_cmp_eq_u32_e64 s4, 1, v0
	v_mov_b32_e32 v0, v1
	s_xor_b32 s21, s4, -1
	s_mov_b32 s4, s5
	s_and_saveexec_b32 s20, s21
; %bb.34:
	v_cmp_gt_f32_e64 s4, v1, v16
	s_and_b32 s4, s5, s4
	v_cndmask_b32_e64 v0, v16, v1, s4
	s_or_b32 s4, s5, exec_lo
; %bb.35:
	s_or_b32 exec_lo, exec_lo, s20
	s_andn2_b32 s5, s5, exec_lo
	s_and_b32 s4, s4, exec_lo
	s_or_b32 s5, s5, s4
	s_or_b32 exec_lo, exec_lo, s10
	s_and_saveexec_b32 s10, s17
	s_cbranch_execnz .LBB738_21
.LBB738_36:
	s_or_b32 exec_lo, exec_lo, s10
	s_and_saveexec_b32 s10, s16
	s_cbranch_execz .LBB738_24
.LBB738_37:
	global_load_ubyte v8, v[26:27], off offset:192
	s_waitcnt vmcnt(0)
	v_and_b32_e32 v8, 1, v8
	v_cmp_eq_u32_e64 s4, 1, v8
	s_xor_b32 s21, s4, -1
	s_mov_b32 s4, s5
	s_and_saveexec_b32 s20, s21
; %bb.38:
	v_cmp_gt_f32_e64 s4, v0, v3
	s_and_b32 s4, s5, s4
	v_cndmask_b32_e64 v0, v3, v0, s4
	s_or_b32 s4, s5, exec_lo
; %bb.39:
	s_or_b32 exec_lo, exec_lo, s20
	s_andn2_b32 s5, s5, exec_lo
	s_and_b32 s4, s4, exec_lo
	s_or_b32 s5, s5, s4
	s_or_b32 exec_lo, exec_lo, s10
	s_and_saveexec_b32 s10, s15
	s_cbranch_execnz .LBB738_25
.LBB738_40:
	s_or_b32 exec_lo, exec_lo, s10
	s_and_saveexec_b32 s10, s14
	s_cbranch_execz .LBB738_28
.LBB738_41:
	global_load_ubyte v8, v[26:27], off offset:320
	s_waitcnt vmcnt(0)
	v_and_b32_e32 v8, 1, v8
	v_cmp_eq_u32_e64 s4, 1, v8
	s_xor_b32 s21, s4, -1
	s_mov_b32 s4, s5
	s_and_saveexec_b32 s20, s21
; %bb.42:
	v_cmp_gt_f32_e64 s4, v0, v5
	s_and_b32 s4, s5, s4
	v_cndmask_b32_e64 v0, v5, v0, s4
	s_or_b32 s4, s5, exec_lo
; %bb.43:
	s_or_b32 exec_lo, exec_lo, s20
	s_andn2_b32 s5, s5, exec_lo
	s_and_b32 s4, s4, exec_lo
	s_or_b32 s5, s5, s4
	s_or_b32 exec_lo, exec_lo, s10
	s_and_saveexec_b32 s10, s11
	s_cbranch_execnz .LBB738_29
.LBB738_44:
	s_or_b32 exec_lo, exec_lo, s10
	s_and_saveexec_b32 s10, s9
	s_cbranch_execz .LBB738_48
.LBB738_45:
	global_load_ubyte v8, v[26:27], off offset:448
	s_waitcnt vmcnt(0)
	v_and_b32_e32 v8, 1, v8
	v_cmp_eq_u32_e64 s4, 1, v8
	s_xor_b32 s21, s4, -1
	s_mov_b32 s4, s5
	s_and_saveexec_b32 s20, s21
; %bb.46:
	v_cmp_gt_f32_e64 s4, v0, v7
	s_and_b32 s4, s5, s4
	v_cndmask_b32_e64 v0, v7, v0, s4
	s_or_b32 s4, s5, exec_lo
; %bb.47:
	s_or_b32 exec_lo, exec_lo, s20
	s_andn2_b32 s5, s5, exec_lo
	s_and_b32 s4, s4, exec_lo
	s_or_b32 s5, s5, s4
.LBB738_48:
	s_or_b32 exec_lo, exec_lo, s10
	v_mbcnt_lo_u32_b32 v8, -1, 0
	v_cndmask_b32_e64 v0, 0xff800000, v0, s5
	s_xor_b32 s5, s19, -1
	v_or_b32_e32 v9, 32, v8
	v_xor_b32_e32 v10, 16, v8
	v_cmp_gt_i32_e64 s4, 64, v9
	v_cndmask_b32_e64 v9, v8, v9, s4
	v_cmp_gt_i32_e64 s4, 64, v10
	v_lshlrev_b32_e32 v29, 2, v9
	v_cndmask_b32_e64 v10, v8, v10, s4
	ds_bpermute_b32 v9, v29, v0
	v_lshlrev_b32_e32 v30, 2, v10
	v_xor_b32_e32 v10, 8, v8
	s_waitcnt lgkmcnt(0)
	v_cmp_lt_f32_e64 s4, v0, v9
	v_cndmask_b32_e64 v0, v0, v9, s4
	v_cmp_gt_i32_e64 s4, 64, v10
	ds_bpermute_b32 v9, v30, v0
	v_cndmask_b32_e64 v10, v8, v10, s4
	v_lshlrev_b32_e32 v31, 2, v10
	v_xor_b32_e32 v10, 4, v8
	s_waitcnt lgkmcnt(0)
	v_cmp_lt_f32_e64 s4, v0, v9
	v_cndmask_b32_e64 v0, v0, v9, s4
	v_cmp_gt_i32_e64 s4, 64, v10
	ds_bpermute_b32 v9, v31, v0
	v_cndmask_b32_e64 v10, v8, v10, s4
	v_lshlrev_b32_e32 v32, 2, v10
	v_xor_b32_e32 v10, 2, v8
	s_waitcnt lgkmcnt(0)
	v_cmp_lt_f32_e64 s4, v0, v9
	v_cndmask_b32_e64 v0, v0, v9, s4
	v_cmp_gt_i32_e64 s4, 64, v10
	ds_bpermute_b32 v9, v32, v0
	v_cndmask_b32_e64 v10, v8, v10, s4
	v_lshlrev_b32_e32 v33, 2, v10
	v_xor_b32_e32 v10, 1, v8
	s_waitcnt lgkmcnt(0)
	v_cmp_lt_f32_e64 s4, v0, v9
	v_cndmask_b32_e64 v0, v0, v9, s4
	v_cmp_gt_i32_e64 s4, 64, v10
	ds_bpermute_b32 v9, v33, v0
	v_cndmask_b32_e64 v8, v8, v10, s4
	v_lshlrev_b32_e32 v34, 2, v8
	s_waitcnt lgkmcnt(0)
	v_cmp_lt_f32_e64 s4, v0, v9
	v_cndmask_b32_e64 v0, v0, v9, s4
	ds_bpermute_b32 v8, v34, v0
	s_waitcnt lgkmcnt(0)
	v_cmp_lt_f32_e64 s4, v0, v8
	v_cndmask_b32_e64 v35, v0, v8, s4
	v_mov_b32_e32 v0, 0
	s_and_saveexec_b32 s10, s18
	s_cbranch_execz .LBB738_52
; %bb.49:
	global_load_ubyte v0, v[26:27], off
	s_waitcnt vmcnt(0)
	v_and_b32_e32 v0, 1, v0
	v_cmp_eq_u32_e64 s4, 1, v0
	v_mov_b32_e32 v0, 0
	s_xor_b32 s4, s4, -1
	s_and_saveexec_b32 s18, s4
	s_cbranch_execz .LBB738_51
; %bb.50:
	v_sub_f32_e32 v0, v1, v35
	v_mul_f32_e32 v1, 0x3fb8aa3b, v0
	v_cmp_ngt_f32_e64 s4, 0xc2ce8ed0, v0
	v_fma_f32 v8, 0x3fb8aa3b, v0, -v1
	v_rndne_f32_e32 v9, v1
	v_fmamk_f32 v8, v0, 0x32a5705f, v8
	v_sub_f32_e32 v1, v1, v9
	v_add_f32_e32 v1, v1, v8
	v_cvt_i32_f32_e32 v8, v9
	v_exp_f32_e32 v1, v1
	v_ldexp_f32 v1, v1, v8
	v_cndmask_b32_e64 v1, 0, v1, s4
	v_cmp_nlt_f32_e64 s4, 0x42b17218, v0
	v_cndmask_b32_e64 v0, 0x7f800000, v1, s4
.LBB738_51:
	s_or_b32 exec_lo, exec_lo, s18
.LBB738_52:
	s_or_b32 exec_lo, exec_lo, s10
                                        ; implicit-def: $vgpr8_vgpr9_vgpr10_vgpr11_vgpr12_vgpr13_vgpr14_vgpr15
	s_and_saveexec_b32 s4, s5
	s_xor_b32 s4, exec_lo, s4
	s_cbranch_execz .LBB738_66
; %bb.53:
	s_mov_b32 s5, 0
                                        ; implicit-def: $vgpr16
	v_mov_b32_e32 v1, s5
	v_mov_b32_e32 v15, v7
	;; [unrolled: 1-line block ×9, first 2 shown]
	s_or_saveexec_b32 s10, s4
	s_xor_b32 s5, s17, -1
	s_xor_b32 exec_lo, exec_lo, s10
	s_cbranch_execnz .LBB738_67
.LBB738_54:
	s_or_b32 exec_lo, exec_lo, s10
                                        ; implicit-def: $vgpr16_vgpr17_vgpr18_vgpr19_vgpr20_vgpr21_vgpr22_vgpr23
	s_and_saveexec_b32 s4, s5
	s_xor_b32 s4, exec_lo, s4
	s_cbranch_execz .LBB738_70
.LBB738_55:
	s_mov_b32 s5, 0
	v_mov_b32_e32 v10, s5
	v_mov_b32_e32 v23, v15
	;; [unrolled: 1-line block ×9, first 2 shown]
                                        ; implicit-def: $vgpr8_vgpr9_vgpr10_vgpr11_vgpr12_vgpr13_vgpr14_vgpr15
	s_or_saveexec_b32 s10, s4
	s_xor_b32 s5, s16, -1
	s_xor_b32 exec_lo, exec_lo, s10
	s_cbranch_execnz .LBB738_71
.LBB738_56:
	s_or_b32 exec_lo, exec_lo, s10
                                        ; implicit-def: $vgpr1_vgpr2_vgpr3_vgpr4_vgpr5_vgpr6_vgpr7_vgpr8
	s_and_saveexec_b32 s4, s5
	s_xor_b32 s4, exec_lo, s4
	s_cbranch_execz .LBB738_74
.LBB738_57:
	s_mov_b32 s5, 0
	v_mov_b32_e32 v19, s5
	v_mov_b32_e32 v1, v16
	;; [unrolled: 1-line block ×9, first 2 shown]
                                        ; implicit-def: $vgpr16_vgpr17_vgpr18_vgpr19_vgpr20_vgpr21_vgpr22_vgpr23
	s_or_saveexec_b32 s10, s4
	s_xor_b32 s5, s15, -1
	s_xor_b32 exec_lo, exec_lo, s10
	s_cbranch_execnz .LBB738_75
.LBB738_58:
	s_or_b32 exec_lo, exec_lo, s10
                                        ; implicit-def: $vgpr9_vgpr10_vgpr11_vgpr12_vgpr13_vgpr14_vgpr15_vgpr16
	s_and_saveexec_b32 s4, s5
	s_xor_b32 s4, exec_lo, s4
	s_cbranch_execz .LBB738_78
.LBB738_59:
	s_mov_b32 s5, 0
	v_mov_b32_e32 v5, s5
	v_mov_b32_e32 v16, v8
	;; [unrolled: 1-line block ×9, first 2 shown]
                                        ; implicit-def: $vgpr1_vgpr2_vgpr3_vgpr4_vgpr5_vgpr6_vgpr7_vgpr8
	s_or_saveexec_b32 s10, s4
	s_xor_b32 s5, s14, -1
	s_xor_b32 exec_lo, exec_lo, s10
	s_cbranch_execnz .LBB738_79
.LBB738_60:
	s_or_b32 exec_lo, exec_lo, s10
                                        ; implicit-def: $vgpr1_vgpr2_vgpr3_vgpr4_vgpr5_vgpr6_vgpr7_vgpr8
	s_and_saveexec_b32 s4, s5
	s_xor_b32 s4, exec_lo, s4
	s_cbranch_execz .LBB738_82
.LBB738_61:
	s_mov_b32 s5, 0
	v_mov_b32_e32 v14, s5
	v_mov_b32_e32 v1, v9
	;; [unrolled: 1-line block ×9, first 2 shown]
                                        ; implicit-def: $vgpr9_vgpr10_vgpr11_vgpr12_vgpr13_vgpr14_vgpr15_vgpr16
	s_or_saveexec_b32 s10, s4
	s_xor_b32 s5, s11, -1
	s_xor_b32 exec_lo, exec_lo, s10
	s_cbranch_execnz .LBB738_83
.LBB738_62:
	s_or_b32 exec_lo, exec_lo, s10
                                        ; implicit-def: $vgpr9_vgpr10_vgpr11_vgpr12_vgpr13_vgpr14_vgpr15_vgpr16
	s_and_saveexec_b32 s4, s5
	s_xor_b32 s4, exec_lo, s4
	s_cbranch_execz .LBB738_86
.LBB738_63:
	s_mov_b32 s5, 0
	v_mov_b32_e32 v7, s5
	v_mov_b32_e32 v16, v8
	v_mov_b32_e32 v14, v6
	v_mov_b32_e32 v13, v5
	v_mov_b32_e32 v12, v4
	v_mov_b32_e32 v15, v7
	v_mov_b32_e32 v11, v3
	v_mov_b32_e32 v10, v2
	v_mov_b32_e32 v9, v1
                                        ; implicit-def: $vgpr1_vgpr2_vgpr3_vgpr4_vgpr5_vgpr6_vgpr7_vgpr8
	s_or_saveexec_b32 s10, s4
	s_xor_b32 s5, s9, -1
	s_xor_b32 exec_lo, exec_lo, s10
	s_cbranch_execnz .LBB738_87
.LBB738_64:
	s_or_b32 exec_lo, exec_lo, s10
                                        ; implicit-def: $vgpr1_vgpr2_vgpr3_vgpr4_vgpr5_vgpr6_vgpr7_vgpr8
	s_and_saveexec_b32 s4, s5
	s_xor_b32 s4, exec_lo, s4
	s_cbranch_execz .LBB738_90
.LBB738_65:
	s_mov_b32 s5, 0
                                        ; implicit-def: $vgpr26_vgpr27
                                        ; implicit-def: $vgpr35
	v_mov_b32_e32 v16, s5
	v_mov_b32_e32 v1, v9
	;; [unrolled: 1-line block ×9, first 2 shown]
                                        ; implicit-def: $vgpr9_vgpr10_vgpr11_vgpr12_vgpr13_vgpr14_vgpr15_vgpr16
	s_andn2_saveexec_b32 s5, s4
	s_cbranch_execz .LBB738_94
	s_branch .LBB738_91
.LBB738_66:
	s_or_saveexec_b32 s10, s4
	s_xor_b32 s5, s17, -1
	s_xor_b32 exec_lo, exec_lo, s10
	s_cbranch_execz .LBB738_54
.LBB738_67:
	global_load_ubyte v8, v[26:27], off offset:64
	s_mov_b32 s17, 0
	s_waitcnt vmcnt(0)
	v_and_b32_e32 v8, 1, v8
	v_cmp_eq_u32_e64 s4, 1, v8
	v_mov_b32_e32 v15, v7
	v_mov_b32_e32 v9, v1
	;; [unrolled: 1-line block ×9, first 2 shown]
	s_xor_b32 s4, s4, -1
	s_and_saveexec_b32 s17, s4
	s_xor_b32 s17, exec_lo, s17
	s_cbranch_execz .LBB738_69
; %bb.68:
	v_sub_f32_e32 v1, v16, v35
	v_mul_f32_e32 v8, 0x3fb8aa3b, v1
	v_cmp_ngt_f32_e64 s4, 0xc2ce8ed0, v1
	v_fma_f32 v9, 0x3fb8aa3b, v1, -v8
	v_rndne_f32_e32 v10, v8
	v_fmamk_f32 v9, v1, 0x32a5705f, v9
	v_sub_f32_e32 v8, v8, v10
	v_add_f32_e32 v8, v8, v9
	v_cvt_i32_f32_e32 v9, v10
	v_exp_f32_e32 v8, v8
	v_ldexp_f32 v8, v8, v9
	v_cndmask_b32_e64 v8, 0, v8, s4
	v_cmp_nlt_f32_e64 s4, 0x42b17218, v1
	v_cndmask_b32_e64 v1, 0x7f800000, v8, s4
	v_mov_b32_e32 v15, v7
	v_mov_b32_e32 v14, v6
	;; [unrolled: 1-line block ×4, first 2 shown]
	v_add_f32_e32 v16, v0, v1
	v_mov_b32_e32 v11, v3
	v_mov_b32_e32 v10, v2
	;; [unrolled: 1-line block ×5, first 2 shown]
.LBB738_69:
	s_andn2_saveexec_b32 s4, s17
	s_or_b32 exec_lo, exec_lo, s4
	s_or_b32 exec_lo, exec_lo, s10
                                        ; implicit-def: $vgpr16_vgpr17_vgpr18_vgpr19_vgpr20_vgpr21_vgpr22_vgpr23
	s_and_saveexec_b32 s4, s5
	s_xor_b32 s4, exec_lo, s4
	s_cbranch_execnz .LBB738_55
.LBB738_70:
	s_or_saveexec_b32 s10, s4
	s_xor_b32 s5, s16, -1
	s_xor_b32 exec_lo, exec_lo, s10
	s_cbranch_execz .LBB738_56
.LBB738_71:
	global_load_ubyte v1, v[26:27], off offset:128
	s_mov_b32 s16, 0
	v_mov_b32_e32 v23, v15
	v_mov_b32_e32 v18, v10
	;; [unrolled: 1-line block ×9, first 2 shown]
	s_waitcnt vmcnt(0)
	v_and_b32_e32 v1, 1, v1
	v_cmp_eq_u32_e64 s4, 1, v1
	s_xor_b32 s4, s4, -1
	s_and_saveexec_b32 s16, s4
	s_xor_b32 s16, exec_lo, s16
	s_cbranch_execz .LBB738_73
; %bb.72:
	v_sub_f32_e32 v1, v10, v35
	v_mul_f32_e32 v2, 0x3fb8aa3b, v1
	v_cmp_ngt_f32_e64 s4, 0xc2ce8ed0, v1
	v_fma_f32 v3, 0x3fb8aa3b, v1, -v2
	v_rndne_f32_e32 v4, v2
	v_fmamk_f32 v3, v1, 0x32a5705f, v3
	v_sub_f32_e32 v2, v2, v4
	v_add_f32_e32 v2, v2, v3
	v_cvt_i32_f32_e32 v3, v4
	v_exp_f32_e32 v2, v2
	v_ldexp_f32 v2, v2, v3
	v_cndmask_b32_e64 v2, 0, v2, s4
	v_cmp_nlt_f32_e64 s4, 0x42b17218, v1
	v_cndmask_b32_e64 v10, 0x7f800000, v2, s4
	v_mov_b32_e32 v23, v15
	v_mov_b32_e32 v22, v14
	;; [unrolled: 1-line block ×4, first 2 shown]
	v_add_f32_e32 v0, v0, v10
	v_mov_b32_e32 v19, v11
	v_mov_b32_e32 v18, v10
	;; [unrolled: 1-line block ×4, first 2 shown]
.LBB738_73:
	s_andn2_saveexec_b32 s4, s16
	s_or_b32 exec_lo, exec_lo, s4
	s_or_b32 exec_lo, exec_lo, s10
                                        ; implicit-def: $vgpr1_vgpr2_vgpr3_vgpr4_vgpr5_vgpr6_vgpr7_vgpr8
	s_and_saveexec_b32 s4, s5
	s_xor_b32 s4, exec_lo, s4
	s_cbranch_execnz .LBB738_57
.LBB738_74:
	s_or_saveexec_b32 s10, s4
	s_xor_b32 s5, s15, -1
	s_xor_b32 exec_lo, exec_lo, s10
	s_cbranch_execz .LBB738_58
.LBB738_75:
	global_load_ubyte v1, v[26:27], off offset:192
	s_mov_b32 s15, 0
	s_waitcnt vmcnt(0)
	v_and_b32_e32 v1, 1, v1
	v_cmp_eq_u32_e64 s4, 1, v1
	v_mov_b32_e32 v1, v16
	v_mov_b32_e32 v4, v19
	v_mov_b32_e32 v2, v17
	v_mov_b32_e32 v3, v18
	v_mov_b32_e32 v5, v20
	v_mov_b32_e32 v6, v21
	v_mov_b32_e32 v7, v22
	v_mov_b32_e32 v8, v23
	v_mov_b32_e32 v4, s15
	s_xor_b32 s4, s4, -1
	s_and_saveexec_b32 s15, s4
	s_xor_b32 s15, exec_lo, s15
	s_cbranch_execz .LBB738_77
; %bb.76:
	v_sub_f32_e32 v1, v19, v35
	v_mul_f32_e32 v2, 0x3fb8aa3b, v1
	v_cmp_ngt_f32_e64 s4, 0xc2ce8ed0, v1
	v_fma_f32 v3, 0x3fb8aa3b, v1, -v2
	v_rndne_f32_e32 v4, v2
	v_fmamk_f32 v3, v1, 0x32a5705f, v3
	v_sub_f32_e32 v2, v2, v4
	v_add_f32_e32 v2, v2, v3
	v_cvt_i32_f32_e32 v3, v4
	v_exp_f32_e32 v2, v2
	v_ldexp_f32 v2, v2, v3
	v_cndmask_b32_e64 v2, 0, v2, s4
	v_cmp_nlt_f32_e64 s4, 0x42b17218, v1
	v_cndmask_b32_e64 v19, 0x7f800000, v2, s4
	v_mov_b32_e32 v1, v16
	v_mov_b32_e32 v2, v17
	;; [unrolled: 1-line block ×4, first 2 shown]
	v_add_f32_e32 v0, v0, v19
	v_mov_b32_e32 v4, v19
	v_mov_b32_e32 v6, v21
	;; [unrolled: 1-line block ×4, first 2 shown]
.LBB738_77:
	s_andn2_saveexec_b32 s4, s15
	s_or_b32 exec_lo, exec_lo, s4
	s_or_b32 exec_lo, exec_lo, s10
                                        ; implicit-def: $vgpr9_vgpr10_vgpr11_vgpr12_vgpr13_vgpr14_vgpr15_vgpr16
	s_and_saveexec_b32 s4, s5
	s_xor_b32 s4, exec_lo, s4
	s_cbranch_execnz .LBB738_59
.LBB738_78:
	s_or_saveexec_b32 s10, s4
	s_xor_b32 s5, s14, -1
	s_xor_b32 exec_lo, exec_lo, s10
	s_cbranch_execz .LBB738_60
.LBB738_79:
	global_load_ubyte v9, v[26:27], off offset:256
	s_mov_b32 s14, 0
	s_waitcnt vmcnt(0)
	v_and_b32_e32 v9, 1, v9
	v_cmp_eq_u32_e64 s4, 1, v9
	v_mov_b32_e32 v16, v8
	v_mov_b32_e32 v13, v5
	;; [unrolled: 1-line block ×9, first 2 shown]
	s_xor_b32 s4, s4, -1
	s_and_saveexec_b32 s14, s4
	s_xor_b32 s14, exec_lo, s14
	s_cbranch_execz .LBB738_81
; %bb.80:
	v_sub_f32_e32 v5, v5, v35
	v_mul_f32_e32 v9, 0x3fb8aa3b, v5
	v_cmp_ngt_f32_e64 s4, 0xc2ce8ed0, v5
	v_fma_f32 v10, 0x3fb8aa3b, v5, -v9
	v_rndne_f32_e32 v11, v9
	v_fmamk_f32 v10, v5, 0x32a5705f, v10
	v_sub_f32_e32 v9, v9, v11
	v_add_f32_e32 v9, v9, v10
	v_cvt_i32_f32_e32 v10, v11
	v_exp_f32_e32 v9, v9
	v_ldexp_f32 v9, v9, v10
	v_cndmask_b32_e64 v9, 0, v9, s4
	v_cmp_nlt_f32_e64 s4, 0x42b17218, v5
	v_cndmask_b32_e64 v5, 0x7f800000, v9, s4
	v_mov_b32_e32 v16, v8
	v_mov_b32_e32 v15, v7
	;; [unrolled: 1-line block ×4, first 2 shown]
	v_add_f32_e32 v0, v0, v5
	v_mov_b32_e32 v13, v5
	v_mov_b32_e32 v11, v3
	;; [unrolled: 1-line block ×4, first 2 shown]
.LBB738_81:
	s_andn2_saveexec_b32 s4, s14
	s_or_b32 exec_lo, exec_lo, s4
	s_or_b32 exec_lo, exec_lo, s10
                                        ; implicit-def: $vgpr1_vgpr2_vgpr3_vgpr4_vgpr5_vgpr6_vgpr7_vgpr8
	s_and_saveexec_b32 s4, s5
	s_xor_b32 s4, exec_lo, s4
	s_cbranch_execnz .LBB738_61
.LBB738_82:
	s_or_saveexec_b32 s10, s4
	s_xor_b32 s5, s11, -1
	s_xor_b32 exec_lo, exec_lo, s10
	s_cbranch_execz .LBB738_62
.LBB738_83:
	global_load_ubyte v1, v[26:27], off offset:320
	s_mov_b32 s11, 0
	s_waitcnt vmcnt(0)
	v_and_b32_e32 v1, 1, v1
	v_cmp_eq_u32_e64 s4, 1, v1
	v_mov_b32_e32 v1, v9
	v_mov_b32_e32 v6, v14
	;; [unrolled: 1-line block ×9, first 2 shown]
	s_xor_b32 s4, s4, -1
	s_and_saveexec_b32 s11, s4
	s_xor_b32 s11, exec_lo, s11
	s_cbranch_execz .LBB738_85
; %bb.84:
	v_sub_f32_e32 v1, v14, v35
	v_mul_f32_e32 v2, 0x3fb8aa3b, v1
	v_cmp_ngt_f32_e64 s4, 0xc2ce8ed0, v1
	v_fma_f32 v3, 0x3fb8aa3b, v1, -v2
	v_rndne_f32_e32 v4, v2
	v_fmamk_f32 v3, v1, 0x32a5705f, v3
	v_sub_f32_e32 v2, v2, v4
	v_add_f32_e32 v2, v2, v3
	v_cvt_i32_f32_e32 v3, v4
	v_exp_f32_e32 v2, v2
	v_ldexp_f32 v2, v2, v3
	v_cndmask_b32_e64 v2, 0, v2, s4
	v_cmp_nlt_f32_e64 s4, 0x42b17218, v1
	v_cndmask_b32_e64 v14, 0x7f800000, v2, s4
	v_mov_b32_e32 v1, v9
	v_mov_b32_e32 v2, v10
	v_mov_b32_e32 v3, v11
	v_mov_b32_e32 v4, v12
	v_add_f32_e32 v0, v0, v14
	v_mov_b32_e32 v5, v13
	v_mov_b32_e32 v6, v14
	;; [unrolled: 1-line block ×4, first 2 shown]
.LBB738_85:
	s_andn2_saveexec_b32 s4, s11
	s_or_b32 exec_lo, exec_lo, s4
	s_or_b32 exec_lo, exec_lo, s10
                                        ; implicit-def: $vgpr9_vgpr10_vgpr11_vgpr12_vgpr13_vgpr14_vgpr15_vgpr16
	s_and_saveexec_b32 s4, s5
	s_xor_b32 s4, exec_lo, s4
	s_cbranch_execnz .LBB738_63
.LBB738_86:
	s_or_saveexec_b32 s10, s4
	s_xor_b32 s5, s9, -1
	s_xor_b32 exec_lo, exec_lo, s10
	s_cbranch_execz .LBB738_64
.LBB738_87:
	global_load_ubyte v9, v[26:27], off offset:384
	s_mov_b32 s9, 0
	s_waitcnt vmcnt(0)
	v_and_b32_e32 v9, 1, v9
	v_cmp_eq_u32_e64 s4, 1, v9
	v_mov_b32_e32 v16, v8
	v_mov_b32_e32 v15, v7
	;; [unrolled: 1-line block ×9, first 2 shown]
	s_xor_b32 s4, s4, -1
	s_and_saveexec_b32 s9, s4
	s_xor_b32 s9, exec_lo, s9
	s_cbranch_execz .LBB738_89
; %bb.88:
	v_sub_f32_e32 v7, v7, v35
	v_mul_f32_e32 v9, 0x3fb8aa3b, v7
	v_cmp_ngt_f32_e64 s4, 0xc2ce8ed0, v7
	v_fma_f32 v10, 0x3fb8aa3b, v7, -v9
	v_rndne_f32_e32 v11, v9
	v_fmamk_f32 v10, v7, 0x32a5705f, v10
	v_sub_f32_e32 v9, v9, v11
	v_add_f32_e32 v9, v9, v10
	v_cvt_i32_f32_e32 v10, v11
	v_exp_f32_e32 v9, v9
	v_ldexp_f32 v9, v9, v10
	v_cndmask_b32_e64 v9, 0, v9, s4
	v_cmp_nlt_f32_e64 s4, 0x42b17218, v7
	v_cndmask_b32_e64 v7, 0x7f800000, v9, s4
	v_mov_b32_e32 v16, v8
	v_mov_b32_e32 v14, v6
	;; [unrolled: 1-line block ×4, first 2 shown]
	v_add_f32_e32 v0, v0, v7
	v_mov_b32_e32 v15, v7
	v_mov_b32_e32 v11, v3
	;; [unrolled: 1-line block ×4, first 2 shown]
.LBB738_89:
	s_andn2_saveexec_b32 s4, s9
	s_or_b32 exec_lo, exec_lo, s4
	s_or_b32 exec_lo, exec_lo, s10
                                        ; implicit-def: $vgpr1_vgpr2_vgpr3_vgpr4_vgpr5_vgpr6_vgpr7_vgpr8
	s_and_saveexec_b32 s4, s5
	s_xor_b32 s4, exec_lo, s4
	s_cbranch_execnz .LBB738_65
.LBB738_90:
	s_andn2_saveexec_b32 s5, s4
	s_cbranch_execz .LBB738_94
.LBB738_91:
	global_load_ubyte v1, v[26:27], off offset:448
	s_mov_b32 s9, 0
	s_waitcnt vmcnt(0)
	v_and_b32_e32 v1, 1, v1
	v_cmp_eq_u32_e64 s4, 1, v1
	v_mov_b32_e32 v1, v9
	v_mov_b32_e32 v8, v16
	;; [unrolled: 1-line block ×9, first 2 shown]
	s_xor_b32 s4, s4, -1
	s_and_saveexec_b32 s9, s4
	s_xor_b32 s9, exec_lo, s9
	s_cbranch_execz .LBB738_93
; %bb.92:
	v_sub_f32_e32 v1, v16, v35
	v_mul_f32_e32 v2, 0x3fb8aa3b, v1
	v_cmp_ngt_f32_e64 s4, 0xc2ce8ed0, v1
	v_fma_f32 v3, 0x3fb8aa3b, v1, -v2
	v_rndne_f32_e32 v4, v2
	v_fmamk_f32 v3, v1, 0x32a5705f, v3
	v_sub_f32_e32 v2, v2, v4
	v_add_f32_e32 v2, v2, v3
	v_cvt_i32_f32_e32 v3, v4
	v_exp_f32_e32 v2, v2
	v_ldexp_f32 v2, v2, v3
	v_cndmask_b32_e64 v2, 0, v2, s4
	v_cmp_nlt_f32_e64 s4, 0x42b17218, v1
	v_cndmask_b32_e64 v16, 0x7f800000, v2, s4
	v_mov_b32_e32 v1, v9
	v_mov_b32_e32 v2, v10
	;; [unrolled: 1-line block ×4, first 2 shown]
	v_add_f32_e32 v0, v0, v16
	v_mov_b32_e32 v5, v13
	v_mov_b32_e32 v6, v14
	;; [unrolled: 1-line block ×4, first 2 shown]
.LBB738_93:
	s_andn2_saveexec_b32 s4, s9
	s_or_b32 exec_lo, exec_lo, s4
.LBB738_94:
	s_or_b32 exec_lo, exec_lo, s5
	ds_bpermute_b32 v9, v29, v0
	s_mov_b32 s5, exec_lo
	s_waitcnt lgkmcnt(0)
	v_add_f32_e32 v0, v0, v9
	ds_bpermute_b32 v9, v30, v0
	s_waitcnt lgkmcnt(0)
	v_add_f32_e32 v0, v0, v9
	ds_bpermute_b32 v9, v31, v0
	;; [unrolled: 3-line block ×5, first 2 shown]
	v_cmpx_lt_i32_e32 0, v28
	s_cbranch_execz .LBB738_120
; %bb.95:
	s_and_b32 exec_lo, exec_lo, vcc_lo
	s_cbranch_execz .LBB738_120
; %bb.96:
	s_waitcnt lgkmcnt(0)
	v_add_f32_e32 v9, v0, v9
	v_mov_b32_e32 v10, 0x7e00
	v_cmp_neq_f32_e64 s4, 0, v9
	s_and_saveexec_b32 s5, s4
	s_cbranch_execz .LBB738_98
; %bb.97:
	v_div_scale_f32 v0, null, v9, v9, v1
	v_rcp_f32_e32 v10, v0
	v_fma_f32 v11, -v0, v10, 1.0
	v_fmac_f32_e32 v10, v11, v10
	v_div_scale_f32 v11, vcc_lo, v1, v9, v1
	v_mul_f32_e32 v12, v11, v10
	v_fma_f32 v13, -v0, v12, v11
	v_fmac_f32_e32 v12, v13, v10
	v_fma_f32 v0, -v0, v12, v11
	v_div_fmas_f32 v0, v0, v10, v12
	v_div_fixup_f32 v0, v0, v9, v1
	v_cvt_f16_f32_e32 v10, v0
.LBB738_98:
	s_or_b32 exec_lo, exec_lo, s5
	v_add_co_u32 v0, vcc_lo, s12, v24
	v_add_co_ci_u32_e64 v1, null, s13, v25, vcc_lo
	global_store_short v[0:1], v10, off
	s_and_b32 exec_lo, exec_lo, s8
	s_cbranch_execz .LBB738_120
; %bb.99:
	v_mov_b32_e32 v10, 0x7e00
	s_and_saveexec_b32 s5, s4
	s_cbranch_execz .LBB738_101
; %bb.100:
	v_div_scale_f32 v10, null, v9, v9, v2
	v_rcp_f32_e32 v11, v10
	v_fma_f32 v12, -v10, v11, 1.0
	v_fmac_f32_e32 v11, v12, v11
	v_div_scale_f32 v12, vcc_lo, v2, v9, v2
	v_mul_f32_e32 v13, v12, v11
	v_fma_f32 v14, -v10, v13, v12
	v_fmac_f32_e32 v13, v14, v11
	v_fma_f32 v10, -v10, v13, v12
	v_div_fmas_f32 v10, v10, v11, v13
	v_div_fixup_f32 v2, v10, v9, v2
	v_cvt_f16_f32_e32 v10, v2
.LBB738_101:
	s_or_b32 exec_lo, exec_lo, s5
	global_store_short v[0:1], v10, off offset:128
	s_and_b32 exec_lo, exec_lo, s7
	s_cbranch_execz .LBB738_120
; %bb.102:
	v_mov_b32_e32 v2, 0x7e00
	s_and_saveexec_b32 s5, s4
	s_cbranch_execz .LBB738_104
; %bb.103:
	v_div_scale_f32 v2, null, v9, v9, v3
	v_rcp_f32_e32 v10, v2
	v_fma_f32 v11, -v2, v10, 1.0
	v_fmac_f32_e32 v10, v11, v10
	v_div_scale_f32 v11, vcc_lo, v3, v9, v3
	v_mul_f32_e32 v12, v11, v10
	v_fma_f32 v13, -v2, v12, v11
	v_fmac_f32_e32 v12, v13, v10
	v_fma_f32 v2, -v2, v12, v11
	v_div_fmas_f32 v2, v2, v10, v12
	v_div_fixup_f32 v2, v2, v9, v3
	v_cvt_f16_f32_e32 v2, v2
.LBB738_104:
	s_or_b32 exec_lo, exec_lo, s5
	global_store_short v[0:1], v2, off offset:256
	;; [unrolled: 22-line block ×7, first 2 shown]
.LBB738_120:
	s_endpgm
	.section	.rodata,"a",@progbits
	.p2align	6, 0x0
	.amdhsa_kernel _ZN12_GLOBAL__N_120softmax_warp_forwardIN3c104HalfES2_fLi9ELb0ELb1ELi64EEEvPT0_PKT_iiiPKbib
		.amdhsa_group_segment_fixed_size 0
		.amdhsa_private_segment_fixed_size 0
		.amdhsa_kernarg_size 304
		.amdhsa_user_sgpr_count 6
		.amdhsa_user_sgpr_private_segment_buffer 1
		.amdhsa_user_sgpr_dispatch_ptr 0
		.amdhsa_user_sgpr_queue_ptr 0
		.amdhsa_user_sgpr_kernarg_segment_ptr 1
		.amdhsa_user_sgpr_dispatch_id 0
		.amdhsa_user_sgpr_flat_scratch_init 0
		.amdhsa_user_sgpr_private_segment_size 0
		.amdhsa_wavefront_size32 1
		.amdhsa_uses_dynamic_stack 0
		.amdhsa_system_sgpr_private_segment_wavefront_offset 0
		.amdhsa_system_sgpr_workgroup_id_x 1
		.amdhsa_system_sgpr_workgroup_id_y 0
		.amdhsa_system_sgpr_workgroup_id_z 0
		.amdhsa_system_sgpr_workgroup_info 0
		.amdhsa_system_vgpr_workitem_id 1
		.amdhsa_next_free_vgpr 36
		.amdhsa_next_free_sgpr 22
		.amdhsa_reserve_vcc 1
		.amdhsa_reserve_flat_scratch 0
		.amdhsa_float_round_mode_32 0
		.amdhsa_float_round_mode_16_64 0
		.amdhsa_float_denorm_mode_32 3
		.amdhsa_float_denorm_mode_16_64 3
		.amdhsa_dx10_clamp 1
		.amdhsa_ieee_mode 1
		.amdhsa_fp16_overflow 0
		.amdhsa_workgroup_processor_mode 1
		.amdhsa_memory_ordered 1
		.amdhsa_forward_progress 1
		.amdhsa_shared_vgpr_count 0
		.amdhsa_exception_fp_ieee_invalid_op 0
		.amdhsa_exception_fp_denorm_src 0
		.amdhsa_exception_fp_ieee_div_zero 0
		.amdhsa_exception_fp_ieee_overflow 0
		.amdhsa_exception_fp_ieee_underflow 0
		.amdhsa_exception_fp_ieee_inexact 0
		.amdhsa_exception_int_div_zero 0
	.end_amdhsa_kernel
	.section	.text._ZN12_GLOBAL__N_120softmax_warp_forwardIN3c104HalfES2_fLi9ELb0ELb1ELi64EEEvPT0_PKT_iiiPKbib,"axG",@progbits,_ZN12_GLOBAL__N_120softmax_warp_forwardIN3c104HalfES2_fLi9ELb0ELb1ELi64EEEvPT0_PKT_iiiPKbib,comdat
.Lfunc_end738:
	.size	_ZN12_GLOBAL__N_120softmax_warp_forwardIN3c104HalfES2_fLi9ELb0ELb1ELi64EEEvPT0_PKT_iiiPKbib, .Lfunc_end738-_ZN12_GLOBAL__N_120softmax_warp_forwardIN3c104HalfES2_fLi9ELb0ELb1ELi64EEEvPT0_PKT_iiiPKbib
                                        ; -- End function
	.set _ZN12_GLOBAL__N_120softmax_warp_forwardIN3c104HalfES2_fLi9ELb0ELb1ELi64EEEvPT0_PKT_iiiPKbib.num_vgpr, 36
	.set _ZN12_GLOBAL__N_120softmax_warp_forwardIN3c104HalfES2_fLi9ELb0ELb1ELi64EEEvPT0_PKT_iiiPKbib.num_agpr, 0
	.set _ZN12_GLOBAL__N_120softmax_warp_forwardIN3c104HalfES2_fLi9ELb0ELb1ELi64EEEvPT0_PKT_iiiPKbib.numbered_sgpr, 22
	.set _ZN12_GLOBAL__N_120softmax_warp_forwardIN3c104HalfES2_fLi9ELb0ELb1ELi64EEEvPT0_PKT_iiiPKbib.num_named_barrier, 0
	.set _ZN12_GLOBAL__N_120softmax_warp_forwardIN3c104HalfES2_fLi9ELb0ELb1ELi64EEEvPT0_PKT_iiiPKbib.private_seg_size, 0
	.set _ZN12_GLOBAL__N_120softmax_warp_forwardIN3c104HalfES2_fLi9ELb0ELb1ELi64EEEvPT0_PKT_iiiPKbib.uses_vcc, 1
	.set _ZN12_GLOBAL__N_120softmax_warp_forwardIN3c104HalfES2_fLi9ELb0ELb1ELi64EEEvPT0_PKT_iiiPKbib.uses_flat_scratch, 0
	.set _ZN12_GLOBAL__N_120softmax_warp_forwardIN3c104HalfES2_fLi9ELb0ELb1ELi64EEEvPT0_PKT_iiiPKbib.has_dyn_sized_stack, 0
	.set _ZN12_GLOBAL__N_120softmax_warp_forwardIN3c104HalfES2_fLi9ELb0ELb1ELi64EEEvPT0_PKT_iiiPKbib.has_recursion, 0
	.set _ZN12_GLOBAL__N_120softmax_warp_forwardIN3c104HalfES2_fLi9ELb0ELb1ELi64EEEvPT0_PKT_iiiPKbib.has_indirect_call, 0
	.section	.AMDGPU.csdata,"",@progbits
; Kernel info:
; codeLenInByte = 5320
; TotalNumSgprs: 24
; NumVgprs: 36
; ScratchSize: 0
; MemoryBound: 0
; FloatMode: 240
; IeeeMode: 1
; LDSByteSize: 0 bytes/workgroup (compile time only)
; SGPRBlocks: 0
; VGPRBlocks: 4
; NumSGPRsForWavesPerEU: 24
; NumVGPRsForWavesPerEU: 36
; Occupancy: 16
; WaveLimiterHint : 0
; COMPUTE_PGM_RSRC2:SCRATCH_EN: 0
; COMPUTE_PGM_RSRC2:USER_SGPR: 6
; COMPUTE_PGM_RSRC2:TRAP_HANDLER: 0
; COMPUTE_PGM_RSRC2:TGID_X_EN: 1
; COMPUTE_PGM_RSRC2:TGID_Y_EN: 0
; COMPUTE_PGM_RSRC2:TGID_Z_EN: 0
; COMPUTE_PGM_RSRC2:TIDIG_COMP_CNT: 1
	.section	.text._ZN12_GLOBAL__N_120softmax_warp_forwardIN3c104HalfES2_fLi9ELb0ELb1ELi32EEEvPT0_PKT_iiiPKbib,"axG",@progbits,_ZN12_GLOBAL__N_120softmax_warp_forwardIN3c104HalfES2_fLi9ELb0ELb1ELi32EEEvPT0_PKT_iiiPKbib,comdat
	.globl	_ZN12_GLOBAL__N_120softmax_warp_forwardIN3c104HalfES2_fLi9ELb0ELb1ELi32EEEvPT0_PKT_iiiPKbib ; -- Begin function _ZN12_GLOBAL__N_120softmax_warp_forwardIN3c104HalfES2_fLi9ELb0ELb1ELi32EEEvPT0_PKT_iiiPKbib
	.p2align	8
	.type	_ZN12_GLOBAL__N_120softmax_warp_forwardIN3c104HalfES2_fLi9ELb0ELb1ELi32EEEvPT0_PKT_iiiPKbib,@function
_ZN12_GLOBAL__N_120softmax_warp_forwardIN3c104HalfES2_fLi9ELb0ELb1ELi32EEEvPT0_PKT_iiiPKbib: ; @_ZN12_GLOBAL__N_120softmax_warp_forwardIN3c104HalfES2_fLi9ELb0ELb1ELi32EEEvPT0_PKT_iiiPKbib
; %bb.0:
	s_clause 0x1
	s_load_dword s0, s[4:5], 0x3c
	s_load_dwordx4 s[16:19], s[4:5], 0x10
	s_waitcnt lgkmcnt(0)
	s_lshr_b32 s0, s0, 16
	v_mad_u64_u32 v[1:2], null, s6, s0, v[1:2]
	s_load_dwordx2 s[0:1], s[4:5], 0x28
	v_mul_lo_u32 v4, v1, s17
	v_add_nc_u32_e32 v2, v4, v0
	v_ashrrev_i32_e32 v3, 31, v2
	s_waitcnt lgkmcnt(0)
	s_bitcmp0_b32 s1, 0
	v_mov_b32_e32 v17, v3
	v_mov_b32_e32 v16, v2
	s_cbranch_scc1 .LBB739_2
; %bb.1:
	s_abs_i32 s1, s0
	v_sub_nc_u32_e32 v7, 0, v4
	v_cvt_f32_u32_e32 v5, s1
	s_sub_i32 s2, 0, s1
	v_max_i32_e32 v7, v4, v7
	v_rcp_iflag_f32_e32 v5, v5
	v_xor_b32_e32 v4, s0, v4
	v_ashrrev_i32_e32 v4, 31, v4
	v_mul_f32_e32 v5, 0x4f7ffffe, v5
	v_cvt_u32_f32_e32 v5, v5
	v_mul_lo_u32 v6, s2, v5
	v_mul_hi_u32 v6, v5, v6
	v_add_nc_u32_e32 v5, v5, v6
	v_mul_hi_u32 v5, v7, v5
	v_mul_lo_u32 v6, v5, s1
	v_sub_nc_u32_e32 v6, v7, v6
	v_add_nc_u32_e32 v7, 1, v5
	v_subrev_nc_u32_e32 v8, s1, v6
	v_cmp_le_u32_e32 vcc_lo, s1, v6
	v_cndmask_b32_e32 v5, v5, v7, vcc_lo
	v_cndmask_b32_e32 v6, v6, v8, vcc_lo
	v_add_nc_u32_e32 v7, 1, v5
	v_cmp_le_u32_e32 vcc_lo, s1, v6
	v_cndmask_b32_e32 v5, v5, v7, vcc_lo
	v_xor_b32_e32 v5, v5, v4
	v_sub_nc_u32_e32 v4, v5, v4
	v_mad_u64_u32 v[16:17], null, v4, s17, v[0:1]
	v_ashrrev_i32_e32 v17, 31, v16
.LBB739_2:
	s_load_dwordx4 s[20:23], s[4:5], 0x0
	v_lshlrev_b64 v[48:49], 1, v[2:3]
	v_sub_nc_u32_e32 v52, s16, v1
	v_cmp_gt_i32_e32 vcc_lo, s18, v0
	v_mov_b32_e32 v32, 0xff800000
	v_mov_b32_e32 v1, 0xff800000
	v_cmp_lt_i32_e64 s17, 0, v52
	s_and_b32 s35, s17, vcc_lo
	s_waitcnt lgkmcnt(0)
	v_add_co_u32 v18, s0, s22, v48
	v_add_co_ci_u32_e64 v19, null, s23, v49, s0
	s_and_saveexec_b32 s0, s35
	s_cbranch_execz .LBB739_4
; %bb.3:
	global_load_ushort v1, v[18:19], off
	s_waitcnt vmcnt(0)
	v_cvt_f32_f16_e32 v1, v1
.LBB739_4:
	s_or_b32 exec_lo, exec_lo, s0
	v_add_nc_u32_e32 v2, 32, v0
	v_cmp_gt_i32_e64 s16, s18, v2
	s_and_b32 s36, s17, s16
	s_and_saveexec_b32 s0, s36
	s_cbranch_execz .LBB739_6
; %bb.5:
	global_load_ushort v2, v[18:19], off offset:64
	s_waitcnt vmcnt(0)
	v_cvt_f32_f16_e32 v32, v2
.LBB739_6:
	s_or_b32 exec_lo, exec_lo, s0
	v_add_nc_u32_e32 v2, 64, v0
	v_mov_b32_e32 v3, 0xff800000
	v_cmp_gt_i32_e64 s15, s18, v2
	v_mov_b32_e32 v2, 0xff800000
	s_and_b32 s34, s17, s15
	s_and_saveexec_b32 s0, s34
	s_cbranch_execz .LBB739_8
; %bb.7:
	global_load_ushort v2, v[18:19], off offset:128
	s_waitcnt vmcnt(0)
	v_cvt_f32_f16_e32 v2, v2
.LBB739_8:
	s_or_b32 exec_lo, exec_lo, s0
	v_add_nc_u32_e32 v4, 0x60, v0
	v_cmp_gt_i32_e64 s14, s18, v4
	s_and_b32 s33, s17, s14
	s_and_saveexec_b32 s0, s33
	s_cbranch_execz .LBB739_10
; %bb.9:
	global_load_ushort v3, v[18:19], off offset:192
	s_waitcnt vmcnt(0)
	v_cvt_f32_f16_e32 v3, v3
.LBB739_10:
	s_or_b32 exec_lo, exec_lo, s0
	v_add_nc_u32_e32 v4, 0x80, v0
	v_mov_b32_e32 v5, 0xff800000
	v_cmp_gt_i32_e64 s13, s18, v4
	v_mov_b32_e32 v4, 0xff800000
	s_and_b32 s31, s17, s13
	s_and_saveexec_b32 s0, s31
	s_cbranch_execz .LBB739_12
; %bb.11:
	global_load_ushort v4, v[18:19], off offset:256
	s_waitcnt vmcnt(0)
	v_cvt_f32_f16_e32 v4, v4
.LBB739_12:
	;; [unrolled: 24-line block ×7, first 2 shown]
	s_or_b32 exec_lo, exec_lo, s0
	v_add_nc_u32_e32 v0, 0x1e0, v0
	v_cmp_gt_i32_e64 s0, s18, v0
	s_and_b32 s17, s17, s0
	s_and_saveexec_b32 s18, s17
	s_cbranch_execz .LBB739_34
; %bb.33:
	global_load_ushort v0, v[18:19], off offset:960
	s_waitcnt vmcnt(0)
	v_cvt_f32_f16_e32 v15, v0
.LBB739_34:
	s_or_b32 exec_lo, exec_lo, s18
	s_load_dwordx2 s[4:5], s[4:5], 0x20
	s_waitcnt lgkmcnt(0)
	v_add_co_u32 v50, s4, s4, v16
	v_add_co_ci_u32_e64 v51, null, s5, v17, s4
	s_mov_b32 s5, 0
	s_and_saveexec_b32 s18, s35
	s_cbranch_execz .LBB739_64
; %bb.35:
	global_load_ubyte v0, v[50:51], off
	s_waitcnt vmcnt(0)
	v_and_b32_e32 v0, 1, v0
	v_cmp_eq_u32_e64 s4, 1, v0
	s_xor_b32 s4, s4, -1
	s_and_b32 s5, s4, exec_lo
	s_or_b32 exec_lo, exec_lo, s18
	v_mov_b32_e32 v0, v1
	s_and_saveexec_b32 s18, s36
	s_cbranch_execnz .LBB739_65
.LBB739_36:
	s_or_b32 exec_lo, exec_lo, s18
	s_and_saveexec_b32 s18, s34
	s_cbranch_execz .LBB739_68
.LBB739_37:
	global_load_ubyte v16, v[50:51], off offset:64
	s_waitcnt vmcnt(0)
	v_and_b32_e32 v16, 1, v16
	v_cmp_eq_u32_e64 s4, 1, v16
	s_xor_b32 s38, s4, -1
	s_mov_b32 s4, s5
	s_and_saveexec_b32 s37, s38
; %bb.38:
	v_cmp_gt_f32_e64 s4, v0, v2
	s_and_b32 s4, s5, s4
	v_cndmask_b32_e64 v0, v2, v0, s4
	s_or_b32 s4, s5, exec_lo
; %bb.39:
	s_or_b32 exec_lo, exec_lo, s37
	s_andn2_b32 s5, s5, exec_lo
	s_and_b32 s4, s4, exec_lo
	s_or_b32 s5, s5, s4
	s_or_b32 exec_lo, exec_lo, s18
	s_and_saveexec_b32 s18, s33
	s_cbranch_execnz .LBB739_69
.LBB739_40:
	s_or_b32 exec_lo, exec_lo, s18
	s_and_saveexec_b32 s18, s31
	s_cbranch_execz .LBB739_72
.LBB739_41:
	global_load_ubyte v16, v[50:51], off offset:128
	s_waitcnt vmcnt(0)
	v_and_b32_e32 v16, 1, v16
	v_cmp_eq_u32_e64 s4, 1, v16
	s_xor_b32 s38, s4, -1
	s_mov_b32 s4, s5
	s_and_saveexec_b32 s37, s38
; %bb.42:
	v_cmp_gt_f32_e64 s4, v0, v4
	s_and_b32 s4, s5, s4
	v_cndmask_b32_e64 v0, v4, v0, s4
	s_or_b32 s4, s5, exec_lo
; %bb.43:
	s_or_b32 exec_lo, exec_lo, s37
	s_andn2_b32 s5, s5, exec_lo
	s_and_b32 s4, s4, exec_lo
	s_or_b32 s5, s5, s4
	s_or_b32 exec_lo, exec_lo, s18
	s_and_saveexec_b32 s18, s30
	s_cbranch_execnz .LBB739_73
.LBB739_44:
	s_or_b32 exec_lo, exec_lo, s18
	s_and_saveexec_b32 s18, s29
	s_cbranch_execz .LBB739_76
.LBB739_45:
	global_load_ubyte v16, v[50:51], off offset:192
	s_waitcnt vmcnt(0)
	v_and_b32_e32 v16, 1, v16
	v_cmp_eq_u32_e64 s4, 1, v16
	s_xor_b32 s38, s4, -1
	s_mov_b32 s4, s5
	s_and_saveexec_b32 s37, s38
; %bb.46:
	v_cmp_gt_f32_e64 s4, v0, v6
	s_and_b32 s4, s5, s4
	v_cndmask_b32_e64 v0, v6, v0, s4
	s_or_b32 s4, s5, exec_lo
; %bb.47:
	s_or_b32 exec_lo, exec_lo, s37
	s_andn2_b32 s5, s5, exec_lo
	s_and_b32 s4, s4, exec_lo
	s_or_b32 s5, s5, s4
	s_or_b32 exec_lo, exec_lo, s18
	s_and_saveexec_b32 s18, s28
	s_cbranch_execnz .LBB739_77
.LBB739_48:
	s_or_b32 exec_lo, exec_lo, s18
	s_and_saveexec_b32 s18, s27
	s_cbranch_execz .LBB739_80
.LBB739_49:
	global_load_ubyte v16, v[50:51], off offset:256
	s_waitcnt vmcnt(0)
	v_and_b32_e32 v16, 1, v16
	v_cmp_eq_u32_e64 s4, 1, v16
	s_xor_b32 s38, s4, -1
	s_mov_b32 s4, s5
	s_and_saveexec_b32 s37, s38
; %bb.50:
	v_cmp_gt_f32_e64 s4, v0, v8
	s_and_b32 s4, s5, s4
	v_cndmask_b32_e64 v0, v8, v0, s4
	s_or_b32 s4, s5, exec_lo
; %bb.51:
	s_or_b32 exec_lo, exec_lo, s37
	s_andn2_b32 s5, s5, exec_lo
	s_and_b32 s4, s4, exec_lo
	s_or_b32 s5, s5, s4
	s_or_b32 exec_lo, exec_lo, s18
	s_and_saveexec_b32 s18, s26
	s_cbranch_execnz .LBB739_81
.LBB739_52:
	s_or_b32 exec_lo, exec_lo, s18
	s_and_saveexec_b32 s18, s25
	s_cbranch_execz .LBB739_84
.LBB739_53:
	global_load_ubyte v16, v[50:51], off offset:320
	s_waitcnt vmcnt(0)
	v_and_b32_e32 v16, 1, v16
	v_cmp_eq_u32_e64 s4, 1, v16
	s_xor_b32 s38, s4, -1
	s_mov_b32 s4, s5
	s_and_saveexec_b32 s37, s38
; %bb.54:
	v_cmp_gt_f32_e64 s4, v0, v10
	s_and_b32 s4, s5, s4
	v_cndmask_b32_e64 v0, v10, v0, s4
	s_or_b32 s4, s5, exec_lo
; %bb.55:
	s_or_b32 exec_lo, exec_lo, s37
	s_andn2_b32 s5, s5, exec_lo
	s_and_b32 s4, s4, exec_lo
	s_or_b32 s5, s5, s4
	s_or_b32 exec_lo, exec_lo, s18
	s_and_saveexec_b32 s18, s24
	s_cbranch_execnz .LBB739_85
.LBB739_56:
	s_or_b32 exec_lo, exec_lo, s18
	s_and_saveexec_b32 s18, s23
	s_cbranch_execz .LBB739_88
.LBB739_57:
	global_load_ubyte v16, v[50:51], off offset:384
	s_waitcnt vmcnt(0)
	v_and_b32_e32 v16, 1, v16
	v_cmp_eq_u32_e64 s4, 1, v16
	s_xor_b32 s38, s4, -1
	s_mov_b32 s4, s5
	s_and_saveexec_b32 s37, s38
; %bb.58:
	v_cmp_gt_f32_e64 s4, v0, v12
	s_and_b32 s4, s5, s4
	v_cndmask_b32_e64 v0, v12, v0, s4
	s_or_b32 s4, s5, exec_lo
; %bb.59:
	s_or_b32 exec_lo, exec_lo, s37
	s_andn2_b32 s5, s5, exec_lo
	s_and_b32 s4, s4, exec_lo
	s_or_b32 s5, s5, s4
	s_or_b32 exec_lo, exec_lo, s18
	s_and_saveexec_b32 s18, s22
	s_cbranch_execnz .LBB739_89
.LBB739_60:
	s_or_b32 exec_lo, exec_lo, s18
	s_and_saveexec_b32 s18, s19
	s_cbranch_execz .LBB739_92
.LBB739_61:
	global_load_ubyte v16, v[50:51], off offset:448
	s_waitcnt vmcnt(0)
	v_and_b32_e32 v16, 1, v16
	v_cmp_eq_u32_e64 s4, 1, v16
	s_xor_b32 s38, s4, -1
	s_mov_b32 s4, s5
	s_and_saveexec_b32 s37, s38
; %bb.62:
	v_cmp_gt_f32_e64 s4, v0, v14
	s_and_b32 s4, s5, s4
	v_cndmask_b32_e64 v0, v14, v0, s4
	s_or_b32 s4, s5, exec_lo
; %bb.63:
	s_or_b32 exec_lo, exec_lo, s37
	s_andn2_b32 s5, s5, exec_lo
	s_and_b32 s4, s4, exec_lo
	s_or_b32 s5, s5, s4
	s_or_b32 exec_lo, exec_lo, s18
	s_and_saveexec_b32 s18, s17
	s_cbranch_execz .LBB739_96
	s_branch .LBB739_93
.LBB739_64:
	s_or_b32 exec_lo, exec_lo, s18
	v_mov_b32_e32 v0, v1
	s_and_saveexec_b32 s18, s36
	s_cbranch_execz .LBB739_36
.LBB739_65:
	global_load_ubyte v0, v[50:51], off offset:32
	s_waitcnt vmcnt(0)
	v_and_b32_e32 v0, 1, v0
	v_cmp_eq_u32_e64 s4, 1, v0
	v_mov_b32_e32 v0, v1
	s_xor_b32 s38, s4, -1
	s_mov_b32 s4, s5
	s_and_saveexec_b32 s37, s38
; %bb.66:
	v_cmp_gt_f32_e64 s4, v1, v32
	s_and_b32 s4, s5, s4
	v_cndmask_b32_e64 v0, v32, v1, s4
	s_or_b32 s4, s5, exec_lo
; %bb.67:
	s_or_b32 exec_lo, exec_lo, s37
	s_andn2_b32 s5, s5, exec_lo
	s_and_b32 s4, s4, exec_lo
	s_or_b32 s5, s5, s4
	s_or_b32 exec_lo, exec_lo, s18
	s_and_saveexec_b32 s18, s34
	s_cbranch_execnz .LBB739_37
.LBB739_68:
	s_or_b32 exec_lo, exec_lo, s18
	s_and_saveexec_b32 s18, s33
	s_cbranch_execz .LBB739_40
.LBB739_69:
	global_load_ubyte v16, v[50:51], off offset:96
	s_waitcnt vmcnt(0)
	v_and_b32_e32 v16, 1, v16
	v_cmp_eq_u32_e64 s4, 1, v16
	s_xor_b32 s38, s4, -1
	s_mov_b32 s4, s5
	s_and_saveexec_b32 s37, s38
; %bb.70:
	v_cmp_gt_f32_e64 s4, v0, v3
	s_and_b32 s4, s5, s4
	v_cndmask_b32_e64 v0, v3, v0, s4
	s_or_b32 s4, s5, exec_lo
; %bb.71:
	s_or_b32 exec_lo, exec_lo, s37
	s_andn2_b32 s5, s5, exec_lo
	s_and_b32 s4, s4, exec_lo
	s_or_b32 s5, s5, s4
	s_or_b32 exec_lo, exec_lo, s18
	s_and_saveexec_b32 s18, s31
	s_cbranch_execnz .LBB739_41
.LBB739_72:
	s_or_b32 exec_lo, exec_lo, s18
	s_and_saveexec_b32 s18, s30
	s_cbranch_execz .LBB739_44
.LBB739_73:
	global_load_ubyte v16, v[50:51], off offset:160
	s_waitcnt vmcnt(0)
	v_and_b32_e32 v16, 1, v16
	v_cmp_eq_u32_e64 s4, 1, v16
	s_xor_b32 s38, s4, -1
	s_mov_b32 s4, s5
	s_and_saveexec_b32 s37, s38
; %bb.74:
	v_cmp_gt_f32_e64 s4, v0, v5
	s_and_b32 s4, s5, s4
	v_cndmask_b32_e64 v0, v5, v0, s4
	s_or_b32 s4, s5, exec_lo
; %bb.75:
	s_or_b32 exec_lo, exec_lo, s37
	s_andn2_b32 s5, s5, exec_lo
	s_and_b32 s4, s4, exec_lo
	s_or_b32 s5, s5, s4
	s_or_b32 exec_lo, exec_lo, s18
	s_and_saveexec_b32 s18, s29
	s_cbranch_execnz .LBB739_45
.LBB739_76:
	s_or_b32 exec_lo, exec_lo, s18
	s_and_saveexec_b32 s18, s28
	s_cbranch_execz .LBB739_48
.LBB739_77:
	global_load_ubyte v16, v[50:51], off offset:224
	s_waitcnt vmcnt(0)
	v_and_b32_e32 v16, 1, v16
	v_cmp_eq_u32_e64 s4, 1, v16
	s_xor_b32 s38, s4, -1
	s_mov_b32 s4, s5
	s_and_saveexec_b32 s37, s38
; %bb.78:
	v_cmp_gt_f32_e64 s4, v0, v7
	s_and_b32 s4, s5, s4
	v_cndmask_b32_e64 v0, v7, v0, s4
	s_or_b32 s4, s5, exec_lo
; %bb.79:
	s_or_b32 exec_lo, exec_lo, s37
	s_andn2_b32 s5, s5, exec_lo
	s_and_b32 s4, s4, exec_lo
	s_or_b32 s5, s5, s4
	s_or_b32 exec_lo, exec_lo, s18
	s_and_saveexec_b32 s18, s27
	s_cbranch_execnz .LBB739_49
.LBB739_80:
	s_or_b32 exec_lo, exec_lo, s18
	s_and_saveexec_b32 s18, s26
	s_cbranch_execz .LBB739_52
.LBB739_81:
	global_load_ubyte v16, v[50:51], off offset:288
	s_waitcnt vmcnt(0)
	v_and_b32_e32 v16, 1, v16
	v_cmp_eq_u32_e64 s4, 1, v16
	s_xor_b32 s38, s4, -1
	s_mov_b32 s4, s5
	s_and_saveexec_b32 s37, s38
; %bb.82:
	v_cmp_gt_f32_e64 s4, v0, v9
	s_and_b32 s4, s5, s4
	v_cndmask_b32_e64 v0, v9, v0, s4
	s_or_b32 s4, s5, exec_lo
; %bb.83:
	s_or_b32 exec_lo, exec_lo, s37
	s_andn2_b32 s5, s5, exec_lo
	s_and_b32 s4, s4, exec_lo
	s_or_b32 s5, s5, s4
	s_or_b32 exec_lo, exec_lo, s18
	s_and_saveexec_b32 s18, s25
	s_cbranch_execnz .LBB739_53
.LBB739_84:
	s_or_b32 exec_lo, exec_lo, s18
	s_and_saveexec_b32 s18, s24
	s_cbranch_execz .LBB739_56
.LBB739_85:
	global_load_ubyte v16, v[50:51], off offset:352
	s_waitcnt vmcnt(0)
	v_and_b32_e32 v16, 1, v16
	v_cmp_eq_u32_e64 s4, 1, v16
	s_xor_b32 s38, s4, -1
	s_mov_b32 s4, s5
	s_and_saveexec_b32 s37, s38
; %bb.86:
	v_cmp_gt_f32_e64 s4, v0, v11
	s_and_b32 s4, s5, s4
	v_cndmask_b32_e64 v0, v11, v0, s4
	s_or_b32 s4, s5, exec_lo
; %bb.87:
	s_or_b32 exec_lo, exec_lo, s37
	s_andn2_b32 s5, s5, exec_lo
	s_and_b32 s4, s4, exec_lo
	s_or_b32 s5, s5, s4
	s_or_b32 exec_lo, exec_lo, s18
	s_and_saveexec_b32 s18, s23
	s_cbranch_execnz .LBB739_57
.LBB739_88:
	s_or_b32 exec_lo, exec_lo, s18
	s_and_saveexec_b32 s18, s22
	s_cbranch_execz .LBB739_60
.LBB739_89:
	global_load_ubyte v16, v[50:51], off offset:416
	s_waitcnt vmcnt(0)
	v_and_b32_e32 v16, 1, v16
	v_cmp_eq_u32_e64 s4, 1, v16
	s_xor_b32 s38, s4, -1
	s_mov_b32 s4, s5
	s_and_saveexec_b32 s37, s38
; %bb.90:
	v_cmp_gt_f32_e64 s4, v0, v13
	s_and_b32 s4, s5, s4
	v_cndmask_b32_e64 v0, v13, v0, s4
	s_or_b32 s4, s5, exec_lo
; %bb.91:
	s_or_b32 exec_lo, exec_lo, s37
	s_andn2_b32 s5, s5, exec_lo
	s_and_b32 s4, s4, exec_lo
	s_or_b32 s5, s5, s4
	s_or_b32 exec_lo, exec_lo, s18
	s_and_saveexec_b32 s18, s19
	s_cbranch_execnz .LBB739_61
.LBB739_92:
	s_or_b32 exec_lo, exec_lo, s18
	s_and_saveexec_b32 s18, s17
	s_cbranch_execz .LBB739_96
.LBB739_93:
	global_load_ubyte v16, v[50:51], off offset:480
	s_waitcnt vmcnt(0)
	v_and_b32_e32 v16, 1, v16
	v_cmp_eq_u32_e64 s4, 1, v16
	s_xor_b32 s38, s4, -1
	s_mov_b32 s4, s5
	s_and_saveexec_b32 s37, s38
; %bb.94:
	v_cmp_gt_f32_e64 s4, v0, v15
	s_and_b32 s4, s5, s4
	v_cndmask_b32_e64 v0, v15, v0, s4
	s_or_b32 s4, s5, exec_lo
; %bb.95:
	s_or_b32 exec_lo, exec_lo, s37
	s_andn2_b32 s5, s5, exec_lo
	s_and_b32 s4, s4, exec_lo
	s_or_b32 s5, s5, s4
.LBB739_96:
	s_or_b32 exec_lo, exec_lo, s18
	v_mbcnt_lo_u32_b32 v16, -1, 0
	v_cndmask_b32_e64 v0, 0xff800000, v0, s5
	s_xor_b32 s5, s36, -1
	v_xor_b32_e32 v17, 16, v16
	v_xor_b32_e32 v18, 8, v16
	v_cmp_gt_i32_e64 s4, 32, v17
	v_cndmask_b32_e64 v17, v16, v17, s4
	v_cmp_gt_i32_e64 s4, 32, v18
	v_lshlrev_b32_e32 v53, 2, v17
	v_cndmask_b32_e64 v18, v16, v18, s4
	ds_bpermute_b32 v17, v53, v0
	v_lshlrev_b32_e32 v54, 2, v18
	v_xor_b32_e32 v18, 4, v16
	s_waitcnt lgkmcnt(0)
	v_cmp_lt_f32_e64 s4, v0, v17
	v_cndmask_b32_e64 v0, v0, v17, s4
	v_cmp_gt_i32_e64 s4, 32, v18
	ds_bpermute_b32 v17, v54, v0
	v_cndmask_b32_e64 v18, v16, v18, s4
	v_lshlrev_b32_e32 v55, 2, v18
	v_xor_b32_e32 v18, 2, v16
	s_waitcnt lgkmcnt(0)
	v_cmp_lt_f32_e64 s4, v0, v17
	v_cndmask_b32_e64 v0, v0, v17, s4
	v_cmp_gt_i32_e64 s4, 32, v18
	ds_bpermute_b32 v17, v55, v0
	v_cndmask_b32_e64 v18, v16, v18, s4
	;; [unrolled: 8-line block ×3, first 2 shown]
	v_lshlrev_b32_e32 v57, 2, v16
	s_waitcnt lgkmcnt(0)
	v_cmp_lt_f32_e64 s4, v0, v17
	v_cndmask_b32_e64 v0, v0, v17, s4
	ds_bpermute_b32 v16, v57, v0
	s_waitcnt lgkmcnt(0)
	v_cmp_lt_f32_e64 s4, v0, v16
	v_cndmask_b32_e64 v58, v0, v16, s4
	v_mov_b32_e32 v0, 0
	s_and_saveexec_b32 s18, s35
	s_cbranch_execz .LBB739_100
; %bb.97:
	global_load_ubyte v0, v[50:51], off
	s_waitcnt vmcnt(0)
	v_and_b32_e32 v0, 1, v0
	v_cmp_eq_u32_e64 s4, 1, v0
	v_mov_b32_e32 v0, 0
	s_xor_b32 s4, s4, -1
	s_and_saveexec_b32 s35, s4
	s_cbranch_execz .LBB739_99
; %bb.98:
	v_sub_f32_e32 v0, v1, v58
	v_mul_f32_e32 v1, 0x3fb8aa3b, v0
	v_cmp_ngt_f32_e64 s4, 0xc2ce8ed0, v0
	v_fma_f32 v16, 0x3fb8aa3b, v0, -v1
	v_rndne_f32_e32 v17, v1
	v_fmamk_f32 v16, v0, 0x32a5705f, v16
	v_sub_f32_e32 v1, v1, v17
	v_add_f32_e32 v1, v1, v16
	v_cvt_i32_f32_e32 v16, v17
	v_exp_f32_e32 v1, v1
	v_ldexp_f32 v1, v1, v16
	v_cndmask_b32_e64 v1, 0, v1, s4
	v_cmp_nlt_f32_e64 s4, 0x42b17218, v0
	v_cndmask_b32_e64 v0, 0x7f800000, v1, s4
.LBB739_99:
	s_or_b32 exec_lo, exec_lo, s35
.LBB739_100:
	s_or_b32 exec_lo, exec_lo, s18
                                        ; implicit-def: $vgpr16_vgpr17_vgpr18_vgpr19_vgpr20_vgpr21_vgpr22_vgpr23_vgpr24_vgpr25_vgpr26_vgpr27_vgpr28_vgpr29_vgpr30_vgpr31
	s_and_saveexec_b32 s4, s5
	s_xor_b32 s4, exec_lo, s4
	s_cbranch_execz .LBB739_130
; %bb.101:
	s_mov_b32 s5, 0
                                        ; implicit-def: $vgpr32
	v_mov_b32_e32 v1, s5
	v_mov_b32_e32 v31, v15
	;; [unrolled: 1-line block ×17, first 2 shown]
	s_or_saveexec_b32 s18, s4
	s_xor_b32 s5, s34, -1
	s_xor_b32 exec_lo, exec_lo, s18
	s_cbranch_execnz .LBB739_131
.LBB739_102:
	s_or_b32 exec_lo, exec_lo, s18
                                        ; implicit-def: $vgpr32_vgpr33_vgpr34_vgpr35_vgpr36_vgpr37_vgpr38_vgpr39_vgpr40_vgpr41_vgpr42_vgpr43_vgpr44_vgpr45_vgpr46_vgpr47
	s_and_saveexec_b32 s4, s5
	s_xor_b32 s4, exec_lo, s4
	s_cbranch_execz .LBB739_134
.LBB739_103:
	s_mov_b32 s5, 0
	v_mov_b32_e32 v18, s5
	v_mov_b32_e32 v47, v31
	v_mov_b32_e32 v46, v30
	v_mov_b32_e32 v45, v29
	v_mov_b32_e32 v44, v28
	v_mov_b32_e32 v43, v27
	v_mov_b32_e32 v42, v26
	v_mov_b32_e32 v41, v25
	v_mov_b32_e32 v40, v24
	v_mov_b32_e32 v39, v23
	v_mov_b32_e32 v38, v22
	v_mov_b32_e32 v37, v21
	v_mov_b32_e32 v36, v20
	v_mov_b32_e32 v35, v19
	v_mov_b32_e32 v34, v18
	v_mov_b32_e32 v33, v17
	v_mov_b32_e32 v32, v16
                                        ; implicit-def: $vgpr16_vgpr17_vgpr18_vgpr19_vgpr20_vgpr21_vgpr22_vgpr23_vgpr24_vgpr25_vgpr26_vgpr27_vgpr28_vgpr29_vgpr30_vgpr31
	s_or_saveexec_b32 s18, s4
	s_xor_b32 s5, s33, -1
	s_xor_b32 exec_lo, exec_lo, s18
	s_cbranch_execnz .LBB739_135
.LBB739_104:
	s_or_b32 exec_lo, exec_lo, s18
                                        ; implicit-def: $vgpr1_vgpr2_vgpr3_vgpr4_vgpr5_vgpr6_vgpr7_vgpr8_vgpr9_vgpr10_vgpr11_vgpr12_vgpr13_vgpr14_vgpr15_vgpr16
	s_and_saveexec_b32 s4, s5
	s_xor_b32 s4, exec_lo, s4
	s_cbranch_execz .LBB739_138
.LBB739_105:
	s_mov_b32 s5, 0
	v_mov_b32_e32 v35, s5
	v_mov_b32_e32 v1, v32
	;; [unrolled: 1-line block ×17, first 2 shown]
                                        ; implicit-def: $vgpr32_vgpr33_vgpr34_vgpr35_vgpr36_vgpr37_vgpr38_vgpr39_vgpr40_vgpr41_vgpr42_vgpr43_vgpr44_vgpr45_vgpr46_vgpr47
	s_or_saveexec_b32 s18, s4
	s_xor_b32 s5, s31, -1
	s_xor_b32 exec_lo, exec_lo, s18
	s_cbranch_execnz .LBB739_139
.LBB739_106:
	s_or_b32 exec_lo, exec_lo, s18
                                        ; implicit-def: $vgpr17_vgpr18_vgpr19_vgpr20_vgpr21_vgpr22_vgpr23_vgpr24_vgpr25_vgpr26_vgpr27_vgpr28_vgpr29_vgpr30_vgpr31_vgpr32
	s_and_saveexec_b32 s4, s5
	s_xor_b32 s4, exec_lo, s4
	s_cbranch_execz .LBB739_142
.LBB739_107:
	s_mov_b32 s5, 0
	v_mov_b32_e32 v5, s5
	v_mov_b32_e32 v32, v16
	;; [unrolled: 1-line block ×17, first 2 shown]
                                        ; implicit-def: $vgpr1_vgpr2_vgpr3_vgpr4_vgpr5_vgpr6_vgpr7_vgpr8_vgpr9_vgpr10_vgpr11_vgpr12_vgpr13_vgpr14_vgpr15_vgpr16
	s_or_saveexec_b32 s18, s4
	s_xor_b32 s5, s30, -1
	s_xor_b32 exec_lo, exec_lo, s18
	s_cbranch_execnz .LBB739_143
.LBB739_108:
	s_or_b32 exec_lo, exec_lo, s18
                                        ; implicit-def: $vgpr1_vgpr2_vgpr3_vgpr4_vgpr5_vgpr6_vgpr7_vgpr8_vgpr9_vgpr10_vgpr11_vgpr12_vgpr13_vgpr14_vgpr15_vgpr16
	s_and_saveexec_b32 s4, s5
	s_xor_b32 s4, exec_lo, s4
	s_cbranch_execz .LBB739_146
.LBB739_109:
	s_mov_b32 s5, 0
	v_mov_b32_e32 v22, s5
	v_mov_b32_e32 v1, v17
	;; [unrolled: 1-line block ×17, first 2 shown]
                                        ; implicit-def: $vgpr17_vgpr18_vgpr19_vgpr20_vgpr21_vgpr22_vgpr23_vgpr24_vgpr25_vgpr26_vgpr27_vgpr28_vgpr29_vgpr30_vgpr31_vgpr32
	s_or_saveexec_b32 s18, s4
	s_xor_b32 s5, s29, -1
	s_xor_b32 exec_lo, exec_lo, s18
	s_cbranch_execnz .LBB739_147
.LBB739_110:
	s_or_b32 exec_lo, exec_lo, s18
                                        ; implicit-def: $vgpr17_vgpr18_vgpr19_vgpr20_vgpr21_vgpr22_vgpr23_vgpr24_vgpr25_vgpr26_vgpr27_vgpr28_vgpr29_vgpr30_vgpr31_vgpr32
	s_and_saveexec_b32 s4, s5
	s_xor_b32 s4, exec_lo, s4
	s_cbranch_execz .LBB739_150
.LBB739_111:
	s_mov_b32 s5, 0
	v_mov_b32_e32 v7, s5
	v_mov_b32_e32 v32, v16
	;; [unrolled: 1-line block ×17, first 2 shown]
                                        ; implicit-def: $vgpr1_vgpr2_vgpr3_vgpr4_vgpr5_vgpr6_vgpr7_vgpr8_vgpr9_vgpr10_vgpr11_vgpr12_vgpr13_vgpr14_vgpr15_vgpr16
	s_or_saveexec_b32 s18, s4
	s_xor_b32 s5, s28, -1
	s_xor_b32 exec_lo, exec_lo, s18
	s_cbranch_execnz .LBB739_151
.LBB739_112:
	s_or_b32 exec_lo, exec_lo, s18
                                        ; implicit-def: $vgpr1_vgpr2_vgpr3_vgpr4_vgpr5_vgpr6_vgpr7_vgpr8_vgpr9_vgpr10_vgpr11_vgpr12_vgpr13_vgpr14_vgpr15_vgpr16
	s_and_saveexec_b32 s4, s5
	s_xor_b32 s4, exec_lo, s4
	s_cbranch_execz .LBB739_154
.LBB739_113:
	s_mov_b32 s5, 0
	v_mov_b32_e32 v24, s5
	v_mov_b32_e32 v1, v17
	;; [unrolled: 1-line block ×17, first 2 shown]
                                        ; implicit-def: $vgpr17_vgpr18_vgpr19_vgpr20_vgpr21_vgpr22_vgpr23_vgpr24_vgpr25_vgpr26_vgpr27_vgpr28_vgpr29_vgpr30_vgpr31_vgpr32
	s_or_saveexec_b32 s18, s4
	s_xor_b32 s5, s27, -1
	s_xor_b32 exec_lo, exec_lo, s18
	s_cbranch_execnz .LBB739_155
.LBB739_114:
	s_or_b32 exec_lo, exec_lo, s18
                                        ; implicit-def: $vgpr17_vgpr18_vgpr19_vgpr20_vgpr21_vgpr22_vgpr23_vgpr24_vgpr25_vgpr26_vgpr27_vgpr28_vgpr29_vgpr30_vgpr31_vgpr32
	s_and_saveexec_b32 s4, s5
	s_xor_b32 s4, exec_lo, s4
	s_cbranch_execz .LBB739_158
.LBB739_115:
	s_mov_b32 s5, 0
	v_mov_b32_e32 v9, s5
	v_mov_b32_e32 v32, v16
	;; [unrolled: 1-line block ×17, first 2 shown]
                                        ; implicit-def: $vgpr1_vgpr2_vgpr3_vgpr4_vgpr5_vgpr6_vgpr7_vgpr8_vgpr9_vgpr10_vgpr11_vgpr12_vgpr13_vgpr14_vgpr15_vgpr16
	s_or_saveexec_b32 s18, s4
	s_xor_b32 s5, s26, -1
	s_xor_b32 exec_lo, exec_lo, s18
	s_cbranch_execnz .LBB739_159
.LBB739_116:
	s_or_b32 exec_lo, exec_lo, s18
                                        ; implicit-def: $vgpr1_vgpr2_vgpr3_vgpr4_vgpr5_vgpr6_vgpr7_vgpr8_vgpr9_vgpr10_vgpr11_vgpr12_vgpr13_vgpr14_vgpr15_vgpr16
	s_and_saveexec_b32 s4, s5
	s_xor_b32 s4, exec_lo, s4
	s_cbranch_execz .LBB739_162
.LBB739_117:
	s_mov_b32 s5, 0
	v_mov_b32_e32 v26, s5
	v_mov_b32_e32 v1, v17
	v_mov_b32_e32 v2, v18
	v_mov_b32_e32 v3, v19
	v_mov_b32_e32 v4, v20
	v_mov_b32_e32 v5, v21
	v_mov_b32_e32 v6, v22
	v_mov_b32_e32 v7, v23
	v_mov_b32_e32 v8, v24
	v_mov_b32_e32 v9, v25
	v_mov_b32_e32 v10, v26
	v_mov_b32_e32 v11, v27
	v_mov_b32_e32 v12, v28
	v_mov_b32_e32 v13, v29
	v_mov_b32_e32 v14, v30
	v_mov_b32_e32 v15, v31
	v_mov_b32_e32 v16, v32
                                        ; implicit-def: $vgpr17_vgpr18_vgpr19_vgpr20_vgpr21_vgpr22_vgpr23_vgpr24_vgpr25_vgpr26_vgpr27_vgpr28_vgpr29_vgpr30_vgpr31_vgpr32
	s_or_saveexec_b32 s18, s4
	s_xor_b32 s5, s25, -1
	s_xor_b32 exec_lo, exec_lo, s18
	s_cbranch_execnz .LBB739_163
.LBB739_118:
	s_or_b32 exec_lo, exec_lo, s18
                                        ; implicit-def: $vgpr17_vgpr18_vgpr19_vgpr20_vgpr21_vgpr22_vgpr23_vgpr24_vgpr25_vgpr26_vgpr27_vgpr28_vgpr29_vgpr30_vgpr31_vgpr32
	s_and_saveexec_b32 s4, s5
	s_xor_b32 s4, exec_lo, s4
	s_cbranch_execz .LBB739_166
.LBB739_119:
	s_mov_b32 s5, 0
	v_mov_b32_e32 v11, s5
	v_mov_b32_e32 v32, v16
	;; [unrolled: 1-line block ×17, first 2 shown]
                                        ; implicit-def: $vgpr1_vgpr2_vgpr3_vgpr4_vgpr5_vgpr6_vgpr7_vgpr8_vgpr9_vgpr10_vgpr11_vgpr12_vgpr13_vgpr14_vgpr15_vgpr16
	s_or_saveexec_b32 s18, s4
	s_xor_b32 s5, s24, -1
	s_xor_b32 exec_lo, exec_lo, s18
	s_cbranch_execnz .LBB739_167
.LBB739_120:
	s_or_b32 exec_lo, exec_lo, s18
                                        ; implicit-def: $vgpr1_vgpr2_vgpr3_vgpr4_vgpr5_vgpr6_vgpr7_vgpr8_vgpr9_vgpr10_vgpr11_vgpr12_vgpr13_vgpr14_vgpr15_vgpr16
	s_and_saveexec_b32 s4, s5
	s_xor_b32 s4, exec_lo, s4
	s_cbranch_execz .LBB739_170
.LBB739_121:
	s_mov_b32 s5, 0
	v_mov_b32_e32 v28, s5
	v_mov_b32_e32 v1, v17
	;; [unrolled: 1-line block ×17, first 2 shown]
                                        ; implicit-def: $vgpr17_vgpr18_vgpr19_vgpr20_vgpr21_vgpr22_vgpr23_vgpr24_vgpr25_vgpr26_vgpr27_vgpr28_vgpr29_vgpr30_vgpr31_vgpr32
	s_or_saveexec_b32 s18, s4
	s_xor_b32 s5, s23, -1
	s_xor_b32 exec_lo, exec_lo, s18
	s_cbranch_execnz .LBB739_171
.LBB739_122:
	s_or_b32 exec_lo, exec_lo, s18
                                        ; implicit-def: $vgpr17_vgpr18_vgpr19_vgpr20_vgpr21_vgpr22_vgpr23_vgpr24_vgpr25_vgpr26_vgpr27_vgpr28_vgpr29_vgpr30_vgpr31_vgpr32
	s_and_saveexec_b32 s4, s5
	s_xor_b32 s4, exec_lo, s4
	s_cbranch_execz .LBB739_174
.LBB739_123:
	s_mov_b32 s5, 0
	v_mov_b32_e32 v13, s5
	v_mov_b32_e32 v32, v16
	v_mov_b32_e32 v31, v15
	v_mov_b32_e32 v30, v14
	v_mov_b32_e32 v28, v12
	v_mov_b32_e32 v29, v13
	v_mov_b32_e32 v27, v11
	v_mov_b32_e32 v26, v10
	v_mov_b32_e32 v25, v9
	v_mov_b32_e32 v24, v8
	v_mov_b32_e32 v23, v7
	v_mov_b32_e32 v22, v6
	v_mov_b32_e32 v21, v5
	v_mov_b32_e32 v20, v4
	v_mov_b32_e32 v19, v3
	v_mov_b32_e32 v18, v2
	v_mov_b32_e32 v17, v1
                                        ; implicit-def: $vgpr1_vgpr2_vgpr3_vgpr4_vgpr5_vgpr6_vgpr7_vgpr8_vgpr9_vgpr10_vgpr11_vgpr12_vgpr13_vgpr14_vgpr15_vgpr16
	s_or_saveexec_b32 s18, s4
	s_xor_b32 s5, s22, -1
	s_xor_b32 exec_lo, exec_lo, s18
	s_cbranch_execnz .LBB739_175
.LBB739_124:
	s_or_b32 exec_lo, exec_lo, s18
                                        ; implicit-def: $vgpr1_vgpr2_vgpr3_vgpr4_vgpr5_vgpr6_vgpr7_vgpr8_vgpr9_vgpr10_vgpr11_vgpr12_vgpr13_vgpr14_vgpr15_vgpr16
	s_and_saveexec_b32 s4, s5
	s_xor_b32 s4, exec_lo, s4
	s_cbranch_execz .LBB739_178
.LBB739_125:
	s_mov_b32 s5, 0
	v_mov_b32_e32 v30, s5
	v_mov_b32_e32 v1, v17
	;; [unrolled: 1-line block ×17, first 2 shown]
                                        ; implicit-def: $vgpr17_vgpr18_vgpr19_vgpr20_vgpr21_vgpr22_vgpr23_vgpr24_vgpr25_vgpr26_vgpr27_vgpr28_vgpr29_vgpr30_vgpr31_vgpr32
	s_or_saveexec_b32 s18, s4
	s_xor_b32 s5, s19, -1
	s_xor_b32 exec_lo, exec_lo, s18
	s_cbranch_execnz .LBB739_179
.LBB739_126:
	s_or_b32 exec_lo, exec_lo, s18
                                        ; implicit-def: $vgpr17_vgpr18_vgpr19_vgpr20_vgpr21_vgpr22_vgpr23_vgpr24_vgpr25_vgpr26_vgpr27_vgpr28_vgpr29_vgpr30_vgpr31_vgpr32
	s_and_saveexec_b32 s4, s5
	s_xor_b32 s4, exec_lo, s4
	s_cbranch_execz .LBB739_182
.LBB739_127:
	s_mov_b32 s5, 0
	v_mov_b32_e32 v15, s5
	v_mov_b32_e32 v32, v16
	;; [unrolled: 1-line block ×17, first 2 shown]
                                        ; implicit-def: $vgpr1_vgpr2_vgpr3_vgpr4_vgpr5_vgpr6_vgpr7_vgpr8_vgpr9_vgpr10_vgpr11_vgpr12_vgpr13_vgpr14_vgpr15_vgpr16
	s_or_saveexec_b32 s18, s4
	s_xor_b32 s5, s17, -1
	s_xor_b32 exec_lo, exec_lo, s18
	s_cbranch_execnz .LBB739_183
.LBB739_128:
	s_or_b32 exec_lo, exec_lo, s18
                                        ; implicit-def: $vgpr1_vgpr2_vgpr3_vgpr4_vgpr5_vgpr6_vgpr7_vgpr8_vgpr9_vgpr10_vgpr11_vgpr12_vgpr13_vgpr14_vgpr15_vgpr16
	s_and_saveexec_b32 s4, s5
	s_xor_b32 s4, exec_lo, s4
	s_cbranch_execz .LBB739_186
.LBB739_129:
	s_mov_b32 s5, 0
                                        ; implicit-def: $vgpr50_vgpr51
                                        ; implicit-def: $vgpr58
	v_mov_b32_e32 v32, s5
	v_mov_b32_e32 v1, v17
	;; [unrolled: 1-line block ×17, first 2 shown]
                                        ; implicit-def: $vgpr17_vgpr18_vgpr19_vgpr20_vgpr21_vgpr22_vgpr23_vgpr24_vgpr25_vgpr26_vgpr27_vgpr28_vgpr29_vgpr30_vgpr31_vgpr32
	s_andn2_saveexec_b32 s5, s4
	s_cbranch_execz .LBB739_190
	s_branch .LBB739_187
.LBB739_130:
	s_or_saveexec_b32 s18, s4
	s_xor_b32 s5, s34, -1
	s_xor_b32 exec_lo, exec_lo, s18
	s_cbranch_execz .LBB739_102
.LBB739_131:
	global_load_ubyte v16, v[50:51], off offset:32
	s_mov_b32 s34, 0
	s_waitcnt vmcnt(0)
	v_and_b32_e32 v16, 1, v16
	v_cmp_eq_u32_e64 s4, 1, v16
	v_mov_b32_e32 v31, v15
	v_mov_b32_e32 v17, v1
	;; [unrolled: 1-line block ×17, first 2 shown]
	s_xor_b32 s4, s4, -1
	s_and_saveexec_b32 s34, s4
	s_xor_b32 s34, exec_lo, s34
	s_cbranch_execz .LBB739_133
; %bb.132:
	v_sub_f32_e32 v1, v32, v58
	v_mul_f32_e32 v16, 0x3fb8aa3b, v1
	v_cmp_ngt_f32_e64 s4, 0xc2ce8ed0, v1
	v_fma_f32 v17, 0x3fb8aa3b, v1, -v16
	v_rndne_f32_e32 v18, v16
	v_fmamk_f32 v17, v1, 0x32a5705f, v17
	v_sub_f32_e32 v16, v16, v18
	v_add_f32_e32 v16, v16, v17
	v_cvt_i32_f32_e32 v17, v18
	v_exp_f32_e32 v16, v16
	v_ldexp_f32 v16, v16, v17
	v_cndmask_b32_e64 v16, 0, v16, s4
	v_cmp_nlt_f32_e64 s4, 0x42b17218, v1
	v_cndmask_b32_e64 v1, 0x7f800000, v16, s4
	v_mov_b32_e32 v31, v15
	v_mov_b32_e32 v30, v14
	;; [unrolled: 1-line block ×4, first 2 shown]
	v_add_f32_e32 v32, v0, v1
	v_mov_b32_e32 v27, v11
	v_mov_b32_e32 v26, v10
	;; [unrolled: 1-line block ×13, first 2 shown]
.LBB739_133:
	s_andn2_saveexec_b32 s4, s34
	s_or_b32 exec_lo, exec_lo, s4
	s_or_b32 exec_lo, exec_lo, s18
                                        ; implicit-def: $vgpr32_vgpr33_vgpr34_vgpr35_vgpr36_vgpr37_vgpr38_vgpr39_vgpr40_vgpr41_vgpr42_vgpr43_vgpr44_vgpr45_vgpr46_vgpr47
	s_and_saveexec_b32 s4, s5
	s_xor_b32 s4, exec_lo, s4
	s_cbranch_execnz .LBB739_103
.LBB739_134:
	s_or_saveexec_b32 s18, s4
	s_xor_b32 s5, s33, -1
	s_xor_b32 exec_lo, exec_lo, s18
	s_cbranch_execz .LBB739_104
.LBB739_135:
	global_load_ubyte v1, v[50:51], off offset:64
	s_mov_b32 s33, 0
	v_mov_b32_e32 v47, v31
	v_mov_b32_e32 v34, v18
	;; [unrolled: 1-line block ×17, first 2 shown]
	s_waitcnt vmcnt(0)
	v_and_b32_e32 v1, 1, v1
	v_cmp_eq_u32_e64 s4, 1, v1
	s_xor_b32 s4, s4, -1
	s_and_saveexec_b32 s33, s4
	s_xor_b32 s33, exec_lo, s33
	s_cbranch_execz .LBB739_137
; %bb.136:
	v_sub_f32_e32 v1, v18, v58
	v_mul_f32_e32 v2, 0x3fb8aa3b, v1
	v_cmp_ngt_f32_e64 s4, 0xc2ce8ed0, v1
	v_fma_f32 v3, 0x3fb8aa3b, v1, -v2
	v_rndne_f32_e32 v4, v2
	v_fmamk_f32 v3, v1, 0x32a5705f, v3
	v_sub_f32_e32 v2, v2, v4
	v_add_f32_e32 v2, v2, v3
	v_cvt_i32_f32_e32 v3, v4
	v_exp_f32_e32 v2, v2
	v_ldexp_f32 v2, v2, v3
	v_cndmask_b32_e64 v2, 0, v2, s4
	v_cmp_nlt_f32_e64 s4, 0x42b17218, v1
	v_cndmask_b32_e64 v18, 0x7f800000, v2, s4
	v_mov_b32_e32 v47, v31
	v_mov_b32_e32 v46, v30
	;; [unrolled: 1-line block ×16, first 2 shown]
	v_add_f32_e32 v0, v0, v18
.LBB739_137:
	s_andn2_saveexec_b32 s4, s33
	s_or_b32 exec_lo, exec_lo, s4
	s_or_b32 exec_lo, exec_lo, s18
                                        ; implicit-def: $vgpr1_vgpr2_vgpr3_vgpr4_vgpr5_vgpr6_vgpr7_vgpr8_vgpr9_vgpr10_vgpr11_vgpr12_vgpr13_vgpr14_vgpr15_vgpr16
	s_and_saveexec_b32 s4, s5
	s_xor_b32 s4, exec_lo, s4
	s_cbranch_execnz .LBB739_105
.LBB739_138:
	s_or_saveexec_b32 s18, s4
	s_xor_b32 s5, s31, -1
	s_xor_b32 exec_lo, exec_lo, s18
	s_cbranch_execz .LBB739_106
.LBB739_139:
	global_load_ubyte v1, v[50:51], off offset:96
	s_mov_b32 s31, 0
	s_waitcnt vmcnt(0)
	v_and_b32_e32 v1, 1, v1
	v_cmp_eq_u32_e64 s4, 1, v1
	v_mov_b32_e32 v1, v32
	v_mov_b32_e32 v4, v35
	;; [unrolled: 1-line block ×17, first 2 shown]
	s_xor_b32 s4, s4, -1
	s_and_saveexec_b32 s31, s4
	s_xor_b32 s31, exec_lo, s31
	s_cbranch_execz .LBB739_141
; %bb.140:
	v_sub_f32_e32 v1, v35, v58
	v_mul_f32_e32 v2, 0x3fb8aa3b, v1
	v_cmp_ngt_f32_e64 s4, 0xc2ce8ed0, v1
	v_fma_f32 v3, 0x3fb8aa3b, v1, -v2
	v_rndne_f32_e32 v4, v2
	v_fmamk_f32 v3, v1, 0x32a5705f, v3
	v_sub_f32_e32 v2, v2, v4
	v_add_f32_e32 v2, v2, v3
	v_cvt_i32_f32_e32 v3, v4
	v_exp_f32_e32 v2, v2
	v_ldexp_f32 v2, v2, v3
	v_cndmask_b32_e64 v2, 0, v2, s4
	v_cmp_nlt_f32_e64 s4, 0x42b17218, v1
	v_cndmask_b32_e64 v35, 0x7f800000, v2, s4
	v_mov_b32_e32 v1, v32
	v_mov_b32_e32 v2, v33
	;; [unrolled: 1-line block ×16, first 2 shown]
	v_add_f32_e32 v0, v0, v35
.LBB739_141:
	s_andn2_saveexec_b32 s4, s31
	s_or_b32 exec_lo, exec_lo, s4
	s_or_b32 exec_lo, exec_lo, s18
                                        ; implicit-def: $vgpr17_vgpr18_vgpr19_vgpr20_vgpr21_vgpr22_vgpr23_vgpr24_vgpr25_vgpr26_vgpr27_vgpr28_vgpr29_vgpr30_vgpr31_vgpr32
	s_and_saveexec_b32 s4, s5
	s_xor_b32 s4, exec_lo, s4
	s_cbranch_execnz .LBB739_107
.LBB739_142:
	s_or_saveexec_b32 s18, s4
	s_xor_b32 s5, s30, -1
	s_xor_b32 exec_lo, exec_lo, s18
	s_cbranch_execz .LBB739_108
.LBB739_143:
	global_load_ubyte v17, v[50:51], off offset:128
	s_mov_b32 s30, 0
	s_waitcnt vmcnt(0)
	v_and_b32_e32 v17, 1, v17
	v_cmp_eq_u32_e64 s4, 1, v17
	v_mov_b32_e32 v32, v16
	v_mov_b32_e32 v21, v5
	;; [unrolled: 1-line block ×17, first 2 shown]
	s_xor_b32 s4, s4, -1
	s_and_saveexec_b32 s30, s4
	s_xor_b32 s30, exec_lo, s30
	s_cbranch_execz .LBB739_145
; %bb.144:
	v_sub_f32_e32 v5, v5, v58
	v_mul_f32_e32 v17, 0x3fb8aa3b, v5
	v_cmp_ngt_f32_e64 s4, 0xc2ce8ed0, v5
	v_fma_f32 v18, 0x3fb8aa3b, v5, -v17
	v_rndne_f32_e32 v19, v17
	v_fmamk_f32 v18, v5, 0x32a5705f, v18
	v_sub_f32_e32 v17, v17, v19
	v_add_f32_e32 v17, v17, v18
	v_cvt_i32_f32_e32 v18, v19
	v_exp_f32_e32 v17, v17
	v_ldexp_f32 v17, v17, v18
	v_cndmask_b32_e64 v17, 0, v17, s4
	v_cmp_nlt_f32_e64 s4, 0x42b17218, v5
	v_cndmask_b32_e64 v5, 0x7f800000, v17, s4
	v_mov_b32_e32 v32, v16
	v_mov_b32_e32 v31, v15
	;; [unrolled: 1-line block ×16, first 2 shown]
	v_add_f32_e32 v0, v0, v5
.LBB739_145:
	s_andn2_saveexec_b32 s4, s30
	s_or_b32 exec_lo, exec_lo, s4
	s_or_b32 exec_lo, exec_lo, s18
                                        ; implicit-def: $vgpr1_vgpr2_vgpr3_vgpr4_vgpr5_vgpr6_vgpr7_vgpr8_vgpr9_vgpr10_vgpr11_vgpr12_vgpr13_vgpr14_vgpr15_vgpr16
	s_and_saveexec_b32 s4, s5
	s_xor_b32 s4, exec_lo, s4
	s_cbranch_execnz .LBB739_109
.LBB739_146:
	s_or_saveexec_b32 s18, s4
	s_xor_b32 s5, s29, -1
	s_xor_b32 exec_lo, exec_lo, s18
	s_cbranch_execz .LBB739_110
.LBB739_147:
	global_load_ubyte v1, v[50:51], off offset:160
	s_mov_b32 s29, 0
	s_waitcnt vmcnt(0)
	v_and_b32_e32 v1, 1, v1
	v_cmp_eq_u32_e64 s4, 1, v1
	v_mov_b32_e32 v1, v17
	v_mov_b32_e32 v6, v22
	;; [unrolled: 1-line block ×17, first 2 shown]
	s_xor_b32 s4, s4, -1
	s_and_saveexec_b32 s29, s4
	s_xor_b32 s29, exec_lo, s29
	s_cbranch_execz .LBB739_149
; %bb.148:
	v_sub_f32_e32 v1, v22, v58
	v_mul_f32_e32 v2, 0x3fb8aa3b, v1
	v_cmp_ngt_f32_e64 s4, 0xc2ce8ed0, v1
	v_fma_f32 v3, 0x3fb8aa3b, v1, -v2
	v_rndne_f32_e32 v4, v2
	v_fmamk_f32 v3, v1, 0x32a5705f, v3
	v_sub_f32_e32 v2, v2, v4
	v_add_f32_e32 v2, v2, v3
	v_cvt_i32_f32_e32 v3, v4
	v_exp_f32_e32 v2, v2
	v_ldexp_f32 v2, v2, v3
	v_cndmask_b32_e64 v2, 0, v2, s4
	v_cmp_nlt_f32_e64 s4, 0x42b17218, v1
	v_cndmask_b32_e64 v22, 0x7f800000, v2, s4
	v_mov_b32_e32 v1, v17
	v_mov_b32_e32 v2, v18
	v_mov_b32_e32 v3, v19
	v_mov_b32_e32 v4, v20
	v_mov_b32_e32 v5, v21
	v_mov_b32_e32 v6, v22
	v_mov_b32_e32 v7, v23
	v_mov_b32_e32 v8, v24
	v_mov_b32_e32 v9, v25
	v_mov_b32_e32 v10, v26
	v_mov_b32_e32 v11, v27
	v_mov_b32_e32 v12, v28
	v_mov_b32_e32 v13, v29
	v_mov_b32_e32 v14, v30
	v_mov_b32_e32 v15, v31
	v_mov_b32_e32 v16, v32
	v_add_f32_e32 v0, v0, v22
.LBB739_149:
	s_andn2_saveexec_b32 s4, s29
	s_or_b32 exec_lo, exec_lo, s4
	s_or_b32 exec_lo, exec_lo, s18
                                        ; implicit-def: $vgpr17_vgpr18_vgpr19_vgpr20_vgpr21_vgpr22_vgpr23_vgpr24_vgpr25_vgpr26_vgpr27_vgpr28_vgpr29_vgpr30_vgpr31_vgpr32
	s_and_saveexec_b32 s4, s5
	s_xor_b32 s4, exec_lo, s4
	s_cbranch_execnz .LBB739_111
.LBB739_150:
	s_or_saveexec_b32 s18, s4
	s_xor_b32 s5, s28, -1
	s_xor_b32 exec_lo, exec_lo, s18
	s_cbranch_execz .LBB739_112
.LBB739_151:
	global_load_ubyte v17, v[50:51], off offset:192
	s_mov_b32 s28, 0
	s_waitcnt vmcnt(0)
	v_and_b32_e32 v17, 1, v17
	v_cmp_eq_u32_e64 s4, 1, v17
	v_mov_b32_e32 v32, v16
	v_mov_b32_e32 v23, v7
	v_mov_b32_e32 v31, v15
	v_mov_b32_e32 v30, v14
	v_mov_b32_e32 v29, v13
	v_mov_b32_e32 v28, v12
	v_mov_b32_e32 v27, v11
	v_mov_b32_e32 v26, v10
	v_mov_b32_e32 v25, v9
	v_mov_b32_e32 v24, v8
	v_mov_b32_e32 v22, v6
	v_mov_b32_e32 v21, v5
	v_mov_b32_e32 v20, v4
	v_mov_b32_e32 v19, v3
	v_mov_b32_e32 v18, v2
	v_mov_b32_e32 v17, v1
	v_mov_b32_e32 v23, s28
	s_xor_b32 s4, s4, -1
	s_and_saveexec_b32 s28, s4
	s_xor_b32 s28, exec_lo, s28
	s_cbranch_execz .LBB739_153
; %bb.152:
	v_sub_f32_e32 v7, v7, v58
	v_mul_f32_e32 v17, 0x3fb8aa3b, v7
	v_cmp_ngt_f32_e64 s4, 0xc2ce8ed0, v7
	v_fma_f32 v18, 0x3fb8aa3b, v7, -v17
	v_rndne_f32_e32 v19, v17
	v_fmamk_f32 v18, v7, 0x32a5705f, v18
	v_sub_f32_e32 v17, v17, v19
	v_add_f32_e32 v17, v17, v18
	v_cvt_i32_f32_e32 v18, v19
	v_exp_f32_e32 v17, v17
	v_ldexp_f32 v17, v17, v18
	v_cndmask_b32_e64 v17, 0, v17, s4
	v_cmp_nlt_f32_e64 s4, 0x42b17218, v7
	v_cndmask_b32_e64 v7, 0x7f800000, v17, s4
	v_mov_b32_e32 v32, v16
	v_mov_b32_e32 v31, v15
	;; [unrolled: 1-line block ×16, first 2 shown]
	v_add_f32_e32 v0, v0, v7
.LBB739_153:
	s_andn2_saveexec_b32 s4, s28
	s_or_b32 exec_lo, exec_lo, s4
	s_or_b32 exec_lo, exec_lo, s18
                                        ; implicit-def: $vgpr1_vgpr2_vgpr3_vgpr4_vgpr5_vgpr6_vgpr7_vgpr8_vgpr9_vgpr10_vgpr11_vgpr12_vgpr13_vgpr14_vgpr15_vgpr16
	s_and_saveexec_b32 s4, s5
	s_xor_b32 s4, exec_lo, s4
	s_cbranch_execnz .LBB739_113
.LBB739_154:
	s_or_saveexec_b32 s18, s4
	s_xor_b32 s5, s27, -1
	s_xor_b32 exec_lo, exec_lo, s18
	s_cbranch_execz .LBB739_114
.LBB739_155:
	global_load_ubyte v1, v[50:51], off offset:224
	s_mov_b32 s27, 0
	s_waitcnt vmcnt(0)
	v_and_b32_e32 v1, 1, v1
	v_cmp_eq_u32_e64 s4, 1, v1
	v_mov_b32_e32 v1, v17
	v_mov_b32_e32 v8, v24
	;; [unrolled: 1-line block ×17, first 2 shown]
	s_xor_b32 s4, s4, -1
	s_and_saveexec_b32 s27, s4
	s_xor_b32 s27, exec_lo, s27
	s_cbranch_execz .LBB739_157
; %bb.156:
	v_sub_f32_e32 v1, v24, v58
	v_mul_f32_e32 v2, 0x3fb8aa3b, v1
	v_cmp_ngt_f32_e64 s4, 0xc2ce8ed0, v1
	v_fma_f32 v3, 0x3fb8aa3b, v1, -v2
	v_rndne_f32_e32 v4, v2
	v_fmamk_f32 v3, v1, 0x32a5705f, v3
	v_sub_f32_e32 v2, v2, v4
	v_add_f32_e32 v2, v2, v3
	v_cvt_i32_f32_e32 v3, v4
	v_exp_f32_e32 v2, v2
	v_ldexp_f32 v2, v2, v3
	v_cndmask_b32_e64 v2, 0, v2, s4
	v_cmp_nlt_f32_e64 s4, 0x42b17218, v1
	v_cndmask_b32_e64 v24, 0x7f800000, v2, s4
	v_mov_b32_e32 v1, v17
	v_mov_b32_e32 v2, v18
	;; [unrolled: 1-line block ×16, first 2 shown]
	v_add_f32_e32 v0, v0, v24
.LBB739_157:
	s_andn2_saveexec_b32 s4, s27
	s_or_b32 exec_lo, exec_lo, s4
	s_or_b32 exec_lo, exec_lo, s18
                                        ; implicit-def: $vgpr17_vgpr18_vgpr19_vgpr20_vgpr21_vgpr22_vgpr23_vgpr24_vgpr25_vgpr26_vgpr27_vgpr28_vgpr29_vgpr30_vgpr31_vgpr32
	s_and_saveexec_b32 s4, s5
	s_xor_b32 s4, exec_lo, s4
	s_cbranch_execnz .LBB739_115
.LBB739_158:
	s_or_saveexec_b32 s18, s4
	s_xor_b32 s5, s26, -1
	s_xor_b32 exec_lo, exec_lo, s18
	s_cbranch_execz .LBB739_116
.LBB739_159:
	global_load_ubyte v17, v[50:51], off offset:256
	s_mov_b32 s26, 0
	s_waitcnt vmcnt(0)
	v_and_b32_e32 v17, 1, v17
	v_cmp_eq_u32_e64 s4, 1, v17
	v_mov_b32_e32 v32, v16
	v_mov_b32_e32 v25, v9
	;; [unrolled: 1-line block ×17, first 2 shown]
	s_xor_b32 s4, s4, -1
	s_and_saveexec_b32 s26, s4
	s_xor_b32 s26, exec_lo, s26
	s_cbranch_execz .LBB739_161
; %bb.160:
	v_sub_f32_e32 v9, v9, v58
	v_mul_f32_e32 v17, 0x3fb8aa3b, v9
	v_cmp_ngt_f32_e64 s4, 0xc2ce8ed0, v9
	v_fma_f32 v18, 0x3fb8aa3b, v9, -v17
	v_rndne_f32_e32 v19, v17
	v_fmamk_f32 v18, v9, 0x32a5705f, v18
	v_sub_f32_e32 v17, v17, v19
	v_add_f32_e32 v17, v17, v18
	v_cvt_i32_f32_e32 v18, v19
	v_exp_f32_e32 v17, v17
	v_ldexp_f32 v17, v17, v18
	v_cndmask_b32_e64 v17, 0, v17, s4
	v_cmp_nlt_f32_e64 s4, 0x42b17218, v9
	v_cndmask_b32_e64 v9, 0x7f800000, v17, s4
	v_mov_b32_e32 v32, v16
	v_mov_b32_e32 v31, v15
	;; [unrolled: 1-line block ×16, first 2 shown]
	v_add_f32_e32 v0, v0, v9
.LBB739_161:
	s_andn2_saveexec_b32 s4, s26
	s_or_b32 exec_lo, exec_lo, s4
	s_or_b32 exec_lo, exec_lo, s18
                                        ; implicit-def: $vgpr1_vgpr2_vgpr3_vgpr4_vgpr5_vgpr6_vgpr7_vgpr8_vgpr9_vgpr10_vgpr11_vgpr12_vgpr13_vgpr14_vgpr15_vgpr16
	s_and_saveexec_b32 s4, s5
	s_xor_b32 s4, exec_lo, s4
	s_cbranch_execnz .LBB739_117
.LBB739_162:
	s_or_saveexec_b32 s18, s4
	s_xor_b32 s5, s25, -1
	s_xor_b32 exec_lo, exec_lo, s18
	s_cbranch_execz .LBB739_118
.LBB739_163:
	global_load_ubyte v1, v[50:51], off offset:288
	s_mov_b32 s25, 0
	s_waitcnt vmcnt(0)
	v_and_b32_e32 v1, 1, v1
	v_cmp_eq_u32_e64 s4, 1, v1
	v_mov_b32_e32 v1, v17
	v_mov_b32_e32 v10, v26
	;; [unrolled: 1-line block ×17, first 2 shown]
	s_xor_b32 s4, s4, -1
	s_and_saveexec_b32 s25, s4
	s_xor_b32 s25, exec_lo, s25
	s_cbranch_execz .LBB739_165
; %bb.164:
	v_sub_f32_e32 v1, v26, v58
	v_mul_f32_e32 v2, 0x3fb8aa3b, v1
	v_cmp_ngt_f32_e64 s4, 0xc2ce8ed0, v1
	v_fma_f32 v3, 0x3fb8aa3b, v1, -v2
	v_rndne_f32_e32 v4, v2
	v_fmamk_f32 v3, v1, 0x32a5705f, v3
	v_sub_f32_e32 v2, v2, v4
	v_add_f32_e32 v2, v2, v3
	v_cvt_i32_f32_e32 v3, v4
	v_exp_f32_e32 v2, v2
	v_ldexp_f32 v2, v2, v3
	v_cndmask_b32_e64 v2, 0, v2, s4
	v_cmp_nlt_f32_e64 s4, 0x42b17218, v1
	v_cndmask_b32_e64 v26, 0x7f800000, v2, s4
	v_mov_b32_e32 v1, v17
	v_mov_b32_e32 v2, v18
	;; [unrolled: 1-line block ×16, first 2 shown]
	v_add_f32_e32 v0, v0, v26
.LBB739_165:
	s_andn2_saveexec_b32 s4, s25
	s_or_b32 exec_lo, exec_lo, s4
	s_or_b32 exec_lo, exec_lo, s18
                                        ; implicit-def: $vgpr17_vgpr18_vgpr19_vgpr20_vgpr21_vgpr22_vgpr23_vgpr24_vgpr25_vgpr26_vgpr27_vgpr28_vgpr29_vgpr30_vgpr31_vgpr32
	s_and_saveexec_b32 s4, s5
	s_xor_b32 s4, exec_lo, s4
	s_cbranch_execnz .LBB739_119
.LBB739_166:
	s_or_saveexec_b32 s18, s4
	s_xor_b32 s5, s24, -1
	s_xor_b32 exec_lo, exec_lo, s18
	s_cbranch_execz .LBB739_120
.LBB739_167:
	global_load_ubyte v17, v[50:51], off offset:320
	s_mov_b32 s24, 0
	s_waitcnt vmcnt(0)
	v_and_b32_e32 v17, 1, v17
	v_cmp_eq_u32_e64 s4, 1, v17
	v_mov_b32_e32 v32, v16
	v_mov_b32_e32 v27, v11
	;; [unrolled: 1-line block ×17, first 2 shown]
	s_xor_b32 s4, s4, -1
	s_and_saveexec_b32 s24, s4
	s_xor_b32 s24, exec_lo, s24
	s_cbranch_execz .LBB739_169
; %bb.168:
	v_sub_f32_e32 v11, v11, v58
	v_mul_f32_e32 v17, 0x3fb8aa3b, v11
	v_cmp_ngt_f32_e64 s4, 0xc2ce8ed0, v11
	v_fma_f32 v18, 0x3fb8aa3b, v11, -v17
	v_rndne_f32_e32 v19, v17
	v_fmamk_f32 v18, v11, 0x32a5705f, v18
	v_sub_f32_e32 v17, v17, v19
	v_add_f32_e32 v17, v17, v18
	v_cvt_i32_f32_e32 v18, v19
	v_exp_f32_e32 v17, v17
	v_ldexp_f32 v17, v17, v18
	v_cndmask_b32_e64 v17, 0, v17, s4
	v_cmp_nlt_f32_e64 s4, 0x42b17218, v11
	v_cndmask_b32_e64 v11, 0x7f800000, v17, s4
	v_mov_b32_e32 v32, v16
	v_mov_b32_e32 v31, v15
	;; [unrolled: 1-line block ×16, first 2 shown]
	v_add_f32_e32 v0, v0, v11
.LBB739_169:
	s_andn2_saveexec_b32 s4, s24
	s_or_b32 exec_lo, exec_lo, s4
	s_or_b32 exec_lo, exec_lo, s18
                                        ; implicit-def: $vgpr1_vgpr2_vgpr3_vgpr4_vgpr5_vgpr6_vgpr7_vgpr8_vgpr9_vgpr10_vgpr11_vgpr12_vgpr13_vgpr14_vgpr15_vgpr16
	s_and_saveexec_b32 s4, s5
	s_xor_b32 s4, exec_lo, s4
	s_cbranch_execnz .LBB739_121
.LBB739_170:
	s_or_saveexec_b32 s18, s4
	s_xor_b32 s5, s23, -1
	s_xor_b32 exec_lo, exec_lo, s18
	s_cbranch_execz .LBB739_122
.LBB739_171:
	global_load_ubyte v1, v[50:51], off offset:352
	s_mov_b32 s23, 0
	s_waitcnt vmcnt(0)
	v_and_b32_e32 v1, 1, v1
	v_cmp_eq_u32_e64 s4, 1, v1
	v_mov_b32_e32 v1, v17
	v_mov_b32_e32 v12, v28
	;; [unrolled: 1-line block ×17, first 2 shown]
	s_xor_b32 s4, s4, -1
	s_and_saveexec_b32 s23, s4
	s_xor_b32 s23, exec_lo, s23
	s_cbranch_execz .LBB739_173
; %bb.172:
	v_sub_f32_e32 v1, v28, v58
	v_mul_f32_e32 v2, 0x3fb8aa3b, v1
	v_cmp_ngt_f32_e64 s4, 0xc2ce8ed0, v1
	v_fma_f32 v3, 0x3fb8aa3b, v1, -v2
	v_rndne_f32_e32 v4, v2
	v_fmamk_f32 v3, v1, 0x32a5705f, v3
	v_sub_f32_e32 v2, v2, v4
	v_add_f32_e32 v2, v2, v3
	v_cvt_i32_f32_e32 v3, v4
	v_exp_f32_e32 v2, v2
	v_ldexp_f32 v2, v2, v3
	v_cndmask_b32_e64 v2, 0, v2, s4
	v_cmp_nlt_f32_e64 s4, 0x42b17218, v1
	v_cndmask_b32_e64 v28, 0x7f800000, v2, s4
	v_mov_b32_e32 v1, v17
	v_mov_b32_e32 v2, v18
	;; [unrolled: 1-line block ×16, first 2 shown]
	v_add_f32_e32 v0, v0, v28
.LBB739_173:
	s_andn2_saveexec_b32 s4, s23
	s_or_b32 exec_lo, exec_lo, s4
	s_or_b32 exec_lo, exec_lo, s18
                                        ; implicit-def: $vgpr17_vgpr18_vgpr19_vgpr20_vgpr21_vgpr22_vgpr23_vgpr24_vgpr25_vgpr26_vgpr27_vgpr28_vgpr29_vgpr30_vgpr31_vgpr32
	s_and_saveexec_b32 s4, s5
	s_xor_b32 s4, exec_lo, s4
	s_cbranch_execnz .LBB739_123
.LBB739_174:
	s_or_saveexec_b32 s18, s4
	s_xor_b32 s5, s22, -1
	s_xor_b32 exec_lo, exec_lo, s18
	s_cbranch_execz .LBB739_124
.LBB739_175:
	global_load_ubyte v17, v[50:51], off offset:384
	s_mov_b32 s22, 0
	s_waitcnt vmcnt(0)
	v_and_b32_e32 v17, 1, v17
	v_cmp_eq_u32_e64 s4, 1, v17
	v_mov_b32_e32 v32, v16
	v_mov_b32_e32 v29, v13
	;; [unrolled: 1-line block ×17, first 2 shown]
	s_xor_b32 s4, s4, -1
	s_and_saveexec_b32 s22, s4
	s_xor_b32 s22, exec_lo, s22
	s_cbranch_execz .LBB739_177
; %bb.176:
	v_sub_f32_e32 v13, v13, v58
	v_mul_f32_e32 v17, 0x3fb8aa3b, v13
	v_cmp_ngt_f32_e64 s4, 0xc2ce8ed0, v13
	v_fma_f32 v18, 0x3fb8aa3b, v13, -v17
	v_rndne_f32_e32 v19, v17
	v_fmamk_f32 v18, v13, 0x32a5705f, v18
	v_sub_f32_e32 v17, v17, v19
	v_add_f32_e32 v17, v17, v18
	v_cvt_i32_f32_e32 v18, v19
	v_exp_f32_e32 v17, v17
	v_ldexp_f32 v17, v17, v18
	v_cndmask_b32_e64 v17, 0, v17, s4
	v_cmp_nlt_f32_e64 s4, 0x42b17218, v13
	v_cndmask_b32_e64 v13, 0x7f800000, v17, s4
	v_mov_b32_e32 v32, v16
	v_mov_b32_e32 v31, v15
	v_mov_b32_e32 v30, v14
	v_mov_b32_e32 v28, v12
	v_mov_b32_e32 v29, v13
	v_mov_b32_e32 v27, v11
	v_mov_b32_e32 v26, v10
	v_mov_b32_e32 v25, v9
	v_mov_b32_e32 v24, v8
	v_mov_b32_e32 v23, v7
	v_mov_b32_e32 v22, v6
	v_mov_b32_e32 v21, v5
	v_mov_b32_e32 v20, v4
	v_mov_b32_e32 v19, v3
	v_mov_b32_e32 v18, v2
	v_mov_b32_e32 v17, v1
	v_add_f32_e32 v0, v0, v13
.LBB739_177:
	s_andn2_saveexec_b32 s4, s22
	s_or_b32 exec_lo, exec_lo, s4
	s_or_b32 exec_lo, exec_lo, s18
                                        ; implicit-def: $vgpr1_vgpr2_vgpr3_vgpr4_vgpr5_vgpr6_vgpr7_vgpr8_vgpr9_vgpr10_vgpr11_vgpr12_vgpr13_vgpr14_vgpr15_vgpr16
	s_and_saveexec_b32 s4, s5
	s_xor_b32 s4, exec_lo, s4
	s_cbranch_execnz .LBB739_125
.LBB739_178:
	s_or_saveexec_b32 s18, s4
	s_xor_b32 s5, s19, -1
	s_xor_b32 exec_lo, exec_lo, s18
	s_cbranch_execz .LBB739_126
.LBB739_179:
	global_load_ubyte v1, v[50:51], off offset:416
	s_mov_b32 s19, 0
	s_waitcnt vmcnt(0)
	v_and_b32_e32 v1, 1, v1
	v_cmp_eq_u32_e64 s4, 1, v1
	v_mov_b32_e32 v1, v17
	v_mov_b32_e32 v14, v30
	v_mov_b32_e32 v2, v18
	v_mov_b32_e32 v3, v19
	v_mov_b32_e32 v4, v20
	v_mov_b32_e32 v5, v21
	v_mov_b32_e32 v6, v22
	v_mov_b32_e32 v7, v23
	v_mov_b32_e32 v8, v24
	v_mov_b32_e32 v9, v25
	v_mov_b32_e32 v10, v26
	v_mov_b32_e32 v11, v27
	v_mov_b32_e32 v12, v28
	v_mov_b32_e32 v13, v29
	v_mov_b32_e32 v15, v31
	v_mov_b32_e32 v16, v32
	v_mov_b32_e32 v14, s19
	s_xor_b32 s4, s4, -1
	s_and_saveexec_b32 s19, s4
	s_xor_b32 s19, exec_lo, s19
	s_cbranch_execz .LBB739_181
; %bb.180:
	v_sub_f32_e32 v1, v30, v58
	v_mul_f32_e32 v2, 0x3fb8aa3b, v1
	v_cmp_ngt_f32_e64 s4, 0xc2ce8ed0, v1
	v_fma_f32 v3, 0x3fb8aa3b, v1, -v2
	v_rndne_f32_e32 v4, v2
	v_fmamk_f32 v3, v1, 0x32a5705f, v3
	v_sub_f32_e32 v2, v2, v4
	v_add_f32_e32 v2, v2, v3
	v_cvt_i32_f32_e32 v3, v4
	v_exp_f32_e32 v2, v2
	v_ldexp_f32 v2, v2, v3
	v_cndmask_b32_e64 v2, 0, v2, s4
	v_cmp_nlt_f32_e64 s4, 0x42b17218, v1
	v_cndmask_b32_e64 v30, 0x7f800000, v2, s4
	v_mov_b32_e32 v1, v17
	v_mov_b32_e32 v2, v18
	;; [unrolled: 1-line block ×16, first 2 shown]
	v_add_f32_e32 v0, v0, v30
.LBB739_181:
	s_andn2_saveexec_b32 s4, s19
	s_or_b32 exec_lo, exec_lo, s4
	s_or_b32 exec_lo, exec_lo, s18
                                        ; implicit-def: $vgpr17_vgpr18_vgpr19_vgpr20_vgpr21_vgpr22_vgpr23_vgpr24_vgpr25_vgpr26_vgpr27_vgpr28_vgpr29_vgpr30_vgpr31_vgpr32
	s_and_saveexec_b32 s4, s5
	s_xor_b32 s4, exec_lo, s4
	s_cbranch_execnz .LBB739_127
.LBB739_182:
	s_or_saveexec_b32 s18, s4
	s_xor_b32 s5, s17, -1
	s_xor_b32 exec_lo, exec_lo, s18
	s_cbranch_execz .LBB739_128
.LBB739_183:
	global_load_ubyte v17, v[50:51], off offset:448
	s_mov_b32 s17, 0
	s_waitcnt vmcnt(0)
	v_and_b32_e32 v17, 1, v17
	v_cmp_eq_u32_e64 s4, 1, v17
	v_mov_b32_e32 v32, v16
	v_mov_b32_e32 v31, v15
	;; [unrolled: 1-line block ×17, first 2 shown]
	s_xor_b32 s4, s4, -1
	s_and_saveexec_b32 s17, s4
	s_xor_b32 s17, exec_lo, s17
	s_cbranch_execz .LBB739_185
; %bb.184:
	v_sub_f32_e32 v15, v15, v58
	v_mul_f32_e32 v17, 0x3fb8aa3b, v15
	v_cmp_ngt_f32_e64 s4, 0xc2ce8ed0, v15
	v_fma_f32 v18, 0x3fb8aa3b, v15, -v17
	v_rndne_f32_e32 v19, v17
	v_fmamk_f32 v18, v15, 0x32a5705f, v18
	v_sub_f32_e32 v17, v17, v19
	v_add_f32_e32 v17, v17, v18
	v_cvt_i32_f32_e32 v18, v19
	v_exp_f32_e32 v17, v17
	v_ldexp_f32 v17, v17, v18
	v_cndmask_b32_e64 v17, 0, v17, s4
	v_cmp_nlt_f32_e64 s4, 0x42b17218, v15
	v_cndmask_b32_e64 v15, 0x7f800000, v17, s4
	v_mov_b32_e32 v32, v16
	v_mov_b32_e32 v30, v14
	;; [unrolled: 1-line block ×16, first 2 shown]
	v_add_f32_e32 v0, v0, v15
.LBB739_185:
	s_andn2_saveexec_b32 s4, s17
	s_or_b32 exec_lo, exec_lo, s4
	s_or_b32 exec_lo, exec_lo, s18
                                        ; implicit-def: $vgpr1_vgpr2_vgpr3_vgpr4_vgpr5_vgpr6_vgpr7_vgpr8_vgpr9_vgpr10_vgpr11_vgpr12_vgpr13_vgpr14_vgpr15_vgpr16
	s_and_saveexec_b32 s4, s5
	s_xor_b32 s4, exec_lo, s4
	s_cbranch_execnz .LBB739_129
.LBB739_186:
	s_andn2_saveexec_b32 s5, s4
	s_cbranch_execz .LBB739_190
.LBB739_187:
	global_load_ubyte v1, v[50:51], off offset:480
	s_mov_b32 s17, 0
	s_waitcnt vmcnt(0)
	v_and_b32_e32 v1, 1, v1
	v_cmp_eq_u32_e64 s4, 1, v1
	v_mov_b32_e32 v1, v17
	v_mov_b32_e32 v16, v32
	;; [unrolled: 1-line block ×17, first 2 shown]
	s_xor_b32 s4, s4, -1
	s_and_saveexec_b32 s17, s4
	s_xor_b32 s17, exec_lo, s17
	s_cbranch_execz .LBB739_189
; %bb.188:
	v_sub_f32_e32 v1, v32, v58
	v_mul_f32_e32 v2, 0x3fb8aa3b, v1
	v_cmp_ngt_f32_e64 s4, 0xc2ce8ed0, v1
	v_fma_f32 v3, 0x3fb8aa3b, v1, -v2
	v_rndne_f32_e32 v4, v2
	v_fmamk_f32 v3, v1, 0x32a5705f, v3
	v_sub_f32_e32 v2, v2, v4
	v_add_f32_e32 v2, v2, v3
	v_cvt_i32_f32_e32 v3, v4
	v_exp_f32_e32 v2, v2
	v_ldexp_f32 v2, v2, v3
	v_cndmask_b32_e64 v2, 0, v2, s4
	v_cmp_nlt_f32_e64 s4, 0x42b17218, v1
	v_cndmask_b32_e64 v32, 0x7f800000, v2, s4
	v_mov_b32_e32 v1, v17
	v_mov_b32_e32 v2, v18
	;; [unrolled: 1-line block ×16, first 2 shown]
	v_add_f32_e32 v0, v0, v32
.LBB739_189:
	s_andn2_saveexec_b32 s4, s17
	s_or_b32 exec_lo, exec_lo, s4
.LBB739_190:
	s_or_b32 exec_lo, exec_lo, s5
	ds_bpermute_b32 v17, v53, v0
	s_mov_b32 s5, exec_lo
	s_waitcnt lgkmcnt(0)
	v_add_f32_e32 v0, v0, v17
	ds_bpermute_b32 v17, v54, v0
	s_waitcnt lgkmcnt(0)
	v_add_f32_e32 v0, v0, v17
	ds_bpermute_b32 v17, v55, v0
	;; [unrolled: 3-line block ×4, first 2 shown]
	v_cmpx_lt_i32_e32 0, v52
	s_cbranch_execz .LBB739_240
; %bb.191:
	s_and_b32 exec_lo, exec_lo, vcc_lo
	s_cbranch_execz .LBB739_240
; %bb.192:
	s_waitcnt lgkmcnt(0)
	v_add_f32_e32 v17, v0, v17
	v_mov_b32_e32 v18, 0x7e00
	v_cmp_neq_f32_e64 s4, 0, v17
	s_and_saveexec_b32 s5, s4
	s_cbranch_execz .LBB739_194
; %bb.193:
	v_div_scale_f32 v0, null, v17, v17, v1
	v_rcp_f32_e32 v18, v0
	v_fma_f32 v19, -v0, v18, 1.0
	v_fmac_f32_e32 v18, v19, v18
	v_div_scale_f32 v19, vcc_lo, v1, v17, v1
	v_mul_f32_e32 v20, v19, v18
	v_fma_f32 v21, -v0, v20, v19
	v_fmac_f32_e32 v20, v21, v18
	v_fma_f32 v0, -v0, v20, v19
	v_div_fmas_f32 v0, v0, v18, v20
	v_div_fixup_f32 v0, v0, v17, v1
	v_cvt_f16_f32_e32 v18, v0
.LBB739_194:
	s_or_b32 exec_lo, exec_lo, s5
	v_add_co_u32 v0, vcc_lo, s20, v48
	v_add_co_ci_u32_e64 v1, null, s21, v49, vcc_lo
	global_store_short v[0:1], v18, off
	s_and_b32 exec_lo, exec_lo, s16
	s_cbranch_execz .LBB739_240
; %bb.195:
	v_mov_b32_e32 v18, 0x7e00
	s_and_saveexec_b32 s5, s4
	s_cbranch_execz .LBB739_197
; %bb.196:
	v_div_scale_f32 v18, null, v17, v17, v2
	v_rcp_f32_e32 v19, v18
	v_fma_f32 v20, -v18, v19, 1.0
	v_fmac_f32_e32 v19, v20, v19
	v_div_scale_f32 v20, vcc_lo, v2, v17, v2
	v_mul_f32_e32 v21, v20, v19
	v_fma_f32 v22, -v18, v21, v20
	v_fmac_f32_e32 v21, v22, v19
	v_fma_f32 v18, -v18, v21, v20
	v_div_fmas_f32 v18, v18, v19, v21
	v_div_fixup_f32 v2, v18, v17, v2
	v_cvt_f16_f32_e32 v18, v2
.LBB739_197:
	s_or_b32 exec_lo, exec_lo, s5
	global_store_short v[0:1], v18, off offset:64
	s_and_b32 exec_lo, exec_lo, s15
	s_cbranch_execz .LBB739_240
; %bb.198:
	v_mov_b32_e32 v2, 0x7e00
	s_and_saveexec_b32 s5, s4
	s_cbranch_execz .LBB739_200
; %bb.199:
	v_div_scale_f32 v2, null, v17, v17, v3
	v_rcp_f32_e32 v18, v2
	v_fma_f32 v19, -v2, v18, 1.0
	v_fmac_f32_e32 v18, v19, v18
	v_div_scale_f32 v19, vcc_lo, v3, v17, v3
	v_mul_f32_e32 v20, v19, v18
	v_fma_f32 v21, -v2, v20, v19
	v_fmac_f32_e32 v20, v21, v18
	v_fma_f32 v2, -v2, v20, v19
	v_div_fmas_f32 v2, v2, v18, v20
	v_div_fixup_f32 v2, v2, v17, v3
	v_cvt_f16_f32_e32 v2, v2
.LBB739_200:
	s_or_b32 exec_lo, exec_lo, s5
	global_store_short v[0:1], v2, off offset:128
	;; [unrolled: 22-line block ×15, first 2 shown]
.LBB739_240:
	s_endpgm
	.section	.rodata,"a",@progbits
	.p2align	6, 0x0
	.amdhsa_kernel _ZN12_GLOBAL__N_120softmax_warp_forwardIN3c104HalfES2_fLi9ELb0ELb1ELi32EEEvPT0_PKT_iiiPKbib
		.amdhsa_group_segment_fixed_size 0
		.amdhsa_private_segment_fixed_size 0
		.amdhsa_kernarg_size 304
		.amdhsa_user_sgpr_count 6
		.amdhsa_user_sgpr_private_segment_buffer 1
		.amdhsa_user_sgpr_dispatch_ptr 0
		.amdhsa_user_sgpr_queue_ptr 0
		.amdhsa_user_sgpr_kernarg_segment_ptr 1
		.amdhsa_user_sgpr_dispatch_id 0
		.amdhsa_user_sgpr_flat_scratch_init 0
		.amdhsa_user_sgpr_private_segment_size 0
		.amdhsa_wavefront_size32 1
		.amdhsa_uses_dynamic_stack 0
		.amdhsa_system_sgpr_private_segment_wavefront_offset 0
		.amdhsa_system_sgpr_workgroup_id_x 1
		.amdhsa_system_sgpr_workgroup_id_y 0
		.amdhsa_system_sgpr_workgroup_id_z 0
		.amdhsa_system_sgpr_workgroup_info 0
		.amdhsa_system_vgpr_workitem_id 1
		.amdhsa_next_free_vgpr 59
		.amdhsa_next_free_sgpr 39
		.amdhsa_reserve_vcc 1
		.amdhsa_reserve_flat_scratch 0
		.amdhsa_float_round_mode_32 0
		.amdhsa_float_round_mode_16_64 0
		.amdhsa_float_denorm_mode_32 3
		.amdhsa_float_denorm_mode_16_64 3
		.amdhsa_dx10_clamp 1
		.amdhsa_ieee_mode 1
		.amdhsa_fp16_overflow 0
		.amdhsa_workgroup_processor_mode 1
		.amdhsa_memory_ordered 1
		.amdhsa_forward_progress 1
		.amdhsa_shared_vgpr_count 0
		.amdhsa_exception_fp_ieee_invalid_op 0
		.amdhsa_exception_fp_denorm_src 0
		.amdhsa_exception_fp_ieee_div_zero 0
		.amdhsa_exception_fp_ieee_overflow 0
		.amdhsa_exception_fp_ieee_underflow 0
		.amdhsa_exception_fp_ieee_inexact 0
		.amdhsa_exception_int_div_zero 0
	.end_amdhsa_kernel
	.section	.text._ZN12_GLOBAL__N_120softmax_warp_forwardIN3c104HalfES2_fLi9ELb0ELb1ELi32EEEvPT0_PKT_iiiPKbib,"axG",@progbits,_ZN12_GLOBAL__N_120softmax_warp_forwardIN3c104HalfES2_fLi9ELb0ELb1ELi32EEEvPT0_PKT_iiiPKbib,comdat
.Lfunc_end739:
	.size	_ZN12_GLOBAL__N_120softmax_warp_forwardIN3c104HalfES2_fLi9ELb0ELb1ELi32EEEvPT0_PKT_iiiPKbib, .Lfunc_end739-_ZN12_GLOBAL__N_120softmax_warp_forwardIN3c104HalfES2_fLi9ELb0ELb1ELi32EEEvPT0_PKT_iiiPKbib
                                        ; -- End function
	.set _ZN12_GLOBAL__N_120softmax_warp_forwardIN3c104HalfES2_fLi9ELb0ELb1ELi32EEEvPT0_PKT_iiiPKbib.num_vgpr, 59
	.set _ZN12_GLOBAL__N_120softmax_warp_forwardIN3c104HalfES2_fLi9ELb0ELb1ELi32EEEvPT0_PKT_iiiPKbib.num_agpr, 0
	.set _ZN12_GLOBAL__N_120softmax_warp_forwardIN3c104HalfES2_fLi9ELb0ELb1ELi32EEEvPT0_PKT_iiiPKbib.numbered_sgpr, 39
	.set _ZN12_GLOBAL__N_120softmax_warp_forwardIN3c104HalfES2_fLi9ELb0ELb1ELi32EEEvPT0_PKT_iiiPKbib.num_named_barrier, 0
	.set _ZN12_GLOBAL__N_120softmax_warp_forwardIN3c104HalfES2_fLi9ELb0ELb1ELi32EEEvPT0_PKT_iiiPKbib.private_seg_size, 0
	.set _ZN12_GLOBAL__N_120softmax_warp_forwardIN3c104HalfES2_fLi9ELb0ELb1ELi32EEEvPT0_PKT_iiiPKbib.uses_vcc, 1
	.set _ZN12_GLOBAL__N_120softmax_warp_forwardIN3c104HalfES2_fLi9ELb0ELb1ELi32EEEvPT0_PKT_iiiPKbib.uses_flat_scratch, 0
	.set _ZN12_GLOBAL__N_120softmax_warp_forwardIN3c104HalfES2_fLi9ELb0ELb1ELi32EEEvPT0_PKT_iiiPKbib.has_dyn_sized_stack, 0
	.set _ZN12_GLOBAL__N_120softmax_warp_forwardIN3c104HalfES2_fLi9ELb0ELb1ELi32EEEvPT0_PKT_iiiPKbib.has_recursion, 0
	.set _ZN12_GLOBAL__N_120softmax_warp_forwardIN3c104HalfES2_fLi9ELb0ELb1ELi32EEEvPT0_PKT_iiiPKbib.has_indirect_call, 0
	.section	.AMDGPU.csdata,"",@progbits
; Kernel info:
; codeLenInByte = 11488
; TotalNumSgprs: 41
; NumVgprs: 59
; ScratchSize: 0
; MemoryBound: 0
; FloatMode: 240
; IeeeMode: 1
; LDSByteSize: 0 bytes/workgroup (compile time only)
; SGPRBlocks: 0
; VGPRBlocks: 7
; NumSGPRsForWavesPerEU: 41
; NumVGPRsForWavesPerEU: 59
; Occupancy: 16
; WaveLimiterHint : 0
; COMPUTE_PGM_RSRC2:SCRATCH_EN: 0
; COMPUTE_PGM_RSRC2:USER_SGPR: 6
; COMPUTE_PGM_RSRC2:TRAP_HANDLER: 0
; COMPUTE_PGM_RSRC2:TGID_X_EN: 1
; COMPUTE_PGM_RSRC2:TGID_Y_EN: 0
; COMPUTE_PGM_RSRC2:TGID_Z_EN: 0
; COMPUTE_PGM_RSRC2:TIDIG_COMP_CNT: 1
	.section	.text._ZN12_GLOBAL__N_120softmax_warp_forwardIN3c104HalfES2_fLi10ELb0ELb1ELi64EEEvPT0_PKT_iiiPKbib,"axG",@progbits,_ZN12_GLOBAL__N_120softmax_warp_forwardIN3c104HalfES2_fLi10ELb0ELb1ELi64EEEvPT0_PKT_iiiPKbib,comdat
	.globl	_ZN12_GLOBAL__N_120softmax_warp_forwardIN3c104HalfES2_fLi10ELb0ELb1ELi64EEEvPT0_PKT_iiiPKbib ; -- Begin function _ZN12_GLOBAL__N_120softmax_warp_forwardIN3c104HalfES2_fLi10ELb0ELb1ELi64EEEvPT0_PKT_iiiPKbib
	.p2align	8
	.type	_ZN12_GLOBAL__N_120softmax_warp_forwardIN3c104HalfES2_fLi10ELb0ELb1ELi64EEEvPT0_PKT_iiiPKbib,@function
_ZN12_GLOBAL__N_120softmax_warp_forwardIN3c104HalfES2_fLi10ELb0ELb1ELi64EEEvPT0_PKT_iiiPKbib: ; @_ZN12_GLOBAL__N_120softmax_warp_forwardIN3c104HalfES2_fLi10ELb0ELb1ELi64EEEvPT0_PKT_iiiPKbib
; %bb.0:
	s_clause 0x1
	s_load_dword s0, s[4:5], 0x3c
	s_load_dwordx4 s[16:19], s[4:5], 0x10
	s_waitcnt lgkmcnt(0)
	s_lshr_b32 s0, s0, 16
	v_mad_u64_u32 v[1:2], null, s6, s0, v[1:2]
	s_load_dwordx2 s[0:1], s[4:5], 0x28
	v_mul_lo_u32 v4, v1, s17
	v_add_nc_u32_e32 v2, v4, v0
	v_ashrrev_i32_e32 v3, 31, v2
	s_waitcnt lgkmcnt(0)
	s_bitcmp0_b32 s1, 0
	v_mov_b32_e32 v17, v3
	v_mov_b32_e32 v16, v2
	s_cbranch_scc1 .LBB740_2
; %bb.1:
	s_abs_i32 s1, s0
	v_sub_nc_u32_e32 v7, 0, v4
	v_cvt_f32_u32_e32 v5, s1
	s_sub_i32 s2, 0, s1
	v_max_i32_e32 v7, v4, v7
	v_rcp_iflag_f32_e32 v5, v5
	v_xor_b32_e32 v4, s0, v4
	v_ashrrev_i32_e32 v4, 31, v4
	v_mul_f32_e32 v5, 0x4f7ffffe, v5
	v_cvt_u32_f32_e32 v5, v5
	v_mul_lo_u32 v6, s2, v5
	v_mul_hi_u32 v6, v5, v6
	v_add_nc_u32_e32 v5, v5, v6
	v_mul_hi_u32 v5, v7, v5
	v_mul_lo_u32 v6, v5, s1
	v_sub_nc_u32_e32 v6, v7, v6
	v_add_nc_u32_e32 v7, 1, v5
	v_subrev_nc_u32_e32 v8, s1, v6
	v_cmp_le_u32_e32 vcc_lo, s1, v6
	v_cndmask_b32_e32 v5, v5, v7, vcc_lo
	v_cndmask_b32_e32 v6, v6, v8, vcc_lo
	v_add_nc_u32_e32 v7, 1, v5
	v_cmp_le_u32_e32 vcc_lo, s1, v6
	v_cndmask_b32_e32 v5, v5, v7, vcc_lo
	v_xor_b32_e32 v5, v5, v4
	v_sub_nc_u32_e32 v4, v5, v4
	v_mad_u64_u32 v[16:17], null, v4, s17, v[0:1]
	v_ashrrev_i32_e32 v17, 31, v16
.LBB740_2:
	s_load_dwordx4 s[20:23], s[4:5], 0x0
	v_lshlrev_b64 v[48:49], 1, v[2:3]
	v_sub_nc_u32_e32 v52, s16, v1
	v_cmp_gt_i32_e32 vcc_lo, s18, v0
	v_mov_b32_e32 v32, 0xff800000
	v_mov_b32_e32 v1, 0xff800000
	v_cmp_lt_i32_e64 s17, 0, v52
	s_and_b32 s35, s17, vcc_lo
	s_waitcnt lgkmcnt(0)
	v_add_co_u32 v18, s0, s22, v48
	v_add_co_ci_u32_e64 v19, null, s23, v49, s0
	s_and_saveexec_b32 s0, s35
	s_cbranch_execz .LBB740_4
; %bb.3:
	global_load_ushort v1, v[18:19], off
	s_waitcnt vmcnt(0)
	v_cvt_f32_f16_e32 v1, v1
.LBB740_4:
	s_or_b32 exec_lo, exec_lo, s0
	v_add_nc_u32_e32 v2, 64, v0
	v_cmp_gt_i32_e64 s16, s18, v2
	s_and_b32 s36, s17, s16
	s_and_saveexec_b32 s0, s36
	s_cbranch_execz .LBB740_6
; %bb.5:
	global_load_ushort v2, v[18:19], off offset:128
	s_waitcnt vmcnt(0)
	v_cvt_f32_f16_e32 v32, v2
.LBB740_6:
	s_or_b32 exec_lo, exec_lo, s0
	v_add_nc_u32_e32 v2, 0x80, v0
	v_mov_b32_e32 v3, 0xff800000
	v_cmp_gt_i32_e64 s15, s18, v2
	v_mov_b32_e32 v2, 0xff800000
	s_and_b32 s34, s17, s15
	s_and_saveexec_b32 s0, s34
	s_cbranch_execz .LBB740_8
; %bb.7:
	global_load_ushort v2, v[18:19], off offset:256
	s_waitcnt vmcnt(0)
	v_cvt_f32_f16_e32 v2, v2
.LBB740_8:
	s_or_b32 exec_lo, exec_lo, s0
	v_add_nc_u32_e32 v4, 0xc0, v0
	v_cmp_gt_i32_e64 s14, s18, v4
	s_and_b32 s33, s17, s14
	s_and_saveexec_b32 s0, s33
	s_cbranch_execz .LBB740_10
; %bb.9:
	global_load_ushort v3, v[18:19], off offset:384
	s_waitcnt vmcnt(0)
	v_cvt_f32_f16_e32 v3, v3
.LBB740_10:
	s_or_b32 exec_lo, exec_lo, s0
	v_add_nc_u32_e32 v4, 0x100, v0
	v_mov_b32_e32 v5, 0xff800000
	v_cmp_gt_i32_e64 s13, s18, v4
	v_mov_b32_e32 v4, 0xff800000
	s_and_b32 s31, s17, s13
	s_and_saveexec_b32 s0, s31
	s_cbranch_execz .LBB740_12
; %bb.11:
	global_load_ushort v4, v[18:19], off offset:512
	s_waitcnt vmcnt(0)
	v_cvt_f32_f16_e32 v4, v4
.LBB740_12:
	;; [unrolled: 24-line block ×7, first 2 shown]
	s_or_b32 exec_lo, exec_lo, s0
	v_add_nc_u32_e32 v0, 0x3c0, v0
	v_cmp_gt_i32_e64 s0, s18, v0
	s_and_b32 s17, s17, s0
	s_and_saveexec_b32 s18, s17
	s_cbranch_execz .LBB740_34
; %bb.33:
	global_load_ushort v0, v[18:19], off offset:1920
	s_waitcnt vmcnt(0)
	v_cvt_f32_f16_e32 v15, v0
.LBB740_34:
	s_or_b32 exec_lo, exec_lo, s18
	s_load_dwordx2 s[4:5], s[4:5], 0x20
	s_waitcnt lgkmcnt(0)
	v_add_co_u32 v50, s4, s4, v16
	v_add_co_ci_u32_e64 v51, null, s5, v17, s4
	s_mov_b32 s5, 0
	s_and_saveexec_b32 s18, s35
	s_cbranch_execz .LBB740_64
; %bb.35:
	global_load_ubyte v0, v[50:51], off
	s_waitcnt vmcnt(0)
	v_and_b32_e32 v0, 1, v0
	v_cmp_eq_u32_e64 s4, 1, v0
	s_xor_b32 s4, s4, -1
	s_and_b32 s5, s4, exec_lo
	s_or_b32 exec_lo, exec_lo, s18
	v_mov_b32_e32 v0, v1
	s_and_saveexec_b32 s18, s36
	s_cbranch_execnz .LBB740_65
.LBB740_36:
	s_or_b32 exec_lo, exec_lo, s18
	s_and_saveexec_b32 s18, s34
	s_cbranch_execz .LBB740_68
.LBB740_37:
	global_load_ubyte v16, v[50:51], off offset:128
	s_waitcnt vmcnt(0)
	v_and_b32_e32 v16, 1, v16
	v_cmp_eq_u32_e64 s4, 1, v16
	s_xor_b32 s38, s4, -1
	s_mov_b32 s4, s5
	s_and_saveexec_b32 s37, s38
; %bb.38:
	v_cmp_gt_f32_e64 s4, v0, v2
	s_and_b32 s4, s5, s4
	v_cndmask_b32_e64 v0, v2, v0, s4
	s_or_b32 s4, s5, exec_lo
; %bb.39:
	s_or_b32 exec_lo, exec_lo, s37
	s_andn2_b32 s5, s5, exec_lo
	s_and_b32 s4, s4, exec_lo
	s_or_b32 s5, s5, s4
	s_or_b32 exec_lo, exec_lo, s18
	s_and_saveexec_b32 s18, s33
	s_cbranch_execnz .LBB740_69
.LBB740_40:
	s_or_b32 exec_lo, exec_lo, s18
	s_and_saveexec_b32 s18, s31
	s_cbranch_execz .LBB740_72
.LBB740_41:
	global_load_ubyte v16, v[50:51], off offset:256
	s_waitcnt vmcnt(0)
	v_and_b32_e32 v16, 1, v16
	v_cmp_eq_u32_e64 s4, 1, v16
	s_xor_b32 s38, s4, -1
	s_mov_b32 s4, s5
	s_and_saveexec_b32 s37, s38
; %bb.42:
	v_cmp_gt_f32_e64 s4, v0, v4
	s_and_b32 s4, s5, s4
	v_cndmask_b32_e64 v0, v4, v0, s4
	s_or_b32 s4, s5, exec_lo
; %bb.43:
	s_or_b32 exec_lo, exec_lo, s37
	s_andn2_b32 s5, s5, exec_lo
	s_and_b32 s4, s4, exec_lo
	s_or_b32 s5, s5, s4
	s_or_b32 exec_lo, exec_lo, s18
	s_and_saveexec_b32 s18, s30
	s_cbranch_execnz .LBB740_73
.LBB740_44:
	s_or_b32 exec_lo, exec_lo, s18
	s_and_saveexec_b32 s18, s29
	s_cbranch_execz .LBB740_76
.LBB740_45:
	global_load_ubyte v16, v[50:51], off offset:384
	s_waitcnt vmcnt(0)
	v_and_b32_e32 v16, 1, v16
	v_cmp_eq_u32_e64 s4, 1, v16
	s_xor_b32 s38, s4, -1
	s_mov_b32 s4, s5
	s_and_saveexec_b32 s37, s38
; %bb.46:
	v_cmp_gt_f32_e64 s4, v0, v6
	s_and_b32 s4, s5, s4
	v_cndmask_b32_e64 v0, v6, v0, s4
	s_or_b32 s4, s5, exec_lo
; %bb.47:
	s_or_b32 exec_lo, exec_lo, s37
	s_andn2_b32 s5, s5, exec_lo
	s_and_b32 s4, s4, exec_lo
	s_or_b32 s5, s5, s4
	s_or_b32 exec_lo, exec_lo, s18
	s_and_saveexec_b32 s18, s28
	s_cbranch_execnz .LBB740_77
.LBB740_48:
	s_or_b32 exec_lo, exec_lo, s18
	s_and_saveexec_b32 s18, s27
	s_cbranch_execz .LBB740_80
.LBB740_49:
	global_load_ubyte v16, v[50:51], off offset:512
	s_waitcnt vmcnt(0)
	v_and_b32_e32 v16, 1, v16
	v_cmp_eq_u32_e64 s4, 1, v16
	s_xor_b32 s38, s4, -1
	s_mov_b32 s4, s5
	s_and_saveexec_b32 s37, s38
; %bb.50:
	v_cmp_gt_f32_e64 s4, v0, v8
	s_and_b32 s4, s5, s4
	v_cndmask_b32_e64 v0, v8, v0, s4
	s_or_b32 s4, s5, exec_lo
; %bb.51:
	s_or_b32 exec_lo, exec_lo, s37
	s_andn2_b32 s5, s5, exec_lo
	s_and_b32 s4, s4, exec_lo
	s_or_b32 s5, s5, s4
	s_or_b32 exec_lo, exec_lo, s18
	s_and_saveexec_b32 s18, s26
	s_cbranch_execnz .LBB740_81
.LBB740_52:
	s_or_b32 exec_lo, exec_lo, s18
	s_and_saveexec_b32 s18, s25
	s_cbranch_execz .LBB740_84
.LBB740_53:
	global_load_ubyte v16, v[50:51], off offset:640
	s_waitcnt vmcnt(0)
	v_and_b32_e32 v16, 1, v16
	v_cmp_eq_u32_e64 s4, 1, v16
	s_xor_b32 s38, s4, -1
	s_mov_b32 s4, s5
	s_and_saveexec_b32 s37, s38
; %bb.54:
	v_cmp_gt_f32_e64 s4, v0, v10
	s_and_b32 s4, s5, s4
	v_cndmask_b32_e64 v0, v10, v0, s4
	s_or_b32 s4, s5, exec_lo
; %bb.55:
	s_or_b32 exec_lo, exec_lo, s37
	s_andn2_b32 s5, s5, exec_lo
	s_and_b32 s4, s4, exec_lo
	s_or_b32 s5, s5, s4
	s_or_b32 exec_lo, exec_lo, s18
	s_and_saveexec_b32 s18, s24
	s_cbranch_execnz .LBB740_85
.LBB740_56:
	s_or_b32 exec_lo, exec_lo, s18
	s_and_saveexec_b32 s18, s23
	s_cbranch_execz .LBB740_88
.LBB740_57:
	global_load_ubyte v16, v[50:51], off offset:768
	s_waitcnt vmcnt(0)
	v_and_b32_e32 v16, 1, v16
	v_cmp_eq_u32_e64 s4, 1, v16
	s_xor_b32 s38, s4, -1
	s_mov_b32 s4, s5
	s_and_saveexec_b32 s37, s38
; %bb.58:
	v_cmp_gt_f32_e64 s4, v0, v12
	s_and_b32 s4, s5, s4
	v_cndmask_b32_e64 v0, v12, v0, s4
	s_or_b32 s4, s5, exec_lo
; %bb.59:
	s_or_b32 exec_lo, exec_lo, s37
	s_andn2_b32 s5, s5, exec_lo
	s_and_b32 s4, s4, exec_lo
	s_or_b32 s5, s5, s4
	s_or_b32 exec_lo, exec_lo, s18
	s_and_saveexec_b32 s18, s22
	s_cbranch_execnz .LBB740_89
.LBB740_60:
	s_or_b32 exec_lo, exec_lo, s18
	s_and_saveexec_b32 s18, s19
	s_cbranch_execz .LBB740_92
.LBB740_61:
	global_load_ubyte v16, v[50:51], off offset:896
	s_waitcnt vmcnt(0)
	v_and_b32_e32 v16, 1, v16
	v_cmp_eq_u32_e64 s4, 1, v16
	s_xor_b32 s38, s4, -1
	s_mov_b32 s4, s5
	s_and_saveexec_b32 s37, s38
; %bb.62:
	v_cmp_gt_f32_e64 s4, v0, v14
	s_and_b32 s4, s5, s4
	v_cndmask_b32_e64 v0, v14, v0, s4
	s_or_b32 s4, s5, exec_lo
; %bb.63:
	s_or_b32 exec_lo, exec_lo, s37
	s_andn2_b32 s5, s5, exec_lo
	s_and_b32 s4, s4, exec_lo
	s_or_b32 s5, s5, s4
	s_or_b32 exec_lo, exec_lo, s18
	s_and_saveexec_b32 s18, s17
	s_cbranch_execz .LBB740_96
	s_branch .LBB740_93
.LBB740_64:
	s_or_b32 exec_lo, exec_lo, s18
	v_mov_b32_e32 v0, v1
	s_and_saveexec_b32 s18, s36
	s_cbranch_execz .LBB740_36
.LBB740_65:
	global_load_ubyte v0, v[50:51], off offset:64
	s_waitcnt vmcnt(0)
	v_and_b32_e32 v0, 1, v0
	v_cmp_eq_u32_e64 s4, 1, v0
	v_mov_b32_e32 v0, v1
	s_xor_b32 s38, s4, -1
	s_mov_b32 s4, s5
	s_and_saveexec_b32 s37, s38
; %bb.66:
	v_cmp_gt_f32_e64 s4, v1, v32
	s_and_b32 s4, s5, s4
	v_cndmask_b32_e64 v0, v32, v1, s4
	s_or_b32 s4, s5, exec_lo
; %bb.67:
	s_or_b32 exec_lo, exec_lo, s37
	s_andn2_b32 s5, s5, exec_lo
	s_and_b32 s4, s4, exec_lo
	s_or_b32 s5, s5, s4
	s_or_b32 exec_lo, exec_lo, s18
	s_and_saveexec_b32 s18, s34
	s_cbranch_execnz .LBB740_37
.LBB740_68:
	s_or_b32 exec_lo, exec_lo, s18
	s_and_saveexec_b32 s18, s33
	s_cbranch_execz .LBB740_40
.LBB740_69:
	global_load_ubyte v16, v[50:51], off offset:192
	s_waitcnt vmcnt(0)
	v_and_b32_e32 v16, 1, v16
	v_cmp_eq_u32_e64 s4, 1, v16
	s_xor_b32 s38, s4, -1
	s_mov_b32 s4, s5
	s_and_saveexec_b32 s37, s38
; %bb.70:
	v_cmp_gt_f32_e64 s4, v0, v3
	s_and_b32 s4, s5, s4
	v_cndmask_b32_e64 v0, v3, v0, s4
	s_or_b32 s4, s5, exec_lo
; %bb.71:
	s_or_b32 exec_lo, exec_lo, s37
	s_andn2_b32 s5, s5, exec_lo
	s_and_b32 s4, s4, exec_lo
	s_or_b32 s5, s5, s4
	s_or_b32 exec_lo, exec_lo, s18
	s_and_saveexec_b32 s18, s31
	s_cbranch_execnz .LBB740_41
.LBB740_72:
	s_or_b32 exec_lo, exec_lo, s18
	s_and_saveexec_b32 s18, s30
	s_cbranch_execz .LBB740_44
.LBB740_73:
	global_load_ubyte v16, v[50:51], off offset:320
	s_waitcnt vmcnt(0)
	v_and_b32_e32 v16, 1, v16
	v_cmp_eq_u32_e64 s4, 1, v16
	s_xor_b32 s38, s4, -1
	s_mov_b32 s4, s5
	s_and_saveexec_b32 s37, s38
; %bb.74:
	v_cmp_gt_f32_e64 s4, v0, v5
	s_and_b32 s4, s5, s4
	v_cndmask_b32_e64 v0, v5, v0, s4
	s_or_b32 s4, s5, exec_lo
; %bb.75:
	s_or_b32 exec_lo, exec_lo, s37
	s_andn2_b32 s5, s5, exec_lo
	s_and_b32 s4, s4, exec_lo
	s_or_b32 s5, s5, s4
	s_or_b32 exec_lo, exec_lo, s18
	s_and_saveexec_b32 s18, s29
	s_cbranch_execnz .LBB740_45
.LBB740_76:
	s_or_b32 exec_lo, exec_lo, s18
	s_and_saveexec_b32 s18, s28
	s_cbranch_execz .LBB740_48
.LBB740_77:
	global_load_ubyte v16, v[50:51], off offset:448
	s_waitcnt vmcnt(0)
	v_and_b32_e32 v16, 1, v16
	v_cmp_eq_u32_e64 s4, 1, v16
	s_xor_b32 s38, s4, -1
	s_mov_b32 s4, s5
	s_and_saveexec_b32 s37, s38
; %bb.78:
	v_cmp_gt_f32_e64 s4, v0, v7
	s_and_b32 s4, s5, s4
	v_cndmask_b32_e64 v0, v7, v0, s4
	s_or_b32 s4, s5, exec_lo
; %bb.79:
	s_or_b32 exec_lo, exec_lo, s37
	s_andn2_b32 s5, s5, exec_lo
	s_and_b32 s4, s4, exec_lo
	s_or_b32 s5, s5, s4
	s_or_b32 exec_lo, exec_lo, s18
	s_and_saveexec_b32 s18, s27
	s_cbranch_execnz .LBB740_49
.LBB740_80:
	s_or_b32 exec_lo, exec_lo, s18
	s_and_saveexec_b32 s18, s26
	s_cbranch_execz .LBB740_52
.LBB740_81:
	global_load_ubyte v16, v[50:51], off offset:576
	s_waitcnt vmcnt(0)
	v_and_b32_e32 v16, 1, v16
	v_cmp_eq_u32_e64 s4, 1, v16
	s_xor_b32 s38, s4, -1
	s_mov_b32 s4, s5
	s_and_saveexec_b32 s37, s38
; %bb.82:
	v_cmp_gt_f32_e64 s4, v0, v9
	s_and_b32 s4, s5, s4
	v_cndmask_b32_e64 v0, v9, v0, s4
	s_or_b32 s4, s5, exec_lo
; %bb.83:
	s_or_b32 exec_lo, exec_lo, s37
	s_andn2_b32 s5, s5, exec_lo
	s_and_b32 s4, s4, exec_lo
	s_or_b32 s5, s5, s4
	s_or_b32 exec_lo, exec_lo, s18
	s_and_saveexec_b32 s18, s25
	s_cbranch_execnz .LBB740_53
.LBB740_84:
	s_or_b32 exec_lo, exec_lo, s18
	s_and_saveexec_b32 s18, s24
	s_cbranch_execz .LBB740_56
.LBB740_85:
	global_load_ubyte v16, v[50:51], off offset:704
	s_waitcnt vmcnt(0)
	v_and_b32_e32 v16, 1, v16
	v_cmp_eq_u32_e64 s4, 1, v16
	s_xor_b32 s38, s4, -1
	s_mov_b32 s4, s5
	s_and_saveexec_b32 s37, s38
; %bb.86:
	v_cmp_gt_f32_e64 s4, v0, v11
	s_and_b32 s4, s5, s4
	v_cndmask_b32_e64 v0, v11, v0, s4
	s_or_b32 s4, s5, exec_lo
; %bb.87:
	s_or_b32 exec_lo, exec_lo, s37
	s_andn2_b32 s5, s5, exec_lo
	s_and_b32 s4, s4, exec_lo
	s_or_b32 s5, s5, s4
	s_or_b32 exec_lo, exec_lo, s18
	s_and_saveexec_b32 s18, s23
	s_cbranch_execnz .LBB740_57
.LBB740_88:
	s_or_b32 exec_lo, exec_lo, s18
	s_and_saveexec_b32 s18, s22
	s_cbranch_execz .LBB740_60
.LBB740_89:
	global_load_ubyte v16, v[50:51], off offset:832
	s_waitcnt vmcnt(0)
	v_and_b32_e32 v16, 1, v16
	v_cmp_eq_u32_e64 s4, 1, v16
	s_xor_b32 s38, s4, -1
	s_mov_b32 s4, s5
	s_and_saveexec_b32 s37, s38
; %bb.90:
	v_cmp_gt_f32_e64 s4, v0, v13
	s_and_b32 s4, s5, s4
	v_cndmask_b32_e64 v0, v13, v0, s4
	s_or_b32 s4, s5, exec_lo
; %bb.91:
	s_or_b32 exec_lo, exec_lo, s37
	s_andn2_b32 s5, s5, exec_lo
	s_and_b32 s4, s4, exec_lo
	s_or_b32 s5, s5, s4
	s_or_b32 exec_lo, exec_lo, s18
	s_and_saveexec_b32 s18, s19
	s_cbranch_execnz .LBB740_61
.LBB740_92:
	s_or_b32 exec_lo, exec_lo, s18
	s_and_saveexec_b32 s18, s17
	s_cbranch_execz .LBB740_96
.LBB740_93:
	global_load_ubyte v16, v[50:51], off offset:960
	s_waitcnt vmcnt(0)
	v_and_b32_e32 v16, 1, v16
	v_cmp_eq_u32_e64 s4, 1, v16
	s_xor_b32 s38, s4, -1
	s_mov_b32 s4, s5
	s_and_saveexec_b32 s37, s38
; %bb.94:
	v_cmp_gt_f32_e64 s4, v0, v15
	s_and_b32 s4, s5, s4
	v_cndmask_b32_e64 v0, v15, v0, s4
	s_or_b32 s4, s5, exec_lo
; %bb.95:
	s_or_b32 exec_lo, exec_lo, s37
	s_andn2_b32 s5, s5, exec_lo
	s_and_b32 s4, s4, exec_lo
	s_or_b32 s5, s5, s4
.LBB740_96:
	s_or_b32 exec_lo, exec_lo, s18
	v_mbcnt_lo_u32_b32 v16, -1, 0
	v_cndmask_b32_e64 v0, 0xff800000, v0, s5
	s_xor_b32 s5, s36, -1
	v_or_b32_e32 v17, 32, v16
	v_xor_b32_e32 v18, 16, v16
	v_cmp_gt_i32_e64 s4, 64, v17
	v_cndmask_b32_e64 v17, v16, v17, s4
	v_cmp_gt_i32_e64 s4, 64, v18
	v_lshlrev_b32_e32 v53, 2, v17
	v_cndmask_b32_e64 v18, v16, v18, s4
	ds_bpermute_b32 v17, v53, v0
	v_lshlrev_b32_e32 v54, 2, v18
	v_xor_b32_e32 v18, 8, v16
	s_waitcnt lgkmcnt(0)
	v_cmp_lt_f32_e64 s4, v0, v17
	v_cndmask_b32_e64 v0, v0, v17, s4
	v_cmp_gt_i32_e64 s4, 64, v18
	ds_bpermute_b32 v17, v54, v0
	v_cndmask_b32_e64 v18, v16, v18, s4
	v_lshlrev_b32_e32 v55, 2, v18
	v_xor_b32_e32 v18, 4, v16
	s_waitcnt lgkmcnt(0)
	v_cmp_lt_f32_e64 s4, v0, v17
	v_cndmask_b32_e64 v0, v0, v17, s4
	v_cmp_gt_i32_e64 s4, 64, v18
	ds_bpermute_b32 v17, v55, v0
	v_cndmask_b32_e64 v18, v16, v18, s4
	;; [unrolled: 8-line block ×4, first 2 shown]
	v_lshlrev_b32_e32 v58, 2, v16
	s_waitcnt lgkmcnt(0)
	v_cmp_lt_f32_e64 s4, v0, v17
	v_cndmask_b32_e64 v0, v0, v17, s4
	ds_bpermute_b32 v16, v58, v0
	s_waitcnt lgkmcnt(0)
	v_cmp_lt_f32_e64 s4, v0, v16
	v_cndmask_b32_e64 v59, v0, v16, s4
	v_mov_b32_e32 v0, 0
	s_and_saveexec_b32 s18, s35
	s_cbranch_execz .LBB740_100
; %bb.97:
	global_load_ubyte v0, v[50:51], off
	s_waitcnt vmcnt(0)
	v_and_b32_e32 v0, 1, v0
	v_cmp_eq_u32_e64 s4, 1, v0
	v_mov_b32_e32 v0, 0
	s_xor_b32 s4, s4, -1
	s_and_saveexec_b32 s35, s4
	s_cbranch_execz .LBB740_99
; %bb.98:
	v_sub_f32_e32 v0, v1, v59
	v_mul_f32_e32 v1, 0x3fb8aa3b, v0
	v_cmp_ngt_f32_e64 s4, 0xc2ce8ed0, v0
	v_fma_f32 v16, 0x3fb8aa3b, v0, -v1
	v_rndne_f32_e32 v17, v1
	v_fmamk_f32 v16, v0, 0x32a5705f, v16
	v_sub_f32_e32 v1, v1, v17
	v_add_f32_e32 v1, v1, v16
	v_cvt_i32_f32_e32 v16, v17
	v_exp_f32_e32 v1, v1
	v_ldexp_f32 v1, v1, v16
	v_cndmask_b32_e64 v1, 0, v1, s4
	v_cmp_nlt_f32_e64 s4, 0x42b17218, v0
	v_cndmask_b32_e64 v0, 0x7f800000, v1, s4
.LBB740_99:
	s_or_b32 exec_lo, exec_lo, s35
.LBB740_100:
	s_or_b32 exec_lo, exec_lo, s18
                                        ; implicit-def: $vgpr16_vgpr17_vgpr18_vgpr19_vgpr20_vgpr21_vgpr22_vgpr23_vgpr24_vgpr25_vgpr26_vgpr27_vgpr28_vgpr29_vgpr30_vgpr31
	s_and_saveexec_b32 s4, s5
	s_xor_b32 s4, exec_lo, s4
	s_cbranch_execz .LBB740_130
; %bb.101:
	s_mov_b32 s5, 0
                                        ; implicit-def: $vgpr32
	v_mov_b32_e32 v1, s5
	v_mov_b32_e32 v31, v15
	;; [unrolled: 1-line block ×17, first 2 shown]
	s_or_saveexec_b32 s18, s4
	s_xor_b32 s5, s34, -1
	s_xor_b32 exec_lo, exec_lo, s18
	s_cbranch_execnz .LBB740_131
.LBB740_102:
	s_or_b32 exec_lo, exec_lo, s18
                                        ; implicit-def: $vgpr32_vgpr33_vgpr34_vgpr35_vgpr36_vgpr37_vgpr38_vgpr39_vgpr40_vgpr41_vgpr42_vgpr43_vgpr44_vgpr45_vgpr46_vgpr47
	s_and_saveexec_b32 s4, s5
	s_xor_b32 s4, exec_lo, s4
	s_cbranch_execz .LBB740_134
.LBB740_103:
	s_mov_b32 s5, 0
	v_mov_b32_e32 v18, s5
	v_mov_b32_e32 v47, v31
	;; [unrolled: 1-line block ×17, first 2 shown]
                                        ; implicit-def: $vgpr16_vgpr17_vgpr18_vgpr19_vgpr20_vgpr21_vgpr22_vgpr23_vgpr24_vgpr25_vgpr26_vgpr27_vgpr28_vgpr29_vgpr30_vgpr31
	s_or_saveexec_b32 s18, s4
	s_xor_b32 s5, s33, -1
	s_xor_b32 exec_lo, exec_lo, s18
	s_cbranch_execnz .LBB740_135
.LBB740_104:
	s_or_b32 exec_lo, exec_lo, s18
                                        ; implicit-def: $vgpr1_vgpr2_vgpr3_vgpr4_vgpr5_vgpr6_vgpr7_vgpr8_vgpr9_vgpr10_vgpr11_vgpr12_vgpr13_vgpr14_vgpr15_vgpr16
	s_and_saveexec_b32 s4, s5
	s_xor_b32 s4, exec_lo, s4
	s_cbranch_execz .LBB740_138
.LBB740_105:
	s_mov_b32 s5, 0
	v_mov_b32_e32 v35, s5
	v_mov_b32_e32 v1, v32
	;; [unrolled: 1-line block ×17, first 2 shown]
                                        ; implicit-def: $vgpr32_vgpr33_vgpr34_vgpr35_vgpr36_vgpr37_vgpr38_vgpr39_vgpr40_vgpr41_vgpr42_vgpr43_vgpr44_vgpr45_vgpr46_vgpr47
	s_or_saveexec_b32 s18, s4
	s_xor_b32 s5, s31, -1
	s_xor_b32 exec_lo, exec_lo, s18
	s_cbranch_execnz .LBB740_139
.LBB740_106:
	s_or_b32 exec_lo, exec_lo, s18
                                        ; implicit-def: $vgpr17_vgpr18_vgpr19_vgpr20_vgpr21_vgpr22_vgpr23_vgpr24_vgpr25_vgpr26_vgpr27_vgpr28_vgpr29_vgpr30_vgpr31_vgpr32
	s_and_saveexec_b32 s4, s5
	s_xor_b32 s4, exec_lo, s4
	s_cbranch_execz .LBB740_142
.LBB740_107:
	s_mov_b32 s5, 0
	v_mov_b32_e32 v5, s5
	v_mov_b32_e32 v32, v16
	;; [unrolled: 1-line block ×17, first 2 shown]
                                        ; implicit-def: $vgpr1_vgpr2_vgpr3_vgpr4_vgpr5_vgpr6_vgpr7_vgpr8_vgpr9_vgpr10_vgpr11_vgpr12_vgpr13_vgpr14_vgpr15_vgpr16
	s_or_saveexec_b32 s18, s4
	s_xor_b32 s5, s30, -1
	s_xor_b32 exec_lo, exec_lo, s18
	s_cbranch_execnz .LBB740_143
.LBB740_108:
	s_or_b32 exec_lo, exec_lo, s18
                                        ; implicit-def: $vgpr1_vgpr2_vgpr3_vgpr4_vgpr5_vgpr6_vgpr7_vgpr8_vgpr9_vgpr10_vgpr11_vgpr12_vgpr13_vgpr14_vgpr15_vgpr16
	s_and_saveexec_b32 s4, s5
	s_xor_b32 s4, exec_lo, s4
	s_cbranch_execz .LBB740_146
.LBB740_109:
	s_mov_b32 s5, 0
	v_mov_b32_e32 v22, s5
	v_mov_b32_e32 v1, v17
	;; [unrolled: 1-line block ×17, first 2 shown]
                                        ; implicit-def: $vgpr17_vgpr18_vgpr19_vgpr20_vgpr21_vgpr22_vgpr23_vgpr24_vgpr25_vgpr26_vgpr27_vgpr28_vgpr29_vgpr30_vgpr31_vgpr32
	s_or_saveexec_b32 s18, s4
	s_xor_b32 s5, s29, -1
	s_xor_b32 exec_lo, exec_lo, s18
	s_cbranch_execnz .LBB740_147
.LBB740_110:
	s_or_b32 exec_lo, exec_lo, s18
                                        ; implicit-def: $vgpr17_vgpr18_vgpr19_vgpr20_vgpr21_vgpr22_vgpr23_vgpr24_vgpr25_vgpr26_vgpr27_vgpr28_vgpr29_vgpr30_vgpr31_vgpr32
	s_and_saveexec_b32 s4, s5
	s_xor_b32 s4, exec_lo, s4
	s_cbranch_execz .LBB740_150
.LBB740_111:
	s_mov_b32 s5, 0
	v_mov_b32_e32 v7, s5
	v_mov_b32_e32 v32, v16
	;; [unrolled: 1-line block ×17, first 2 shown]
                                        ; implicit-def: $vgpr1_vgpr2_vgpr3_vgpr4_vgpr5_vgpr6_vgpr7_vgpr8_vgpr9_vgpr10_vgpr11_vgpr12_vgpr13_vgpr14_vgpr15_vgpr16
	s_or_saveexec_b32 s18, s4
	s_xor_b32 s5, s28, -1
	s_xor_b32 exec_lo, exec_lo, s18
	s_cbranch_execnz .LBB740_151
.LBB740_112:
	s_or_b32 exec_lo, exec_lo, s18
                                        ; implicit-def: $vgpr1_vgpr2_vgpr3_vgpr4_vgpr5_vgpr6_vgpr7_vgpr8_vgpr9_vgpr10_vgpr11_vgpr12_vgpr13_vgpr14_vgpr15_vgpr16
	s_and_saveexec_b32 s4, s5
	s_xor_b32 s4, exec_lo, s4
	s_cbranch_execz .LBB740_154
.LBB740_113:
	s_mov_b32 s5, 0
	v_mov_b32_e32 v24, s5
	v_mov_b32_e32 v1, v17
	;; [unrolled: 1-line block ×17, first 2 shown]
                                        ; implicit-def: $vgpr17_vgpr18_vgpr19_vgpr20_vgpr21_vgpr22_vgpr23_vgpr24_vgpr25_vgpr26_vgpr27_vgpr28_vgpr29_vgpr30_vgpr31_vgpr32
	s_or_saveexec_b32 s18, s4
	s_xor_b32 s5, s27, -1
	s_xor_b32 exec_lo, exec_lo, s18
	s_cbranch_execnz .LBB740_155
.LBB740_114:
	s_or_b32 exec_lo, exec_lo, s18
                                        ; implicit-def: $vgpr17_vgpr18_vgpr19_vgpr20_vgpr21_vgpr22_vgpr23_vgpr24_vgpr25_vgpr26_vgpr27_vgpr28_vgpr29_vgpr30_vgpr31_vgpr32
	s_and_saveexec_b32 s4, s5
	s_xor_b32 s4, exec_lo, s4
	s_cbranch_execz .LBB740_158
.LBB740_115:
	s_mov_b32 s5, 0
	v_mov_b32_e32 v9, s5
	v_mov_b32_e32 v32, v16
	;; [unrolled: 1-line block ×17, first 2 shown]
                                        ; implicit-def: $vgpr1_vgpr2_vgpr3_vgpr4_vgpr5_vgpr6_vgpr7_vgpr8_vgpr9_vgpr10_vgpr11_vgpr12_vgpr13_vgpr14_vgpr15_vgpr16
	s_or_saveexec_b32 s18, s4
	s_xor_b32 s5, s26, -1
	s_xor_b32 exec_lo, exec_lo, s18
	s_cbranch_execnz .LBB740_159
.LBB740_116:
	s_or_b32 exec_lo, exec_lo, s18
                                        ; implicit-def: $vgpr1_vgpr2_vgpr3_vgpr4_vgpr5_vgpr6_vgpr7_vgpr8_vgpr9_vgpr10_vgpr11_vgpr12_vgpr13_vgpr14_vgpr15_vgpr16
	s_and_saveexec_b32 s4, s5
	s_xor_b32 s4, exec_lo, s4
	s_cbranch_execz .LBB740_162
.LBB740_117:
	s_mov_b32 s5, 0
	v_mov_b32_e32 v26, s5
	v_mov_b32_e32 v1, v17
	;; [unrolled: 1-line block ×17, first 2 shown]
                                        ; implicit-def: $vgpr17_vgpr18_vgpr19_vgpr20_vgpr21_vgpr22_vgpr23_vgpr24_vgpr25_vgpr26_vgpr27_vgpr28_vgpr29_vgpr30_vgpr31_vgpr32
	s_or_saveexec_b32 s18, s4
	s_xor_b32 s5, s25, -1
	s_xor_b32 exec_lo, exec_lo, s18
	s_cbranch_execnz .LBB740_163
.LBB740_118:
	s_or_b32 exec_lo, exec_lo, s18
                                        ; implicit-def: $vgpr17_vgpr18_vgpr19_vgpr20_vgpr21_vgpr22_vgpr23_vgpr24_vgpr25_vgpr26_vgpr27_vgpr28_vgpr29_vgpr30_vgpr31_vgpr32
	s_and_saveexec_b32 s4, s5
	s_xor_b32 s4, exec_lo, s4
	s_cbranch_execz .LBB740_166
.LBB740_119:
	s_mov_b32 s5, 0
	v_mov_b32_e32 v11, s5
	v_mov_b32_e32 v32, v16
	;; [unrolled: 1-line block ×17, first 2 shown]
                                        ; implicit-def: $vgpr1_vgpr2_vgpr3_vgpr4_vgpr5_vgpr6_vgpr7_vgpr8_vgpr9_vgpr10_vgpr11_vgpr12_vgpr13_vgpr14_vgpr15_vgpr16
	s_or_saveexec_b32 s18, s4
	s_xor_b32 s5, s24, -1
	s_xor_b32 exec_lo, exec_lo, s18
	s_cbranch_execnz .LBB740_167
.LBB740_120:
	s_or_b32 exec_lo, exec_lo, s18
                                        ; implicit-def: $vgpr1_vgpr2_vgpr3_vgpr4_vgpr5_vgpr6_vgpr7_vgpr8_vgpr9_vgpr10_vgpr11_vgpr12_vgpr13_vgpr14_vgpr15_vgpr16
	s_and_saveexec_b32 s4, s5
	s_xor_b32 s4, exec_lo, s4
	s_cbranch_execz .LBB740_170
.LBB740_121:
	s_mov_b32 s5, 0
	v_mov_b32_e32 v28, s5
	v_mov_b32_e32 v1, v17
	;; [unrolled: 1-line block ×17, first 2 shown]
                                        ; implicit-def: $vgpr17_vgpr18_vgpr19_vgpr20_vgpr21_vgpr22_vgpr23_vgpr24_vgpr25_vgpr26_vgpr27_vgpr28_vgpr29_vgpr30_vgpr31_vgpr32
	s_or_saveexec_b32 s18, s4
	s_xor_b32 s5, s23, -1
	s_xor_b32 exec_lo, exec_lo, s18
	s_cbranch_execnz .LBB740_171
.LBB740_122:
	s_or_b32 exec_lo, exec_lo, s18
                                        ; implicit-def: $vgpr17_vgpr18_vgpr19_vgpr20_vgpr21_vgpr22_vgpr23_vgpr24_vgpr25_vgpr26_vgpr27_vgpr28_vgpr29_vgpr30_vgpr31_vgpr32
	s_and_saveexec_b32 s4, s5
	s_xor_b32 s4, exec_lo, s4
	s_cbranch_execz .LBB740_174
.LBB740_123:
	s_mov_b32 s5, 0
	v_mov_b32_e32 v13, s5
	v_mov_b32_e32 v32, v16
	;; [unrolled: 1-line block ×17, first 2 shown]
                                        ; implicit-def: $vgpr1_vgpr2_vgpr3_vgpr4_vgpr5_vgpr6_vgpr7_vgpr8_vgpr9_vgpr10_vgpr11_vgpr12_vgpr13_vgpr14_vgpr15_vgpr16
	s_or_saveexec_b32 s18, s4
	s_xor_b32 s5, s22, -1
	s_xor_b32 exec_lo, exec_lo, s18
	s_cbranch_execnz .LBB740_175
.LBB740_124:
	s_or_b32 exec_lo, exec_lo, s18
                                        ; implicit-def: $vgpr1_vgpr2_vgpr3_vgpr4_vgpr5_vgpr6_vgpr7_vgpr8_vgpr9_vgpr10_vgpr11_vgpr12_vgpr13_vgpr14_vgpr15_vgpr16
	s_and_saveexec_b32 s4, s5
	s_xor_b32 s4, exec_lo, s4
	s_cbranch_execz .LBB740_178
.LBB740_125:
	s_mov_b32 s5, 0
	v_mov_b32_e32 v30, s5
	v_mov_b32_e32 v1, v17
	;; [unrolled: 1-line block ×17, first 2 shown]
                                        ; implicit-def: $vgpr17_vgpr18_vgpr19_vgpr20_vgpr21_vgpr22_vgpr23_vgpr24_vgpr25_vgpr26_vgpr27_vgpr28_vgpr29_vgpr30_vgpr31_vgpr32
	s_or_saveexec_b32 s18, s4
	s_xor_b32 s5, s19, -1
	s_xor_b32 exec_lo, exec_lo, s18
	s_cbranch_execnz .LBB740_179
.LBB740_126:
	s_or_b32 exec_lo, exec_lo, s18
                                        ; implicit-def: $vgpr17_vgpr18_vgpr19_vgpr20_vgpr21_vgpr22_vgpr23_vgpr24_vgpr25_vgpr26_vgpr27_vgpr28_vgpr29_vgpr30_vgpr31_vgpr32
	s_and_saveexec_b32 s4, s5
	s_xor_b32 s4, exec_lo, s4
	s_cbranch_execz .LBB740_182
.LBB740_127:
	s_mov_b32 s5, 0
	v_mov_b32_e32 v15, s5
	v_mov_b32_e32 v32, v16
	;; [unrolled: 1-line block ×17, first 2 shown]
                                        ; implicit-def: $vgpr1_vgpr2_vgpr3_vgpr4_vgpr5_vgpr6_vgpr7_vgpr8_vgpr9_vgpr10_vgpr11_vgpr12_vgpr13_vgpr14_vgpr15_vgpr16
	s_or_saveexec_b32 s18, s4
	s_xor_b32 s5, s17, -1
	s_xor_b32 exec_lo, exec_lo, s18
	s_cbranch_execnz .LBB740_183
.LBB740_128:
	s_or_b32 exec_lo, exec_lo, s18
                                        ; implicit-def: $vgpr1_vgpr2_vgpr3_vgpr4_vgpr5_vgpr6_vgpr7_vgpr8_vgpr9_vgpr10_vgpr11_vgpr12_vgpr13_vgpr14_vgpr15_vgpr16
	s_and_saveexec_b32 s4, s5
	s_xor_b32 s4, exec_lo, s4
	s_cbranch_execz .LBB740_186
.LBB740_129:
	s_mov_b32 s5, 0
                                        ; implicit-def: $vgpr50_vgpr51
                                        ; implicit-def: $vgpr59
	v_mov_b32_e32 v32, s5
	v_mov_b32_e32 v1, v17
	v_mov_b32_e32 v2, v18
	v_mov_b32_e32 v3, v19
	v_mov_b32_e32 v4, v20
	v_mov_b32_e32 v5, v21
	v_mov_b32_e32 v6, v22
	v_mov_b32_e32 v7, v23
	v_mov_b32_e32 v8, v24
	v_mov_b32_e32 v9, v25
	v_mov_b32_e32 v10, v26
	v_mov_b32_e32 v11, v27
	v_mov_b32_e32 v12, v28
	v_mov_b32_e32 v13, v29
	v_mov_b32_e32 v14, v30
	v_mov_b32_e32 v15, v31
	v_mov_b32_e32 v16, v32
                                        ; implicit-def: $vgpr17_vgpr18_vgpr19_vgpr20_vgpr21_vgpr22_vgpr23_vgpr24_vgpr25_vgpr26_vgpr27_vgpr28_vgpr29_vgpr30_vgpr31_vgpr32
	s_andn2_saveexec_b32 s5, s4
	s_cbranch_execz .LBB740_190
	s_branch .LBB740_187
.LBB740_130:
	s_or_saveexec_b32 s18, s4
	s_xor_b32 s5, s34, -1
	s_xor_b32 exec_lo, exec_lo, s18
	s_cbranch_execz .LBB740_102
.LBB740_131:
	global_load_ubyte v16, v[50:51], off offset:64
	s_mov_b32 s34, 0
	s_waitcnt vmcnt(0)
	v_and_b32_e32 v16, 1, v16
	v_cmp_eq_u32_e64 s4, 1, v16
	v_mov_b32_e32 v31, v15
	v_mov_b32_e32 v17, v1
	;; [unrolled: 1-line block ×17, first 2 shown]
	s_xor_b32 s4, s4, -1
	s_and_saveexec_b32 s34, s4
	s_xor_b32 s34, exec_lo, s34
	s_cbranch_execz .LBB740_133
; %bb.132:
	v_sub_f32_e32 v1, v32, v59
	v_mul_f32_e32 v16, 0x3fb8aa3b, v1
	v_cmp_ngt_f32_e64 s4, 0xc2ce8ed0, v1
	v_fma_f32 v17, 0x3fb8aa3b, v1, -v16
	v_rndne_f32_e32 v18, v16
	v_fmamk_f32 v17, v1, 0x32a5705f, v17
	v_sub_f32_e32 v16, v16, v18
	v_add_f32_e32 v16, v16, v17
	v_cvt_i32_f32_e32 v17, v18
	v_exp_f32_e32 v16, v16
	v_ldexp_f32 v16, v16, v17
	v_cndmask_b32_e64 v16, 0, v16, s4
	v_cmp_nlt_f32_e64 s4, 0x42b17218, v1
	v_cndmask_b32_e64 v1, 0x7f800000, v16, s4
	v_mov_b32_e32 v31, v15
	v_mov_b32_e32 v30, v14
	;; [unrolled: 1-line block ×4, first 2 shown]
	v_add_f32_e32 v32, v0, v1
	v_mov_b32_e32 v27, v11
	v_mov_b32_e32 v26, v10
	;; [unrolled: 1-line block ×13, first 2 shown]
.LBB740_133:
	s_andn2_saveexec_b32 s4, s34
	s_or_b32 exec_lo, exec_lo, s4
	s_or_b32 exec_lo, exec_lo, s18
                                        ; implicit-def: $vgpr32_vgpr33_vgpr34_vgpr35_vgpr36_vgpr37_vgpr38_vgpr39_vgpr40_vgpr41_vgpr42_vgpr43_vgpr44_vgpr45_vgpr46_vgpr47
	s_and_saveexec_b32 s4, s5
	s_xor_b32 s4, exec_lo, s4
	s_cbranch_execnz .LBB740_103
.LBB740_134:
	s_or_saveexec_b32 s18, s4
	s_xor_b32 s5, s33, -1
	s_xor_b32 exec_lo, exec_lo, s18
	s_cbranch_execz .LBB740_104
.LBB740_135:
	global_load_ubyte v1, v[50:51], off offset:128
	s_mov_b32 s33, 0
	v_mov_b32_e32 v47, v31
	v_mov_b32_e32 v34, v18
	;; [unrolled: 1-line block ×17, first 2 shown]
	s_waitcnt vmcnt(0)
	v_and_b32_e32 v1, 1, v1
	v_cmp_eq_u32_e64 s4, 1, v1
	s_xor_b32 s4, s4, -1
	s_and_saveexec_b32 s33, s4
	s_xor_b32 s33, exec_lo, s33
	s_cbranch_execz .LBB740_137
; %bb.136:
	v_sub_f32_e32 v1, v18, v59
	v_mul_f32_e32 v2, 0x3fb8aa3b, v1
	v_cmp_ngt_f32_e64 s4, 0xc2ce8ed0, v1
	v_fma_f32 v3, 0x3fb8aa3b, v1, -v2
	v_rndne_f32_e32 v4, v2
	v_fmamk_f32 v3, v1, 0x32a5705f, v3
	v_sub_f32_e32 v2, v2, v4
	v_add_f32_e32 v2, v2, v3
	v_cvt_i32_f32_e32 v3, v4
	v_exp_f32_e32 v2, v2
	v_ldexp_f32 v2, v2, v3
	v_cndmask_b32_e64 v2, 0, v2, s4
	v_cmp_nlt_f32_e64 s4, 0x42b17218, v1
	v_cndmask_b32_e64 v18, 0x7f800000, v2, s4
	v_mov_b32_e32 v47, v31
	v_mov_b32_e32 v46, v30
	;; [unrolled: 1-line block ×16, first 2 shown]
	v_add_f32_e32 v0, v0, v18
.LBB740_137:
	s_andn2_saveexec_b32 s4, s33
	s_or_b32 exec_lo, exec_lo, s4
	s_or_b32 exec_lo, exec_lo, s18
                                        ; implicit-def: $vgpr1_vgpr2_vgpr3_vgpr4_vgpr5_vgpr6_vgpr7_vgpr8_vgpr9_vgpr10_vgpr11_vgpr12_vgpr13_vgpr14_vgpr15_vgpr16
	s_and_saveexec_b32 s4, s5
	s_xor_b32 s4, exec_lo, s4
	s_cbranch_execnz .LBB740_105
.LBB740_138:
	s_or_saveexec_b32 s18, s4
	s_xor_b32 s5, s31, -1
	s_xor_b32 exec_lo, exec_lo, s18
	s_cbranch_execz .LBB740_106
.LBB740_139:
	global_load_ubyte v1, v[50:51], off offset:192
	s_mov_b32 s31, 0
	s_waitcnt vmcnt(0)
	v_and_b32_e32 v1, 1, v1
	v_cmp_eq_u32_e64 s4, 1, v1
	v_mov_b32_e32 v1, v32
	v_mov_b32_e32 v4, v35
	v_mov_b32_e32 v2, v33
	v_mov_b32_e32 v3, v34
	v_mov_b32_e32 v5, v36
	v_mov_b32_e32 v6, v37
	v_mov_b32_e32 v7, v38
	v_mov_b32_e32 v8, v39
	v_mov_b32_e32 v9, v40
	v_mov_b32_e32 v10, v41
	v_mov_b32_e32 v11, v42
	v_mov_b32_e32 v12, v43
	v_mov_b32_e32 v13, v44
	v_mov_b32_e32 v14, v45
	v_mov_b32_e32 v15, v46
	v_mov_b32_e32 v16, v47
	v_mov_b32_e32 v4, s31
	s_xor_b32 s4, s4, -1
	s_and_saveexec_b32 s31, s4
	s_xor_b32 s31, exec_lo, s31
	s_cbranch_execz .LBB740_141
; %bb.140:
	v_sub_f32_e32 v1, v35, v59
	v_mul_f32_e32 v2, 0x3fb8aa3b, v1
	v_cmp_ngt_f32_e64 s4, 0xc2ce8ed0, v1
	v_fma_f32 v3, 0x3fb8aa3b, v1, -v2
	v_rndne_f32_e32 v4, v2
	v_fmamk_f32 v3, v1, 0x32a5705f, v3
	v_sub_f32_e32 v2, v2, v4
	v_add_f32_e32 v2, v2, v3
	v_cvt_i32_f32_e32 v3, v4
	v_exp_f32_e32 v2, v2
	v_ldexp_f32 v2, v2, v3
	v_cndmask_b32_e64 v2, 0, v2, s4
	v_cmp_nlt_f32_e64 s4, 0x42b17218, v1
	v_cndmask_b32_e64 v35, 0x7f800000, v2, s4
	v_mov_b32_e32 v1, v32
	v_mov_b32_e32 v2, v33
	;; [unrolled: 1-line block ×16, first 2 shown]
	v_add_f32_e32 v0, v0, v35
.LBB740_141:
	s_andn2_saveexec_b32 s4, s31
	s_or_b32 exec_lo, exec_lo, s4
	s_or_b32 exec_lo, exec_lo, s18
                                        ; implicit-def: $vgpr17_vgpr18_vgpr19_vgpr20_vgpr21_vgpr22_vgpr23_vgpr24_vgpr25_vgpr26_vgpr27_vgpr28_vgpr29_vgpr30_vgpr31_vgpr32
	s_and_saveexec_b32 s4, s5
	s_xor_b32 s4, exec_lo, s4
	s_cbranch_execnz .LBB740_107
.LBB740_142:
	s_or_saveexec_b32 s18, s4
	s_xor_b32 s5, s30, -1
	s_xor_b32 exec_lo, exec_lo, s18
	s_cbranch_execz .LBB740_108
.LBB740_143:
	global_load_ubyte v17, v[50:51], off offset:256
	s_mov_b32 s30, 0
	s_waitcnt vmcnt(0)
	v_and_b32_e32 v17, 1, v17
	v_cmp_eq_u32_e64 s4, 1, v17
	v_mov_b32_e32 v32, v16
	v_mov_b32_e32 v21, v5
	;; [unrolled: 1-line block ×17, first 2 shown]
	s_xor_b32 s4, s4, -1
	s_and_saveexec_b32 s30, s4
	s_xor_b32 s30, exec_lo, s30
	s_cbranch_execz .LBB740_145
; %bb.144:
	v_sub_f32_e32 v5, v5, v59
	v_mul_f32_e32 v17, 0x3fb8aa3b, v5
	v_cmp_ngt_f32_e64 s4, 0xc2ce8ed0, v5
	v_fma_f32 v18, 0x3fb8aa3b, v5, -v17
	v_rndne_f32_e32 v19, v17
	v_fmamk_f32 v18, v5, 0x32a5705f, v18
	v_sub_f32_e32 v17, v17, v19
	v_add_f32_e32 v17, v17, v18
	v_cvt_i32_f32_e32 v18, v19
	v_exp_f32_e32 v17, v17
	v_ldexp_f32 v17, v17, v18
	v_cndmask_b32_e64 v17, 0, v17, s4
	v_cmp_nlt_f32_e64 s4, 0x42b17218, v5
	v_cndmask_b32_e64 v5, 0x7f800000, v17, s4
	v_mov_b32_e32 v32, v16
	v_mov_b32_e32 v31, v15
	;; [unrolled: 1-line block ×16, first 2 shown]
	v_add_f32_e32 v0, v0, v5
.LBB740_145:
	s_andn2_saveexec_b32 s4, s30
	s_or_b32 exec_lo, exec_lo, s4
	s_or_b32 exec_lo, exec_lo, s18
                                        ; implicit-def: $vgpr1_vgpr2_vgpr3_vgpr4_vgpr5_vgpr6_vgpr7_vgpr8_vgpr9_vgpr10_vgpr11_vgpr12_vgpr13_vgpr14_vgpr15_vgpr16
	s_and_saveexec_b32 s4, s5
	s_xor_b32 s4, exec_lo, s4
	s_cbranch_execnz .LBB740_109
.LBB740_146:
	s_or_saveexec_b32 s18, s4
	s_xor_b32 s5, s29, -1
	s_xor_b32 exec_lo, exec_lo, s18
	s_cbranch_execz .LBB740_110
.LBB740_147:
	global_load_ubyte v1, v[50:51], off offset:320
	s_mov_b32 s29, 0
	s_waitcnt vmcnt(0)
	v_and_b32_e32 v1, 1, v1
	v_cmp_eq_u32_e64 s4, 1, v1
	v_mov_b32_e32 v1, v17
	v_mov_b32_e32 v6, v22
	;; [unrolled: 1-line block ×17, first 2 shown]
	s_xor_b32 s4, s4, -1
	s_and_saveexec_b32 s29, s4
	s_xor_b32 s29, exec_lo, s29
	s_cbranch_execz .LBB740_149
; %bb.148:
	v_sub_f32_e32 v1, v22, v59
	v_mul_f32_e32 v2, 0x3fb8aa3b, v1
	v_cmp_ngt_f32_e64 s4, 0xc2ce8ed0, v1
	v_fma_f32 v3, 0x3fb8aa3b, v1, -v2
	v_rndne_f32_e32 v4, v2
	v_fmamk_f32 v3, v1, 0x32a5705f, v3
	v_sub_f32_e32 v2, v2, v4
	v_add_f32_e32 v2, v2, v3
	v_cvt_i32_f32_e32 v3, v4
	v_exp_f32_e32 v2, v2
	v_ldexp_f32 v2, v2, v3
	v_cndmask_b32_e64 v2, 0, v2, s4
	v_cmp_nlt_f32_e64 s4, 0x42b17218, v1
	v_cndmask_b32_e64 v22, 0x7f800000, v2, s4
	v_mov_b32_e32 v1, v17
	v_mov_b32_e32 v2, v18
	;; [unrolled: 1-line block ×16, first 2 shown]
	v_add_f32_e32 v0, v0, v22
.LBB740_149:
	s_andn2_saveexec_b32 s4, s29
	s_or_b32 exec_lo, exec_lo, s4
	s_or_b32 exec_lo, exec_lo, s18
                                        ; implicit-def: $vgpr17_vgpr18_vgpr19_vgpr20_vgpr21_vgpr22_vgpr23_vgpr24_vgpr25_vgpr26_vgpr27_vgpr28_vgpr29_vgpr30_vgpr31_vgpr32
	s_and_saveexec_b32 s4, s5
	s_xor_b32 s4, exec_lo, s4
	s_cbranch_execnz .LBB740_111
.LBB740_150:
	s_or_saveexec_b32 s18, s4
	s_xor_b32 s5, s28, -1
	s_xor_b32 exec_lo, exec_lo, s18
	s_cbranch_execz .LBB740_112
.LBB740_151:
	global_load_ubyte v17, v[50:51], off offset:384
	s_mov_b32 s28, 0
	s_waitcnt vmcnt(0)
	v_and_b32_e32 v17, 1, v17
	v_cmp_eq_u32_e64 s4, 1, v17
	v_mov_b32_e32 v32, v16
	v_mov_b32_e32 v23, v7
	;; [unrolled: 1-line block ×17, first 2 shown]
	s_xor_b32 s4, s4, -1
	s_and_saveexec_b32 s28, s4
	s_xor_b32 s28, exec_lo, s28
	s_cbranch_execz .LBB740_153
; %bb.152:
	v_sub_f32_e32 v7, v7, v59
	v_mul_f32_e32 v17, 0x3fb8aa3b, v7
	v_cmp_ngt_f32_e64 s4, 0xc2ce8ed0, v7
	v_fma_f32 v18, 0x3fb8aa3b, v7, -v17
	v_rndne_f32_e32 v19, v17
	v_fmamk_f32 v18, v7, 0x32a5705f, v18
	v_sub_f32_e32 v17, v17, v19
	v_add_f32_e32 v17, v17, v18
	v_cvt_i32_f32_e32 v18, v19
	v_exp_f32_e32 v17, v17
	v_ldexp_f32 v17, v17, v18
	v_cndmask_b32_e64 v17, 0, v17, s4
	v_cmp_nlt_f32_e64 s4, 0x42b17218, v7
	v_cndmask_b32_e64 v7, 0x7f800000, v17, s4
	v_mov_b32_e32 v32, v16
	v_mov_b32_e32 v31, v15
	;; [unrolled: 1-line block ×16, first 2 shown]
	v_add_f32_e32 v0, v0, v7
.LBB740_153:
	s_andn2_saveexec_b32 s4, s28
	s_or_b32 exec_lo, exec_lo, s4
	s_or_b32 exec_lo, exec_lo, s18
                                        ; implicit-def: $vgpr1_vgpr2_vgpr3_vgpr4_vgpr5_vgpr6_vgpr7_vgpr8_vgpr9_vgpr10_vgpr11_vgpr12_vgpr13_vgpr14_vgpr15_vgpr16
	s_and_saveexec_b32 s4, s5
	s_xor_b32 s4, exec_lo, s4
	s_cbranch_execnz .LBB740_113
.LBB740_154:
	s_or_saveexec_b32 s18, s4
	s_xor_b32 s5, s27, -1
	s_xor_b32 exec_lo, exec_lo, s18
	s_cbranch_execz .LBB740_114
.LBB740_155:
	global_load_ubyte v1, v[50:51], off offset:448
	s_mov_b32 s27, 0
	s_waitcnt vmcnt(0)
	v_and_b32_e32 v1, 1, v1
	v_cmp_eq_u32_e64 s4, 1, v1
	v_mov_b32_e32 v1, v17
	v_mov_b32_e32 v8, v24
	;; [unrolled: 1-line block ×17, first 2 shown]
	s_xor_b32 s4, s4, -1
	s_and_saveexec_b32 s27, s4
	s_xor_b32 s27, exec_lo, s27
	s_cbranch_execz .LBB740_157
; %bb.156:
	v_sub_f32_e32 v1, v24, v59
	v_mul_f32_e32 v2, 0x3fb8aa3b, v1
	v_cmp_ngt_f32_e64 s4, 0xc2ce8ed0, v1
	v_fma_f32 v3, 0x3fb8aa3b, v1, -v2
	v_rndne_f32_e32 v4, v2
	v_fmamk_f32 v3, v1, 0x32a5705f, v3
	v_sub_f32_e32 v2, v2, v4
	v_add_f32_e32 v2, v2, v3
	v_cvt_i32_f32_e32 v3, v4
	v_exp_f32_e32 v2, v2
	v_ldexp_f32 v2, v2, v3
	v_cndmask_b32_e64 v2, 0, v2, s4
	v_cmp_nlt_f32_e64 s4, 0x42b17218, v1
	v_cndmask_b32_e64 v24, 0x7f800000, v2, s4
	v_mov_b32_e32 v1, v17
	v_mov_b32_e32 v2, v18
	;; [unrolled: 1-line block ×16, first 2 shown]
	v_add_f32_e32 v0, v0, v24
.LBB740_157:
	s_andn2_saveexec_b32 s4, s27
	s_or_b32 exec_lo, exec_lo, s4
	s_or_b32 exec_lo, exec_lo, s18
                                        ; implicit-def: $vgpr17_vgpr18_vgpr19_vgpr20_vgpr21_vgpr22_vgpr23_vgpr24_vgpr25_vgpr26_vgpr27_vgpr28_vgpr29_vgpr30_vgpr31_vgpr32
	s_and_saveexec_b32 s4, s5
	s_xor_b32 s4, exec_lo, s4
	s_cbranch_execnz .LBB740_115
.LBB740_158:
	s_or_saveexec_b32 s18, s4
	s_xor_b32 s5, s26, -1
	s_xor_b32 exec_lo, exec_lo, s18
	s_cbranch_execz .LBB740_116
.LBB740_159:
	global_load_ubyte v17, v[50:51], off offset:512
	s_mov_b32 s26, 0
	s_waitcnt vmcnt(0)
	v_and_b32_e32 v17, 1, v17
	v_cmp_eq_u32_e64 s4, 1, v17
	v_mov_b32_e32 v32, v16
	v_mov_b32_e32 v25, v9
	;; [unrolled: 1-line block ×17, first 2 shown]
	s_xor_b32 s4, s4, -1
	s_and_saveexec_b32 s26, s4
	s_xor_b32 s26, exec_lo, s26
	s_cbranch_execz .LBB740_161
; %bb.160:
	v_sub_f32_e32 v9, v9, v59
	v_mul_f32_e32 v17, 0x3fb8aa3b, v9
	v_cmp_ngt_f32_e64 s4, 0xc2ce8ed0, v9
	v_fma_f32 v18, 0x3fb8aa3b, v9, -v17
	v_rndne_f32_e32 v19, v17
	v_fmamk_f32 v18, v9, 0x32a5705f, v18
	v_sub_f32_e32 v17, v17, v19
	v_add_f32_e32 v17, v17, v18
	v_cvt_i32_f32_e32 v18, v19
	v_exp_f32_e32 v17, v17
	v_ldexp_f32 v17, v17, v18
	v_cndmask_b32_e64 v17, 0, v17, s4
	v_cmp_nlt_f32_e64 s4, 0x42b17218, v9
	v_cndmask_b32_e64 v9, 0x7f800000, v17, s4
	v_mov_b32_e32 v32, v16
	v_mov_b32_e32 v31, v15
	;; [unrolled: 1-line block ×16, first 2 shown]
	v_add_f32_e32 v0, v0, v9
.LBB740_161:
	s_andn2_saveexec_b32 s4, s26
	s_or_b32 exec_lo, exec_lo, s4
	s_or_b32 exec_lo, exec_lo, s18
                                        ; implicit-def: $vgpr1_vgpr2_vgpr3_vgpr4_vgpr5_vgpr6_vgpr7_vgpr8_vgpr9_vgpr10_vgpr11_vgpr12_vgpr13_vgpr14_vgpr15_vgpr16
	s_and_saveexec_b32 s4, s5
	s_xor_b32 s4, exec_lo, s4
	s_cbranch_execnz .LBB740_117
.LBB740_162:
	s_or_saveexec_b32 s18, s4
	s_xor_b32 s5, s25, -1
	s_xor_b32 exec_lo, exec_lo, s18
	s_cbranch_execz .LBB740_118
.LBB740_163:
	global_load_ubyte v1, v[50:51], off offset:576
	s_mov_b32 s25, 0
	s_waitcnt vmcnt(0)
	v_and_b32_e32 v1, 1, v1
	v_cmp_eq_u32_e64 s4, 1, v1
	v_mov_b32_e32 v1, v17
	v_mov_b32_e32 v10, v26
	;; [unrolled: 1-line block ×17, first 2 shown]
	s_xor_b32 s4, s4, -1
	s_and_saveexec_b32 s25, s4
	s_xor_b32 s25, exec_lo, s25
	s_cbranch_execz .LBB740_165
; %bb.164:
	v_sub_f32_e32 v1, v26, v59
	v_mul_f32_e32 v2, 0x3fb8aa3b, v1
	v_cmp_ngt_f32_e64 s4, 0xc2ce8ed0, v1
	v_fma_f32 v3, 0x3fb8aa3b, v1, -v2
	v_rndne_f32_e32 v4, v2
	v_fmamk_f32 v3, v1, 0x32a5705f, v3
	v_sub_f32_e32 v2, v2, v4
	v_add_f32_e32 v2, v2, v3
	v_cvt_i32_f32_e32 v3, v4
	v_exp_f32_e32 v2, v2
	v_ldexp_f32 v2, v2, v3
	v_cndmask_b32_e64 v2, 0, v2, s4
	v_cmp_nlt_f32_e64 s4, 0x42b17218, v1
	v_cndmask_b32_e64 v26, 0x7f800000, v2, s4
	v_mov_b32_e32 v1, v17
	v_mov_b32_e32 v2, v18
	;; [unrolled: 1-line block ×16, first 2 shown]
	v_add_f32_e32 v0, v0, v26
.LBB740_165:
	s_andn2_saveexec_b32 s4, s25
	s_or_b32 exec_lo, exec_lo, s4
	s_or_b32 exec_lo, exec_lo, s18
                                        ; implicit-def: $vgpr17_vgpr18_vgpr19_vgpr20_vgpr21_vgpr22_vgpr23_vgpr24_vgpr25_vgpr26_vgpr27_vgpr28_vgpr29_vgpr30_vgpr31_vgpr32
	s_and_saveexec_b32 s4, s5
	s_xor_b32 s4, exec_lo, s4
	s_cbranch_execnz .LBB740_119
.LBB740_166:
	s_or_saveexec_b32 s18, s4
	s_xor_b32 s5, s24, -1
	s_xor_b32 exec_lo, exec_lo, s18
	s_cbranch_execz .LBB740_120
.LBB740_167:
	global_load_ubyte v17, v[50:51], off offset:640
	s_mov_b32 s24, 0
	s_waitcnt vmcnt(0)
	v_and_b32_e32 v17, 1, v17
	v_cmp_eq_u32_e64 s4, 1, v17
	v_mov_b32_e32 v32, v16
	v_mov_b32_e32 v27, v11
	;; [unrolled: 1-line block ×17, first 2 shown]
	s_xor_b32 s4, s4, -1
	s_and_saveexec_b32 s24, s4
	s_xor_b32 s24, exec_lo, s24
	s_cbranch_execz .LBB740_169
; %bb.168:
	v_sub_f32_e32 v11, v11, v59
	v_mul_f32_e32 v17, 0x3fb8aa3b, v11
	v_cmp_ngt_f32_e64 s4, 0xc2ce8ed0, v11
	v_fma_f32 v18, 0x3fb8aa3b, v11, -v17
	v_rndne_f32_e32 v19, v17
	v_fmamk_f32 v18, v11, 0x32a5705f, v18
	v_sub_f32_e32 v17, v17, v19
	v_add_f32_e32 v17, v17, v18
	v_cvt_i32_f32_e32 v18, v19
	v_exp_f32_e32 v17, v17
	v_ldexp_f32 v17, v17, v18
	v_cndmask_b32_e64 v17, 0, v17, s4
	v_cmp_nlt_f32_e64 s4, 0x42b17218, v11
	v_cndmask_b32_e64 v11, 0x7f800000, v17, s4
	v_mov_b32_e32 v32, v16
	v_mov_b32_e32 v31, v15
	;; [unrolled: 1-line block ×16, first 2 shown]
	v_add_f32_e32 v0, v0, v11
.LBB740_169:
	s_andn2_saveexec_b32 s4, s24
	s_or_b32 exec_lo, exec_lo, s4
	s_or_b32 exec_lo, exec_lo, s18
                                        ; implicit-def: $vgpr1_vgpr2_vgpr3_vgpr4_vgpr5_vgpr6_vgpr7_vgpr8_vgpr9_vgpr10_vgpr11_vgpr12_vgpr13_vgpr14_vgpr15_vgpr16
	s_and_saveexec_b32 s4, s5
	s_xor_b32 s4, exec_lo, s4
	s_cbranch_execnz .LBB740_121
.LBB740_170:
	s_or_saveexec_b32 s18, s4
	s_xor_b32 s5, s23, -1
	s_xor_b32 exec_lo, exec_lo, s18
	s_cbranch_execz .LBB740_122
.LBB740_171:
	global_load_ubyte v1, v[50:51], off offset:704
	s_mov_b32 s23, 0
	s_waitcnt vmcnt(0)
	v_and_b32_e32 v1, 1, v1
	v_cmp_eq_u32_e64 s4, 1, v1
	v_mov_b32_e32 v1, v17
	v_mov_b32_e32 v12, v28
	v_mov_b32_e32 v2, v18
	v_mov_b32_e32 v3, v19
	v_mov_b32_e32 v4, v20
	v_mov_b32_e32 v5, v21
	v_mov_b32_e32 v6, v22
	v_mov_b32_e32 v7, v23
	v_mov_b32_e32 v8, v24
	v_mov_b32_e32 v9, v25
	v_mov_b32_e32 v10, v26
	v_mov_b32_e32 v11, v27
	v_mov_b32_e32 v13, v29
	v_mov_b32_e32 v14, v30
	v_mov_b32_e32 v15, v31
	v_mov_b32_e32 v16, v32
	v_mov_b32_e32 v12, s23
	s_xor_b32 s4, s4, -1
	s_and_saveexec_b32 s23, s4
	s_xor_b32 s23, exec_lo, s23
	s_cbranch_execz .LBB740_173
; %bb.172:
	v_sub_f32_e32 v1, v28, v59
	v_mul_f32_e32 v2, 0x3fb8aa3b, v1
	v_cmp_ngt_f32_e64 s4, 0xc2ce8ed0, v1
	v_fma_f32 v3, 0x3fb8aa3b, v1, -v2
	v_rndne_f32_e32 v4, v2
	v_fmamk_f32 v3, v1, 0x32a5705f, v3
	v_sub_f32_e32 v2, v2, v4
	v_add_f32_e32 v2, v2, v3
	v_cvt_i32_f32_e32 v3, v4
	v_exp_f32_e32 v2, v2
	v_ldexp_f32 v2, v2, v3
	v_cndmask_b32_e64 v2, 0, v2, s4
	v_cmp_nlt_f32_e64 s4, 0x42b17218, v1
	v_cndmask_b32_e64 v28, 0x7f800000, v2, s4
	v_mov_b32_e32 v1, v17
	v_mov_b32_e32 v2, v18
	;; [unrolled: 1-line block ×16, first 2 shown]
	v_add_f32_e32 v0, v0, v28
.LBB740_173:
	s_andn2_saveexec_b32 s4, s23
	s_or_b32 exec_lo, exec_lo, s4
	s_or_b32 exec_lo, exec_lo, s18
                                        ; implicit-def: $vgpr17_vgpr18_vgpr19_vgpr20_vgpr21_vgpr22_vgpr23_vgpr24_vgpr25_vgpr26_vgpr27_vgpr28_vgpr29_vgpr30_vgpr31_vgpr32
	s_and_saveexec_b32 s4, s5
	s_xor_b32 s4, exec_lo, s4
	s_cbranch_execnz .LBB740_123
.LBB740_174:
	s_or_saveexec_b32 s18, s4
	s_xor_b32 s5, s22, -1
	s_xor_b32 exec_lo, exec_lo, s18
	s_cbranch_execz .LBB740_124
.LBB740_175:
	global_load_ubyte v17, v[50:51], off offset:768
	s_mov_b32 s22, 0
	s_waitcnt vmcnt(0)
	v_and_b32_e32 v17, 1, v17
	v_cmp_eq_u32_e64 s4, 1, v17
	v_mov_b32_e32 v32, v16
	v_mov_b32_e32 v29, v13
	v_mov_b32_e32 v31, v15
	v_mov_b32_e32 v30, v14
	v_mov_b32_e32 v28, v12
	v_mov_b32_e32 v27, v11
	v_mov_b32_e32 v26, v10
	v_mov_b32_e32 v25, v9
	v_mov_b32_e32 v24, v8
	v_mov_b32_e32 v23, v7
	v_mov_b32_e32 v22, v6
	v_mov_b32_e32 v21, v5
	v_mov_b32_e32 v20, v4
	v_mov_b32_e32 v19, v3
	v_mov_b32_e32 v18, v2
	v_mov_b32_e32 v17, v1
	v_mov_b32_e32 v29, s22
	s_xor_b32 s4, s4, -1
	s_and_saveexec_b32 s22, s4
	s_xor_b32 s22, exec_lo, s22
	s_cbranch_execz .LBB740_177
; %bb.176:
	v_sub_f32_e32 v13, v13, v59
	v_mul_f32_e32 v17, 0x3fb8aa3b, v13
	v_cmp_ngt_f32_e64 s4, 0xc2ce8ed0, v13
	v_fma_f32 v18, 0x3fb8aa3b, v13, -v17
	v_rndne_f32_e32 v19, v17
	v_fmamk_f32 v18, v13, 0x32a5705f, v18
	v_sub_f32_e32 v17, v17, v19
	v_add_f32_e32 v17, v17, v18
	v_cvt_i32_f32_e32 v18, v19
	v_exp_f32_e32 v17, v17
	v_ldexp_f32 v17, v17, v18
	v_cndmask_b32_e64 v17, 0, v17, s4
	v_cmp_nlt_f32_e64 s4, 0x42b17218, v13
	v_cndmask_b32_e64 v13, 0x7f800000, v17, s4
	v_mov_b32_e32 v32, v16
	v_mov_b32_e32 v31, v15
	;; [unrolled: 1-line block ×16, first 2 shown]
	v_add_f32_e32 v0, v0, v13
.LBB740_177:
	s_andn2_saveexec_b32 s4, s22
	s_or_b32 exec_lo, exec_lo, s4
	s_or_b32 exec_lo, exec_lo, s18
                                        ; implicit-def: $vgpr1_vgpr2_vgpr3_vgpr4_vgpr5_vgpr6_vgpr7_vgpr8_vgpr9_vgpr10_vgpr11_vgpr12_vgpr13_vgpr14_vgpr15_vgpr16
	s_and_saveexec_b32 s4, s5
	s_xor_b32 s4, exec_lo, s4
	s_cbranch_execnz .LBB740_125
.LBB740_178:
	s_or_saveexec_b32 s18, s4
	s_xor_b32 s5, s19, -1
	s_xor_b32 exec_lo, exec_lo, s18
	s_cbranch_execz .LBB740_126
.LBB740_179:
	global_load_ubyte v1, v[50:51], off offset:832
	s_mov_b32 s19, 0
	s_waitcnt vmcnt(0)
	v_and_b32_e32 v1, 1, v1
	v_cmp_eq_u32_e64 s4, 1, v1
	v_mov_b32_e32 v1, v17
	v_mov_b32_e32 v14, v30
	;; [unrolled: 1-line block ×17, first 2 shown]
	s_xor_b32 s4, s4, -1
	s_and_saveexec_b32 s19, s4
	s_xor_b32 s19, exec_lo, s19
	s_cbranch_execz .LBB740_181
; %bb.180:
	v_sub_f32_e32 v1, v30, v59
	v_mul_f32_e32 v2, 0x3fb8aa3b, v1
	v_cmp_ngt_f32_e64 s4, 0xc2ce8ed0, v1
	v_fma_f32 v3, 0x3fb8aa3b, v1, -v2
	v_rndne_f32_e32 v4, v2
	v_fmamk_f32 v3, v1, 0x32a5705f, v3
	v_sub_f32_e32 v2, v2, v4
	v_add_f32_e32 v2, v2, v3
	v_cvt_i32_f32_e32 v3, v4
	v_exp_f32_e32 v2, v2
	v_ldexp_f32 v2, v2, v3
	v_cndmask_b32_e64 v2, 0, v2, s4
	v_cmp_nlt_f32_e64 s4, 0x42b17218, v1
	v_cndmask_b32_e64 v30, 0x7f800000, v2, s4
	v_mov_b32_e32 v1, v17
	v_mov_b32_e32 v2, v18
	;; [unrolled: 1-line block ×16, first 2 shown]
	v_add_f32_e32 v0, v0, v30
.LBB740_181:
	s_andn2_saveexec_b32 s4, s19
	s_or_b32 exec_lo, exec_lo, s4
	s_or_b32 exec_lo, exec_lo, s18
                                        ; implicit-def: $vgpr17_vgpr18_vgpr19_vgpr20_vgpr21_vgpr22_vgpr23_vgpr24_vgpr25_vgpr26_vgpr27_vgpr28_vgpr29_vgpr30_vgpr31_vgpr32
	s_and_saveexec_b32 s4, s5
	s_xor_b32 s4, exec_lo, s4
	s_cbranch_execnz .LBB740_127
.LBB740_182:
	s_or_saveexec_b32 s18, s4
	s_xor_b32 s5, s17, -1
	s_xor_b32 exec_lo, exec_lo, s18
	s_cbranch_execz .LBB740_128
.LBB740_183:
	global_load_ubyte v17, v[50:51], off offset:896
	s_mov_b32 s17, 0
	s_waitcnt vmcnt(0)
	v_and_b32_e32 v17, 1, v17
	v_cmp_eq_u32_e64 s4, 1, v17
	v_mov_b32_e32 v32, v16
	v_mov_b32_e32 v31, v15
	;; [unrolled: 1-line block ×17, first 2 shown]
	s_xor_b32 s4, s4, -1
	s_and_saveexec_b32 s17, s4
	s_xor_b32 s17, exec_lo, s17
	s_cbranch_execz .LBB740_185
; %bb.184:
	v_sub_f32_e32 v15, v15, v59
	v_mul_f32_e32 v17, 0x3fb8aa3b, v15
	v_cmp_ngt_f32_e64 s4, 0xc2ce8ed0, v15
	v_fma_f32 v18, 0x3fb8aa3b, v15, -v17
	v_rndne_f32_e32 v19, v17
	v_fmamk_f32 v18, v15, 0x32a5705f, v18
	v_sub_f32_e32 v17, v17, v19
	v_add_f32_e32 v17, v17, v18
	v_cvt_i32_f32_e32 v18, v19
	v_exp_f32_e32 v17, v17
	v_ldexp_f32 v17, v17, v18
	v_cndmask_b32_e64 v17, 0, v17, s4
	v_cmp_nlt_f32_e64 s4, 0x42b17218, v15
	v_cndmask_b32_e64 v15, 0x7f800000, v17, s4
	v_mov_b32_e32 v32, v16
	v_mov_b32_e32 v30, v14
	;; [unrolled: 1-line block ×16, first 2 shown]
	v_add_f32_e32 v0, v0, v15
.LBB740_185:
	s_andn2_saveexec_b32 s4, s17
	s_or_b32 exec_lo, exec_lo, s4
	s_or_b32 exec_lo, exec_lo, s18
                                        ; implicit-def: $vgpr1_vgpr2_vgpr3_vgpr4_vgpr5_vgpr6_vgpr7_vgpr8_vgpr9_vgpr10_vgpr11_vgpr12_vgpr13_vgpr14_vgpr15_vgpr16
	s_and_saveexec_b32 s4, s5
	s_xor_b32 s4, exec_lo, s4
	s_cbranch_execnz .LBB740_129
.LBB740_186:
	s_andn2_saveexec_b32 s5, s4
	s_cbranch_execz .LBB740_190
.LBB740_187:
	global_load_ubyte v1, v[50:51], off offset:960
	s_mov_b32 s17, 0
	s_waitcnt vmcnt(0)
	v_and_b32_e32 v1, 1, v1
	v_cmp_eq_u32_e64 s4, 1, v1
	v_mov_b32_e32 v1, v17
	v_mov_b32_e32 v16, v32
	;; [unrolled: 1-line block ×17, first 2 shown]
	s_xor_b32 s4, s4, -1
	s_and_saveexec_b32 s17, s4
	s_xor_b32 s17, exec_lo, s17
	s_cbranch_execz .LBB740_189
; %bb.188:
	v_sub_f32_e32 v1, v32, v59
	v_mul_f32_e32 v2, 0x3fb8aa3b, v1
	v_cmp_ngt_f32_e64 s4, 0xc2ce8ed0, v1
	v_fma_f32 v3, 0x3fb8aa3b, v1, -v2
	v_rndne_f32_e32 v4, v2
	v_fmamk_f32 v3, v1, 0x32a5705f, v3
	v_sub_f32_e32 v2, v2, v4
	v_add_f32_e32 v2, v2, v3
	v_cvt_i32_f32_e32 v3, v4
	v_exp_f32_e32 v2, v2
	v_ldexp_f32 v2, v2, v3
	v_cndmask_b32_e64 v2, 0, v2, s4
	v_cmp_nlt_f32_e64 s4, 0x42b17218, v1
	v_cndmask_b32_e64 v32, 0x7f800000, v2, s4
	v_mov_b32_e32 v1, v17
	v_mov_b32_e32 v2, v18
	;; [unrolled: 1-line block ×16, first 2 shown]
	v_add_f32_e32 v0, v0, v32
.LBB740_189:
	s_andn2_saveexec_b32 s4, s17
	s_or_b32 exec_lo, exec_lo, s4
.LBB740_190:
	s_or_b32 exec_lo, exec_lo, s5
	ds_bpermute_b32 v17, v53, v0
	s_mov_b32 s5, exec_lo
	s_waitcnt lgkmcnt(0)
	v_add_f32_e32 v0, v0, v17
	ds_bpermute_b32 v17, v54, v0
	s_waitcnt lgkmcnt(0)
	v_add_f32_e32 v0, v0, v17
	ds_bpermute_b32 v17, v55, v0
	;; [unrolled: 3-line block ×5, first 2 shown]
	v_cmpx_lt_i32_e32 0, v52
	s_cbranch_execz .LBB740_240
; %bb.191:
	s_and_b32 exec_lo, exec_lo, vcc_lo
	s_cbranch_execz .LBB740_240
; %bb.192:
	s_waitcnt lgkmcnt(0)
	v_add_f32_e32 v17, v0, v17
	v_mov_b32_e32 v18, 0x7e00
	v_cmp_neq_f32_e64 s4, 0, v17
	s_and_saveexec_b32 s5, s4
	s_cbranch_execz .LBB740_194
; %bb.193:
	v_div_scale_f32 v0, null, v17, v17, v1
	v_rcp_f32_e32 v18, v0
	v_fma_f32 v19, -v0, v18, 1.0
	v_fmac_f32_e32 v18, v19, v18
	v_div_scale_f32 v19, vcc_lo, v1, v17, v1
	v_mul_f32_e32 v20, v19, v18
	v_fma_f32 v21, -v0, v20, v19
	v_fmac_f32_e32 v20, v21, v18
	v_fma_f32 v0, -v0, v20, v19
	v_div_fmas_f32 v0, v0, v18, v20
	v_div_fixup_f32 v0, v0, v17, v1
	v_cvt_f16_f32_e32 v18, v0
.LBB740_194:
	s_or_b32 exec_lo, exec_lo, s5
	v_add_co_u32 v0, vcc_lo, s20, v48
	v_add_co_ci_u32_e64 v1, null, s21, v49, vcc_lo
	global_store_short v[0:1], v18, off
	s_and_b32 exec_lo, exec_lo, s16
	s_cbranch_execz .LBB740_240
; %bb.195:
	v_mov_b32_e32 v18, 0x7e00
	s_and_saveexec_b32 s5, s4
	s_cbranch_execz .LBB740_197
; %bb.196:
	v_div_scale_f32 v18, null, v17, v17, v2
	v_rcp_f32_e32 v19, v18
	v_fma_f32 v20, -v18, v19, 1.0
	v_fmac_f32_e32 v19, v20, v19
	v_div_scale_f32 v20, vcc_lo, v2, v17, v2
	v_mul_f32_e32 v21, v20, v19
	v_fma_f32 v22, -v18, v21, v20
	v_fmac_f32_e32 v21, v22, v19
	v_fma_f32 v18, -v18, v21, v20
	v_div_fmas_f32 v18, v18, v19, v21
	v_div_fixup_f32 v2, v18, v17, v2
	v_cvt_f16_f32_e32 v18, v2
.LBB740_197:
	s_or_b32 exec_lo, exec_lo, s5
	global_store_short v[0:1], v18, off offset:128
	s_and_b32 exec_lo, exec_lo, s15
	s_cbranch_execz .LBB740_240
; %bb.198:
	v_mov_b32_e32 v2, 0x7e00
	s_and_saveexec_b32 s5, s4
	s_cbranch_execz .LBB740_200
; %bb.199:
	v_div_scale_f32 v2, null, v17, v17, v3
	v_rcp_f32_e32 v18, v2
	v_fma_f32 v19, -v2, v18, 1.0
	v_fmac_f32_e32 v18, v19, v18
	v_div_scale_f32 v19, vcc_lo, v3, v17, v3
	v_mul_f32_e32 v20, v19, v18
	v_fma_f32 v21, -v2, v20, v19
	v_fmac_f32_e32 v20, v21, v18
	v_fma_f32 v2, -v2, v20, v19
	v_div_fmas_f32 v2, v2, v18, v20
	v_div_fixup_f32 v2, v2, v17, v3
	v_cvt_f16_f32_e32 v2, v2
.LBB740_200:
	s_or_b32 exec_lo, exec_lo, s5
	global_store_short v[0:1], v2, off offset:256
	;; [unrolled: 22-line block ×15, first 2 shown]
.LBB740_240:
	s_endpgm
	.section	.rodata,"a",@progbits
	.p2align	6, 0x0
	.amdhsa_kernel _ZN12_GLOBAL__N_120softmax_warp_forwardIN3c104HalfES2_fLi10ELb0ELb1ELi64EEEvPT0_PKT_iiiPKbib
		.amdhsa_group_segment_fixed_size 0
		.amdhsa_private_segment_fixed_size 0
		.amdhsa_kernarg_size 304
		.amdhsa_user_sgpr_count 6
		.amdhsa_user_sgpr_private_segment_buffer 1
		.amdhsa_user_sgpr_dispatch_ptr 0
		.amdhsa_user_sgpr_queue_ptr 0
		.amdhsa_user_sgpr_kernarg_segment_ptr 1
		.amdhsa_user_sgpr_dispatch_id 0
		.amdhsa_user_sgpr_flat_scratch_init 0
		.amdhsa_user_sgpr_private_segment_size 0
		.amdhsa_wavefront_size32 1
		.amdhsa_uses_dynamic_stack 0
		.amdhsa_system_sgpr_private_segment_wavefront_offset 0
		.amdhsa_system_sgpr_workgroup_id_x 1
		.amdhsa_system_sgpr_workgroup_id_y 0
		.amdhsa_system_sgpr_workgroup_id_z 0
		.amdhsa_system_sgpr_workgroup_info 0
		.amdhsa_system_vgpr_workitem_id 1
		.amdhsa_next_free_vgpr 60
		.amdhsa_next_free_sgpr 39
		.amdhsa_reserve_vcc 1
		.amdhsa_reserve_flat_scratch 0
		.amdhsa_float_round_mode_32 0
		.amdhsa_float_round_mode_16_64 0
		.amdhsa_float_denorm_mode_32 3
		.amdhsa_float_denorm_mode_16_64 3
		.amdhsa_dx10_clamp 1
		.amdhsa_ieee_mode 1
		.amdhsa_fp16_overflow 0
		.amdhsa_workgroup_processor_mode 1
		.amdhsa_memory_ordered 1
		.amdhsa_forward_progress 1
		.amdhsa_shared_vgpr_count 0
		.amdhsa_exception_fp_ieee_invalid_op 0
		.amdhsa_exception_fp_denorm_src 0
		.amdhsa_exception_fp_ieee_div_zero 0
		.amdhsa_exception_fp_ieee_overflow 0
		.amdhsa_exception_fp_ieee_underflow 0
		.amdhsa_exception_fp_ieee_inexact 0
		.amdhsa_exception_int_div_zero 0
	.end_amdhsa_kernel
	.section	.text._ZN12_GLOBAL__N_120softmax_warp_forwardIN3c104HalfES2_fLi10ELb0ELb1ELi64EEEvPT0_PKT_iiiPKbib,"axG",@progbits,_ZN12_GLOBAL__N_120softmax_warp_forwardIN3c104HalfES2_fLi10ELb0ELb1ELi64EEEvPT0_PKT_iiiPKbib,comdat
.Lfunc_end740:
	.size	_ZN12_GLOBAL__N_120softmax_warp_forwardIN3c104HalfES2_fLi10ELb0ELb1ELi64EEEvPT0_PKT_iiiPKbib, .Lfunc_end740-_ZN12_GLOBAL__N_120softmax_warp_forwardIN3c104HalfES2_fLi10ELb0ELb1ELi64EEEvPT0_PKT_iiiPKbib
                                        ; -- End function
	.set _ZN12_GLOBAL__N_120softmax_warp_forwardIN3c104HalfES2_fLi10ELb0ELb1ELi64EEEvPT0_PKT_iiiPKbib.num_vgpr, 60
	.set _ZN12_GLOBAL__N_120softmax_warp_forwardIN3c104HalfES2_fLi10ELb0ELb1ELi64EEEvPT0_PKT_iiiPKbib.num_agpr, 0
	.set _ZN12_GLOBAL__N_120softmax_warp_forwardIN3c104HalfES2_fLi10ELb0ELb1ELi64EEEvPT0_PKT_iiiPKbib.numbered_sgpr, 39
	.set _ZN12_GLOBAL__N_120softmax_warp_forwardIN3c104HalfES2_fLi10ELb0ELb1ELi64EEEvPT0_PKT_iiiPKbib.num_named_barrier, 0
	.set _ZN12_GLOBAL__N_120softmax_warp_forwardIN3c104HalfES2_fLi10ELb0ELb1ELi64EEEvPT0_PKT_iiiPKbib.private_seg_size, 0
	.set _ZN12_GLOBAL__N_120softmax_warp_forwardIN3c104HalfES2_fLi10ELb0ELb1ELi64EEEvPT0_PKT_iiiPKbib.uses_vcc, 1
	.set _ZN12_GLOBAL__N_120softmax_warp_forwardIN3c104HalfES2_fLi10ELb0ELb1ELi64EEEvPT0_PKT_iiiPKbib.uses_flat_scratch, 0
	.set _ZN12_GLOBAL__N_120softmax_warp_forwardIN3c104HalfES2_fLi10ELb0ELb1ELi64EEEvPT0_PKT_iiiPKbib.has_dyn_sized_stack, 0
	.set _ZN12_GLOBAL__N_120softmax_warp_forwardIN3c104HalfES2_fLi10ELb0ELb1ELi64EEEvPT0_PKT_iiiPKbib.has_recursion, 0
	.set _ZN12_GLOBAL__N_120softmax_warp_forwardIN3c104HalfES2_fLi10ELb0ELb1ELi64EEEvPT0_PKT_iiiPKbib.has_indirect_call, 0
	.section	.AMDGPU.csdata,"",@progbits
; Kernel info:
; codeLenInByte = 11560
; TotalNumSgprs: 41
; NumVgprs: 60
; ScratchSize: 0
; MemoryBound: 0
; FloatMode: 240
; IeeeMode: 1
; LDSByteSize: 0 bytes/workgroup (compile time only)
; SGPRBlocks: 0
; VGPRBlocks: 7
; NumSGPRsForWavesPerEU: 41
; NumVGPRsForWavesPerEU: 60
; Occupancy: 16
; WaveLimiterHint : 0
; COMPUTE_PGM_RSRC2:SCRATCH_EN: 0
; COMPUTE_PGM_RSRC2:USER_SGPR: 6
; COMPUTE_PGM_RSRC2:TRAP_HANDLER: 0
; COMPUTE_PGM_RSRC2:TGID_X_EN: 1
; COMPUTE_PGM_RSRC2:TGID_Y_EN: 0
; COMPUTE_PGM_RSRC2:TGID_Z_EN: 0
; COMPUTE_PGM_RSRC2:TIDIG_COMP_CNT: 1
	.section	.text._ZN12_GLOBAL__N_120softmax_warp_forwardIN3c104HalfES2_fLi10ELb0ELb1ELi32EEEvPT0_PKT_iiiPKbib,"axG",@progbits,_ZN12_GLOBAL__N_120softmax_warp_forwardIN3c104HalfES2_fLi10ELb0ELb1ELi32EEEvPT0_PKT_iiiPKbib,comdat
	.globl	_ZN12_GLOBAL__N_120softmax_warp_forwardIN3c104HalfES2_fLi10ELb0ELb1ELi32EEEvPT0_PKT_iiiPKbib ; -- Begin function _ZN12_GLOBAL__N_120softmax_warp_forwardIN3c104HalfES2_fLi10ELb0ELb1ELi32EEEvPT0_PKT_iiiPKbib
	.p2align	8
	.type	_ZN12_GLOBAL__N_120softmax_warp_forwardIN3c104HalfES2_fLi10ELb0ELb1ELi32EEEvPT0_PKT_iiiPKbib,@function
_ZN12_GLOBAL__N_120softmax_warp_forwardIN3c104HalfES2_fLi10ELb0ELb1ELi32EEEvPT0_PKT_iiiPKbib: ; @_ZN12_GLOBAL__N_120softmax_warp_forwardIN3c104HalfES2_fLi10ELb0ELb1ELi32EEEvPT0_PKT_iiiPKbib
; %bb.0:
	s_clause 0x1
	s_load_dword s0, s[4:5], 0x3c
	s_load_dwordx4 s[40:43], s[4:5], 0x10
	s_waitcnt lgkmcnt(0)
	s_lshr_b32 s0, s0, 16
	v_mad_u64_u32 v[1:2], null, s6, s0, v[1:2]
	s_load_dwordx2 s[0:1], s[4:5], 0x28
	v_mul_lo_u32 v4, v1, s41
	v_add_nc_u32_e32 v2, v4, v0
	v_ashrrev_i32_e32 v3, 31, v2
	s_waitcnt lgkmcnt(0)
	s_bitcmp0_b32 s1, 0
	v_mov_b32_e32 v33, v3
	v_mov_b32_e32 v32, v2
	s_cbranch_scc1 .LBB741_2
; %bb.1:
	s_abs_i32 s1, s0
	v_sub_nc_u32_e32 v7, 0, v4
	v_cvt_f32_u32_e32 v5, s1
	s_sub_i32 s2, 0, s1
	v_max_i32_e32 v7, v4, v7
	v_rcp_iflag_f32_e32 v5, v5
	v_xor_b32_e32 v4, s0, v4
	v_ashrrev_i32_e32 v4, 31, v4
	v_mul_f32_e32 v5, 0x4f7ffffe, v5
	v_cvt_u32_f32_e32 v5, v5
	v_mul_lo_u32 v6, s2, v5
	v_mul_hi_u32 v6, v5, v6
	v_add_nc_u32_e32 v5, v5, v6
	v_mul_hi_u32 v5, v7, v5
	v_mul_lo_u32 v6, v5, s1
	v_sub_nc_u32_e32 v6, v7, v6
	v_add_nc_u32_e32 v7, 1, v5
	v_subrev_nc_u32_e32 v8, s1, v6
	v_cmp_le_u32_e32 vcc_lo, s1, v6
	v_cndmask_b32_e32 v5, v5, v7, vcc_lo
	v_cndmask_b32_e32 v6, v6, v8, vcc_lo
	v_add_nc_u32_e32 v7, 1, v5
	v_cmp_le_u32_e32 vcc_lo, s1, v6
	v_cndmask_b32_e32 v5, v5, v7, vcc_lo
	v_xor_b32_e32 v5, v5, v4
	v_sub_nc_u32_e32 v4, v5, v4
	v_mad_u64_u32 v[32:33], null, v4, s41, v[0:1]
	v_ashrrev_i32_e32 v33, 31, v32
.LBB741_2:
	s_load_dwordx4 s[36:39], s[4:5], 0x0
	v_lshlrev_b64 v[96:97], 1, v[2:3]
	v_sub_nc_u32_e32 v100, s40, v1
	v_cmp_gt_i32_e32 vcc_lo, s42, v0
	v_mov_b32_e32 v64, 0xff800000
	v_mov_b32_e32 v1, 0xff800000
	v_cmp_lt_i32_e64 s34, 0, v100
	s_and_b32 s67, s34, vcc_lo
	s_waitcnt lgkmcnt(0)
	v_add_co_u32 v34, s0, s38, v96
	v_add_co_ci_u32_e64 v35, null, s39, v97, s0
	s_and_saveexec_b32 s0, s67
	s_cbranch_execz .LBB741_4
; %bb.3:
	global_load_ushort v1, v[34:35], off
	s_waitcnt vmcnt(0)
	v_cvt_f32_f16_e32 v1, v1
.LBB741_4:
	s_or_b32 exec_lo, exec_lo, s0
	v_add_nc_u32_e32 v2, 32, v0
	v_cmp_gt_i32_e64 s33, s42, v2
	s_and_b32 s68, s34, s33
	s_and_saveexec_b32 s0, s68
	s_cbranch_execz .LBB741_6
; %bb.5:
	global_load_ushort v2, v[34:35], off offset:64
	s_waitcnt vmcnt(0)
	v_cvt_f32_f16_e32 v64, v2
.LBB741_6:
	s_or_b32 exec_lo, exec_lo, s0
	v_add_nc_u32_e32 v2, 64, v0
	v_mov_b32_e32 v3, 0xff800000
	v_cmp_gt_i32_e64 s31, s42, v2
	v_mov_b32_e32 v2, 0xff800000
	s_and_b32 s66, s34, s31
	s_and_saveexec_b32 s0, s66
	s_cbranch_execz .LBB741_8
; %bb.7:
	global_load_ushort v2, v[34:35], off offset:128
	s_waitcnt vmcnt(0)
	v_cvt_f32_f16_e32 v2, v2
.LBB741_8:
	s_or_b32 exec_lo, exec_lo, s0
	v_add_nc_u32_e32 v4, 0x60, v0
	v_cmp_gt_i32_e64 s30, s42, v4
	s_and_b32 s65, s34, s30
	s_and_saveexec_b32 s0, s65
	s_cbranch_execz .LBB741_10
; %bb.9:
	global_load_ushort v3, v[34:35], off offset:192
	s_waitcnt vmcnt(0)
	v_cvt_f32_f16_e32 v3, v3
.LBB741_10:
	s_or_b32 exec_lo, exec_lo, s0
	v_add_nc_u32_e32 v4, 0x80, v0
	v_mov_b32_e32 v5, 0xff800000
	v_cmp_gt_i32_e64 s29, s42, v4
	v_mov_b32_e32 v4, 0xff800000
	s_and_b32 s64, s34, s29
	s_and_saveexec_b32 s0, s64
	s_cbranch_execz .LBB741_12
; %bb.11:
	global_load_ushort v4, v[34:35], off offset:256
	s_waitcnt vmcnt(0)
	v_cvt_f32_f16_e32 v4, v4
.LBB741_12:
	;; [unrolled: 24-line block ×15, first 2 shown]
	s_or_b32 exec_lo, exec_lo, s0
	v_add_nc_u32_e32 v0, 0x3e0, v0
	v_cmp_gt_i32_e64 s0, s42, v0
	s_and_b32 s34, s34, s0
	s_and_saveexec_b32 s42, s34
	s_cbranch_execz .LBB741_66
; %bb.65:
	global_load_ushort v0, v[34:35], off offset:1984
	s_waitcnt vmcnt(0)
	v_cvt_f32_f16_e32 v31, v0
.LBB741_66:
	s_or_b32 exec_lo, exec_lo, s42
	s_load_dwordx2 s[4:5], s[4:5], 0x20
	s_waitcnt lgkmcnt(0)
	v_add_co_u32 v98, s4, s4, v32
	v_add_co_ci_u32_e64 v99, null, s5, v33, s4
	s_mov_b32 s5, 0
	s_and_saveexec_b32 s42, s67
	s_cbranch_execz .LBB741_128
; %bb.67:
	global_load_ubyte v0, v[98:99], off
	s_waitcnt vmcnt(0)
	v_and_b32_e32 v0, 1, v0
	v_cmp_eq_u32_e64 s4, 1, v0
	s_xor_b32 s4, s4, -1
	s_and_b32 s5, s4, exec_lo
	s_or_b32 exec_lo, exec_lo, s42
	v_mov_b32_e32 v0, v1
	s_and_saveexec_b32 s42, s68
	s_cbranch_execnz .LBB741_129
.LBB741_68:
	s_or_b32 exec_lo, exec_lo, s42
	s_and_saveexec_b32 s42, s66
	s_cbranch_execz .LBB741_132
.LBB741_69:
	global_load_ubyte v32, v[98:99], off offset:64
	s_waitcnt vmcnt(0)
	v_and_b32_e32 v32, 1, v32
	v_cmp_eq_u32_e64 s4, 1, v32
	s_xor_b32 s70, s4, -1
	s_mov_b32 s4, s5
	s_and_saveexec_b32 s69, s70
; %bb.70:
	v_cmp_gt_f32_e64 s4, v0, v2
	s_and_b32 s4, s5, s4
	v_cndmask_b32_e64 v0, v2, v0, s4
	s_or_b32 s4, s5, exec_lo
; %bb.71:
	s_or_b32 exec_lo, exec_lo, s69
	s_andn2_b32 s5, s5, exec_lo
	s_and_b32 s4, s4, exec_lo
	s_or_b32 s5, s5, s4
	s_or_b32 exec_lo, exec_lo, s42
	s_and_saveexec_b32 s42, s65
	s_cbranch_execnz .LBB741_133
.LBB741_72:
	s_or_b32 exec_lo, exec_lo, s42
	s_and_saveexec_b32 s42, s64
	s_cbranch_execz .LBB741_136
.LBB741_73:
	global_load_ubyte v32, v[98:99], off offset:128
	s_waitcnt vmcnt(0)
	v_and_b32_e32 v32, 1, v32
	v_cmp_eq_u32_e64 s4, 1, v32
	s_xor_b32 s70, s4, -1
	s_mov_b32 s4, s5
	s_and_saveexec_b32 s69, s70
; %bb.74:
	v_cmp_gt_f32_e64 s4, v0, v4
	s_and_b32 s4, s5, s4
	v_cndmask_b32_e64 v0, v4, v0, s4
	s_or_b32 s4, s5, exec_lo
; %bb.75:
	s_or_b32 exec_lo, exec_lo, s69
	s_andn2_b32 s5, s5, exec_lo
	s_and_b32 s4, s4, exec_lo
	s_or_b32 s5, s5, s4
	s_or_b32 exec_lo, exec_lo, s42
	s_and_saveexec_b32 s42, s63
	s_cbranch_execnz .LBB741_137
.LBB741_76:
	s_or_b32 exec_lo, exec_lo, s42
	s_and_saveexec_b32 s42, s62
	s_cbranch_execz .LBB741_140
.LBB741_77:
	global_load_ubyte v32, v[98:99], off offset:192
	s_waitcnt vmcnt(0)
	v_and_b32_e32 v32, 1, v32
	v_cmp_eq_u32_e64 s4, 1, v32
	s_xor_b32 s70, s4, -1
	s_mov_b32 s4, s5
	s_and_saveexec_b32 s69, s70
; %bb.78:
	v_cmp_gt_f32_e64 s4, v0, v6
	s_and_b32 s4, s5, s4
	v_cndmask_b32_e64 v0, v6, v0, s4
	s_or_b32 s4, s5, exec_lo
; %bb.79:
	s_or_b32 exec_lo, exec_lo, s69
	s_andn2_b32 s5, s5, exec_lo
	s_and_b32 s4, s4, exec_lo
	s_or_b32 s5, s5, s4
	s_or_b32 exec_lo, exec_lo, s42
	s_and_saveexec_b32 s42, s61
	s_cbranch_execnz .LBB741_141
.LBB741_80:
	s_or_b32 exec_lo, exec_lo, s42
	s_and_saveexec_b32 s42, s60
	s_cbranch_execz .LBB741_144
.LBB741_81:
	global_load_ubyte v32, v[98:99], off offset:256
	s_waitcnt vmcnt(0)
	v_and_b32_e32 v32, 1, v32
	v_cmp_eq_u32_e64 s4, 1, v32
	s_xor_b32 s70, s4, -1
	s_mov_b32 s4, s5
	s_and_saveexec_b32 s69, s70
; %bb.82:
	v_cmp_gt_f32_e64 s4, v0, v8
	s_and_b32 s4, s5, s4
	v_cndmask_b32_e64 v0, v8, v0, s4
	s_or_b32 s4, s5, exec_lo
; %bb.83:
	s_or_b32 exec_lo, exec_lo, s69
	s_andn2_b32 s5, s5, exec_lo
	s_and_b32 s4, s4, exec_lo
	s_or_b32 s5, s5, s4
	s_or_b32 exec_lo, exec_lo, s42
	s_and_saveexec_b32 s42, s59
	s_cbranch_execnz .LBB741_145
.LBB741_84:
	s_or_b32 exec_lo, exec_lo, s42
	s_and_saveexec_b32 s42, s58
	s_cbranch_execz .LBB741_148
.LBB741_85:
	global_load_ubyte v32, v[98:99], off offset:320
	s_waitcnt vmcnt(0)
	v_and_b32_e32 v32, 1, v32
	v_cmp_eq_u32_e64 s4, 1, v32
	s_xor_b32 s70, s4, -1
	s_mov_b32 s4, s5
	s_and_saveexec_b32 s69, s70
; %bb.86:
	v_cmp_gt_f32_e64 s4, v0, v10
	s_and_b32 s4, s5, s4
	v_cndmask_b32_e64 v0, v10, v0, s4
	s_or_b32 s4, s5, exec_lo
; %bb.87:
	s_or_b32 exec_lo, exec_lo, s69
	s_andn2_b32 s5, s5, exec_lo
	s_and_b32 s4, s4, exec_lo
	s_or_b32 s5, s5, s4
	s_or_b32 exec_lo, exec_lo, s42
	s_and_saveexec_b32 s42, s57
	s_cbranch_execnz .LBB741_149
.LBB741_88:
	s_or_b32 exec_lo, exec_lo, s42
	s_and_saveexec_b32 s42, s56
	s_cbranch_execz .LBB741_152
.LBB741_89:
	global_load_ubyte v32, v[98:99], off offset:384
	s_waitcnt vmcnt(0)
	v_and_b32_e32 v32, 1, v32
	v_cmp_eq_u32_e64 s4, 1, v32
	s_xor_b32 s70, s4, -1
	s_mov_b32 s4, s5
	s_and_saveexec_b32 s69, s70
; %bb.90:
	v_cmp_gt_f32_e64 s4, v0, v12
	s_and_b32 s4, s5, s4
	v_cndmask_b32_e64 v0, v12, v0, s4
	s_or_b32 s4, s5, exec_lo
; %bb.91:
	s_or_b32 exec_lo, exec_lo, s69
	s_andn2_b32 s5, s5, exec_lo
	s_and_b32 s4, s4, exec_lo
	s_or_b32 s5, s5, s4
	s_or_b32 exec_lo, exec_lo, s42
	s_and_saveexec_b32 s42, s55
	s_cbranch_execnz .LBB741_153
.LBB741_92:
	s_or_b32 exec_lo, exec_lo, s42
	s_and_saveexec_b32 s42, s54
	s_cbranch_execz .LBB741_156
.LBB741_93:
	global_load_ubyte v32, v[98:99], off offset:448
	s_waitcnt vmcnt(0)
	v_and_b32_e32 v32, 1, v32
	v_cmp_eq_u32_e64 s4, 1, v32
	s_xor_b32 s70, s4, -1
	s_mov_b32 s4, s5
	s_and_saveexec_b32 s69, s70
; %bb.94:
	v_cmp_gt_f32_e64 s4, v0, v14
	s_and_b32 s4, s5, s4
	v_cndmask_b32_e64 v0, v14, v0, s4
	s_or_b32 s4, s5, exec_lo
; %bb.95:
	s_or_b32 exec_lo, exec_lo, s69
	s_andn2_b32 s5, s5, exec_lo
	s_and_b32 s4, s4, exec_lo
	s_or_b32 s5, s5, s4
	s_or_b32 exec_lo, exec_lo, s42
	s_and_saveexec_b32 s42, s53
	s_cbranch_execnz .LBB741_157
.LBB741_96:
	s_or_b32 exec_lo, exec_lo, s42
	s_and_saveexec_b32 s42, s52
	s_cbranch_execz .LBB741_160
.LBB741_97:
	global_load_ubyte v32, v[98:99], off offset:512
	s_waitcnt vmcnt(0)
	v_and_b32_e32 v32, 1, v32
	v_cmp_eq_u32_e64 s4, 1, v32
	s_xor_b32 s70, s4, -1
	s_mov_b32 s4, s5
	s_and_saveexec_b32 s69, s70
; %bb.98:
	v_cmp_gt_f32_e64 s4, v0, v16
	s_and_b32 s4, s5, s4
	v_cndmask_b32_e64 v0, v16, v0, s4
	s_or_b32 s4, s5, exec_lo
; %bb.99:
	s_or_b32 exec_lo, exec_lo, s69
	s_andn2_b32 s5, s5, exec_lo
	s_and_b32 s4, s4, exec_lo
	s_or_b32 s5, s5, s4
	s_or_b32 exec_lo, exec_lo, s42
	s_and_saveexec_b32 s42, s51
	s_cbranch_execnz .LBB741_161
.LBB741_100:
	s_or_b32 exec_lo, exec_lo, s42
	s_and_saveexec_b32 s42, s50
	s_cbranch_execz .LBB741_164
.LBB741_101:
	global_load_ubyte v32, v[98:99], off offset:576
	s_waitcnt vmcnt(0)
	v_and_b32_e32 v32, 1, v32
	v_cmp_eq_u32_e64 s4, 1, v32
	s_xor_b32 s70, s4, -1
	s_mov_b32 s4, s5
	s_and_saveexec_b32 s69, s70
; %bb.102:
	v_cmp_gt_f32_e64 s4, v0, v18
	s_and_b32 s4, s5, s4
	v_cndmask_b32_e64 v0, v18, v0, s4
	s_or_b32 s4, s5, exec_lo
; %bb.103:
	s_or_b32 exec_lo, exec_lo, s69
	s_andn2_b32 s5, s5, exec_lo
	s_and_b32 s4, s4, exec_lo
	s_or_b32 s5, s5, s4
	s_or_b32 exec_lo, exec_lo, s42
	s_and_saveexec_b32 s42, s49
	s_cbranch_execnz .LBB741_165
.LBB741_104:
	s_or_b32 exec_lo, exec_lo, s42
	s_and_saveexec_b32 s42, s48
	s_cbranch_execz .LBB741_168
.LBB741_105:
	global_load_ubyte v32, v[98:99], off offset:640
	s_waitcnt vmcnt(0)
	v_and_b32_e32 v32, 1, v32
	v_cmp_eq_u32_e64 s4, 1, v32
	s_xor_b32 s70, s4, -1
	s_mov_b32 s4, s5
	s_and_saveexec_b32 s69, s70
; %bb.106:
	v_cmp_gt_f32_e64 s4, v0, v20
	s_and_b32 s4, s5, s4
	v_cndmask_b32_e64 v0, v20, v0, s4
	s_or_b32 s4, s5, exec_lo
; %bb.107:
	s_or_b32 exec_lo, exec_lo, s69
	s_andn2_b32 s5, s5, exec_lo
	s_and_b32 s4, s4, exec_lo
	s_or_b32 s5, s5, s4
	s_or_b32 exec_lo, exec_lo, s42
	s_and_saveexec_b32 s42, s47
	s_cbranch_execnz .LBB741_169
.LBB741_108:
	s_or_b32 exec_lo, exec_lo, s42
	s_and_saveexec_b32 s42, s46
	s_cbranch_execz .LBB741_172
.LBB741_109:
	global_load_ubyte v32, v[98:99], off offset:704
	s_waitcnt vmcnt(0)
	v_and_b32_e32 v32, 1, v32
	v_cmp_eq_u32_e64 s4, 1, v32
	s_xor_b32 s70, s4, -1
	s_mov_b32 s4, s5
	s_and_saveexec_b32 s69, s70
; %bb.110:
	v_cmp_gt_f32_e64 s4, v0, v22
	s_and_b32 s4, s5, s4
	v_cndmask_b32_e64 v0, v22, v0, s4
	s_or_b32 s4, s5, exec_lo
; %bb.111:
	s_or_b32 exec_lo, exec_lo, s69
	s_andn2_b32 s5, s5, exec_lo
	s_and_b32 s4, s4, exec_lo
	s_or_b32 s5, s5, s4
	s_or_b32 exec_lo, exec_lo, s42
	s_and_saveexec_b32 s42, s45
	s_cbranch_execnz .LBB741_173
.LBB741_112:
	s_or_b32 exec_lo, exec_lo, s42
	s_and_saveexec_b32 s42, s44
	s_cbranch_execz .LBB741_176
.LBB741_113:
	global_load_ubyte v32, v[98:99], off offset:768
	s_waitcnt vmcnt(0)
	v_and_b32_e32 v32, 1, v32
	v_cmp_eq_u32_e64 s4, 1, v32
	s_xor_b32 s70, s4, -1
	s_mov_b32 s4, s5
	s_and_saveexec_b32 s69, s70
; %bb.114:
	v_cmp_gt_f32_e64 s4, v0, v24
	s_and_b32 s4, s5, s4
	v_cndmask_b32_e64 v0, v24, v0, s4
	s_or_b32 s4, s5, exec_lo
; %bb.115:
	s_or_b32 exec_lo, exec_lo, s69
	s_andn2_b32 s5, s5, exec_lo
	s_and_b32 s4, s4, exec_lo
	s_or_b32 s5, s5, s4
	s_or_b32 exec_lo, exec_lo, s42
	s_and_saveexec_b32 s42, s43
	s_cbranch_execnz .LBB741_177
.LBB741_116:
	s_or_b32 exec_lo, exec_lo, s42
	s_and_saveexec_b32 s42, s41
	s_cbranch_execz .LBB741_180
.LBB741_117:
	global_load_ubyte v32, v[98:99], off offset:832
	s_waitcnt vmcnt(0)
	v_and_b32_e32 v32, 1, v32
	v_cmp_eq_u32_e64 s4, 1, v32
	s_xor_b32 s70, s4, -1
	s_mov_b32 s4, s5
	s_and_saveexec_b32 s69, s70
; %bb.118:
	v_cmp_gt_f32_e64 s4, v0, v26
	s_and_b32 s4, s5, s4
	v_cndmask_b32_e64 v0, v26, v0, s4
	s_or_b32 s4, s5, exec_lo
; %bb.119:
	s_or_b32 exec_lo, exec_lo, s69
	s_andn2_b32 s5, s5, exec_lo
	s_and_b32 s4, s4, exec_lo
	s_or_b32 s5, s5, s4
	s_or_b32 exec_lo, exec_lo, s42
	s_and_saveexec_b32 s42, s40
	s_cbranch_execnz .LBB741_181
.LBB741_120:
	s_or_b32 exec_lo, exec_lo, s42
	s_and_saveexec_b32 s42, s39
	s_cbranch_execz .LBB741_184
.LBB741_121:
	global_load_ubyte v32, v[98:99], off offset:896
	s_waitcnt vmcnt(0)
	v_and_b32_e32 v32, 1, v32
	v_cmp_eq_u32_e64 s4, 1, v32
	s_xor_b32 s70, s4, -1
	s_mov_b32 s4, s5
	s_and_saveexec_b32 s69, s70
; %bb.122:
	v_cmp_gt_f32_e64 s4, v0, v28
	s_and_b32 s4, s5, s4
	v_cndmask_b32_e64 v0, v28, v0, s4
	s_or_b32 s4, s5, exec_lo
; %bb.123:
	s_or_b32 exec_lo, exec_lo, s69
	s_andn2_b32 s5, s5, exec_lo
	s_and_b32 s4, s4, exec_lo
	s_or_b32 s5, s5, s4
	s_or_b32 exec_lo, exec_lo, s42
	s_and_saveexec_b32 s42, s38
	s_cbranch_execnz .LBB741_185
.LBB741_124:
	s_or_b32 exec_lo, exec_lo, s42
	s_and_saveexec_b32 s42, s35
	s_cbranch_execz .LBB741_188
.LBB741_125:
	global_load_ubyte v32, v[98:99], off offset:960
	s_waitcnt vmcnt(0)
	v_and_b32_e32 v32, 1, v32
	v_cmp_eq_u32_e64 s4, 1, v32
	s_xor_b32 s70, s4, -1
	s_mov_b32 s4, s5
	s_and_saveexec_b32 s69, s70
; %bb.126:
	v_cmp_gt_f32_e64 s4, v0, v30
	s_and_b32 s4, s5, s4
	v_cndmask_b32_e64 v0, v30, v0, s4
	s_or_b32 s4, s5, exec_lo
; %bb.127:
	s_or_b32 exec_lo, exec_lo, s69
	s_andn2_b32 s5, s5, exec_lo
	s_and_b32 s4, s4, exec_lo
	s_or_b32 s5, s5, s4
	s_or_b32 exec_lo, exec_lo, s42
	s_and_saveexec_b32 s42, s34
	s_cbranch_execz .LBB741_192
	s_branch .LBB741_189
.LBB741_128:
	s_or_b32 exec_lo, exec_lo, s42
	v_mov_b32_e32 v0, v1
	s_and_saveexec_b32 s42, s68
	s_cbranch_execz .LBB741_68
.LBB741_129:
	global_load_ubyte v0, v[98:99], off offset:32
	s_waitcnt vmcnt(0)
	v_and_b32_e32 v0, 1, v0
	v_cmp_eq_u32_e64 s4, 1, v0
	v_mov_b32_e32 v0, v1
	s_xor_b32 s70, s4, -1
	s_mov_b32 s4, s5
	s_and_saveexec_b32 s69, s70
; %bb.130:
	v_cmp_gt_f32_e64 s4, v1, v64
	s_and_b32 s4, s5, s4
	v_cndmask_b32_e64 v0, v64, v1, s4
	s_or_b32 s4, s5, exec_lo
; %bb.131:
	s_or_b32 exec_lo, exec_lo, s69
	s_andn2_b32 s5, s5, exec_lo
	s_and_b32 s4, s4, exec_lo
	s_or_b32 s5, s5, s4
	s_or_b32 exec_lo, exec_lo, s42
	s_and_saveexec_b32 s42, s66
	s_cbranch_execnz .LBB741_69
.LBB741_132:
	s_or_b32 exec_lo, exec_lo, s42
	s_and_saveexec_b32 s42, s65
	s_cbranch_execz .LBB741_72
.LBB741_133:
	global_load_ubyte v32, v[98:99], off offset:96
	s_waitcnt vmcnt(0)
	v_and_b32_e32 v32, 1, v32
	v_cmp_eq_u32_e64 s4, 1, v32
	s_xor_b32 s70, s4, -1
	s_mov_b32 s4, s5
	s_and_saveexec_b32 s69, s70
; %bb.134:
	v_cmp_gt_f32_e64 s4, v0, v3
	s_and_b32 s4, s5, s4
	v_cndmask_b32_e64 v0, v3, v0, s4
	s_or_b32 s4, s5, exec_lo
; %bb.135:
	s_or_b32 exec_lo, exec_lo, s69
	s_andn2_b32 s5, s5, exec_lo
	s_and_b32 s4, s4, exec_lo
	s_or_b32 s5, s5, s4
	s_or_b32 exec_lo, exec_lo, s42
	s_and_saveexec_b32 s42, s64
	s_cbranch_execnz .LBB741_73
.LBB741_136:
	s_or_b32 exec_lo, exec_lo, s42
	s_and_saveexec_b32 s42, s63
	s_cbranch_execz .LBB741_76
.LBB741_137:
	global_load_ubyte v32, v[98:99], off offset:160
	s_waitcnt vmcnt(0)
	v_and_b32_e32 v32, 1, v32
	v_cmp_eq_u32_e64 s4, 1, v32
	s_xor_b32 s70, s4, -1
	s_mov_b32 s4, s5
	s_and_saveexec_b32 s69, s70
; %bb.138:
	v_cmp_gt_f32_e64 s4, v0, v5
	s_and_b32 s4, s5, s4
	v_cndmask_b32_e64 v0, v5, v0, s4
	s_or_b32 s4, s5, exec_lo
; %bb.139:
	s_or_b32 exec_lo, exec_lo, s69
	s_andn2_b32 s5, s5, exec_lo
	s_and_b32 s4, s4, exec_lo
	s_or_b32 s5, s5, s4
	s_or_b32 exec_lo, exec_lo, s42
	s_and_saveexec_b32 s42, s62
	s_cbranch_execnz .LBB741_77
.LBB741_140:
	s_or_b32 exec_lo, exec_lo, s42
	s_and_saveexec_b32 s42, s61
	s_cbranch_execz .LBB741_80
.LBB741_141:
	global_load_ubyte v32, v[98:99], off offset:224
	s_waitcnt vmcnt(0)
	v_and_b32_e32 v32, 1, v32
	v_cmp_eq_u32_e64 s4, 1, v32
	s_xor_b32 s70, s4, -1
	s_mov_b32 s4, s5
	s_and_saveexec_b32 s69, s70
; %bb.142:
	v_cmp_gt_f32_e64 s4, v0, v7
	s_and_b32 s4, s5, s4
	v_cndmask_b32_e64 v0, v7, v0, s4
	s_or_b32 s4, s5, exec_lo
; %bb.143:
	s_or_b32 exec_lo, exec_lo, s69
	s_andn2_b32 s5, s5, exec_lo
	s_and_b32 s4, s4, exec_lo
	s_or_b32 s5, s5, s4
	s_or_b32 exec_lo, exec_lo, s42
	s_and_saveexec_b32 s42, s60
	s_cbranch_execnz .LBB741_81
.LBB741_144:
	s_or_b32 exec_lo, exec_lo, s42
	s_and_saveexec_b32 s42, s59
	s_cbranch_execz .LBB741_84
.LBB741_145:
	global_load_ubyte v32, v[98:99], off offset:288
	s_waitcnt vmcnt(0)
	v_and_b32_e32 v32, 1, v32
	v_cmp_eq_u32_e64 s4, 1, v32
	s_xor_b32 s70, s4, -1
	s_mov_b32 s4, s5
	s_and_saveexec_b32 s69, s70
; %bb.146:
	v_cmp_gt_f32_e64 s4, v0, v9
	s_and_b32 s4, s5, s4
	v_cndmask_b32_e64 v0, v9, v0, s4
	s_or_b32 s4, s5, exec_lo
; %bb.147:
	s_or_b32 exec_lo, exec_lo, s69
	s_andn2_b32 s5, s5, exec_lo
	s_and_b32 s4, s4, exec_lo
	s_or_b32 s5, s5, s4
	s_or_b32 exec_lo, exec_lo, s42
	s_and_saveexec_b32 s42, s58
	s_cbranch_execnz .LBB741_85
.LBB741_148:
	s_or_b32 exec_lo, exec_lo, s42
	s_and_saveexec_b32 s42, s57
	s_cbranch_execz .LBB741_88
.LBB741_149:
	global_load_ubyte v32, v[98:99], off offset:352
	s_waitcnt vmcnt(0)
	v_and_b32_e32 v32, 1, v32
	v_cmp_eq_u32_e64 s4, 1, v32
	s_xor_b32 s70, s4, -1
	s_mov_b32 s4, s5
	s_and_saveexec_b32 s69, s70
; %bb.150:
	v_cmp_gt_f32_e64 s4, v0, v11
	s_and_b32 s4, s5, s4
	v_cndmask_b32_e64 v0, v11, v0, s4
	s_or_b32 s4, s5, exec_lo
; %bb.151:
	s_or_b32 exec_lo, exec_lo, s69
	s_andn2_b32 s5, s5, exec_lo
	s_and_b32 s4, s4, exec_lo
	s_or_b32 s5, s5, s4
	s_or_b32 exec_lo, exec_lo, s42
	s_and_saveexec_b32 s42, s56
	s_cbranch_execnz .LBB741_89
.LBB741_152:
	s_or_b32 exec_lo, exec_lo, s42
	s_and_saveexec_b32 s42, s55
	s_cbranch_execz .LBB741_92
.LBB741_153:
	global_load_ubyte v32, v[98:99], off offset:416
	s_waitcnt vmcnt(0)
	v_and_b32_e32 v32, 1, v32
	v_cmp_eq_u32_e64 s4, 1, v32
	s_xor_b32 s70, s4, -1
	s_mov_b32 s4, s5
	s_and_saveexec_b32 s69, s70
; %bb.154:
	v_cmp_gt_f32_e64 s4, v0, v13
	s_and_b32 s4, s5, s4
	v_cndmask_b32_e64 v0, v13, v0, s4
	s_or_b32 s4, s5, exec_lo
; %bb.155:
	s_or_b32 exec_lo, exec_lo, s69
	s_andn2_b32 s5, s5, exec_lo
	s_and_b32 s4, s4, exec_lo
	s_or_b32 s5, s5, s4
	s_or_b32 exec_lo, exec_lo, s42
	s_and_saveexec_b32 s42, s54
	s_cbranch_execnz .LBB741_93
.LBB741_156:
	s_or_b32 exec_lo, exec_lo, s42
	s_and_saveexec_b32 s42, s53
	s_cbranch_execz .LBB741_96
.LBB741_157:
	global_load_ubyte v32, v[98:99], off offset:480
	s_waitcnt vmcnt(0)
	v_and_b32_e32 v32, 1, v32
	v_cmp_eq_u32_e64 s4, 1, v32
	s_xor_b32 s70, s4, -1
	s_mov_b32 s4, s5
	s_and_saveexec_b32 s69, s70
; %bb.158:
	v_cmp_gt_f32_e64 s4, v0, v15
	s_and_b32 s4, s5, s4
	v_cndmask_b32_e64 v0, v15, v0, s4
	s_or_b32 s4, s5, exec_lo
; %bb.159:
	s_or_b32 exec_lo, exec_lo, s69
	s_andn2_b32 s5, s5, exec_lo
	s_and_b32 s4, s4, exec_lo
	s_or_b32 s5, s5, s4
	s_or_b32 exec_lo, exec_lo, s42
	s_and_saveexec_b32 s42, s52
	s_cbranch_execnz .LBB741_97
.LBB741_160:
	s_or_b32 exec_lo, exec_lo, s42
	s_and_saveexec_b32 s42, s51
	s_cbranch_execz .LBB741_100
.LBB741_161:
	global_load_ubyte v32, v[98:99], off offset:544
	s_waitcnt vmcnt(0)
	v_and_b32_e32 v32, 1, v32
	v_cmp_eq_u32_e64 s4, 1, v32
	s_xor_b32 s70, s4, -1
	s_mov_b32 s4, s5
	s_and_saveexec_b32 s69, s70
; %bb.162:
	v_cmp_gt_f32_e64 s4, v0, v17
	s_and_b32 s4, s5, s4
	v_cndmask_b32_e64 v0, v17, v0, s4
	s_or_b32 s4, s5, exec_lo
; %bb.163:
	s_or_b32 exec_lo, exec_lo, s69
	s_andn2_b32 s5, s5, exec_lo
	s_and_b32 s4, s4, exec_lo
	s_or_b32 s5, s5, s4
	s_or_b32 exec_lo, exec_lo, s42
	s_and_saveexec_b32 s42, s50
	s_cbranch_execnz .LBB741_101
.LBB741_164:
	s_or_b32 exec_lo, exec_lo, s42
	s_and_saveexec_b32 s42, s49
	s_cbranch_execz .LBB741_104
.LBB741_165:
	global_load_ubyte v32, v[98:99], off offset:608
	s_waitcnt vmcnt(0)
	v_and_b32_e32 v32, 1, v32
	v_cmp_eq_u32_e64 s4, 1, v32
	s_xor_b32 s70, s4, -1
	s_mov_b32 s4, s5
	s_and_saveexec_b32 s69, s70
; %bb.166:
	v_cmp_gt_f32_e64 s4, v0, v19
	s_and_b32 s4, s5, s4
	v_cndmask_b32_e64 v0, v19, v0, s4
	s_or_b32 s4, s5, exec_lo
; %bb.167:
	s_or_b32 exec_lo, exec_lo, s69
	s_andn2_b32 s5, s5, exec_lo
	s_and_b32 s4, s4, exec_lo
	s_or_b32 s5, s5, s4
	s_or_b32 exec_lo, exec_lo, s42
	s_and_saveexec_b32 s42, s48
	s_cbranch_execnz .LBB741_105
.LBB741_168:
	s_or_b32 exec_lo, exec_lo, s42
	s_and_saveexec_b32 s42, s47
	s_cbranch_execz .LBB741_108
.LBB741_169:
	global_load_ubyte v32, v[98:99], off offset:672
	s_waitcnt vmcnt(0)
	v_and_b32_e32 v32, 1, v32
	v_cmp_eq_u32_e64 s4, 1, v32
	s_xor_b32 s70, s4, -1
	s_mov_b32 s4, s5
	s_and_saveexec_b32 s69, s70
; %bb.170:
	v_cmp_gt_f32_e64 s4, v0, v21
	s_and_b32 s4, s5, s4
	v_cndmask_b32_e64 v0, v21, v0, s4
	s_or_b32 s4, s5, exec_lo
; %bb.171:
	s_or_b32 exec_lo, exec_lo, s69
	s_andn2_b32 s5, s5, exec_lo
	s_and_b32 s4, s4, exec_lo
	s_or_b32 s5, s5, s4
	s_or_b32 exec_lo, exec_lo, s42
	s_and_saveexec_b32 s42, s46
	s_cbranch_execnz .LBB741_109
.LBB741_172:
	s_or_b32 exec_lo, exec_lo, s42
	s_and_saveexec_b32 s42, s45
	s_cbranch_execz .LBB741_112
.LBB741_173:
	global_load_ubyte v32, v[98:99], off offset:736
	s_waitcnt vmcnt(0)
	v_and_b32_e32 v32, 1, v32
	v_cmp_eq_u32_e64 s4, 1, v32
	s_xor_b32 s70, s4, -1
	s_mov_b32 s4, s5
	s_and_saveexec_b32 s69, s70
; %bb.174:
	v_cmp_gt_f32_e64 s4, v0, v23
	s_and_b32 s4, s5, s4
	v_cndmask_b32_e64 v0, v23, v0, s4
	s_or_b32 s4, s5, exec_lo
; %bb.175:
	s_or_b32 exec_lo, exec_lo, s69
	s_andn2_b32 s5, s5, exec_lo
	s_and_b32 s4, s4, exec_lo
	s_or_b32 s5, s5, s4
	s_or_b32 exec_lo, exec_lo, s42
	s_and_saveexec_b32 s42, s44
	s_cbranch_execnz .LBB741_113
.LBB741_176:
	s_or_b32 exec_lo, exec_lo, s42
	s_and_saveexec_b32 s42, s43
	s_cbranch_execz .LBB741_116
.LBB741_177:
	global_load_ubyte v32, v[98:99], off offset:800
	s_waitcnt vmcnt(0)
	v_and_b32_e32 v32, 1, v32
	v_cmp_eq_u32_e64 s4, 1, v32
	s_xor_b32 s70, s4, -1
	s_mov_b32 s4, s5
	s_and_saveexec_b32 s69, s70
; %bb.178:
	v_cmp_gt_f32_e64 s4, v0, v25
	s_and_b32 s4, s5, s4
	v_cndmask_b32_e64 v0, v25, v0, s4
	s_or_b32 s4, s5, exec_lo
; %bb.179:
	s_or_b32 exec_lo, exec_lo, s69
	s_andn2_b32 s5, s5, exec_lo
	s_and_b32 s4, s4, exec_lo
	s_or_b32 s5, s5, s4
	s_or_b32 exec_lo, exec_lo, s42
	s_and_saveexec_b32 s42, s41
	s_cbranch_execnz .LBB741_117
.LBB741_180:
	s_or_b32 exec_lo, exec_lo, s42
	s_and_saveexec_b32 s42, s40
	s_cbranch_execz .LBB741_120
.LBB741_181:
	global_load_ubyte v32, v[98:99], off offset:864
	s_waitcnt vmcnt(0)
	v_and_b32_e32 v32, 1, v32
	v_cmp_eq_u32_e64 s4, 1, v32
	s_xor_b32 s70, s4, -1
	s_mov_b32 s4, s5
	s_and_saveexec_b32 s69, s70
; %bb.182:
	v_cmp_gt_f32_e64 s4, v0, v27
	s_and_b32 s4, s5, s4
	v_cndmask_b32_e64 v0, v27, v0, s4
	s_or_b32 s4, s5, exec_lo
; %bb.183:
	s_or_b32 exec_lo, exec_lo, s69
	s_andn2_b32 s5, s5, exec_lo
	s_and_b32 s4, s4, exec_lo
	s_or_b32 s5, s5, s4
	s_or_b32 exec_lo, exec_lo, s42
	s_and_saveexec_b32 s42, s39
	s_cbranch_execnz .LBB741_121
.LBB741_184:
	s_or_b32 exec_lo, exec_lo, s42
	s_and_saveexec_b32 s42, s38
	s_cbranch_execz .LBB741_124
.LBB741_185:
	global_load_ubyte v32, v[98:99], off offset:928
	s_waitcnt vmcnt(0)
	v_and_b32_e32 v32, 1, v32
	v_cmp_eq_u32_e64 s4, 1, v32
	s_xor_b32 s70, s4, -1
	s_mov_b32 s4, s5
	s_and_saveexec_b32 s69, s70
; %bb.186:
	v_cmp_gt_f32_e64 s4, v0, v29
	s_and_b32 s4, s5, s4
	v_cndmask_b32_e64 v0, v29, v0, s4
	s_or_b32 s4, s5, exec_lo
; %bb.187:
	s_or_b32 exec_lo, exec_lo, s69
	s_andn2_b32 s5, s5, exec_lo
	s_and_b32 s4, s4, exec_lo
	s_or_b32 s5, s5, s4
	s_or_b32 exec_lo, exec_lo, s42
	s_and_saveexec_b32 s42, s35
	s_cbranch_execnz .LBB741_125
.LBB741_188:
	s_or_b32 exec_lo, exec_lo, s42
	s_and_saveexec_b32 s42, s34
	s_cbranch_execz .LBB741_192
.LBB741_189:
	global_load_ubyte v32, v[98:99], off offset:992
	s_waitcnt vmcnt(0)
	v_and_b32_e32 v32, 1, v32
	v_cmp_eq_u32_e64 s4, 1, v32
	s_xor_b32 s70, s4, -1
	s_mov_b32 s4, s5
	s_and_saveexec_b32 s69, s70
; %bb.190:
	v_cmp_gt_f32_e64 s4, v0, v31
	s_and_b32 s4, s5, s4
	v_cndmask_b32_e64 v0, v31, v0, s4
	s_or_b32 s4, s5, exec_lo
; %bb.191:
	s_or_b32 exec_lo, exec_lo, s69
	s_andn2_b32 s5, s5, exec_lo
	s_and_b32 s4, s4, exec_lo
	s_or_b32 s5, s5, s4
.LBB741_192:
	s_or_b32 exec_lo, exec_lo, s42
	v_mbcnt_lo_u32_b32 v32, -1, 0
	v_cndmask_b32_e64 v0, 0xff800000, v0, s5
	s_xor_b32 s5, s68, -1
	v_xor_b32_e32 v33, 16, v32
	v_xor_b32_e32 v34, 8, v32
	v_cmp_gt_i32_e64 s4, 32, v33
	v_cndmask_b32_e64 v33, v32, v33, s4
	v_cmp_gt_i32_e64 s4, 32, v34
	v_lshlrev_b32_e32 v101, 2, v33
	v_cndmask_b32_e64 v34, v32, v34, s4
	ds_bpermute_b32 v33, v101, v0
	v_lshlrev_b32_e32 v102, 2, v34
	v_xor_b32_e32 v34, 4, v32
	s_waitcnt lgkmcnt(0)
	v_cmp_lt_f32_e64 s4, v0, v33
	v_cndmask_b32_e64 v0, v0, v33, s4
	v_cmp_gt_i32_e64 s4, 32, v34
	ds_bpermute_b32 v33, v102, v0
	v_cndmask_b32_e64 v34, v32, v34, s4
	v_lshlrev_b32_e32 v103, 2, v34
	v_xor_b32_e32 v34, 2, v32
	s_waitcnt lgkmcnt(0)
	v_cmp_lt_f32_e64 s4, v0, v33
	v_cndmask_b32_e64 v0, v0, v33, s4
	v_cmp_gt_i32_e64 s4, 32, v34
	ds_bpermute_b32 v33, v103, v0
	v_cndmask_b32_e64 v34, v32, v34, s4
	;; [unrolled: 8-line block ×3, first 2 shown]
	v_lshlrev_b32_e32 v105, 2, v32
	s_waitcnt lgkmcnt(0)
	v_cmp_lt_f32_e64 s4, v0, v33
	v_cndmask_b32_e64 v0, v0, v33, s4
	ds_bpermute_b32 v32, v105, v0
	s_waitcnt lgkmcnt(0)
	v_cmp_lt_f32_e64 s4, v0, v32
	v_cndmask_b32_e64 v106, v0, v32, s4
	v_mov_b32_e32 v0, 0
	s_and_saveexec_b32 s42, s67
	s_cbranch_execz .LBB741_196
; %bb.193:
	global_load_ubyte v0, v[98:99], off
	s_waitcnt vmcnt(0)
	v_and_b32_e32 v0, 1, v0
	v_cmp_eq_u32_e64 s4, 1, v0
	v_mov_b32_e32 v0, 0
	s_xor_b32 s4, s4, -1
	s_and_saveexec_b32 s67, s4
	s_cbranch_execz .LBB741_195
; %bb.194:
	v_sub_f32_e32 v0, v1, v106
	v_mul_f32_e32 v1, 0x3fb8aa3b, v0
	v_cmp_ngt_f32_e64 s4, 0xc2ce8ed0, v0
	v_fma_f32 v32, 0x3fb8aa3b, v0, -v1
	v_rndne_f32_e32 v33, v1
	v_fmamk_f32 v32, v0, 0x32a5705f, v32
	v_sub_f32_e32 v1, v1, v33
	v_add_f32_e32 v1, v1, v32
	v_cvt_i32_f32_e32 v32, v33
	v_exp_f32_e32 v1, v1
	v_ldexp_f32 v1, v1, v32
	v_cndmask_b32_e64 v1, 0, v1, s4
	v_cmp_nlt_f32_e64 s4, 0x42b17218, v0
	v_cndmask_b32_e64 v0, 0x7f800000, v1, s4
.LBB741_195:
	s_or_b32 exec_lo, exec_lo, s67
.LBB741_196:
	s_or_b32 exec_lo, exec_lo, s42
                                        ; implicit-def: $vgpr32_vgpr33_vgpr34_vgpr35_vgpr36_vgpr37_vgpr38_vgpr39_vgpr40_vgpr41_vgpr42_vgpr43_vgpr44_vgpr45_vgpr46_vgpr47_vgpr48_vgpr49_vgpr50_vgpr51_vgpr52_vgpr53_vgpr54_vgpr55_vgpr56_vgpr57_vgpr58_vgpr59_vgpr60_vgpr61_vgpr62_vgpr63
	s_and_saveexec_b32 s4, s5
	s_xor_b32 s4, exec_lo, s4
	s_cbranch_execz .LBB741_258
; %bb.197:
	s_mov_b32 s5, 0
                                        ; implicit-def: $vgpr64
	v_mov_b32_e32 v1, s5
	v_mov_b32_e32 v63, v31
	;; [unrolled: 1-line block ×33, first 2 shown]
	s_or_saveexec_b32 s42, s4
	s_xor_b32 s5, s66, -1
	s_xor_b32 exec_lo, exec_lo, s42
	s_cbranch_execnz .LBB741_259
.LBB741_198:
	s_or_b32 exec_lo, exec_lo, s42
                                        ; implicit-def: $vgpr64_vgpr65_vgpr66_vgpr67_vgpr68_vgpr69_vgpr70_vgpr71_vgpr72_vgpr73_vgpr74_vgpr75_vgpr76_vgpr77_vgpr78_vgpr79_vgpr80_vgpr81_vgpr82_vgpr83_vgpr84_vgpr85_vgpr86_vgpr87_vgpr88_vgpr89_vgpr90_vgpr91_vgpr92_vgpr93_vgpr94_vgpr95
	s_and_saveexec_b32 s4, s5
	s_xor_b32 s4, exec_lo, s4
	s_cbranch_execz .LBB741_262
.LBB741_199:
	s_mov_b32 s5, 0
	v_mov_b32_e32 v34, s5
	v_mov_b32_e32 v95, v63
	;; [unrolled: 1-line block ×33, first 2 shown]
                                        ; implicit-def: $vgpr32_vgpr33_vgpr34_vgpr35_vgpr36_vgpr37_vgpr38_vgpr39_vgpr40_vgpr41_vgpr42_vgpr43_vgpr44_vgpr45_vgpr46_vgpr47_vgpr48_vgpr49_vgpr50_vgpr51_vgpr52_vgpr53_vgpr54_vgpr55_vgpr56_vgpr57_vgpr58_vgpr59_vgpr60_vgpr61_vgpr62_vgpr63
	s_or_saveexec_b32 s42, s4
	s_xor_b32 s5, s65, -1
	s_xor_b32 exec_lo, exec_lo, s42
	s_cbranch_execnz .LBB741_263
.LBB741_200:
	s_or_b32 exec_lo, exec_lo, s42
                                        ; implicit-def: $vgpr1_vgpr2_vgpr3_vgpr4_vgpr5_vgpr6_vgpr7_vgpr8_vgpr9_vgpr10_vgpr11_vgpr12_vgpr13_vgpr14_vgpr15_vgpr16_vgpr17_vgpr18_vgpr19_vgpr20_vgpr21_vgpr22_vgpr23_vgpr24_vgpr25_vgpr26_vgpr27_vgpr28_vgpr29_vgpr30_vgpr31_vgpr32
	s_and_saveexec_b32 s4, s5
	s_xor_b32 s4, exec_lo, s4
	s_cbranch_execz .LBB741_266
.LBB741_201:
	s_mov_b32 s5, 0
	v_mov_b32_e32 v67, s5
	v_mov_b32_e32 v1, v64
	;; [unrolled: 1-line block ×33, first 2 shown]
                                        ; implicit-def: $vgpr64_vgpr65_vgpr66_vgpr67_vgpr68_vgpr69_vgpr70_vgpr71_vgpr72_vgpr73_vgpr74_vgpr75_vgpr76_vgpr77_vgpr78_vgpr79_vgpr80_vgpr81_vgpr82_vgpr83_vgpr84_vgpr85_vgpr86_vgpr87_vgpr88_vgpr89_vgpr90_vgpr91_vgpr92_vgpr93_vgpr94_vgpr95
	s_or_saveexec_b32 s42, s4
	s_xor_b32 s5, s64, -1
	s_xor_b32 exec_lo, exec_lo, s42
	s_cbranch_execnz .LBB741_267
.LBB741_202:
	s_or_b32 exec_lo, exec_lo, s42
                                        ; implicit-def: $vgpr33_vgpr34_vgpr35_vgpr36_vgpr37_vgpr38_vgpr39_vgpr40_vgpr41_vgpr42_vgpr43_vgpr44_vgpr45_vgpr46_vgpr47_vgpr48_vgpr49_vgpr50_vgpr51_vgpr52_vgpr53_vgpr54_vgpr55_vgpr56_vgpr57_vgpr58_vgpr59_vgpr60_vgpr61_vgpr62_vgpr63_vgpr64
	s_and_saveexec_b32 s4, s5
	s_xor_b32 s4, exec_lo, s4
	s_cbranch_execz .LBB741_270
.LBB741_203:
	s_mov_b32 s5, 0
	v_mov_b32_e32 v5, s5
	v_mov_b32_e32 v64, v32
	;; [unrolled: 1-line block ×33, first 2 shown]
                                        ; implicit-def: $vgpr1_vgpr2_vgpr3_vgpr4_vgpr5_vgpr6_vgpr7_vgpr8_vgpr9_vgpr10_vgpr11_vgpr12_vgpr13_vgpr14_vgpr15_vgpr16_vgpr17_vgpr18_vgpr19_vgpr20_vgpr21_vgpr22_vgpr23_vgpr24_vgpr25_vgpr26_vgpr27_vgpr28_vgpr29_vgpr30_vgpr31_vgpr32
	s_or_saveexec_b32 s42, s4
	s_xor_b32 s5, s63, -1
	s_xor_b32 exec_lo, exec_lo, s42
	s_cbranch_execnz .LBB741_271
.LBB741_204:
	s_or_b32 exec_lo, exec_lo, s42
                                        ; implicit-def: $vgpr1_vgpr2_vgpr3_vgpr4_vgpr5_vgpr6_vgpr7_vgpr8_vgpr9_vgpr10_vgpr11_vgpr12_vgpr13_vgpr14_vgpr15_vgpr16_vgpr17_vgpr18_vgpr19_vgpr20_vgpr21_vgpr22_vgpr23_vgpr24_vgpr25_vgpr26_vgpr27_vgpr28_vgpr29_vgpr30_vgpr31_vgpr32
	s_and_saveexec_b32 s4, s5
	s_xor_b32 s4, exec_lo, s4
	s_cbranch_execz .LBB741_274
.LBB741_205:
	s_mov_b32 s5, 0
	v_mov_b32_e32 v38, s5
	v_mov_b32_e32 v1, v33
	;; [unrolled: 1-line block ×33, first 2 shown]
                                        ; implicit-def: $vgpr33_vgpr34_vgpr35_vgpr36_vgpr37_vgpr38_vgpr39_vgpr40_vgpr41_vgpr42_vgpr43_vgpr44_vgpr45_vgpr46_vgpr47_vgpr48_vgpr49_vgpr50_vgpr51_vgpr52_vgpr53_vgpr54_vgpr55_vgpr56_vgpr57_vgpr58_vgpr59_vgpr60_vgpr61_vgpr62_vgpr63_vgpr64
	s_or_saveexec_b32 s42, s4
	s_xor_b32 s5, s62, -1
	s_xor_b32 exec_lo, exec_lo, s42
	s_cbranch_execnz .LBB741_275
.LBB741_206:
	s_or_b32 exec_lo, exec_lo, s42
                                        ; implicit-def: $vgpr33_vgpr34_vgpr35_vgpr36_vgpr37_vgpr38_vgpr39_vgpr40_vgpr41_vgpr42_vgpr43_vgpr44_vgpr45_vgpr46_vgpr47_vgpr48_vgpr49_vgpr50_vgpr51_vgpr52_vgpr53_vgpr54_vgpr55_vgpr56_vgpr57_vgpr58_vgpr59_vgpr60_vgpr61_vgpr62_vgpr63_vgpr64
	s_and_saveexec_b32 s4, s5
	s_xor_b32 s4, exec_lo, s4
	s_cbranch_execz .LBB741_278
.LBB741_207:
	s_mov_b32 s5, 0
	v_mov_b32_e32 v7, s5
	v_mov_b32_e32 v64, v32
	v_mov_b32_e32 v63, v31
	v_mov_b32_e32 v62, v30
	v_mov_b32_e32 v61, v29
	v_mov_b32_e32 v60, v28
	v_mov_b32_e32 v59, v27
	v_mov_b32_e32 v58, v26
	v_mov_b32_e32 v57, v25
	v_mov_b32_e32 v56, v24
	v_mov_b32_e32 v55, v23
	v_mov_b32_e32 v54, v22
	v_mov_b32_e32 v53, v21
	v_mov_b32_e32 v52, v20
	v_mov_b32_e32 v51, v19
	v_mov_b32_e32 v50, v18
	v_mov_b32_e32 v49, v17
	v_mov_b32_e32 v48, v16
	v_mov_b32_e32 v47, v15
	v_mov_b32_e32 v46, v14
	v_mov_b32_e32 v45, v13
	v_mov_b32_e32 v44, v12
	v_mov_b32_e32 v43, v11
	v_mov_b32_e32 v42, v10
	v_mov_b32_e32 v41, v9
	v_mov_b32_e32 v40, v8
	v_mov_b32_e32 v39, v7
	v_mov_b32_e32 v38, v6
	v_mov_b32_e32 v37, v5
	v_mov_b32_e32 v36, v4
	v_mov_b32_e32 v35, v3
	v_mov_b32_e32 v34, v2
	v_mov_b32_e32 v33, v1
                                        ; implicit-def: $vgpr1_vgpr2_vgpr3_vgpr4_vgpr5_vgpr6_vgpr7_vgpr8_vgpr9_vgpr10_vgpr11_vgpr12_vgpr13_vgpr14_vgpr15_vgpr16_vgpr17_vgpr18_vgpr19_vgpr20_vgpr21_vgpr22_vgpr23_vgpr24_vgpr25_vgpr26_vgpr27_vgpr28_vgpr29_vgpr30_vgpr31_vgpr32
	s_or_saveexec_b32 s42, s4
	s_xor_b32 s5, s61, -1
	s_xor_b32 exec_lo, exec_lo, s42
	s_cbranch_execnz .LBB741_279
.LBB741_208:
	s_or_b32 exec_lo, exec_lo, s42
                                        ; implicit-def: $vgpr1_vgpr2_vgpr3_vgpr4_vgpr5_vgpr6_vgpr7_vgpr8_vgpr9_vgpr10_vgpr11_vgpr12_vgpr13_vgpr14_vgpr15_vgpr16_vgpr17_vgpr18_vgpr19_vgpr20_vgpr21_vgpr22_vgpr23_vgpr24_vgpr25_vgpr26_vgpr27_vgpr28_vgpr29_vgpr30_vgpr31_vgpr32
	s_and_saveexec_b32 s4, s5
	s_xor_b32 s4, exec_lo, s4
	s_cbranch_execz .LBB741_282
.LBB741_209:
	s_mov_b32 s5, 0
	v_mov_b32_e32 v40, s5
	v_mov_b32_e32 v1, v33
	;; [unrolled: 1-line block ×33, first 2 shown]
                                        ; implicit-def: $vgpr33_vgpr34_vgpr35_vgpr36_vgpr37_vgpr38_vgpr39_vgpr40_vgpr41_vgpr42_vgpr43_vgpr44_vgpr45_vgpr46_vgpr47_vgpr48_vgpr49_vgpr50_vgpr51_vgpr52_vgpr53_vgpr54_vgpr55_vgpr56_vgpr57_vgpr58_vgpr59_vgpr60_vgpr61_vgpr62_vgpr63_vgpr64
	s_or_saveexec_b32 s42, s4
	s_xor_b32 s5, s60, -1
	s_xor_b32 exec_lo, exec_lo, s42
	s_cbranch_execnz .LBB741_283
.LBB741_210:
	s_or_b32 exec_lo, exec_lo, s42
                                        ; implicit-def: $vgpr33_vgpr34_vgpr35_vgpr36_vgpr37_vgpr38_vgpr39_vgpr40_vgpr41_vgpr42_vgpr43_vgpr44_vgpr45_vgpr46_vgpr47_vgpr48_vgpr49_vgpr50_vgpr51_vgpr52_vgpr53_vgpr54_vgpr55_vgpr56_vgpr57_vgpr58_vgpr59_vgpr60_vgpr61_vgpr62_vgpr63_vgpr64
	s_and_saveexec_b32 s4, s5
	s_xor_b32 s4, exec_lo, s4
	s_cbranch_execz .LBB741_286
.LBB741_211:
	s_mov_b32 s5, 0
	v_mov_b32_e32 v9, s5
	v_mov_b32_e32 v64, v32
	;; [unrolled: 1-line block ×33, first 2 shown]
                                        ; implicit-def: $vgpr1_vgpr2_vgpr3_vgpr4_vgpr5_vgpr6_vgpr7_vgpr8_vgpr9_vgpr10_vgpr11_vgpr12_vgpr13_vgpr14_vgpr15_vgpr16_vgpr17_vgpr18_vgpr19_vgpr20_vgpr21_vgpr22_vgpr23_vgpr24_vgpr25_vgpr26_vgpr27_vgpr28_vgpr29_vgpr30_vgpr31_vgpr32
	s_or_saveexec_b32 s42, s4
	s_xor_b32 s5, s59, -1
	s_xor_b32 exec_lo, exec_lo, s42
	s_cbranch_execnz .LBB741_287
.LBB741_212:
	s_or_b32 exec_lo, exec_lo, s42
                                        ; implicit-def: $vgpr1_vgpr2_vgpr3_vgpr4_vgpr5_vgpr6_vgpr7_vgpr8_vgpr9_vgpr10_vgpr11_vgpr12_vgpr13_vgpr14_vgpr15_vgpr16_vgpr17_vgpr18_vgpr19_vgpr20_vgpr21_vgpr22_vgpr23_vgpr24_vgpr25_vgpr26_vgpr27_vgpr28_vgpr29_vgpr30_vgpr31_vgpr32
	s_and_saveexec_b32 s4, s5
	s_xor_b32 s4, exec_lo, s4
	s_cbranch_execz .LBB741_290
.LBB741_213:
	s_mov_b32 s5, 0
	v_mov_b32_e32 v42, s5
	v_mov_b32_e32 v1, v33
	;; [unrolled: 1-line block ×33, first 2 shown]
                                        ; implicit-def: $vgpr33_vgpr34_vgpr35_vgpr36_vgpr37_vgpr38_vgpr39_vgpr40_vgpr41_vgpr42_vgpr43_vgpr44_vgpr45_vgpr46_vgpr47_vgpr48_vgpr49_vgpr50_vgpr51_vgpr52_vgpr53_vgpr54_vgpr55_vgpr56_vgpr57_vgpr58_vgpr59_vgpr60_vgpr61_vgpr62_vgpr63_vgpr64
	s_or_saveexec_b32 s42, s4
	s_xor_b32 s5, s58, -1
	s_xor_b32 exec_lo, exec_lo, s42
	s_cbranch_execnz .LBB741_291
.LBB741_214:
	s_or_b32 exec_lo, exec_lo, s42
                                        ; implicit-def: $vgpr33_vgpr34_vgpr35_vgpr36_vgpr37_vgpr38_vgpr39_vgpr40_vgpr41_vgpr42_vgpr43_vgpr44_vgpr45_vgpr46_vgpr47_vgpr48_vgpr49_vgpr50_vgpr51_vgpr52_vgpr53_vgpr54_vgpr55_vgpr56_vgpr57_vgpr58_vgpr59_vgpr60_vgpr61_vgpr62_vgpr63_vgpr64
	s_and_saveexec_b32 s4, s5
	s_xor_b32 s4, exec_lo, s4
	s_cbranch_execz .LBB741_294
.LBB741_215:
	s_mov_b32 s5, 0
	v_mov_b32_e32 v11, s5
	v_mov_b32_e32 v64, v32
	v_mov_b32_e32 v63, v31
	v_mov_b32_e32 v62, v30
	v_mov_b32_e32 v61, v29
	v_mov_b32_e32 v60, v28
	v_mov_b32_e32 v59, v27
	v_mov_b32_e32 v58, v26
	v_mov_b32_e32 v57, v25
	v_mov_b32_e32 v56, v24
	v_mov_b32_e32 v55, v23
	v_mov_b32_e32 v54, v22
	v_mov_b32_e32 v53, v21
	v_mov_b32_e32 v52, v20
	v_mov_b32_e32 v51, v19
	v_mov_b32_e32 v50, v18
	v_mov_b32_e32 v49, v17
	v_mov_b32_e32 v48, v16
	v_mov_b32_e32 v47, v15
	v_mov_b32_e32 v46, v14
	v_mov_b32_e32 v45, v13
	v_mov_b32_e32 v44, v12
	v_mov_b32_e32 v43, v11
	v_mov_b32_e32 v42, v10
	v_mov_b32_e32 v41, v9
	v_mov_b32_e32 v40, v8
	v_mov_b32_e32 v39, v7
	v_mov_b32_e32 v38, v6
	v_mov_b32_e32 v37, v5
	v_mov_b32_e32 v36, v4
	v_mov_b32_e32 v35, v3
	v_mov_b32_e32 v34, v2
	v_mov_b32_e32 v33, v1
                                        ; implicit-def: $vgpr1_vgpr2_vgpr3_vgpr4_vgpr5_vgpr6_vgpr7_vgpr8_vgpr9_vgpr10_vgpr11_vgpr12_vgpr13_vgpr14_vgpr15_vgpr16_vgpr17_vgpr18_vgpr19_vgpr20_vgpr21_vgpr22_vgpr23_vgpr24_vgpr25_vgpr26_vgpr27_vgpr28_vgpr29_vgpr30_vgpr31_vgpr32
	s_or_saveexec_b32 s42, s4
	s_xor_b32 s5, s57, -1
	s_xor_b32 exec_lo, exec_lo, s42
	s_cbranch_execnz .LBB741_295
.LBB741_216:
	s_or_b32 exec_lo, exec_lo, s42
                                        ; implicit-def: $vgpr1_vgpr2_vgpr3_vgpr4_vgpr5_vgpr6_vgpr7_vgpr8_vgpr9_vgpr10_vgpr11_vgpr12_vgpr13_vgpr14_vgpr15_vgpr16_vgpr17_vgpr18_vgpr19_vgpr20_vgpr21_vgpr22_vgpr23_vgpr24_vgpr25_vgpr26_vgpr27_vgpr28_vgpr29_vgpr30_vgpr31_vgpr32
	s_and_saveexec_b32 s4, s5
	s_xor_b32 s4, exec_lo, s4
	s_cbranch_execz .LBB741_298
.LBB741_217:
	s_mov_b32 s5, 0
	v_mov_b32_e32 v44, s5
	v_mov_b32_e32 v1, v33
	;; [unrolled: 1-line block ×33, first 2 shown]
                                        ; implicit-def: $vgpr33_vgpr34_vgpr35_vgpr36_vgpr37_vgpr38_vgpr39_vgpr40_vgpr41_vgpr42_vgpr43_vgpr44_vgpr45_vgpr46_vgpr47_vgpr48_vgpr49_vgpr50_vgpr51_vgpr52_vgpr53_vgpr54_vgpr55_vgpr56_vgpr57_vgpr58_vgpr59_vgpr60_vgpr61_vgpr62_vgpr63_vgpr64
	s_or_saveexec_b32 s42, s4
	s_xor_b32 s5, s56, -1
	s_xor_b32 exec_lo, exec_lo, s42
	s_cbranch_execnz .LBB741_299
.LBB741_218:
	s_or_b32 exec_lo, exec_lo, s42
                                        ; implicit-def: $vgpr33_vgpr34_vgpr35_vgpr36_vgpr37_vgpr38_vgpr39_vgpr40_vgpr41_vgpr42_vgpr43_vgpr44_vgpr45_vgpr46_vgpr47_vgpr48_vgpr49_vgpr50_vgpr51_vgpr52_vgpr53_vgpr54_vgpr55_vgpr56_vgpr57_vgpr58_vgpr59_vgpr60_vgpr61_vgpr62_vgpr63_vgpr64
	s_and_saveexec_b32 s4, s5
	s_xor_b32 s4, exec_lo, s4
	s_cbranch_execz .LBB741_302
.LBB741_219:
	s_mov_b32 s5, 0
	v_mov_b32_e32 v13, s5
	v_mov_b32_e32 v64, v32
	;; [unrolled: 1-line block ×33, first 2 shown]
                                        ; implicit-def: $vgpr1_vgpr2_vgpr3_vgpr4_vgpr5_vgpr6_vgpr7_vgpr8_vgpr9_vgpr10_vgpr11_vgpr12_vgpr13_vgpr14_vgpr15_vgpr16_vgpr17_vgpr18_vgpr19_vgpr20_vgpr21_vgpr22_vgpr23_vgpr24_vgpr25_vgpr26_vgpr27_vgpr28_vgpr29_vgpr30_vgpr31_vgpr32
	s_or_saveexec_b32 s42, s4
	s_xor_b32 s5, s55, -1
	s_xor_b32 exec_lo, exec_lo, s42
	s_cbranch_execnz .LBB741_303
.LBB741_220:
	s_or_b32 exec_lo, exec_lo, s42
                                        ; implicit-def: $vgpr1_vgpr2_vgpr3_vgpr4_vgpr5_vgpr6_vgpr7_vgpr8_vgpr9_vgpr10_vgpr11_vgpr12_vgpr13_vgpr14_vgpr15_vgpr16_vgpr17_vgpr18_vgpr19_vgpr20_vgpr21_vgpr22_vgpr23_vgpr24_vgpr25_vgpr26_vgpr27_vgpr28_vgpr29_vgpr30_vgpr31_vgpr32
	s_and_saveexec_b32 s4, s5
	s_xor_b32 s4, exec_lo, s4
	s_cbranch_execz .LBB741_306
.LBB741_221:
	s_mov_b32 s5, 0
	v_mov_b32_e32 v46, s5
	v_mov_b32_e32 v1, v33
	;; [unrolled: 1-line block ×33, first 2 shown]
                                        ; implicit-def: $vgpr33_vgpr34_vgpr35_vgpr36_vgpr37_vgpr38_vgpr39_vgpr40_vgpr41_vgpr42_vgpr43_vgpr44_vgpr45_vgpr46_vgpr47_vgpr48_vgpr49_vgpr50_vgpr51_vgpr52_vgpr53_vgpr54_vgpr55_vgpr56_vgpr57_vgpr58_vgpr59_vgpr60_vgpr61_vgpr62_vgpr63_vgpr64
	s_or_saveexec_b32 s42, s4
	s_xor_b32 s5, s54, -1
	s_xor_b32 exec_lo, exec_lo, s42
	s_cbranch_execnz .LBB741_307
.LBB741_222:
	s_or_b32 exec_lo, exec_lo, s42
                                        ; implicit-def: $vgpr33_vgpr34_vgpr35_vgpr36_vgpr37_vgpr38_vgpr39_vgpr40_vgpr41_vgpr42_vgpr43_vgpr44_vgpr45_vgpr46_vgpr47_vgpr48_vgpr49_vgpr50_vgpr51_vgpr52_vgpr53_vgpr54_vgpr55_vgpr56_vgpr57_vgpr58_vgpr59_vgpr60_vgpr61_vgpr62_vgpr63_vgpr64
	s_and_saveexec_b32 s4, s5
	s_xor_b32 s4, exec_lo, s4
	s_cbranch_execz .LBB741_310
.LBB741_223:
	s_mov_b32 s5, 0
	v_mov_b32_e32 v15, s5
	v_mov_b32_e32 v64, v32
	;; [unrolled: 1-line block ×33, first 2 shown]
                                        ; implicit-def: $vgpr1_vgpr2_vgpr3_vgpr4_vgpr5_vgpr6_vgpr7_vgpr8_vgpr9_vgpr10_vgpr11_vgpr12_vgpr13_vgpr14_vgpr15_vgpr16_vgpr17_vgpr18_vgpr19_vgpr20_vgpr21_vgpr22_vgpr23_vgpr24_vgpr25_vgpr26_vgpr27_vgpr28_vgpr29_vgpr30_vgpr31_vgpr32
	s_or_saveexec_b32 s42, s4
	s_xor_b32 s5, s53, -1
	s_xor_b32 exec_lo, exec_lo, s42
	s_cbranch_execnz .LBB741_311
.LBB741_224:
	s_or_b32 exec_lo, exec_lo, s42
                                        ; implicit-def: $vgpr1_vgpr2_vgpr3_vgpr4_vgpr5_vgpr6_vgpr7_vgpr8_vgpr9_vgpr10_vgpr11_vgpr12_vgpr13_vgpr14_vgpr15_vgpr16_vgpr17_vgpr18_vgpr19_vgpr20_vgpr21_vgpr22_vgpr23_vgpr24_vgpr25_vgpr26_vgpr27_vgpr28_vgpr29_vgpr30_vgpr31_vgpr32
	s_and_saveexec_b32 s4, s5
	s_xor_b32 s4, exec_lo, s4
	s_cbranch_execz .LBB741_314
.LBB741_225:
	s_mov_b32 s5, 0
	v_mov_b32_e32 v48, s5
	v_mov_b32_e32 v1, v33
	v_mov_b32_e32 v2, v34
	v_mov_b32_e32 v3, v35
	v_mov_b32_e32 v4, v36
	v_mov_b32_e32 v5, v37
	v_mov_b32_e32 v6, v38
	v_mov_b32_e32 v7, v39
	v_mov_b32_e32 v8, v40
	v_mov_b32_e32 v9, v41
	v_mov_b32_e32 v10, v42
	v_mov_b32_e32 v11, v43
	v_mov_b32_e32 v12, v44
	v_mov_b32_e32 v13, v45
	v_mov_b32_e32 v14, v46
	v_mov_b32_e32 v15, v47
	v_mov_b32_e32 v16, v48
	v_mov_b32_e32 v17, v49
	v_mov_b32_e32 v18, v50
	v_mov_b32_e32 v19, v51
	v_mov_b32_e32 v20, v52
	v_mov_b32_e32 v21, v53
	v_mov_b32_e32 v22, v54
	v_mov_b32_e32 v23, v55
	v_mov_b32_e32 v24, v56
	v_mov_b32_e32 v25, v57
	v_mov_b32_e32 v26, v58
	v_mov_b32_e32 v27, v59
	v_mov_b32_e32 v28, v60
	v_mov_b32_e32 v29, v61
	v_mov_b32_e32 v30, v62
	v_mov_b32_e32 v31, v63
	v_mov_b32_e32 v32, v64
                                        ; implicit-def: $vgpr33_vgpr34_vgpr35_vgpr36_vgpr37_vgpr38_vgpr39_vgpr40_vgpr41_vgpr42_vgpr43_vgpr44_vgpr45_vgpr46_vgpr47_vgpr48_vgpr49_vgpr50_vgpr51_vgpr52_vgpr53_vgpr54_vgpr55_vgpr56_vgpr57_vgpr58_vgpr59_vgpr60_vgpr61_vgpr62_vgpr63_vgpr64
	s_or_saveexec_b32 s42, s4
	s_xor_b32 s5, s52, -1
	s_xor_b32 exec_lo, exec_lo, s42
	s_cbranch_execnz .LBB741_315
.LBB741_226:
	s_or_b32 exec_lo, exec_lo, s42
                                        ; implicit-def: $vgpr33_vgpr34_vgpr35_vgpr36_vgpr37_vgpr38_vgpr39_vgpr40_vgpr41_vgpr42_vgpr43_vgpr44_vgpr45_vgpr46_vgpr47_vgpr48_vgpr49_vgpr50_vgpr51_vgpr52_vgpr53_vgpr54_vgpr55_vgpr56_vgpr57_vgpr58_vgpr59_vgpr60_vgpr61_vgpr62_vgpr63_vgpr64
	s_and_saveexec_b32 s4, s5
	s_xor_b32 s4, exec_lo, s4
	s_cbranch_execz .LBB741_318
.LBB741_227:
	s_mov_b32 s5, 0
	v_mov_b32_e32 v17, s5
	v_mov_b32_e32 v64, v32
	;; [unrolled: 1-line block ×33, first 2 shown]
                                        ; implicit-def: $vgpr1_vgpr2_vgpr3_vgpr4_vgpr5_vgpr6_vgpr7_vgpr8_vgpr9_vgpr10_vgpr11_vgpr12_vgpr13_vgpr14_vgpr15_vgpr16_vgpr17_vgpr18_vgpr19_vgpr20_vgpr21_vgpr22_vgpr23_vgpr24_vgpr25_vgpr26_vgpr27_vgpr28_vgpr29_vgpr30_vgpr31_vgpr32
	s_or_saveexec_b32 s42, s4
	s_xor_b32 s5, s51, -1
	s_xor_b32 exec_lo, exec_lo, s42
	s_cbranch_execnz .LBB741_319
.LBB741_228:
	s_or_b32 exec_lo, exec_lo, s42
                                        ; implicit-def: $vgpr1_vgpr2_vgpr3_vgpr4_vgpr5_vgpr6_vgpr7_vgpr8_vgpr9_vgpr10_vgpr11_vgpr12_vgpr13_vgpr14_vgpr15_vgpr16_vgpr17_vgpr18_vgpr19_vgpr20_vgpr21_vgpr22_vgpr23_vgpr24_vgpr25_vgpr26_vgpr27_vgpr28_vgpr29_vgpr30_vgpr31_vgpr32
	s_and_saveexec_b32 s4, s5
	s_xor_b32 s4, exec_lo, s4
	s_cbranch_execz .LBB741_322
.LBB741_229:
	s_mov_b32 s5, 0
	v_mov_b32_e32 v50, s5
	v_mov_b32_e32 v1, v33
	;; [unrolled: 1-line block ×33, first 2 shown]
                                        ; implicit-def: $vgpr33_vgpr34_vgpr35_vgpr36_vgpr37_vgpr38_vgpr39_vgpr40_vgpr41_vgpr42_vgpr43_vgpr44_vgpr45_vgpr46_vgpr47_vgpr48_vgpr49_vgpr50_vgpr51_vgpr52_vgpr53_vgpr54_vgpr55_vgpr56_vgpr57_vgpr58_vgpr59_vgpr60_vgpr61_vgpr62_vgpr63_vgpr64
	s_or_saveexec_b32 s42, s4
	s_xor_b32 s5, s50, -1
	s_xor_b32 exec_lo, exec_lo, s42
	s_cbranch_execnz .LBB741_323
.LBB741_230:
	s_or_b32 exec_lo, exec_lo, s42
                                        ; implicit-def: $vgpr33_vgpr34_vgpr35_vgpr36_vgpr37_vgpr38_vgpr39_vgpr40_vgpr41_vgpr42_vgpr43_vgpr44_vgpr45_vgpr46_vgpr47_vgpr48_vgpr49_vgpr50_vgpr51_vgpr52_vgpr53_vgpr54_vgpr55_vgpr56_vgpr57_vgpr58_vgpr59_vgpr60_vgpr61_vgpr62_vgpr63_vgpr64
	s_and_saveexec_b32 s4, s5
	s_xor_b32 s4, exec_lo, s4
	s_cbranch_execz .LBB741_326
.LBB741_231:
	s_mov_b32 s5, 0
	v_mov_b32_e32 v19, s5
	v_mov_b32_e32 v64, v32
	;; [unrolled: 1-line block ×33, first 2 shown]
                                        ; implicit-def: $vgpr1_vgpr2_vgpr3_vgpr4_vgpr5_vgpr6_vgpr7_vgpr8_vgpr9_vgpr10_vgpr11_vgpr12_vgpr13_vgpr14_vgpr15_vgpr16_vgpr17_vgpr18_vgpr19_vgpr20_vgpr21_vgpr22_vgpr23_vgpr24_vgpr25_vgpr26_vgpr27_vgpr28_vgpr29_vgpr30_vgpr31_vgpr32
	s_or_saveexec_b32 s42, s4
	s_xor_b32 s5, s49, -1
	s_xor_b32 exec_lo, exec_lo, s42
	s_cbranch_execnz .LBB741_327
.LBB741_232:
	s_or_b32 exec_lo, exec_lo, s42
                                        ; implicit-def: $vgpr1_vgpr2_vgpr3_vgpr4_vgpr5_vgpr6_vgpr7_vgpr8_vgpr9_vgpr10_vgpr11_vgpr12_vgpr13_vgpr14_vgpr15_vgpr16_vgpr17_vgpr18_vgpr19_vgpr20_vgpr21_vgpr22_vgpr23_vgpr24_vgpr25_vgpr26_vgpr27_vgpr28_vgpr29_vgpr30_vgpr31_vgpr32
	s_and_saveexec_b32 s4, s5
	s_xor_b32 s4, exec_lo, s4
	s_cbranch_execz .LBB741_330
.LBB741_233:
	s_mov_b32 s5, 0
	v_mov_b32_e32 v52, s5
	v_mov_b32_e32 v1, v33
	;; [unrolled: 1-line block ×33, first 2 shown]
                                        ; implicit-def: $vgpr33_vgpr34_vgpr35_vgpr36_vgpr37_vgpr38_vgpr39_vgpr40_vgpr41_vgpr42_vgpr43_vgpr44_vgpr45_vgpr46_vgpr47_vgpr48_vgpr49_vgpr50_vgpr51_vgpr52_vgpr53_vgpr54_vgpr55_vgpr56_vgpr57_vgpr58_vgpr59_vgpr60_vgpr61_vgpr62_vgpr63_vgpr64
	s_or_saveexec_b32 s42, s4
	s_xor_b32 s5, s48, -1
	s_xor_b32 exec_lo, exec_lo, s42
	s_cbranch_execnz .LBB741_331
.LBB741_234:
	s_or_b32 exec_lo, exec_lo, s42
                                        ; implicit-def: $vgpr33_vgpr34_vgpr35_vgpr36_vgpr37_vgpr38_vgpr39_vgpr40_vgpr41_vgpr42_vgpr43_vgpr44_vgpr45_vgpr46_vgpr47_vgpr48_vgpr49_vgpr50_vgpr51_vgpr52_vgpr53_vgpr54_vgpr55_vgpr56_vgpr57_vgpr58_vgpr59_vgpr60_vgpr61_vgpr62_vgpr63_vgpr64
	s_and_saveexec_b32 s4, s5
	s_xor_b32 s4, exec_lo, s4
	s_cbranch_execz .LBB741_334
.LBB741_235:
	s_mov_b32 s5, 0
	v_mov_b32_e32 v21, s5
	v_mov_b32_e32 v64, v32
	;; [unrolled: 1-line block ×33, first 2 shown]
                                        ; implicit-def: $vgpr1_vgpr2_vgpr3_vgpr4_vgpr5_vgpr6_vgpr7_vgpr8_vgpr9_vgpr10_vgpr11_vgpr12_vgpr13_vgpr14_vgpr15_vgpr16_vgpr17_vgpr18_vgpr19_vgpr20_vgpr21_vgpr22_vgpr23_vgpr24_vgpr25_vgpr26_vgpr27_vgpr28_vgpr29_vgpr30_vgpr31_vgpr32
	s_or_saveexec_b32 s42, s4
	s_xor_b32 s5, s47, -1
	s_xor_b32 exec_lo, exec_lo, s42
	s_cbranch_execnz .LBB741_335
.LBB741_236:
	s_or_b32 exec_lo, exec_lo, s42
                                        ; implicit-def: $vgpr1_vgpr2_vgpr3_vgpr4_vgpr5_vgpr6_vgpr7_vgpr8_vgpr9_vgpr10_vgpr11_vgpr12_vgpr13_vgpr14_vgpr15_vgpr16_vgpr17_vgpr18_vgpr19_vgpr20_vgpr21_vgpr22_vgpr23_vgpr24_vgpr25_vgpr26_vgpr27_vgpr28_vgpr29_vgpr30_vgpr31_vgpr32
	s_and_saveexec_b32 s4, s5
	s_xor_b32 s4, exec_lo, s4
	s_cbranch_execz .LBB741_338
.LBB741_237:
	s_mov_b32 s5, 0
	v_mov_b32_e32 v54, s5
	v_mov_b32_e32 v1, v33
	;; [unrolled: 1-line block ×33, first 2 shown]
                                        ; implicit-def: $vgpr33_vgpr34_vgpr35_vgpr36_vgpr37_vgpr38_vgpr39_vgpr40_vgpr41_vgpr42_vgpr43_vgpr44_vgpr45_vgpr46_vgpr47_vgpr48_vgpr49_vgpr50_vgpr51_vgpr52_vgpr53_vgpr54_vgpr55_vgpr56_vgpr57_vgpr58_vgpr59_vgpr60_vgpr61_vgpr62_vgpr63_vgpr64
	s_or_saveexec_b32 s42, s4
	s_xor_b32 s5, s46, -1
	s_xor_b32 exec_lo, exec_lo, s42
	s_cbranch_execnz .LBB741_339
.LBB741_238:
	s_or_b32 exec_lo, exec_lo, s42
                                        ; implicit-def: $vgpr33_vgpr34_vgpr35_vgpr36_vgpr37_vgpr38_vgpr39_vgpr40_vgpr41_vgpr42_vgpr43_vgpr44_vgpr45_vgpr46_vgpr47_vgpr48_vgpr49_vgpr50_vgpr51_vgpr52_vgpr53_vgpr54_vgpr55_vgpr56_vgpr57_vgpr58_vgpr59_vgpr60_vgpr61_vgpr62_vgpr63_vgpr64
	s_and_saveexec_b32 s4, s5
	s_xor_b32 s4, exec_lo, s4
	s_cbranch_execz .LBB741_342
.LBB741_239:
	s_mov_b32 s5, 0
	v_mov_b32_e32 v23, s5
	v_mov_b32_e32 v64, v32
	v_mov_b32_e32 v63, v31
	v_mov_b32_e32 v62, v30
	v_mov_b32_e32 v61, v29
	v_mov_b32_e32 v60, v28
	v_mov_b32_e32 v59, v27
	v_mov_b32_e32 v58, v26
	v_mov_b32_e32 v57, v25
	v_mov_b32_e32 v56, v24
	v_mov_b32_e32 v55, v23
	v_mov_b32_e32 v54, v22
	v_mov_b32_e32 v53, v21
	v_mov_b32_e32 v52, v20
	v_mov_b32_e32 v51, v19
	v_mov_b32_e32 v50, v18
	v_mov_b32_e32 v49, v17
	v_mov_b32_e32 v48, v16
	v_mov_b32_e32 v47, v15
	v_mov_b32_e32 v46, v14
	v_mov_b32_e32 v45, v13
	v_mov_b32_e32 v44, v12
	v_mov_b32_e32 v43, v11
	v_mov_b32_e32 v42, v10
	v_mov_b32_e32 v41, v9
	v_mov_b32_e32 v40, v8
	v_mov_b32_e32 v39, v7
	v_mov_b32_e32 v38, v6
	v_mov_b32_e32 v37, v5
	v_mov_b32_e32 v36, v4
	v_mov_b32_e32 v35, v3
	v_mov_b32_e32 v34, v2
	v_mov_b32_e32 v33, v1
                                        ; implicit-def: $vgpr1_vgpr2_vgpr3_vgpr4_vgpr5_vgpr6_vgpr7_vgpr8_vgpr9_vgpr10_vgpr11_vgpr12_vgpr13_vgpr14_vgpr15_vgpr16_vgpr17_vgpr18_vgpr19_vgpr20_vgpr21_vgpr22_vgpr23_vgpr24_vgpr25_vgpr26_vgpr27_vgpr28_vgpr29_vgpr30_vgpr31_vgpr32
	s_or_saveexec_b32 s42, s4
	s_xor_b32 s5, s45, -1
	s_xor_b32 exec_lo, exec_lo, s42
	s_cbranch_execnz .LBB741_343
.LBB741_240:
	s_or_b32 exec_lo, exec_lo, s42
                                        ; implicit-def: $vgpr1_vgpr2_vgpr3_vgpr4_vgpr5_vgpr6_vgpr7_vgpr8_vgpr9_vgpr10_vgpr11_vgpr12_vgpr13_vgpr14_vgpr15_vgpr16_vgpr17_vgpr18_vgpr19_vgpr20_vgpr21_vgpr22_vgpr23_vgpr24_vgpr25_vgpr26_vgpr27_vgpr28_vgpr29_vgpr30_vgpr31_vgpr32
	s_and_saveexec_b32 s4, s5
	s_xor_b32 s4, exec_lo, s4
	s_cbranch_execz .LBB741_346
.LBB741_241:
	s_mov_b32 s5, 0
	v_mov_b32_e32 v56, s5
	v_mov_b32_e32 v1, v33
	;; [unrolled: 1-line block ×33, first 2 shown]
                                        ; implicit-def: $vgpr33_vgpr34_vgpr35_vgpr36_vgpr37_vgpr38_vgpr39_vgpr40_vgpr41_vgpr42_vgpr43_vgpr44_vgpr45_vgpr46_vgpr47_vgpr48_vgpr49_vgpr50_vgpr51_vgpr52_vgpr53_vgpr54_vgpr55_vgpr56_vgpr57_vgpr58_vgpr59_vgpr60_vgpr61_vgpr62_vgpr63_vgpr64
	s_or_saveexec_b32 s42, s4
	s_xor_b32 s5, s44, -1
	s_xor_b32 exec_lo, exec_lo, s42
	s_cbranch_execnz .LBB741_347
.LBB741_242:
	s_or_b32 exec_lo, exec_lo, s42
                                        ; implicit-def: $vgpr33_vgpr34_vgpr35_vgpr36_vgpr37_vgpr38_vgpr39_vgpr40_vgpr41_vgpr42_vgpr43_vgpr44_vgpr45_vgpr46_vgpr47_vgpr48_vgpr49_vgpr50_vgpr51_vgpr52_vgpr53_vgpr54_vgpr55_vgpr56_vgpr57_vgpr58_vgpr59_vgpr60_vgpr61_vgpr62_vgpr63_vgpr64
	s_and_saveexec_b32 s4, s5
	s_xor_b32 s4, exec_lo, s4
	s_cbranch_execz .LBB741_350
.LBB741_243:
	s_mov_b32 s5, 0
	v_mov_b32_e32 v25, s5
	v_mov_b32_e32 v64, v32
	;; [unrolled: 1-line block ×33, first 2 shown]
                                        ; implicit-def: $vgpr1_vgpr2_vgpr3_vgpr4_vgpr5_vgpr6_vgpr7_vgpr8_vgpr9_vgpr10_vgpr11_vgpr12_vgpr13_vgpr14_vgpr15_vgpr16_vgpr17_vgpr18_vgpr19_vgpr20_vgpr21_vgpr22_vgpr23_vgpr24_vgpr25_vgpr26_vgpr27_vgpr28_vgpr29_vgpr30_vgpr31_vgpr32
	s_or_saveexec_b32 s42, s4
	s_xor_b32 s5, s43, -1
	s_xor_b32 exec_lo, exec_lo, s42
	s_cbranch_execnz .LBB741_351
.LBB741_244:
	s_or_b32 exec_lo, exec_lo, s42
                                        ; implicit-def: $vgpr1_vgpr2_vgpr3_vgpr4_vgpr5_vgpr6_vgpr7_vgpr8_vgpr9_vgpr10_vgpr11_vgpr12_vgpr13_vgpr14_vgpr15_vgpr16_vgpr17_vgpr18_vgpr19_vgpr20_vgpr21_vgpr22_vgpr23_vgpr24_vgpr25_vgpr26_vgpr27_vgpr28_vgpr29_vgpr30_vgpr31_vgpr32
	s_and_saveexec_b32 s4, s5
	s_xor_b32 s4, exec_lo, s4
	s_cbranch_execz .LBB741_354
.LBB741_245:
	s_mov_b32 s5, 0
	v_mov_b32_e32 v58, s5
	v_mov_b32_e32 v1, v33
	;; [unrolled: 1-line block ×33, first 2 shown]
                                        ; implicit-def: $vgpr33_vgpr34_vgpr35_vgpr36_vgpr37_vgpr38_vgpr39_vgpr40_vgpr41_vgpr42_vgpr43_vgpr44_vgpr45_vgpr46_vgpr47_vgpr48_vgpr49_vgpr50_vgpr51_vgpr52_vgpr53_vgpr54_vgpr55_vgpr56_vgpr57_vgpr58_vgpr59_vgpr60_vgpr61_vgpr62_vgpr63_vgpr64
	s_or_saveexec_b32 s42, s4
	s_xor_b32 s5, s41, -1
	s_xor_b32 exec_lo, exec_lo, s42
	s_cbranch_execnz .LBB741_355
.LBB741_246:
	s_or_b32 exec_lo, exec_lo, s42
                                        ; implicit-def: $vgpr33_vgpr34_vgpr35_vgpr36_vgpr37_vgpr38_vgpr39_vgpr40_vgpr41_vgpr42_vgpr43_vgpr44_vgpr45_vgpr46_vgpr47_vgpr48_vgpr49_vgpr50_vgpr51_vgpr52_vgpr53_vgpr54_vgpr55_vgpr56_vgpr57_vgpr58_vgpr59_vgpr60_vgpr61_vgpr62_vgpr63_vgpr64
	s_and_saveexec_b32 s4, s5
	s_xor_b32 s4, exec_lo, s4
	s_cbranch_execz .LBB741_358
.LBB741_247:
	s_mov_b32 s5, 0
	v_mov_b32_e32 v27, s5
	v_mov_b32_e32 v64, v32
	;; [unrolled: 1-line block ×33, first 2 shown]
                                        ; implicit-def: $vgpr1_vgpr2_vgpr3_vgpr4_vgpr5_vgpr6_vgpr7_vgpr8_vgpr9_vgpr10_vgpr11_vgpr12_vgpr13_vgpr14_vgpr15_vgpr16_vgpr17_vgpr18_vgpr19_vgpr20_vgpr21_vgpr22_vgpr23_vgpr24_vgpr25_vgpr26_vgpr27_vgpr28_vgpr29_vgpr30_vgpr31_vgpr32
	s_or_saveexec_b32 s41, s4
	s_xor_b32 s5, s40, -1
	s_xor_b32 exec_lo, exec_lo, s41
	s_cbranch_execnz .LBB741_359
.LBB741_248:
	s_or_b32 exec_lo, exec_lo, s41
                                        ; implicit-def: $vgpr1_vgpr2_vgpr3_vgpr4_vgpr5_vgpr6_vgpr7_vgpr8_vgpr9_vgpr10_vgpr11_vgpr12_vgpr13_vgpr14_vgpr15_vgpr16_vgpr17_vgpr18_vgpr19_vgpr20_vgpr21_vgpr22_vgpr23_vgpr24_vgpr25_vgpr26_vgpr27_vgpr28_vgpr29_vgpr30_vgpr31_vgpr32
	s_and_saveexec_b32 s4, s5
	s_xor_b32 s4, exec_lo, s4
	s_cbranch_execz .LBB741_362
.LBB741_249:
	s_mov_b32 s5, 0
	v_mov_b32_e32 v60, s5
	v_mov_b32_e32 v1, v33
	;; [unrolled: 1-line block ×33, first 2 shown]
                                        ; implicit-def: $vgpr33_vgpr34_vgpr35_vgpr36_vgpr37_vgpr38_vgpr39_vgpr40_vgpr41_vgpr42_vgpr43_vgpr44_vgpr45_vgpr46_vgpr47_vgpr48_vgpr49_vgpr50_vgpr51_vgpr52_vgpr53_vgpr54_vgpr55_vgpr56_vgpr57_vgpr58_vgpr59_vgpr60_vgpr61_vgpr62_vgpr63_vgpr64
	s_or_saveexec_b32 s40, s4
	s_xor_b32 s5, s39, -1
	s_xor_b32 exec_lo, exec_lo, s40
	s_cbranch_execnz .LBB741_363
.LBB741_250:
	s_or_b32 exec_lo, exec_lo, s40
                                        ; implicit-def: $vgpr33_vgpr34_vgpr35_vgpr36_vgpr37_vgpr38_vgpr39_vgpr40_vgpr41_vgpr42_vgpr43_vgpr44_vgpr45_vgpr46_vgpr47_vgpr48_vgpr49_vgpr50_vgpr51_vgpr52_vgpr53_vgpr54_vgpr55_vgpr56_vgpr57_vgpr58_vgpr59_vgpr60_vgpr61_vgpr62_vgpr63_vgpr64
	s_and_saveexec_b32 s4, s5
	s_xor_b32 s4, exec_lo, s4
	s_cbranch_execz .LBB741_366
.LBB741_251:
	s_mov_b32 s5, 0
	v_mov_b32_e32 v29, s5
	v_mov_b32_e32 v64, v32
	;; [unrolled: 1-line block ×33, first 2 shown]
                                        ; implicit-def: $vgpr1_vgpr2_vgpr3_vgpr4_vgpr5_vgpr6_vgpr7_vgpr8_vgpr9_vgpr10_vgpr11_vgpr12_vgpr13_vgpr14_vgpr15_vgpr16_vgpr17_vgpr18_vgpr19_vgpr20_vgpr21_vgpr22_vgpr23_vgpr24_vgpr25_vgpr26_vgpr27_vgpr28_vgpr29_vgpr30_vgpr31_vgpr32
	s_or_saveexec_b32 s39, s4
	s_xor_b32 s5, s38, -1
	s_xor_b32 exec_lo, exec_lo, s39
	s_cbranch_execnz .LBB741_367
.LBB741_252:
	s_or_b32 exec_lo, exec_lo, s39
                                        ; implicit-def: $vgpr1_vgpr2_vgpr3_vgpr4_vgpr5_vgpr6_vgpr7_vgpr8_vgpr9_vgpr10_vgpr11_vgpr12_vgpr13_vgpr14_vgpr15_vgpr16_vgpr17_vgpr18_vgpr19_vgpr20_vgpr21_vgpr22_vgpr23_vgpr24_vgpr25_vgpr26_vgpr27_vgpr28_vgpr29_vgpr30_vgpr31_vgpr32
	s_and_saveexec_b32 s4, s5
	s_xor_b32 s4, exec_lo, s4
	s_cbranch_execz .LBB741_370
.LBB741_253:
	s_mov_b32 s5, 0
	v_mov_b32_e32 v62, s5
	v_mov_b32_e32 v1, v33
	v_mov_b32_e32 v2, v34
	v_mov_b32_e32 v3, v35
	v_mov_b32_e32 v4, v36
	v_mov_b32_e32 v5, v37
	v_mov_b32_e32 v6, v38
	v_mov_b32_e32 v7, v39
	v_mov_b32_e32 v8, v40
	v_mov_b32_e32 v9, v41
	v_mov_b32_e32 v10, v42
	v_mov_b32_e32 v11, v43
	v_mov_b32_e32 v12, v44
	v_mov_b32_e32 v13, v45
	v_mov_b32_e32 v14, v46
	v_mov_b32_e32 v15, v47
	v_mov_b32_e32 v16, v48
	v_mov_b32_e32 v17, v49
	v_mov_b32_e32 v18, v50
	v_mov_b32_e32 v19, v51
	v_mov_b32_e32 v20, v52
	v_mov_b32_e32 v21, v53
	v_mov_b32_e32 v22, v54
	v_mov_b32_e32 v23, v55
	v_mov_b32_e32 v24, v56
	v_mov_b32_e32 v25, v57
	v_mov_b32_e32 v26, v58
	v_mov_b32_e32 v27, v59
	v_mov_b32_e32 v28, v60
	v_mov_b32_e32 v29, v61
	v_mov_b32_e32 v30, v62
	v_mov_b32_e32 v31, v63
	v_mov_b32_e32 v32, v64
                                        ; implicit-def: $vgpr33_vgpr34_vgpr35_vgpr36_vgpr37_vgpr38_vgpr39_vgpr40_vgpr41_vgpr42_vgpr43_vgpr44_vgpr45_vgpr46_vgpr47_vgpr48_vgpr49_vgpr50_vgpr51_vgpr52_vgpr53_vgpr54_vgpr55_vgpr56_vgpr57_vgpr58_vgpr59_vgpr60_vgpr61_vgpr62_vgpr63_vgpr64
	s_or_saveexec_b32 s38, s4
	s_xor_b32 s5, s35, -1
	s_xor_b32 exec_lo, exec_lo, s38
	s_cbranch_execnz .LBB741_371
.LBB741_254:
	s_or_b32 exec_lo, exec_lo, s38
                                        ; implicit-def: $vgpr33_vgpr34_vgpr35_vgpr36_vgpr37_vgpr38_vgpr39_vgpr40_vgpr41_vgpr42_vgpr43_vgpr44_vgpr45_vgpr46_vgpr47_vgpr48_vgpr49_vgpr50_vgpr51_vgpr52_vgpr53_vgpr54_vgpr55_vgpr56_vgpr57_vgpr58_vgpr59_vgpr60_vgpr61_vgpr62_vgpr63_vgpr64
	s_and_saveexec_b32 s4, s5
	s_xor_b32 s4, exec_lo, s4
	s_cbranch_execz .LBB741_374
.LBB741_255:
	s_mov_b32 s5, 0
	v_mov_b32_e32 v31, s5
	v_mov_b32_e32 v64, v32
	;; [unrolled: 1-line block ×33, first 2 shown]
                                        ; implicit-def: $vgpr1_vgpr2_vgpr3_vgpr4_vgpr5_vgpr6_vgpr7_vgpr8_vgpr9_vgpr10_vgpr11_vgpr12_vgpr13_vgpr14_vgpr15_vgpr16_vgpr17_vgpr18_vgpr19_vgpr20_vgpr21_vgpr22_vgpr23_vgpr24_vgpr25_vgpr26_vgpr27_vgpr28_vgpr29_vgpr30_vgpr31_vgpr32
	s_or_saveexec_b32 s35, s4
	s_xor_b32 s5, s34, -1
	s_xor_b32 exec_lo, exec_lo, s35
	s_cbranch_execnz .LBB741_375
.LBB741_256:
	s_or_b32 exec_lo, exec_lo, s35
                                        ; implicit-def: $vgpr1_vgpr2_vgpr3_vgpr4_vgpr5_vgpr6_vgpr7_vgpr8_vgpr9_vgpr10_vgpr11_vgpr12_vgpr13_vgpr14_vgpr15_vgpr16_vgpr17_vgpr18_vgpr19_vgpr20_vgpr21_vgpr22_vgpr23_vgpr24_vgpr25_vgpr26_vgpr27_vgpr28_vgpr29_vgpr30_vgpr31_vgpr32
	s_and_saveexec_b32 s4, s5
	s_xor_b32 s4, exec_lo, s4
	s_cbranch_execz .LBB741_378
.LBB741_257:
	s_mov_b32 s5, 0
                                        ; implicit-def: $vgpr98_vgpr99
                                        ; implicit-def: $vgpr106
	v_mov_b32_e32 v64, s5
	v_mov_b32_e32 v1, v33
	;; [unrolled: 1-line block ×33, first 2 shown]
                                        ; implicit-def: $vgpr33_vgpr34_vgpr35_vgpr36_vgpr37_vgpr38_vgpr39_vgpr40_vgpr41_vgpr42_vgpr43_vgpr44_vgpr45_vgpr46_vgpr47_vgpr48_vgpr49_vgpr50_vgpr51_vgpr52_vgpr53_vgpr54_vgpr55_vgpr56_vgpr57_vgpr58_vgpr59_vgpr60_vgpr61_vgpr62_vgpr63_vgpr64
	s_andn2_saveexec_b32 s5, s4
	s_cbranch_execz .LBB741_382
	s_branch .LBB741_379
.LBB741_258:
	s_or_saveexec_b32 s42, s4
	s_xor_b32 s5, s66, -1
	s_xor_b32 exec_lo, exec_lo, s42
	s_cbranch_execz .LBB741_198
.LBB741_259:
	global_load_ubyte v32, v[98:99], off offset:32
	s_mov_b32 s66, 0
	s_waitcnt vmcnt(0)
	v_and_b32_e32 v32, 1, v32
	v_cmp_eq_u32_e64 s4, 1, v32
	v_mov_b32_e32 v63, v31
	v_mov_b32_e32 v33, v1
	;; [unrolled: 1-line block ×33, first 2 shown]
	s_xor_b32 s4, s4, -1
	s_and_saveexec_b32 s66, s4
	s_xor_b32 s66, exec_lo, s66
	s_cbranch_execz .LBB741_261
; %bb.260:
	v_sub_f32_e32 v1, v64, v106
	v_mul_f32_e32 v32, 0x3fb8aa3b, v1
	v_cmp_ngt_f32_e64 s4, 0xc2ce8ed0, v1
	v_fma_f32 v33, 0x3fb8aa3b, v1, -v32
	v_rndne_f32_e32 v34, v32
	v_fmamk_f32 v33, v1, 0x32a5705f, v33
	v_sub_f32_e32 v32, v32, v34
	v_add_f32_e32 v32, v32, v33
	v_cvt_i32_f32_e32 v33, v34
	v_exp_f32_e32 v32, v32
	v_ldexp_f32 v32, v32, v33
	v_cndmask_b32_e64 v32, 0, v32, s4
	v_cmp_nlt_f32_e64 s4, 0x42b17218, v1
	v_cndmask_b32_e64 v1, 0x7f800000, v32, s4
	v_mov_b32_e32 v63, v31
	v_mov_b32_e32 v62, v30
	;; [unrolled: 1-line block ×4, first 2 shown]
	v_add_f32_e32 v64, v0, v1
	v_mov_b32_e32 v59, v27
	v_mov_b32_e32 v58, v26
	;; [unrolled: 1-line block ×29, first 2 shown]
.LBB741_261:
	s_andn2_saveexec_b32 s4, s66
	s_or_b32 exec_lo, exec_lo, s4
	s_or_b32 exec_lo, exec_lo, s42
                                        ; implicit-def: $vgpr64_vgpr65_vgpr66_vgpr67_vgpr68_vgpr69_vgpr70_vgpr71_vgpr72_vgpr73_vgpr74_vgpr75_vgpr76_vgpr77_vgpr78_vgpr79_vgpr80_vgpr81_vgpr82_vgpr83_vgpr84_vgpr85_vgpr86_vgpr87_vgpr88_vgpr89_vgpr90_vgpr91_vgpr92_vgpr93_vgpr94_vgpr95
	s_and_saveexec_b32 s4, s5
	s_xor_b32 s4, exec_lo, s4
	s_cbranch_execnz .LBB741_199
.LBB741_262:
	s_or_saveexec_b32 s42, s4
	s_xor_b32 s5, s65, -1
	s_xor_b32 exec_lo, exec_lo, s42
	s_cbranch_execz .LBB741_200
.LBB741_263:
	global_load_ubyte v1, v[98:99], off offset:64
	s_mov_b32 s65, 0
	v_mov_b32_e32 v95, v63
	v_mov_b32_e32 v66, v34
	;; [unrolled: 1-line block ×33, first 2 shown]
	s_waitcnt vmcnt(0)
	v_and_b32_e32 v1, 1, v1
	v_cmp_eq_u32_e64 s4, 1, v1
	s_xor_b32 s4, s4, -1
	s_and_saveexec_b32 s65, s4
	s_xor_b32 s65, exec_lo, s65
	s_cbranch_execz .LBB741_265
; %bb.264:
	v_sub_f32_e32 v1, v34, v106
	v_mul_f32_e32 v2, 0x3fb8aa3b, v1
	v_cmp_ngt_f32_e64 s4, 0xc2ce8ed0, v1
	v_fma_f32 v3, 0x3fb8aa3b, v1, -v2
	v_rndne_f32_e32 v4, v2
	v_fmamk_f32 v3, v1, 0x32a5705f, v3
	v_sub_f32_e32 v2, v2, v4
	v_add_f32_e32 v2, v2, v3
	v_cvt_i32_f32_e32 v3, v4
	v_exp_f32_e32 v2, v2
	v_ldexp_f32 v2, v2, v3
	v_cndmask_b32_e64 v2, 0, v2, s4
	v_cmp_nlt_f32_e64 s4, 0x42b17218, v1
	v_cndmask_b32_e64 v34, 0x7f800000, v2, s4
	v_mov_b32_e32 v95, v63
	v_mov_b32_e32 v94, v62
	;; [unrolled: 1-line block ×4, first 2 shown]
	v_add_f32_e32 v0, v0, v34
	v_mov_b32_e32 v91, v59
	v_mov_b32_e32 v90, v58
	v_mov_b32_e32 v89, v57
	v_mov_b32_e32 v88, v56
	v_mov_b32_e32 v87, v55
	v_mov_b32_e32 v86, v54
	v_mov_b32_e32 v85, v53
	v_mov_b32_e32 v84, v52
	v_mov_b32_e32 v83, v51
	v_mov_b32_e32 v82, v50
	v_mov_b32_e32 v81, v49
	v_mov_b32_e32 v80, v48
	v_mov_b32_e32 v79, v47
	v_mov_b32_e32 v78, v46
	v_mov_b32_e32 v77, v45
	v_mov_b32_e32 v76, v44
	v_mov_b32_e32 v75, v43
	v_mov_b32_e32 v74, v42
	v_mov_b32_e32 v73, v41
	v_mov_b32_e32 v72, v40
	v_mov_b32_e32 v71, v39
	v_mov_b32_e32 v70, v38
	v_mov_b32_e32 v69, v37
	v_mov_b32_e32 v68, v36
	v_mov_b32_e32 v67, v35
	v_mov_b32_e32 v66, v34
	v_mov_b32_e32 v65, v33
	v_mov_b32_e32 v64, v32
.LBB741_265:
	s_andn2_saveexec_b32 s4, s65
	s_or_b32 exec_lo, exec_lo, s4
	s_or_b32 exec_lo, exec_lo, s42
                                        ; implicit-def: $vgpr1_vgpr2_vgpr3_vgpr4_vgpr5_vgpr6_vgpr7_vgpr8_vgpr9_vgpr10_vgpr11_vgpr12_vgpr13_vgpr14_vgpr15_vgpr16_vgpr17_vgpr18_vgpr19_vgpr20_vgpr21_vgpr22_vgpr23_vgpr24_vgpr25_vgpr26_vgpr27_vgpr28_vgpr29_vgpr30_vgpr31_vgpr32
	s_and_saveexec_b32 s4, s5
	s_xor_b32 s4, exec_lo, s4
	s_cbranch_execnz .LBB741_201
.LBB741_266:
	s_or_saveexec_b32 s42, s4
	s_xor_b32 s5, s64, -1
	s_xor_b32 exec_lo, exec_lo, s42
	s_cbranch_execz .LBB741_202
.LBB741_267:
	global_load_ubyte v1, v[98:99], off offset:96
	s_mov_b32 s64, 0
	s_waitcnt vmcnt(0)
	v_and_b32_e32 v1, 1, v1
	v_cmp_eq_u32_e64 s4, 1, v1
	v_mov_b32_e32 v1, v64
	v_mov_b32_e32 v4, v67
	;; [unrolled: 1-line block ×33, first 2 shown]
	s_xor_b32 s4, s4, -1
	s_and_saveexec_b32 s64, s4
	s_xor_b32 s64, exec_lo, s64
	s_cbranch_execz .LBB741_269
; %bb.268:
	v_sub_f32_e32 v1, v67, v106
	v_mul_f32_e32 v2, 0x3fb8aa3b, v1
	v_cmp_ngt_f32_e64 s4, 0xc2ce8ed0, v1
	v_fma_f32 v3, 0x3fb8aa3b, v1, -v2
	v_rndne_f32_e32 v4, v2
	v_fmamk_f32 v3, v1, 0x32a5705f, v3
	v_sub_f32_e32 v2, v2, v4
	v_add_f32_e32 v2, v2, v3
	v_cvt_i32_f32_e32 v3, v4
	v_exp_f32_e32 v2, v2
	v_ldexp_f32 v2, v2, v3
	v_cndmask_b32_e64 v2, 0, v2, s4
	v_cmp_nlt_f32_e64 s4, 0x42b17218, v1
	v_cndmask_b32_e64 v67, 0x7f800000, v2, s4
	v_mov_b32_e32 v1, v64
	v_mov_b32_e32 v2, v65
	;; [unrolled: 1-line block ×4, first 2 shown]
	v_add_f32_e32 v0, v0, v67
	v_mov_b32_e32 v4, v67
	v_mov_b32_e32 v6, v69
	;; [unrolled: 1-line block ×28, first 2 shown]
.LBB741_269:
	s_andn2_saveexec_b32 s4, s64
	s_or_b32 exec_lo, exec_lo, s4
	s_or_b32 exec_lo, exec_lo, s42
                                        ; implicit-def: $vgpr33_vgpr34_vgpr35_vgpr36_vgpr37_vgpr38_vgpr39_vgpr40_vgpr41_vgpr42_vgpr43_vgpr44_vgpr45_vgpr46_vgpr47_vgpr48_vgpr49_vgpr50_vgpr51_vgpr52_vgpr53_vgpr54_vgpr55_vgpr56_vgpr57_vgpr58_vgpr59_vgpr60_vgpr61_vgpr62_vgpr63_vgpr64
	s_and_saveexec_b32 s4, s5
	s_xor_b32 s4, exec_lo, s4
	s_cbranch_execnz .LBB741_203
.LBB741_270:
	s_or_saveexec_b32 s42, s4
	s_xor_b32 s5, s63, -1
	s_xor_b32 exec_lo, exec_lo, s42
	s_cbranch_execz .LBB741_204
.LBB741_271:
	global_load_ubyte v33, v[98:99], off offset:128
	s_mov_b32 s63, 0
	s_waitcnt vmcnt(0)
	v_and_b32_e32 v33, 1, v33
	v_cmp_eq_u32_e64 s4, 1, v33
	v_mov_b32_e32 v64, v32
	v_mov_b32_e32 v37, v5
	v_mov_b32_e32 v63, v31
	v_mov_b32_e32 v62, v30
	v_mov_b32_e32 v61, v29
	v_mov_b32_e32 v60, v28
	v_mov_b32_e32 v59, v27
	v_mov_b32_e32 v58, v26
	v_mov_b32_e32 v57, v25
	v_mov_b32_e32 v56, v24
	v_mov_b32_e32 v55, v23
	v_mov_b32_e32 v54, v22
	v_mov_b32_e32 v53, v21
	v_mov_b32_e32 v52, v20
	v_mov_b32_e32 v51, v19
	v_mov_b32_e32 v50, v18
	v_mov_b32_e32 v49, v17
	v_mov_b32_e32 v48, v16
	v_mov_b32_e32 v47, v15
	v_mov_b32_e32 v46, v14
	v_mov_b32_e32 v45, v13
	v_mov_b32_e32 v44, v12
	v_mov_b32_e32 v43, v11
	v_mov_b32_e32 v42, v10
	v_mov_b32_e32 v41, v9
	v_mov_b32_e32 v40, v8
	v_mov_b32_e32 v39, v7
	v_mov_b32_e32 v38, v6
	v_mov_b32_e32 v36, v4
	v_mov_b32_e32 v35, v3
	v_mov_b32_e32 v34, v2
	v_mov_b32_e32 v33, v1
	v_mov_b32_e32 v37, s63
	s_xor_b32 s4, s4, -1
	s_and_saveexec_b32 s63, s4
	s_xor_b32 s63, exec_lo, s63
	s_cbranch_execz .LBB741_273
; %bb.272:
	v_sub_f32_e32 v5, v5, v106
	v_mul_f32_e32 v33, 0x3fb8aa3b, v5
	v_cmp_ngt_f32_e64 s4, 0xc2ce8ed0, v5
	v_fma_f32 v34, 0x3fb8aa3b, v5, -v33
	v_rndne_f32_e32 v35, v33
	v_fmamk_f32 v34, v5, 0x32a5705f, v34
	v_sub_f32_e32 v33, v33, v35
	v_add_f32_e32 v33, v33, v34
	v_cvt_i32_f32_e32 v34, v35
	v_exp_f32_e32 v33, v33
	v_ldexp_f32 v33, v33, v34
	v_cndmask_b32_e64 v33, 0, v33, s4
	v_cmp_nlt_f32_e64 s4, 0x42b17218, v5
	v_cndmask_b32_e64 v5, 0x7f800000, v33, s4
	v_mov_b32_e32 v64, v32
	v_mov_b32_e32 v63, v31
	v_mov_b32_e32 v62, v30
	v_mov_b32_e32 v61, v29
	v_add_f32_e32 v0, v0, v5
	v_mov_b32_e32 v60, v28
	v_mov_b32_e32 v59, v27
	;; [unrolled: 1-line block ×28, first 2 shown]
.LBB741_273:
	s_andn2_saveexec_b32 s4, s63
	s_or_b32 exec_lo, exec_lo, s4
	s_or_b32 exec_lo, exec_lo, s42
                                        ; implicit-def: $vgpr1_vgpr2_vgpr3_vgpr4_vgpr5_vgpr6_vgpr7_vgpr8_vgpr9_vgpr10_vgpr11_vgpr12_vgpr13_vgpr14_vgpr15_vgpr16_vgpr17_vgpr18_vgpr19_vgpr20_vgpr21_vgpr22_vgpr23_vgpr24_vgpr25_vgpr26_vgpr27_vgpr28_vgpr29_vgpr30_vgpr31_vgpr32
	s_and_saveexec_b32 s4, s5
	s_xor_b32 s4, exec_lo, s4
	s_cbranch_execnz .LBB741_205
.LBB741_274:
	s_or_saveexec_b32 s42, s4
	s_xor_b32 s5, s62, -1
	s_xor_b32 exec_lo, exec_lo, s42
	s_cbranch_execz .LBB741_206
.LBB741_275:
	global_load_ubyte v1, v[98:99], off offset:160
	s_mov_b32 s62, 0
	s_waitcnt vmcnt(0)
	v_and_b32_e32 v1, 1, v1
	v_cmp_eq_u32_e64 s4, 1, v1
	v_mov_b32_e32 v1, v33
	v_mov_b32_e32 v6, v38
	;; [unrolled: 1-line block ×33, first 2 shown]
	s_xor_b32 s4, s4, -1
	s_and_saveexec_b32 s62, s4
	s_xor_b32 s62, exec_lo, s62
	s_cbranch_execz .LBB741_277
; %bb.276:
	v_sub_f32_e32 v1, v38, v106
	v_mul_f32_e32 v2, 0x3fb8aa3b, v1
	v_cmp_ngt_f32_e64 s4, 0xc2ce8ed0, v1
	v_fma_f32 v3, 0x3fb8aa3b, v1, -v2
	v_rndne_f32_e32 v4, v2
	v_fmamk_f32 v3, v1, 0x32a5705f, v3
	v_sub_f32_e32 v2, v2, v4
	v_add_f32_e32 v2, v2, v3
	v_cvt_i32_f32_e32 v3, v4
	v_exp_f32_e32 v2, v2
	v_ldexp_f32 v2, v2, v3
	v_cndmask_b32_e64 v2, 0, v2, s4
	v_cmp_nlt_f32_e64 s4, 0x42b17218, v1
	v_cndmask_b32_e64 v38, 0x7f800000, v2, s4
	v_mov_b32_e32 v1, v33
	v_mov_b32_e32 v2, v34
	v_mov_b32_e32 v3, v35
	v_mov_b32_e32 v4, v36
	v_add_f32_e32 v0, v0, v38
	v_mov_b32_e32 v5, v37
	v_mov_b32_e32 v6, v38
	;; [unrolled: 1-line block ×28, first 2 shown]
.LBB741_277:
	s_andn2_saveexec_b32 s4, s62
	s_or_b32 exec_lo, exec_lo, s4
	s_or_b32 exec_lo, exec_lo, s42
                                        ; implicit-def: $vgpr33_vgpr34_vgpr35_vgpr36_vgpr37_vgpr38_vgpr39_vgpr40_vgpr41_vgpr42_vgpr43_vgpr44_vgpr45_vgpr46_vgpr47_vgpr48_vgpr49_vgpr50_vgpr51_vgpr52_vgpr53_vgpr54_vgpr55_vgpr56_vgpr57_vgpr58_vgpr59_vgpr60_vgpr61_vgpr62_vgpr63_vgpr64
	s_and_saveexec_b32 s4, s5
	s_xor_b32 s4, exec_lo, s4
	s_cbranch_execnz .LBB741_207
.LBB741_278:
	s_or_saveexec_b32 s42, s4
	s_xor_b32 s5, s61, -1
	s_xor_b32 exec_lo, exec_lo, s42
	s_cbranch_execz .LBB741_208
.LBB741_279:
	global_load_ubyte v33, v[98:99], off offset:192
	s_mov_b32 s61, 0
	s_waitcnt vmcnt(0)
	v_and_b32_e32 v33, 1, v33
	v_cmp_eq_u32_e64 s4, 1, v33
	v_mov_b32_e32 v64, v32
	v_mov_b32_e32 v39, v7
	;; [unrolled: 1-line block ×33, first 2 shown]
	s_xor_b32 s4, s4, -1
	s_and_saveexec_b32 s61, s4
	s_xor_b32 s61, exec_lo, s61
	s_cbranch_execz .LBB741_281
; %bb.280:
	v_sub_f32_e32 v7, v7, v106
	v_mul_f32_e32 v33, 0x3fb8aa3b, v7
	v_cmp_ngt_f32_e64 s4, 0xc2ce8ed0, v7
	v_fma_f32 v34, 0x3fb8aa3b, v7, -v33
	v_rndne_f32_e32 v35, v33
	v_fmamk_f32 v34, v7, 0x32a5705f, v34
	v_sub_f32_e32 v33, v33, v35
	v_add_f32_e32 v33, v33, v34
	v_cvt_i32_f32_e32 v34, v35
	v_exp_f32_e32 v33, v33
	v_ldexp_f32 v33, v33, v34
	v_cndmask_b32_e64 v33, 0, v33, s4
	v_cmp_nlt_f32_e64 s4, 0x42b17218, v7
	v_cndmask_b32_e64 v7, 0x7f800000, v33, s4
	v_mov_b32_e32 v64, v32
	v_mov_b32_e32 v63, v31
	;; [unrolled: 1-line block ×4, first 2 shown]
	v_add_f32_e32 v0, v0, v7
	v_mov_b32_e32 v60, v28
	v_mov_b32_e32 v59, v27
	;; [unrolled: 1-line block ×28, first 2 shown]
.LBB741_281:
	s_andn2_saveexec_b32 s4, s61
	s_or_b32 exec_lo, exec_lo, s4
	s_or_b32 exec_lo, exec_lo, s42
                                        ; implicit-def: $vgpr1_vgpr2_vgpr3_vgpr4_vgpr5_vgpr6_vgpr7_vgpr8_vgpr9_vgpr10_vgpr11_vgpr12_vgpr13_vgpr14_vgpr15_vgpr16_vgpr17_vgpr18_vgpr19_vgpr20_vgpr21_vgpr22_vgpr23_vgpr24_vgpr25_vgpr26_vgpr27_vgpr28_vgpr29_vgpr30_vgpr31_vgpr32
	s_and_saveexec_b32 s4, s5
	s_xor_b32 s4, exec_lo, s4
	s_cbranch_execnz .LBB741_209
.LBB741_282:
	s_or_saveexec_b32 s42, s4
	s_xor_b32 s5, s60, -1
	s_xor_b32 exec_lo, exec_lo, s42
	s_cbranch_execz .LBB741_210
.LBB741_283:
	global_load_ubyte v1, v[98:99], off offset:224
	s_mov_b32 s60, 0
	s_waitcnt vmcnt(0)
	v_and_b32_e32 v1, 1, v1
	v_cmp_eq_u32_e64 s4, 1, v1
	v_mov_b32_e32 v1, v33
	v_mov_b32_e32 v8, v40
	;; [unrolled: 1-line block ×33, first 2 shown]
	s_xor_b32 s4, s4, -1
	s_and_saveexec_b32 s60, s4
	s_xor_b32 s60, exec_lo, s60
	s_cbranch_execz .LBB741_285
; %bb.284:
	v_sub_f32_e32 v1, v40, v106
	v_mul_f32_e32 v2, 0x3fb8aa3b, v1
	v_cmp_ngt_f32_e64 s4, 0xc2ce8ed0, v1
	v_fma_f32 v3, 0x3fb8aa3b, v1, -v2
	v_rndne_f32_e32 v4, v2
	v_fmamk_f32 v3, v1, 0x32a5705f, v3
	v_sub_f32_e32 v2, v2, v4
	v_add_f32_e32 v2, v2, v3
	v_cvt_i32_f32_e32 v3, v4
	v_exp_f32_e32 v2, v2
	v_ldexp_f32 v2, v2, v3
	v_cndmask_b32_e64 v2, 0, v2, s4
	v_cmp_nlt_f32_e64 s4, 0x42b17218, v1
	v_cndmask_b32_e64 v40, 0x7f800000, v2, s4
	v_mov_b32_e32 v1, v33
	v_mov_b32_e32 v2, v34
	;; [unrolled: 1-line block ×4, first 2 shown]
	v_add_f32_e32 v0, v0, v40
	v_mov_b32_e32 v5, v37
	v_mov_b32_e32 v6, v38
	;; [unrolled: 1-line block ×28, first 2 shown]
.LBB741_285:
	s_andn2_saveexec_b32 s4, s60
	s_or_b32 exec_lo, exec_lo, s4
	s_or_b32 exec_lo, exec_lo, s42
                                        ; implicit-def: $vgpr33_vgpr34_vgpr35_vgpr36_vgpr37_vgpr38_vgpr39_vgpr40_vgpr41_vgpr42_vgpr43_vgpr44_vgpr45_vgpr46_vgpr47_vgpr48_vgpr49_vgpr50_vgpr51_vgpr52_vgpr53_vgpr54_vgpr55_vgpr56_vgpr57_vgpr58_vgpr59_vgpr60_vgpr61_vgpr62_vgpr63_vgpr64
	s_and_saveexec_b32 s4, s5
	s_xor_b32 s4, exec_lo, s4
	s_cbranch_execnz .LBB741_211
.LBB741_286:
	s_or_saveexec_b32 s42, s4
	s_xor_b32 s5, s59, -1
	s_xor_b32 exec_lo, exec_lo, s42
	s_cbranch_execz .LBB741_212
.LBB741_287:
	global_load_ubyte v33, v[98:99], off offset:256
	s_mov_b32 s59, 0
	s_waitcnt vmcnt(0)
	v_and_b32_e32 v33, 1, v33
	v_cmp_eq_u32_e64 s4, 1, v33
	v_mov_b32_e32 v64, v32
	v_mov_b32_e32 v41, v9
	;; [unrolled: 1-line block ×33, first 2 shown]
	s_xor_b32 s4, s4, -1
	s_and_saveexec_b32 s59, s4
	s_xor_b32 s59, exec_lo, s59
	s_cbranch_execz .LBB741_289
; %bb.288:
	v_sub_f32_e32 v9, v9, v106
	v_mul_f32_e32 v33, 0x3fb8aa3b, v9
	v_cmp_ngt_f32_e64 s4, 0xc2ce8ed0, v9
	v_fma_f32 v34, 0x3fb8aa3b, v9, -v33
	v_rndne_f32_e32 v35, v33
	v_fmamk_f32 v34, v9, 0x32a5705f, v34
	v_sub_f32_e32 v33, v33, v35
	v_add_f32_e32 v33, v33, v34
	v_cvt_i32_f32_e32 v34, v35
	v_exp_f32_e32 v33, v33
	v_ldexp_f32 v33, v33, v34
	v_cndmask_b32_e64 v33, 0, v33, s4
	v_cmp_nlt_f32_e64 s4, 0x42b17218, v9
	v_cndmask_b32_e64 v9, 0x7f800000, v33, s4
	v_mov_b32_e32 v64, v32
	v_mov_b32_e32 v63, v31
	;; [unrolled: 1-line block ×4, first 2 shown]
	v_add_f32_e32 v0, v0, v9
	v_mov_b32_e32 v60, v28
	v_mov_b32_e32 v59, v27
	;; [unrolled: 1-line block ×28, first 2 shown]
.LBB741_289:
	s_andn2_saveexec_b32 s4, s59
	s_or_b32 exec_lo, exec_lo, s4
	s_or_b32 exec_lo, exec_lo, s42
                                        ; implicit-def: $vgpr1_vgpr2_vgpr3_vgpr4_vgpr5_vgpr6_vgpr7_vgpr8_vgpr9_vgpr10_vgpr11_vgpr12_vgpr13_vgpr14_vgpr15_vgpr16_vgpr17_vgpr18_vgpr19_vgpr20_vgpr21_vgpr22_vgpr23_vgpr24_vgpr25_vgpr26_vgpr27_vgpr28_vgpr29_vgpr30_vgpr31_vgpr32
	s_and_saveexec_b32 s4, s5
	s_xor_b32 s4, exec_lo, s4
	s_cbranch_execnz .LBB741_213
.LBB741_290:
	s_or_saveexec_b32 s42, s4
	s_xor_b32 s5, s58, -1
	s_xor_b32 exec_lo, exec_lo, s42
	s_cbranch_execz .LBB741_214
.LBB741_291:
	global_load_ubyte v1, v[98:99], off offset:288
	s_mov_b32 s58, 0
	s_waitcnt vmcnt(0)
	v_and_b32_e32 v1, 1, v1
	v_cmp_eq_u32_e64 s4, 1, v1
	v_mov_b32_e32 v1, v33
	v_mov_b32_e32 v10, v42
	;; [unrolled: 1-line block ×33, first 2 shown]
	s_xor_b32 s4, s4, -1
	s_and_saveexec_b32 s58, s4
	s_xor_b32 s58, exec_lo, s58
	s_cbranch_execz .LBB741_293
; %bb.292:
	v_sub_f32_e32 v1, v42, v106
	v_mul_f32_e32 v2, 0x3fb8aa3b, v1
	v_cmp_ngt_f32_e64 s4, 0xc2ce8ed0, v1
	v_fma_f32 v3, 0x3fb8aa3b, v1, -v2
	v_rndne_f32_e32 v4, v2
	v_fmamk_f32 v3, v1, 0x32a5705f, v3
	v_sub_f32_e32 v2, v2, v4
	v_add_f32_e32 v2, v2, v3
	v_cvt_i32_f32_e32 v3, v4
	v_exp_f32_e32 v2, v2
	v_ldexp_f32 v2, v2, v3
	v_cndmask_b32_e64 v2, 0, v2, s4
	v_cmp_nlt_f32_e64 s4, 0x42b17218, v1
	v_cndmask_b32_e64 v42, 0x7f800000, v2, s4
	v_mov_b32_e32 v1, v33
	v_mov_b32_e32 v2, v34
	;; [unrolled: 1-line block ×4, first 2 shown]
	v_add_f32_e32 v0, v0, v42
	v_mov_b32_e32 v5, v37
	v_mov_b32_e32 v6, v38
	v_mov_b32_e32 v7, v39
	v_mov_b32_e32 v8, v40
	v_mov_b32_e32 v9, v41
	v_mov_b32_e32 v10, v42
	v_mov_b32_e32 v11, v43
	v_mov_b32_e32 v12, v44
	v_mov_b32_e32 v13, v45
	v_mov_b32_e32 v14, v46
	v_mov_b32_e32 v15, v47
	v_mov_b32_e32 v16, v48
	v_mov_b32_e32 v17, v49
	v_mov_b32_e32 v18, v50
	v_mov_b32_e32 v19, v51
	v_mov_b32_e32 v20, v52
	v_mov_b32_e32 v21, v53
	v_mov_b32_e32 v22, v54
	v_mov_b32_e32 v23, v55
	v_mov_b32_e32 v24, v56
	v_mov_b32_e32 v25, v57
	v_mov_b32_e32 v26, v58
	v_mov_b32_e32 v27, v59
	v_mov_b32_e32 v28, v60
	v_mov_b32_e32 v29, v61
	v_mov_b32_e32 v30, v62
	v_mov_b32_e32 v31, v63
	v_mov_b32_e32 v32, v64
.LBB741_293:
	s_andn2_saveexec_b32 s4, s58
	s_or_b32 exec_lo, exec_lo, s4
	s_or_b32 exec_lo, exec_lo, s42
                                        ; implicit-def: $vgpr33_vgpr34_vgpr35_vgpr36_vgpr37_vgpr38_vgpr39_vgpr40_vgpr41_vgpr42_vgpr43_vgpr44_vgpr45_vgpr46_vgpr47_vgpr48_vgpr49_vgpr50_vgpr51_vgpr52_vgpr53_vgpr54_vgpr55_vgpr56_vgpr57_vgpr58_vgpr59_vgpr60_vgpr61_vgpr62_vgpr63_vgpr64
	s_and_saveexec_b32 s4, s5
	s_xor_b32 s4, exec_lo, s4
	s_cbranch_execnz .LBB741_215
.LBB741_294:
	s_or_saveexec_b32 s42, s4
	s_xor_b32 s5, s57, -1
	s_xor_b32 exec_lo, exec_lo, s42
	s_cbranch_execz .LBB741_216
.LBB741_295:
	global_load_ubyte v33, v[98:99], off offset:320
	s_mov_b32 s57, 0
	s_waitcnt vmcnt(0)
	v_and_b32_e32 v33, 1, v33
	v_cmp_eq_u32_e64 s4, 1, v33
	v_mov_b32_e32 v64, v32
	v_mov_b32_e32 v43, v11
	;; [unrolled: 1-line block ×33, first 2 shown]
	s_xor_b32 s4, s4, -1
	s_and_saveexec_b32 s57, s4
	s_xor_b32 s57, exec_lo, s57
	s_cbranch_execz .LBB741_297
; %bb.296:
	v_sub_f32_e32 v11, v11, v106
	v_mul_f32_e32 v33, 0x3fb8aa3b, v11
	v_cmp_ngt_f32_e64 s4, 0xc2ce8ed0, v11
	v_fma_f32 v34, 0x3fb8aa3b, v11, -v33
	v_rndne_f32_e32 v35, v33
	v_fmamk_f32 v34, v11, 0x32a5705f, v34
	v_sub_f32_e32 v33, v33, v35
	v_add_f32_e32 v33, v33, v34
	v_cvt_i32_f32_e32 v34, v35
	v_exp_f32_e32 v33, v33
	v_ldexp_f32 v33, v33, v34
	v_cndmask_b32_e64 v33, 0, v33, s4
	v_cmp_nlt_f32_e64 s4, 0x42b17218, v11
	v_cndmask_b32_e64 v11, 0x7f800000, v33, s4
	v_mov_b32_e32 v64, v32
	v_mov_b32_e32 v63, v31
	;; [unrolled: 1-line block ×4, first 2 shown]
	v_add_f32_e32 v0, v0, v11
	v_mov_b32_e32 v60, v28
	v_mov_b32_e32 v59, v27
	;; [unrolled: 1-line block ×28, first 2 shown]
.LBB741_297:
	s_andn2_saveexec_b32 s4, s57
	s_or_b32 exec_lo, exec_lo, s4
	s_or_b32 exec_lo, exec_lo, s42
                                        ; implicit-def: $vgpr1_vgpr2_vgpr3_vgpr4_vgpr5_vgpr6_vgpr7_vgpr8_vgpr9_vgpr10_vgpr11_vgpr12_vgpr13_vgpr14_vgpr15_vgpr16_vgpr17_vgpr18_vgpr19_vgpr20_vgpr21_vgpr22_vgpr23_vgpr24_vgpr25_vgpr26_vgpr27_vgpr28_vgpr29_vgpr30_vgpr31_vgpr32
	s_and_saveexec_b32 s4, s5
	s_xor_b32 s4, exec_lo, s4
	s_cbranch_execnz .LBB741_217
.LBB741_298:
	s_or_saveexec_b32 s42, s4
	s_xor_b32 s5, s56, -1
	s_xor_b32 exec_lo, exec_lo, s42
	s_cbranch_execz .LBB741_218
.LBB741_299:
	global_load_ubyte v1, v[98:99], off offset:352
	s_mov_b32 s56, 0
	s_waitcnt vmcnt(0)
	v_and_b32_e32 v1, 1, v1
	v_cmp_eq_u32_e64 s4, 1, v1
	v_mov_b32_e32 v1, v33
	v_mov_b32_e32 v12, v44
	;; [unrolled: 1-line block ×33, first 2 shown]
	s_xor_b32 s4, s4, -1
	s_and_saveexec_b32 s56, s4
	s_xor_b32 s56, exec_lo, s56
	s_cbranch_execz .LBB741_301
; %bb.300:
	v_sub_f32_e32 v1, v44, v106
	v_mul_f32_e32 v2, 0x3fb8aa3b, v1
	v_cmp_ngt_f32_e64 s4, 0xc2ce8ed0, v1
	v_fma_f32 v3, 0x3fb8aa3b, v1, -v2
	v_rndne_f32_e32 v4, v2
	v_fmamk_f32 v3, v1, 0x32a5705f, v3
	v_sub_f32_e32 v2, v2, v4
	v_add_f32_e32 v2, v2, v3
	v_cvt_i32_f32_e32 v3, v4
	v_exp_f32_e32 v2, v2
	v_ldexp_f32 v2, v2, v3
	v_cndmask_b32_e64 v2, 0, v2, s4
	v_cmp_nlt_f32_e64 s4, 0x42b17218, v1
	v_cndmask_b32_e64 v44, 0x7f800000, v2, s4
	v_mov_b32_e32 v1, v33
	v_mov_b32_e32 v2, v34
	;; [unrolled: 1-line block ×4, first 2 shown]
	v_add_f32_e32 v0, v0, v44
	v_mov_b32_e32 v5, v37
	v_mov_b32_e32 v6, v38
	;; [unrolled: 1-line block ×28, first 2 shown]
.LBB741_301:
	s_andn2_saveexec_b32 s4, s56
	s_or_b32 exec_lo, exec_lo, s4
	s_or_b32 exec_lo, exec_lo, s42
                                        ; implicit-def: $vgpr33_vgpr34_vgpr35_vgpr36_vgpr37_vgpr38_vgpr39_vgpr40_vgpr41_vgpr42_vgpr43_vgpr44_vgpr45_vgpr46_vgpr47_vgpr48_vgpr49_vgpr50_vgpr51_vgpr52_vgpr53_vgpr54_vgpr55_vgpr56_vgpr57_vgpr58_vgpr59_vgpr60_vgpr61_vgpr62_vgpr63_vgpr64
	s_and_saveexec_b32 s4, s5
	s_xor_b32 s4, exec_lo, s4
	s_cbranch_execnz .LBB741_219
.LBB741_302:
	s_or_saveexec_b32 s42, s4
	s_xor_b32 s5, s55, -1
	s_xor_b32 exec_lo, exec_lo, s42
	s_cbranch_execz .LBB741_220
.LBB741_303:
	global_load_ubyte v33, v[98:99], off offset:384
	s_mov_b32 s55, 0
	s_waitcnt vmcnt(0)
	v_and_b32_e32 v33, 1, v33
	v_cmp_eq_u32_e64 s4, 1, v33
	v_mov_b32_e32 v64, v32
	v_mov_b32_e32 v45, v13
	;; [unrolled: 1-line block ×33, first 2 shown]
	s_xor_b32 s4, s4, -1
	s_and_saveexec_b32 s55, s4
	s_xor_b32 s55, exec_lo, s55
	s_cbranch_execz .LBB741_305
; %bb.304:
	v_sub_f32_e32 v13, v13, v106
	v_mul_f32_e32 v33, 0x3fb8aa3b, v13
	v_cmp_ngt_f32_e64 s4, 0xc2ce8ed0, v13
	v_fma_f32 v34, 0x3fb8aa3b, v13, -v33
	v_rndne_f32_e32 v35, v33
	v_fmamk_f32 v34, v13, 0x32a5705f, v34
	v_sub_f32_e32 v33, v33, v35
	v_add_f32_e32 v33, v33, v34
	v_cvt_i32_f32_e32 v34, v35
	v_exp_f32_e32 v33, v33
	v_ldexp_f32 v33, v33, v34
	v_cndmask_b32_e64 v33, 0, v33, s4
	v_cmp_nlt_f32_e64 s4, 0x42b17218, v13
	v_cndmask_b32_e64 v13, 0x7f800000, v33, s4
	v_mov_b32_e32 v64, v32
	v_mov_b32_e32 v63, v31
	;; [unrolled: 1-line block ×4, first 2 shown]
	v_add_f32_e32 v0, v0, v13
	v_mov_b32_e32 v60, v28
	v_mov_b32_e32 v59, v27
	;; [unrolled: 1-line block ×28, first 2 shown]
.LBB741_305:
	s_andn2_saveexec_b32 s4, s55
	s_or_b32 exec_lo, exec_lo, s4
	s_or_b32 exec_lo, exec_lo, s42
                                        ; implicit-def: $vgpr1_vgpr2_vgpr3_vgpr4_vgpr5_vgpr6_vgpr7_vgpr8_vgpr9_vgpr10_vgpr11_vgpr12_vgpr13_vgpr14_vgpr15_vgpr16_vgpr17_vgpr18_vgpr19_vgpr20_vgpr21_vgpr22_vgpr23_vgpr24_vgpr25_vgpr26_vgpr27_vgpr28_vgpr29_vgpr30_vgpr31_vgpr32
	s_and_saveexec_b32 s4, s5
	s_xor_b32 s4, exec_lo, s4
	s_cbranch_execnz .LBB741_221
.LBB741_306:
	s_or_saveexec_b32 s42, s4
	s_xor_b32 s5, s54, -1
	s_xor_b32 exec_lo, exec_lo, s42
	s_cbranch_execz .LBB741_222
.LBB741_307:
	global_load_ubyte v1, v[98:99], off offset:416
	s_mov_b32 s54, 0
	s_waitcnt vmcnt(0)
	v_and_b32_e32 v1, 1, v1
	v_cmp_eq_u32_e64 s4, 1, v1
	v_mov_b32_e32 v1, v33
	v_mov_b32_e32 v14, v46
	;; [unrolled: 1-line block ×33, first 2 shown]
	s_xor_b32 s4, s4, -1
	s_and_saveexec_b32 s54, s4
	s_xor_b32 s54, exec_lo, s54
	s_cbranch_execz .LBB741_309
; %bb.308:
	v_sub_f32_e32 v1, v46, v106
	v_mul_f32_e32 v2, 0x3fb8aa3b, v1
	v_cmp_ngt_f32_e64 s4, 0xc2ce8ed0, v1
	v_fma_f32 v3, 0x3fb8aa3b, v1, -v2
	v_rndne_f32_e32 v4, v2
	v_fmamk_f32 v3, v1, 0x32a5705f, v3
	v_sub_f32_e32 v2, v2, v4
	v_add_f32_e32 v2, v2, v3
	v_cvt_i32_f32_e32 v3, v4
	v_exp_f32_e32 v2, v2
	v_ldexp_f32 v2, v2, v3
	v_cndmask_b32_e64 v2, 0, v2, s4
	v_cmp_nlt_f32_e64 s4, 0x42b17218, v1
	v_cndmask_b32_e64 v46, 0x7f800000, v2, s4
	v_mov_b32_e32 v1, v33
	v_mov_b32_e32 v2, v34
	;; [unrolled: 1-line block ×4, first 2 shown]
	v_add_f32_e32 v0, v0, v46
	v_mov_b32_e32 v5, v37
	v_mov_b32_e32 v6, v38
	;; [unrolled: 1-line block ×28, first 2 shown]
.LBB741_309:
	s_andn2_saveexec_b32 s4, s54
	s_or_b32 exec_lo, exec_lo, s4
	s_or_b32 exec_lo, exec_lo, s42
                                        ; implicit-def: $vgpr33_vgpr34_vgpr35_vgpr36_vgpr37_vgpr38_vgpr39_vgpr40_vgpr41_vgpr42_vgpr43_vgpr44_vgpr45_vgpr46_vgpr47_vgpr48_vgpr49_vgpr50_vgpr51_vgpr52_vgpr53_vgpr54_vgpr55_vgpr56_vgpr57_vgpr58_vgpr59_vgpr60_vgpr61_vgpr62_vgpr63_vgpr64
	s_and_saveexec_b32 s4, s5
	s_xor_b32 s4, exec_lo, s4
	s_cbranch_execnz .LBB741_223
.LBB741_310:
	s_or_saveexec_b32 s42, s4
	s_xor_b32 s5, s53, -1
	s_xor_b32 exec_lo, exec_lo, s42
	s_cbranch_execz .LBB741_224
.LBB741_311:
	global_load_ubyte v33, v[98:99], off offset:448
	s_mov_b32 s53, 0
	s_waitcnt vmcnt(0)
	v_and_b32_e32 v33, 1, v33
	v_cmp_eq_u32_e64 s4, 1, v33
	v_mov_b32_e32 v64, v32
	v_mov_b32_e32 v47, v15
	v_mov_b32_e32 v63, v31
	v_mov_b32_e32 v62, v30
	v_mov_b32_e32 v61, v29
	v_mov_b32_e32 v60, v28
	v_mov_b32_e32 v59, v27
	v_mov_b32_e32 v58, v26
	v_mov_b32_e32 v57, v25
	v_mov_b32_e32 v56, v24
	v_mov_b32_e32 v55, v23
	v_mov_b32_e32 v54, v22
	v_mov_b32_e32 v53, v21
	v_mov_b32_e32 v52, v20
	v_mov_b32_e32 v51, v19
	v_mov_b32_e32 v50, v18
	v_mov_b32_e32 v49, v17
	v_mov_b32_e32 v48, v16
	v_mov_b32_e32 v46, v14
	v_mov_b32_e32 v45, v13
	v_mov_b32_e32 v44, v12
	v_mov_b32_e32 v43, v11
	v_mov_b32_e32 v42, v10
	v_mov_b32_e32 v41, v9
	v_mov_b32_e32 v40, v8
	v_mov_b32_e32 v39, v7
	v_mov_b32_e32 v38, v6
	v_mov_b32_e32 v37, v5
	v_mov_b32_e32 v36, v4
	v_mov_b32_e32 v35, v3
	v_mov_b32_e32 v34, v2
	v_mov_b32_e32 v33, v1
	v_mov_b32_e32 v47, s53
	s_xor_b32 s4, s4, -1
	s_and_saveexec_b32 s53, s4
	s_xor_b32 s53, exec_lo, s53
	s_cbranch_execz .LBB741_313
; %bb.312:
	v_sub_f32_e32 v15, v15, v106
	v_mul_f32_e32 v33, 0x3fb8aa3b, v15
	v_cmp_ngt_f32_e64 s4, 0xc2ce8ed0, v15
	v_fma_f32 v34, 0x3fb8aa3b, v15, -v33
	v_rndne_f32_e32 v35, v33
	v_fmamk_f32 v34, v15, 0x32a5705f, v34
	v_sub_f32_e32 v33, v33, v35
	v_add_f32_e32 v33, v33, v34
	v_cvt_i32_f32_e32 v34, v35
	v_exp_f32_e32 v33, v33
	v_ldexp_f32 v33, v33, v34
	v_cndmask_b32_e64 v33, 0, v33, s4
	v_cmp_nlt_f32_e64 s4, 0x42b17218, v15
	v_cndmask_b32_e64 v15, 0x7f800000, v33, s4
	v_mov_b32_e32 v64, v32
	v_mov_b32_e32 v63, v31
	v_mov_b32_e32 v62, v30
	v_mov_b32_e32 v61, v29
	v_add_f32_e32 v0, v0, v15
	v_mov_b32_e32 v60, v28
	v_mov_b32_e32 v59, v27
	;; [unrolled: 1-line block ×28, first 2 shown]
.LBB741_313:
	s_andn2_saveexec_b32 s4, s53
	s_or_b32 exec_lo, exec_lo, s4
	s_or_b32 exec_lo, exec_lo, s42
                                        ; implicit-def: $vgpr1_vgpr2_vgpr3_vgpr4_vgpr5_vgpr6_vgpr7_vgpr8_vgpr9_vgpr10_vgpr11_vgpr12_vgpr13_vgpr14_vgpr15_vgpr16_vgpr17_vgpr18_vgpr19_vgpr20_vgpr21_vgpr22_vgpr23_vgpr24_vgpr25_vgpr26_vgpr27_vgpr28_vgpr29_vgpr30_vgpr31_vgpr32
	s_and_saveexec_b32 s4, s5
	s_xor_b32 s4, exec_lo, s4
	s_cbranch_execnz .LBB741_225
.LBB741_314:
	s_or_saveexec_b32 s42, s4
	s_xor_b32 s5, s52, -1
	s_xor_b32 exec_lo, exec_lo, s42
	s_cbranch_execz .LBB741_226
.LBB741_315:
	global_load_ubyte v1, v[98:99], off offset:480
	s_mov_b32 s52, 0
	s_waitcnt vmcnt(0)
	v_and_b32_e32 v1, 1, v1
	v_cmp_eq_u32_e64 s4, 1, v1
	v_mov_b32_e32 v1, v33
	v_mov_b32_e32 v16, v48
	;; [unrolled: 1-line block ×33, first 2 shown]
	s_xor_b32 s4, s4, -1
	s_and_saveexec_b32 s52, s4
	s_xor_b32 s52, exec_lo, s52
	s_cbranch_execz .LBB741_317
; %bb.316:
	v_sub_f32_e32 v1, v48, v106
	v_mul_f32_e32 v2, 0x3fb8aa3b, v1
	v_cmp_ngt_f32_e64 s4, 0xc2ce8ed0, v1
	v_fma_f32 v3, 0x3fb8aa3b, v1, -v2
	v_rndne_f32_e32 v4, v2
	v_fmamk_f32 v3, v1, 0x32a5705f, v3
	v_sub_f32_e32 v2, v2, v4
	v_add_f32_e32 v2, v2, v3
	v_cvt_i32_f32_e32 v3, v4
	v_exp_f32_e32 v2, v2
	v_ldexp_f32 v2, v2, v3
	v_cndmask_b32_e64 v2, 0, v2, s4
	v_cmp_nlt_f32_e64 s4, 0x42b17218, v1
	v_cndmask_b32_e64 v48, 0x7f800000, v2, s4
	v_mov_b32_e32 v1, v33
	v_mov_b32_e32 v2, v34
	;; [unrolled: 1-line block ×4, first 2 shown]
	v_add_f32_e32 v0, v0, v48
	v_mov_b32_e32 v5, v37
	v_mov_b32_e32 v6, v38
	;; [unrolled: 1-line block ×28, first 2 shown]
.LBB741_317:
	s_andn2_saveexec_b32 s4, s52
	s_or_b32 exec_lo, exec_lo, s4
	s_or_b32 exec_lo, exec_lo, s42
                                        ; implicit-def: $vgpr33_vgpr34_vgpr35_vgpr36_vgpr37_vgpr38_vgpr39_vgpr40_vgpr41_vgpr42_vgpr43_vgpr44_vgpr45_vgpr46_vgpr47_vgpr48_vgpr49_vgpr50_vgpr51_vgpr52_vgpr53_vgpr54_vgpr55_vgpr56_vgpr57_vgpr58_vgpr59_vgpr60_vgpr61_vgpr62_vgpr63_vgpr64
	s_and_saveexec_b32 s4, s5
	s_xor_b32 s4, exec_lo, s4
	s_cbranch_execnz .LBB741_227
.LBB741_318:
	s_or_saveexec_b32 s42, s4
	s_xor_b32 s5, s51, -1
	s_xor_b32 exec_lo, exec_lo, s42
	s_cbranch_execz .LBB741_228
.LBB741_319:
	global_load_ubyte v33, v[98:99], off offset:512
	s_mov_b32 s51, 0
	s_waitcnt vmcnt(0)
	v_and_b32_e32 v33, 1, v33
	v_cmp_eq_u32_e64 s4, 1, v33
	v_mov_b32_e32 v64, v32
	v_mov_b32_e32 v49, v17
	;; [unrolled: 1-line block ×33, first 2 shown]
	s_xor_b32 s4, s4, -1
	s_and_saveexec_b32 s51, s4
	s_xor_b32 s51, exec_lo, s51
	s_cbranch_execz .LBB741_321
; %bb.320:
	v_sub_f32_e32 v17, v17, v106
	v_mul_f32_e32 v33, 0x3fb8aa3b, v17
	v_cmp_ngt_f32_e64 s4, 0xc2ce8ed0, v17
	v_fma_f32 v34, 0x3fb8aa3b, v17, -v33
	v_rndne_f32_e32 v35, v33
	v_fmamk_f32 v34, v17, 0x32a5705f, v34
	v_sub_f32_e32 v33, v33, v35
	v_add_f32_e32 v33, v33, v34
	v_cvt_i32_f32_e32 v34, v35
	v_exp_f32_e32 v33, v33
	v_ldexp_f32 v33, v33, v34
	v_cndmask_b32_e64 v33, 0, v33, s4
	v_cmp_nlt_f32_e64 s4, 0x42b17218, v17
	v_cndmask_b32_e64 v17, 0x7f800000, v33, s4
	v_mov_b32_e32 v64, v32
	v_mov_b32_e32 v63, v31
	;; [unrolled: 1-line block ×4, first 2 shown]
	v_add_f32_e32 v0, v0, v17
	v_mov_b32_e32 v60, v28
	v_mov_b32_e32 v59, v27
	;; [unrolled: 1-line block ×28, first 2 shown]
.LBB741_321:
	s_andn2_saveexec_b32 s4, s51
	s_or_b32 exec_lo, exec_lo, s4
	s_or_b32 exec_lo, exec_lo, s42
                                        ; implicit-def: $vgpr1_vgpr2_vgpr3_vgpr4_vgpr5_vgpr6_vgpr7_vgpr8_vgpr9_vgpr10_vgpr11_vgpr12_vgpr13_vgpr14_vgpr15_vgpr16_vgpr17_vgpr18_vgpr19_vgpr20_vgpr21_vgpr22_vgpr23_vgpr24_vgpr25_vgpr26_vgpr27_vgpr28_vgpr29_vgpr30_vgpr31_vgpr32
	s_and_saveexec_b32 s4, s5
	s_xor_b32 s4, exec_lo, s4
	s_cbranch_execnz .LBB741_229
.LBB741_322:
	s_or_saveexec_b32 s42, s4
	s_xor_b32 s5, s50, -1
	s_xor_b32 exec_lo, exec_lo, s42
	s_cbranch_execz .LBB741_230
.LBB741_323:
	global_load_ubyte v1, v[98:99], off offset:544
	s_mov_b32 s50, 0
	s_waitcnt vmcnt(0)
	v_and_b32_e32 v1, 1, v1
	v_cmp_eq_u32_e64 s4, 1, v1
	v_mov_b32_e32 v1, v33
	v_mov_b32_e32 v18, v50
	v_mov_b32_e32 v2, v34
	v_mov_b32_e32 v3, v35
	v_mov_b32_e32 v4, v36
	v_mov_b32_e32 v5, v37
	v_mov_b32_e32 v6, v38
	v_mov_b32_e32 v7, v39
	v_mov_b32_e32 v8, v40
	v_mov_b32_e32 v9, v41
	v_mov_b32_e32 v10, v42
	v_mov_b32_e32 v11, v43
	v_mov_b32_e32 v12, v44
	v_mov_b32_e32 v13, v45
	v_mov_b32_e32 v14, v46
	v_mov_b32_e32 v15, v47
	v_mov_b32_e32 v16, v48
	v_mov_b32_e32 v17, v49
	v_mov_b32_e32 v19, v51
	v_mov_b32_e32 v20, v52
	v_mov_b32_e32 v21, v53
	v_mov_b32_e32 v22, v54
	v_mov_b32_e32 v23, v55
	v_mov_b32_e32 v24, v56
	v_mov_b32_e32 v25, v57
	v_mov_b32_e32 v26, v58
	v_mov_b32_e32 v27, v59
	v_mov_b32_e32 v28, v60
	v_mov_b32_e32 v29, v61
	v_mov_b32_e32 v30, v62
	v_mov_b32_e32 v31, v63
	v_mov_b32_e32 v32, v64
	v_mov_b32_e32 v18, s50
	s_xor_b32 s4, s4, -1
	s_and_saveexec_b32 s50, s4
	s_xor_b32 s50, exec_lo, s50
	s_cbranch_execz .LBB741_325
; %bb.324:
	v_sub_f32_e32 v1, v50, v106
	v_mul_f32_e32 v2, 0x3fb8aa3b, v1
	v_cmp_ngt_f32_e64 s4, 0xc2ce8ed0, v1
	v_fma_f32 v3, 0x3fb8aa3b, v1, -v2
	v_rndne_f32_e32 v4, v2
	v_fmamk_f32 v3, v1, 0x32a5705f, v3
	v_sub_f32_e32 v2, v2, v4
	v_add_f32_e32 v2, v2, v3
	v_cvt_i32_f32_e32 v3, v4
	v_exp_f32_e32 v2, v2
	v_ldexp_f32 v2, v2, v3
	v_cndmask_b32_e64 v2, 0, v2, s4
	v_cmp_nlt_f32_e64 s4, 0x42b17218, v1
	v_cndmask_b32_e64 v50, 0x7f800000, v2, s4
	v_mov_b32_e32 v1, v33
	v_mov_b32_e32 v2, v34
	;; [unrolled: 1-line block ×4, first 2 shown]
	v_add_f32_e32 v0, v0, v50
	v_mov_b32_e32 v5, v37
	v_mov_b32_e32 v6, v38
	;; [unrolled: 1-line block ×28, first 2 shown]
.LBB741_325:
	s_andn2_saveexec_b32 s4, s50
	s_or_b32 exec_lo, exec_lo, s4
	s_or_b32 exec_lo, exec_lo, s42
                                        ; implicit-def: $vgpr33_vgpr34_vgpr35_vgpr36_vgpr37_vgpr38_vgpr39_vgpr40_vgpr41_vgpr42_vgpr43_vgpr44_vgpr45_vgpr46_vgpr47_vgpr48_vgpr49_vgpr50_vgpr51_vgpr52_vgpr53_vgpr54_vgpr55_vgpr56_vgpr57_vgpr58_vgpr59_vgpr60_vgpr61_vgpr62_vgpr63_vgpr64
	s_and_saveexec_b32 s4, s5
	s_xor_b32 s4, exec_lo, s4
	s_cbranch_execnz .LBB741_231
.LBB741_326:
	s_or_saveexec_b32 s42, s4
	s_xor_b32 s5, s49, -1
	s_xor_b32 exec_lo, exec_lo, s42
	s_cbranch_execz .LBB741_232
.LBB741_327:
	global_load_ubyte v33, v[98:99], off offset:576
	s_mov_b32 s49, 0
	s_waitcnt vmcnt(0)
	v_and_b32_e32 v33, 1, v33
	v_cmp_eq_u32_e64 s4, 1, v33
	v_mov_b32_e32 v64, v32
	v_mov_b32_e32 v51, v19
	;; [unrolled: 1-line block ×33, first 2 shown]
	s_xor_b32 s4, s4, -1
	s_and_saveexec_b32 s49, s4
	s_xor_b32 s49, exec_lo, s49
	s_cbranch_execz .LBB741_329
; %bb.328:
	v_sub_f32_e32 v19, v19, v106
	v_mul_f32_e32 v33, 0x3fb8aa3b, v19
	v_cmp_ngt_f32_e64 s4, 0xc2ce8ed0, v19
	v_fma_f32 v34, 0x3fb8aa3b, v19, -v33
	v_rndne_f32_e32 v35, v33
	v_fmamk_f32 v34, v19, 0x32a5705f, v34
	v_sub_f32_e32 v33, v33, v35
	v_add_f32_e32 v33, v33, v34
	v_cvt_i32_f32_e32 v34, v35
	v_exp_f32_e32 v33, v33
	v_ldexp_f32 v33, v33, v34
	v_cndmask_b32_e64 v33, 0, v33, s4
	v_cmp_nlt_f32_e64 s4, 0x42b17218, v19
	v_cndmask_b32_e64 v19, 0x7f800000, v33, s4
	v_mov_b32_e32 v64, v32
	v_mov_b32_e32 v63, v31
	;; [unrolled: 1-line block ×4, first 2 shown]
	v_add_f32_e32 v0, v0, v19
	v_mov_b32_e32 v60, v28
	v_mov_b32_e32 v59, v27
	;; [unrolled: 1-line block ×28, first 2 shown]
.LBB741_329:
	s_andn2_saveexec_b32 s4, s49
	s_or_b32 exec_lo, exec_lo, s4
	s_or_b32 exec_lo, exec_lo, s42
                                        ; implicit-def: $vgpr1_vgpr2_vgpr3_vgpr4_vgpr5_vgpr6_vgpr7_vgpr8_vgpr9_vgpr10_vgpr11_vgpr12_vgpr13_vgpr14_vgpr15_vgpr16_vgpr17_vgpr18_vgpr19_vgpr20_vgpr21_vgpr22_vgpr23_vgpr24_vgpr25_vgpr26_vgpr27_vgpr28_vgpr29_vgpr30_vgpr31_vgpr32
	s_and_saveexec_b32 s4, s5
	s_xor_b32 s4, exec_lo, s4
	s_cbranch_execnz .LBB741_233
.LBB741_330:
	s_or_saveexec_b32 s42, s4
	s_xor_b32 s5, s48, -1
	s_xor_b32 exec_lo, exec_lo, s42
	s_cbranch_execz .LBB741_234
.LBB741_331:
	global_load_ubyte v1, v[98:99], off offset:608
	s_mov_b32 s48, 0
	s_waitcnt vmcnt(0)
	v_and_b32_e32 v1, 1, v1
	v_cmp_eq_u32_e64 s4, 1, v1
	v_mov_b32_e32 v1, v33
	v_mov_b32_e32 v20, v52
	;; [unrolled: 1-line block ×33, first 2 shown]
	s_xor_b32 s4, s4, -1
	s_and_saveexec_b32 s48, s4
	s_xor_b32 s48, exec_lo, s48
	s_cbranch_execz .LBB741_333
; %bb.332:
	v_sub_f32_e32 v1, v52, v106
	v_mul_f32_e32 v2, 0x3fb8aa3b, v1
	v_cmp_ngt_f32_e64 s4, 0xc2ce8ed0, v1
	v_fma_f32 v3, 0x3fb8aa3b, v1, -v2
	v_rndne_f32_e32 v4, v2
	v_fmamk_f32 v3, v1, 0x32a5705f, v3
	v_sub_f32_e32 v2, v2, v4
	v_add_f32_e32 v2, v2, v3
	v_cvt_i32_f32_e32 v3, v4
	v_exp_f32_e32 v2, v2
	v_ldexp_f32 v2, v2, v3
	v_cndmask_b32_e64 v2, 0, v2, s4
	v_cmp_nlt_f32_e64 s4, 0x42b17218, v1
	v_cndmask_b32_e64 v52, 0x7f800000, v2, s4
	v_mov_b32_e32 v1, v33
	v_mov_b32_e32 v2, v34
	;; [unrolled: 1-line block ×4, first 2 shown]
	v_add_f32_e32 v0, v0, v52
	v_mov_b32_e32 v5, v37
	v_mov_b32_e32 v6, v38
	;; [unrolled: 1-line block ×28, first 2 shown]
.LBB741_333:
	s_andn2_saveexec_b32 s4, s48
	s_or_b32 exec_lo, exec_lo, s4
	s_or_b32 exec_lo, exec_lo, s42
                                        ; implicit-def: $vgpr33_vgpr34_vgpr35_vgpr36_vgpr37_vgpr38_vgpr39_vgpr40_vgpr41_vgpr42_vgpr43_vgpr44_vgpr45_vgpr46_vgpr47_vgpr48_vgpr49_vgpr50_vgpr51_vgpr52_vgpr53_vgpr54_vgpr55_vgpr56_vgpr57_vgpr58_vgpr59_vgpr60_vgpr61_vgpr62_vgpr63_vgpr64
	s_and_saveexec_b32 s4, s5
	s_xor_b32 s4, exec_lo, s4
	s_cbranch_execnz .LBB741_235
.LBB741_334:
	s_or_saveexec_b32 s42, s4
	s_xor_b32 s5, s47, -1
	s_xor_b32 exec_lo, exec_lo, s42
	s_cbranch_execz .LBB741_236
.LBB741_335:
	global_load_ubyte v33, v[98:99], off offset:640
	s_mov_b32 s47, 0
	s_waitcnt vmcnt(0)
	v_and_b32_e32 v33, 1, v33
	v_cmp_eq_u32_e64 s4, 1, v33
	v_mov_b32_e32 v64, v32
	v_mov_b32_e32 v53, v21
	;; [unrolled: 1-line block ×33, first 2 shown]
	s_xor_b32 s4, s4, -1
	s_and_saveexec_b32 s47, s4
	s_xor_b32 s47, exec_lo, s47
	s_cbranch_execz .LBB741_337
; %bb.336:
	v_sub_f32_e32 v21, v21, v106
	v_mul_f32_e32 v33, 0x3fb8aa3b, v21
	v_cmp_ngt_f32_e64 s4, 0xc2ce8ed0, v21
	v_fma_f32 v34, 0x3fb8aa3b, v21, -v33
	v_rndne_f32_e32 v35, v33
	v_fmamk_f32 v34, v21, 0x32a5705f, v34
	v_sub_f32_e32 v33, v33, v35
	v_add_f32_e32 v33, v33, v34
	v_cvt_i32_f32_e32 v34, v35
	v_exp_f32_e32 v33, v33
	v_ldexp_f32 v33, v33, v34
	v_cndmask_b32_e64 v33, 0, v33, s4
	v_cmp_nlt_f32_e64 s4, 0x42b17218, v21
	v_cndmask_b32_e64 v21, 0x7f800000, v33, s4
	v_mov_b32_e32 v64, v32
	v_mov_b32_e32 v63, v31
	;; [unrolled: 1-line block ×4, first 2 shown]
	v_add_f32_e32 v0, v0, v21
	v_mov_b32_e32 v60, v28
	v_mov_b32_e32 v59, v27
	;; [unrolled: 1-line block ×28, first 2 shown]
.LBB741_337:
	s_andn2_saveexec_b32 s4, s47
	s_or_b32 exec_lo, exec_lo, s4
	s_or_b32 exec_lo, exec_lo, s42
                                        ; implicit-def: $vgpr1_vgpr2_vgpr3_vgpr4_vgpr5_vgpr6_vgpr7_vgpr8_vgpr9_vgpr10_vgpr11_vgpr12_vgpr13_vgpr14_vgpr15_vgpr16_vgpr17_vgpr18_vgpr19_vgpr20_vgpr21_vgpr22_vgpr23_vgpr24_vgpr25_vgpr26_vgpr27_vgpr28_vgpr29_vgpr30_vgpr31_vgpr32
	s_and_saveexec_b32 s4, s5
	s_xor_b32 s4, exec_lo, s4
	s_cbranch_execnz .LBB741_237
.LBB741_338:
	s_or_saveexec_b32 s42, s4
	s_xor_b32 s5, s46, -1
	s_xor_b32 exec_lo, exec_lo, s42
	s_cbranch_execz .LBB741_238
.LBB741_339:
	global_load_ubyte v1, v[98:99], off offset:672
	s_mov_b32 s46, 0
	s_waitcnt vmcnt(0)
	v_and_b32_e32 v1, 1, v1
	v_cmp_eq_u32_e64 s4, 1, v1
	v_mov_b32_e32 v1, v33
	v_mov_b32_e32 v22, v54
	;; [unrolled: 1-line block ×33, first 2 shown]
	s_xor_b32 s4, s4, -1
	s_and_saveexec_b32 s46, s4
	s_xor_b32 s46, exec_lo, s46
	s_cbranch_execz .LBB741_341
; %bb.340:
	v_sub_f32_e32 v1, v54, v106
	v_mul_f32_e32 v2, 0x3fb8aa3b, v1
	v_cmp_ngt_f32_e64 s4, 0xc2ce8ed0, v1
	v_fma_f32 v3, 0x3fb8aa3b, v1, -v2
	v_rndne_f32_e32 v4, v2
	v_fmamk_f32 v3, v1, 0x32a5705f, v3
	v_sub_f32_e32 v2, v2, v4
	v_add_f32_e32 v2, v2, v3
	v_cvt_i32_f32_e32 v3, v4
	v_exp_f32_e32 v2, v2
	v_ldexp_f32 v2, v2, v3
	v_cndmask_b32_e64 v2, 0, v2, s4
	v_cmp_nlt_f32_e64 s4, 0x42b17218, v1
	v_cndmask_b32_e64 v54, 0x7f800000, v2, s4
	v_mov_b32_e32 v1, v33
	v_mov_b32_e32 v2, v34
	v_mov_b32_e32 v3, v35
	v_mov_b32_e32 v4, v36
	v_add_f32_e32 v0, v0, v54
	v_mov_b32_e32 v5, v37
	v_mov_b32_e32 v6, v38
	;; [unrolled: 1-line block ×28, first 2 shown]
.LBB741_341:
	s_andn2_saveexec_b32 s4, s46
	s_or_b32 exec_lo, exec_lo, s4
	s_or_b32 exec_lo, exec_lo, s42
                                        ; implicit-def: $vgpr33_vgpr34_vgpr35_vgpr36_vgpr37_vgpr38_vgpr39_vgpr40_vgpr41_vgpr42_vgpr43_vgpr44_vgpr45_vgpr46_vgpr47_vgpr48_vgpr49_vgpr50_vgpr51_vgpr52_vgpr53_vgpr54_vgpr55_vgpr56_vgpr57_vgpr58_vgpr59_vgpr60_vgpr61_vgpr62_vgpr63_vgpr64
	s_and_saveexec_b32 s4, s5
	s_xor_b32 s4, exec_lo, s4
	s_cbranch_execnz .LBB741_239
.LBB741_342:
	s_or_saveexec_b32 s42, s4
	s_xor_b32 s5, s45, -1
	s_xor_b32 exec_lo, exec_lo, s42
	s_cbranch_execz .LBB741_240
.LBB741_343:
	global_load_ubyte v33, v[98:99], off offset:704
	s_mov_b32 s45, 0
	s_waitcnt vmcnt(0)
	v_and_b32_e32 v33, 1, v33
	v_cmp_eq_u32_e64 s4, 1, v33
	v_mov_b32_e32 v64, v32
	v_mov_b32_e32 v55, v23
	;; [unrolled: 1-line block ×33, first 2 shown]
	s_xor_b32 s4, s4, -1
	s_and_saveexec_b32 s45, s4
	s_xor_b32 s45, exec_lo, s45
	s_cbranch_execz .LBB741_345
; %bb.344:
	v_sub_f32_e32 v23, v23, v106
	v_mul_f32_e32 v33, 0x3fb8aa3b, v23
	v_cmp_ngt_f32_e64 s4, 0xc2ce8ed0, v23
	v_fma_f32 v34, 0x3fb8aa3b, v23, -v33
	v_rndne_f32_e32 v35, v33
	v_fmamk_f32 v34, v23, 0x32a5705f, v34
	v_sub_f32_e32 v33, v33, v35
	v_add_f32_e32 v33, v33, v34
	v_cvt_i32_f32_e32 v34, v35
	v_exp_f32_e32 v33, v33
	v_ldexp_f32 v33, v33, v34
	v_cndmask_b32_e64 v33, 0, v33, s4
	v_cmp_nlt_f32_e64 s4, 0x42b17218, v23
	v_cndmask_b32_e64 v23, 0x7f800000, v33, s4
	v_mov_b32_e32 v64, v32
	v_mov_b32_e32 v63, v31
	;; [unrolled: 1-line block ×4, first 2 shown]
	v_add_f32_e32 v0, v0, v23
	v_mov_b32_e32 v60, v28
	v_mov_b32_e32 v59, v27
	;; [unrolled: 1-line block ×28, first 2 shown]
.LBB741_345:
	s_andn2_saveexec_b32 s4, s45
	s_or_b32 exec_lo, exec_lo, s4
	s_or_b32 exec_lo, exec_lo, s42
                                        ; implicit-def: $vgpr1_vgpr2_vgpr3_vgpr4_vgpr5_vgpr6_vgpr7_vgpr8_vgpr9_vgpr10_vgpr11_vgpr12_vgpr13_vgpr14_vgpr15_vgpr16_vgpr17_vgpr18_vgpr19_vgpr20_vgpr21_vgpr22_vgpr23_vgpr24_vgpr25_vgpr26_vgpr27_vgpr28_vgpr29_vgpr30_vgpr31_vgpr32
	s_and_saveexec_b32 s4, s5
	s_xor_b32 s4, exec_lo, s4
	s_cbranch_execnz .LBB741_241
.LBB741_346:
	s_or_saveexec_b32 s42, s4
	s_xor_b32 s5, s44, -1
	s_xor_b32 exec_lo, exec_lo, s42
	s_cbranch_execz .LBB741_242
.LBB741_347:
	global_load_ubyte v1, v[98:99], off offset:736
	s_mov_b32 s44, 0
	s_waitcnt vmcnt(0)
	v_and_b32_e32 v1, 1, v1
	v_cmp_eq_u32_e64 s4, 1, v1
	v_mov_b32_e32 v1, v33
	v_mov_b32_e32 v24, v56
	;; [unrolled: 1-line block ×33, first 2 shown]
	s_xor_b32 s4, s4, -1
	s_and_saveexec_b32 s44, s4
	s_xor_b32 s44, exec_lo, s44
	s_cbranch_execz .LBB741_349
; %bb.348:
	v_sub_f32_e32 v1, v56, v106
	v_mul_f32_e32 v2, 0x3fb8aa3b, v1
	v_cmp_ngt_f32_e64 s4, 0xc2ce8ed0, v1
	v_fma_f32 v3, 0x3fb8aa3b, v1, -v2
	v_rndne_f32_e32 v4, v2
	v_fmamk_f32 v3, v1, 0x32a5705f, v3
	v_sub_f32_e32 v2, v2, v4
	v_add_f32_e32 v2, v2, v3
	v_cvt_i32_f32_e32 v3, v4
	v_exp_f32_e32 v2, v2
	v_ldexp_f32 v2, v2, v3
	v_cndmask_b32_e64 v2, 0, v2, s4
	v_cmp_nlt_f32_e64 s4, 0x42b17218, v1
	v_cndmask_b32_e64 v56, 0x7f800000, v2, s4
	v_mov_b32_e32 v1, v33
	v_mov_b32_e32 v2, v34
	;; [unrolled: 1-line block ×4, first 2 shown]
	v_add_f32_e32 v0, v0, v56
	v_mov_b32_e32 v5, v37
	v_mov_b32_e32 v6, v38
	;; [unrolled: 1-line block ×28, first 2 shown]
.LBB741_349:
	s_andn2_saveexec_b32 s4, s44
	s_or_b32 exec_lo, exec_lo, s4
	s_or_b32 exec_lo, exec_lo, s42
                                        ; implicit-def: $vgpr33_vgpr34_vgpr35_vgpr36_vgpr37_vgpr38_vgpr39_vgpr40_vgpr41_vgpr42_vgpr43_vgpr44_vgpr45_vgpr46_vgpr47_vgpr48_vgpr49_vgpr50_vgpr51_vgpr52_vgpr53_vgpr54_vgpr55_vgpr56_vgpr57_vgpr58_vgpr59_vgpr60_vgpr61_vgpr62_vgpr63_vgpr64
	s_and_saveexec_b32 s4, s5
	s_xor_b32 s4, exec_lo, s4
	s_cbranch_execnz .LBB741_243
.LBB741_350:
	s_or_saveexec_b32 s42, s4
	s_xor_b32 s5, s43, -1
	s_xor_b32 exec_lo, exec_lo, s42
	s_cbranch_execz .LBB741_244
.LBB741_351:
	global_load_ubyte v33, v[98:99], off offset:768
	s_mov_b32 s43, 0
	s_waitcnt vmcnt(0)
	v_and_b32_e32 v33, 1, v33
	v_cmp_eq_u32_e64 s4, 1, v33
	v_mov_b32_e32 v64, v32
	v_mov_b32_e32 v57, v25
	;; [unrolled: 1-line block ×33, first 2 shown]
	s_xor_b32 s4, s4, -1
	s_and_saveexec_b32 s43, s4
	s_xor_b32 s43, exec_lo, s43
	s_cbranch_execz .LBB741_353
; %bb.352:
	v_sub_f32_e32 v25, v25, v106
	v_mul_f32_e32 v33, 0x3fb8aa3b, v25
	v_cmp_ngt_f32_e64 s4, 0xc2ce8ed0, v25
	v_fma_f32 v34, 0x3fb8aa3b, v25, -v33
	v_rndne_f32_e32 v35, v33
	v_fmamk_f32 v34, v25, 0x32a5705f, v34
	v_sub_f32_e32 v33, v33, v35
	v_add_f32_e32 v33, v33, v34
	v_cvt_i32_f32_e32 v34, v35
	v_exp_f32_e32 v33, v33
	v_ldexp_f32 v33, v33, v34
	v_cndmask_b32_e64 v33, 0, v33, s4
	v_cmp_nlt_f32_e64 s4, 0x42b17218, v25
	v_cndmask_b32_e64 v25, 0x7f800000, v33, s4
	v_mov_b32_e32 v64, v32
	v_mov_b32_e32 v63, v31
	v_mov_b32_e32 v62, v30
	v_mov_b32_e32 v61, v29
	v_add_f32_e32 v0, v0, v25
	v_mov_b32_e32 v60, v28
	v_mov_b32_e32 v59, v27
	;; [unrolled: 1-line block ×28, first 2 shown]
.LBB741_353:
	s_andn2_saveexec_b32 s4, s43
	s_or_b32 exec_lo, exec_lo, s4
	s_or_b32 exec_lo, exec_lo, s42
                                        ; implicit-def: $vgpr1_vgpr2_vgpr3_vgpr4_vgpr5_vgpr6_vgpr7_vgpr8_vgpr9_vgpr10_vgpr11_vgpr12_vgpr13_vgpr14_vgpr15_vgpr16_vgpr17_vgpr18_vgpr19_vgpr20_vgpr21_vgpr22_vgpr23_vgpr24_vgpr25_vgpr26_vgpr27_vgpr28_vgpr29_vgpr30_vgpr31_vgpr32
	s_and_saveexec_b32 s4, s5
	s_xor_b32 s4, exec_lo, s4
	s_cbranch_execnz .LBB741_245
.LBB741_354:
	s_or_saveexec_b32 s42, s4
	s_xor_b32 s5, s41, -1
	s_xor_b32 exec_lo, exec_lo, s42
	s_cbranch_execz .LBB741_246
.LBB741_355:
	global_load_ubyte v1, v[98:99], off offset:800
	s_mov_b32 s41, 0
	s_waitcnt vmcnt(0)
	v_and_b32_e32 v1, 1, v1
	v_cmp_eq_u32_e64 s4, 1, v1
	v_mov_b32_e32 v1, v33
	v_mov_b32_e32 v26, v58
	;; [unrolled: 1-line block ×33, first 2 shown]
	s_xor_b32 s4, s4, -1
	s_and_saveexec_b32 s41, s4
	s_xor_b32 s41, exec_lo, s41
	s_cbranch_execz .LBB741_357
; %bb.356:
	v_sub_f32_e32 v1, v58, v106
	v_mul_f32_e32 v2, 0x3fb8aa3b, v1
	v_cmp_ngt_f32_e64 s4, 0xc2ce8ed0, v1
	v_fma_f32 v3, 0x3fb8aa3b, v1, -v2
	v_rndne_f32_e32 v4, v2
	v_fmamk_f32 v3, v1, 0x32a5705f, v3
	v_sub_f32_e32 v2, v2, v4
	v_add_f32_e32 v2, v2, v3
	v_cvt_i32_f32_e32 v3, v4
	v_exp_f32_e32 v2, v2
	v_ldexp_f32 v2, v2, v3
	v_cndmask_b32_e64 v2, 0, v2, s4
	v_cmp_nlt_f32_e64 s4, 0x42b17218, v1
	v_cndmask_b32_e64 v58, 0x7f800000, v2, s4
	v_mov_b32_e32 v1, v33
	v_mov_b32_e32 v2, v34
	;; [unrolled: 1-line block ×4, first 2 shown]
	v_add_f32_e32 v0, v0, v58
	v_mov_b32_e32 v5, v37
	v_mov_b32_e32 v6, v38
	;; [unrolled: 1-line block ×28, first 2 shown]
.LBB741_357:
	s_andn2_saveexec_b32 s4, s41
	s_or_b32 exec_lo, exec_lo, s4
	s_or_b32 exec_lo, exec_lo, s42
                                        ; implicit-def: $vgpr33_vgpr34_vgpr35_vgpr36_vgpr37_vgpr38_vgpr39_vgpr40_vgpr41_vgpr42_vgpr43_vgpr44_vgpr45_vgpr46_vgpr47_vgpr48_vgpr49_vgpr50_vgpr51_vgpr52_vgpr53_vgpr54_vgpr55_vgpr56_vgpr57_vgpr58_vgpr59_vgpr60_vgpr61_vgpr62_vgpr63_vgpr64
	s_and_saveexec_b32 s4, s5
	s_xor_b32 s4, exec_lo, s4
	s_cbranch_execnz .LBB741_247
.LBB741_358:
	s_or_saveexec_b32 s41, s4
	s_xor_b32 s5, s40, -1
	s_xor_b32 exec_lo, exec_lo, s41
	s_cbranch_execz .LBB741_248
.LBB741_359:
	global_load_ubyte v33, v[98:99], off offset:832
	s_mov_b32 s40, 0
	s_waitcnt vmcnt(0)
	v_and_b32_e32 v33, 1, v33
	v_cmp_eq_u32_e64 s4, 1, v33
	v_mov_b32_e32 v64, v32
	v_mov_b32_e32 v59, v27
	;; [unrolled: 1-line block ×33, first 2 shown]
	s_xor_b32 s4, s4, -1
	s_and_saveexec_b32 s40, s4
	s_xor_b32 s40, exec_lo, s40
	s_cbranch_execz .LBB741_361
; %bb.360:
	v_sub_f32_e32 v27, v27, v106
	v_mul_f32_e32 v33, 0x3fb8aa3b, v27
	v_cmp_ngt_f32_e64 s4, 0xc2ce8ed0, v27
	v_fma_f32 v34, 0x3fb8aa3b, v27, -v33
	v_rndne_f32_e32 v35, v33
	v_fmamk_f32 v34, v27, 0x32a5705f, v34
	v_sub_f32_e32 v33, v33, v35
	v_add_f32_e32 v33, v33, v34
	v_cvt_i32_f32_e32 v34, v35
	v_exp_f32_e32 v33, v33
	v_ldexp_f32 v33, v33, v34
	v_cndmask_b32_e64 v33, 0, v33, s4
	v_cmp_nlt_f32_e64 s4, 0x42b17218, v27
	v_cndmask_b32_e64 v27, 0x7f800000, v33, s4
	v_mov_b32_e32 v64, v32
	v_mov_b32_e32 v63, v31
	;; [unrolled: 1-line block ×4, first 2 shown]
	v_add_f32_e32 v0, v0, v27
	v_mov_b32_e32 v60, v28
	v_mov_b32_e32 v59, v27
	;; [unrolled: 1-line block ×28, first 2 shown]
.LBB741_361:
	s_andn2_saveexec_b32 s4, s40
	s_or_b32 exec_lo, exec_lo, s4
	s_or_b32 exec_lo, exec_lo, s41
                                        ; implicit-def: $vgpr1_vgpr2_vgpr3_vgpr4_vgpr5_vgpr6_vgpr7_vgpr8_vgpr9_vgpr10_vgpr11_vgpr12_vgpr13_vgpr14_vgpr15_vgpr16_vgpr17_vgpr18_vgpr19_vgpr20_vgpr21_vgpr22_vgpr23_vgpr24_vgpr25_vgpr26_vgpr27_vgpr28_vgpr29_vgpr30_vgpr31_vgpr32
	s_and_saveexec_b32 s4, s5
	s_xor_b32 s4, exec_lo, s4
	s_cbranch_execnz .LBB741_249
.LBB741_362:
	s_or_saveexec_b32 s40, s4
	s_xor_b32 s5, s39, -1
	s_xor_b32 exec_lo, exec_lo, s40
	s_cbranch_execz .LBB741_250
.LBB741_363:
	global_load_ubyte v1, v[98:99], off offset:864
	s_mov_b32 s39, 0
	s_waitcnt vmcnt(0)
	v_and_b32_e32 v1, 1, v1
	v_cmp_eq_u32_e64 s4, 1, v1
	v_mov_b32_e32 v1, v33
	v_mov_b32_e32 v28, v60
	;; [unrolled: 1-line block ×33, first 2 shown]
	s_xor_b32 s4, s4, -1
	s_and_saveexec_b32 s39, s4
	s_xor_b32 s39, exec_lo, s39
	s_cbranch_execz .LBB741_365
; %bb.364:
	v_sub_f32_e32 v1, v60, v106
	v_mul_f32_e32 v2, 0x3fb8aa3b, v1
	v_cmp_ngt_f32_e64 s4, 0xc2ce8ed0, v1
	v_fma_f32 v3, 0x3fb8aa3b, v1, -v2
	v_rndne_f32_e32 v4, v2
	v_fmamk_f32 v3, v1, 0x32a5705f, v3
	v_sub_f32_e32 v2, v2, v4
	v_add_f32_e32 v2, v2, v3
	v_cvt_i32_f32_e32 v3, v4
	v_exp_f32_e32 v2, v2
	v_ldexp_f32 v2, v2, v3
	v_cndmask_b32_e64 v2, 0, v2, s4
	v_cmp_nlt_f32_e64 s4, 0x42b17218, v1
	v_cndmask_b32_e64 v60, 0x7f800000, v2, s4
	v_mov_b32_e32 v1, v33
	v_mov_b32_e32 v2, v34
	;; [unrolled: 1-line block ×4, first 2 shown]
	v_add_f32_e32 v0, v0, v60
	v_mov_b32_e32 v5, v37
	v_mov_b32_e32 v6, v38
	;; [unrolled: 1-line block ×28, first 2 shown]
.LBB741_365:
	s_andn2_saveexec_b32 s4, s39
	s_or_b32 exec_lo, exec_lo, s4
	s_or_b32 exec_lo, exec_lo, s40
                                        ; implicit-def: $vgpr33_vgpr34_vgpr35_vgpr36_vgpr37_vgpr38_vgpr39_vgpr40_vgpr41_vgpr42_vgpr43_vgpr44_vgpr45_vgpr46_vgpr47_vgpr48_vgpr49_vgpr50_vgpr51_vgpr52_vgpr53_vgpr54_vgpr55_vgpr56_vgpr57_vgpr58_vgpr59_vgpr60_vgpr61_vgpr62_vgpr63_vgpr64
	s_and_saveexec_b32 s4, s5
	s_xor_b32 s4, exec_lo, s4
	s_cbranch_execnz .LBB741_251
.LBB741_366:
	s_or_saveexec_b32 s39, s4
	s_xor_b32 s5, s38, -1
	s_xor_b32 exec_lo, exec_lo, s39
	s_cbranch_execz .LBB741_252
.LBB741_367:
	global_load_ubyte v33, v[98:99], off offset:896
	s_mov_b32 s38, 0
	s_waitcnt vmcnt(0)
	v_and_b32_e32 v33, 1, v33
	v_cmp_eq_u32_e64 s4, 1, v33
	v_mov_b32_e32 v64, v32
	v_mov_b32_e32 v61, v29
	;; [unrolled: 1-line block ×33, first 2 shown]
	s_xor_b32 s4, s4, -1
	s_and_saveexec_b32 s38, s4
	s_xor_b32 s38, exec_lo, s38
	s_cbranch_execz .LBB741_369
; %bb.368:
	v_sub_f32_e32 v29, v29, v106
	v_mul_f32_e32 v33, 0x3fb8aa3b, v29
	v_cmp_ngt_f32_e64 s4, 0xc2ce8ed0, v29
	v_fma_f32 v34, 0x3fb8aa3b, v29, -v33
	v_rndne_f32_e32 v35, v33
	v_fmamk_f32 v34, v29, 0x32a5705f, v34
	v_sub_f32_e32 v33, v33, v35
	v_add_f32_e32 v33, v33, v34
	v_cvt_i32_f32_e32 v34, v35
	v_exp_f32_e32 v33, v33
	v_ldexp_f32 v33, v33, v34
	v_cndmask_b32_e64 v33, 0, v33, s4
	v_cmp_nlt_f32_e64 s4, 0x42b17218, v29
	v_cndmask_b32_e64 v29, 0x7f800000, v33, s4
	v_mov_b32_e32 v64, v32
	v_mov_b32_e32 v63, v31
	;; [unrolled: 1-line block ×4, first 2 shown]
	v_add_f32_e32 v0, v0, v29
	v_mov_b32_e32 v61, v29
	v_mov_b32_e32 v59, v27
	;; [unrolled: 1-line block ×28, first 2 shown]
.LBB741_369:
	s_andn2_saveexec_b32 s4, s38
	s_or_b32 exec_lo, exec_lo, s4
	s_or_b32 exec_lo, exec_lo, s39
                                        ; implicit-def: $vgpr1_vgpr2_vgpr3_vgpr4_vgpr5_vgpr6_vgpr7_vgpr8_vgpr9_vgpr10_vgpr11_vgpr12_vgpr13_vgpr14_vgpr15_vgpr16_vgpr17_vgpr18_vgpr19_vgpr20_vgpr21_vgpr22_vgpr23_vgpr24_vgpr25_vgpr26_vgpr27_vgpr28_vgpr29_vgpr30_vgpr31_vgpr32
	s_and_saveexec_b32 s4, s5
	s_xor_b32 s4, exec_lo, s4
	s_cbranch_execnz .LBB741_253
.LBB741_370:
	s_or_saveexec_b32 s38, s4
	s_xor_b32 s5, s35, -1
	s_xor_b32 exec_lo, exec_lo, s38
	s_cbranch_execz .LBB741_254
.LBB741_371:
	global_load_ubyte v1, v[98:99], off offset:928
	s_mov_b32 s35, 0
	s_waitcnt vmcnt(0)
	v_and_b32_e32 v1, 1, v1
	v_cmp_eq_u32_e64 s4, 1, v1
	v_mov_b32_e32 v1, v33
	v_mov_b32_e32 v30, v62
	;; [unrolled: 1-line block ×33, first 2 shown]
	s_xor_b32 s4, s4, -1
	s_and_saveexec_b32 s35, s4
	s_xor_b32 s35, exec_lo, s35
	s_cbranch_execz .LBB741_373
; %bb.372:
	v_sub_f32_e32 v1, v62, v106
	v_mul_f32_e32 v2, 0x3fb8aa3b, v1
	v_cmp_ngt_f32_e64 s4, 0xc2ce8ed0, v1
	v_fma_f32 v3, 0x3fb8aa3b, v1, -v2
	v_rndne_f32_e32 v4, v2
	v_fmamk_f32 v3, v1, 0x32a5705f, v3
	v_sub_f32_e32 v2, v2, v4
	v_add_f32_e32 v2, v2, v3
	v_cvt_i32_f32_e32 v3, v4
	v_exp_f32_e32 v2, v2
	v_ldexp_f32 v2, v2, v3
	v_cndmask_b32_e64 v2, 0, v2, s4
	v_cmp_nlt_f32_e64 s4, 0x42b17218, v1
	v_cndmask_b32_e64 v62, 0x7f800000, v2, s4
	v_mov_b32_e32 v1, v33
	v_mov_b32_e32 v2, v34
	;; [unrolled: 1-line block ×4, first 2 shown]
	v_add_f32_e32 v0, v0, v62
	v_mov_b32_e32 v5, v37
	v_mov_b32_e32 v6, v38
	;; [unrolled: 1-line block ×28, first 2 shown]
.LBB741_373:
	s_andn2_saveexec_b32 s4, s35
	s_or_b32 exec_lo, exec_lo, s4
	s_or_b32 exec_lo, exec_lo, s38
                                        ; implicit-def: $vgpr33_vgpr34_vgpr35_vgpr36_vgpr37_vgpr38_vgpr39_vgpr40_vgpr41_vgpr42_vgpr43_vgpr44_vgpr45_vgpr46_vgpr47_vgpr48_vgpr49_vgpr50_vgpr51_vgpr52_vgpr53_vgpr54_vgpr55_vgpr56_vgpr57_vgpr58_vgpr59_vgpr60_vgpr61_vgpr62_vgpr63_vgpr64
	s_and_saveexec_b32 s4, s5
	s_xor_b32 s4, exec_lo, s4
	s_cbranch_execnz .LBB741_255
.LBB741_374:
	s_or_saveexec_b32 s35, s4
	s_xor_b32 s5, s34, -1
	s_xor_b32 exec_lo, exec_lo, s35
	s_cbranch_execz .LBB741_256
.LBB741_375:
	global_load_ubyte v33, v[98:99], off offset:960
	s_mov_b32 s34, 0
	s_waitcnt vmcnt(0)
	v_and_b32_e32 v33, 1, v33
	v_cmp_eq_u32_e64 s4, 1, v33
	v_mov_b32_e32 v64, v32
	v_mov_b32_e32 v63, v31
	;; [unrolled: 1-line block ×33, first 2 shown]
	s_xor_b32 s4, s4, -1
	s_and_saveexec_b32 s34, s4
	s_xor_b32 s34, exec_lo, s34
	s_cbranch_execz .LBB741_377
; %bb.376:
	v_sub_f32_e32 v31, v31, v106
	v_mul_f32_e32 v33, 0x3fb8aa3b, v31
	v_cmp_ngt_f32_e64 s4, 0xc2ce8ed0, v31
	v_fma_f32 v34, 0x3fb8aa3b, v31, -v33
	v_rndne_f32_e32 v35, v33
	v_fmamk_f32 v34, v31, 0x32a5705f, v34
	v_sub_f32_e32 v33, v33, v35
	v_add_f32_e32 v33, v33, v34
	v_cvt_i32_f32_e32 v34, v35
	v_exp_f32_e32 v33, v33
	v_ldexp_f32 v33, v33, v34
	v_cndmask_b32_e64 v33, 0, v33, s4
	v_cmp_nlt_f32_e64 s4, 0x42b17218, v31
	v_cndmask_b32_e64 v31, 0x7f800000, v33, s4
	v_mov_b32_e32 v64, v32
	v_mov_b32_e32 v62, v30
	v_mov_b32_e32 v61, v29
	v_mov_b32_e32 v60, v28
	v_add_f32_e32 v0, v0, v31
	v_mov_b32_e32 v63, v31
	v_mov_b32_e32 v59, v27
	;; [unrolled: 1-line block ×28, first 2 shown]
.LBB741_377:
	s_andn2_saveexec_b32 s4, s34
	s_or_b32 exec_lo, exec_lo, s4
	s_or_b32 exec_lo, exec_lo, s35
                                        ; implicit-def: $vgpr1_vgpr2_vgpr3_vgpr4_vgpr5_vgpr6_vgpr7_vgpr8_vgpr9_vgpr10_vgpr11_vgpr12_vgpr13_vgpr14_vgpr15_vgpr16_vgpr17_vgpr18_vgpr19_vgpr20_vgpr21_vgpr22_vgpr23_vgpr24_vgpr25_vgpr26_vgpr27_vgpr28_vgpr29_vgpr30_vgpr31_vgpr32
	s_and_saveexec_b32 s4, s5
	s_xor_b32 s4, exec_lo, s4
	s_cbranch_execnz .LBB741_257
.LBB741_378:
	s_andn2_saveexec_b32 s5, s4
	s_cbranch_execz .LBB741_382
.LBB741_379:
	global_load_ubyte v1, v[98:99], off offset:992
	s_mov_b32 s34, 0
	s_waitcnt vmcnt(0)
	v_and_b32_e32 v1, 1, v1
	v_cmp_eq_u32_e64 s4, 1, v1
	v_mov_b32_e32 v1, v33
	v_mov_b32_e32 v32, v64
	;; [unrolled: 1-line block ×33, first 2 shown]
	s_xor_b32 s4, s4, -1
	s_and_saveexec_b32 s34, s4
	s_xor_b32 s34, exec_lo, s34
	s_cbranch_execz .LBB741_381
; %bb.380:
	v_sub_f32_e32 v1, v64, v106
	v_mul_f32_e32 v2, 0x3fb8aa3b, v1
	v_cmp_ngt_f32_e64 s4, 0xc2ce8ed0, v1
	v_fma_f32 v3, 0x3fb8aa3b, v1, -v2
	v_rndne_f32_e32 v4, v2
	v_fmamk_f32 v3, v1, 0x32a5705f, v3
	v_sub_f32_e32 v2, v2, v4
	v_add_f32_e32 v2, v2, v3
	v_cvt_i32_f32_e32 v3, v4
	v_exp_f32_e32 v2, v2
	v_ldexp_f32 v2, v2, v3
	v_cndmask_b32_e64 v2, 0, v2, s4
	v_cmp_nlt_f32_e64 s4, 0x42b17218, v1
	v_cndmask_b32_e64 v64, 0x7f800000, v2, s4
	v_mov_b32_e32 v1, v33
	v_mov_b32_e32 v2, v34
	v_mov_b32_e32 v3, v35
	v_mov_b32_e32 v4, v36
	v_add_f32_e32 v0, v0, v64
	v_mov_b32_e32 v5, v37
	v_mov_b32_e32 v6, v38
	;; [unrolled: 1-line block ×28, first 2 shown]
.LBB741_381:
	s_andn2_saveexec_b32 s4, s34
	s_or_b32 exec_lo, exec_lo, s4
.LBB741_382:
	s_or_b32 exec_lo, exec_lo, s5
	ds_bpermute_b32 v33, v101, v0
	s_mov_b32 s5, exec_lo
	s_waitcnt lgkmcnt(0)
	v_add_f32_e32 v0, v0, v33
	ds_bpermute_b32 v33, v102, v0
	s_waitcnt lgkmcnt(0)
	v_add_f32_e32 v0, v0, v33
	ds_bpermute_b32 v33, v103, v0
	;; [unrolled: 3-line block ×4, first 2 shown]
	v_cmpx_lt_i32_e32 0, v100
	s_cbranch_execz .LBB741_480
; %bb.383:
	s_and_b32 exec_lo, exec_lo, vcc_lo
	s_cbranch_execz .LBB741_480
; %bb.384:
	s_waitcnt lgkmcnt(0)
	v_add_f32_e32 v33, v0, v33
	v_mov_b32_e32 v34, 0x7e00
	v_cmp_neq_f32_e64 s4, 0, v33
	s_and_saveexec_b32 s5, s4
	s_cbranch_execz .LBB741_386
; %bb.385:
	v_div_scale_f32 v0, null, v33, v33, v1
	v_rcp_f32_e32 v34, v0
	v_fma_f32 v35, -v0, v34, 1.0
	v_fmac_f32_e32 v34, v35, v34
	v_div_scale_f32 v35, vcc_lo, v1, v33, v1
	v_mul_f32_e32 v36, v35, v34
	v_fma_f32 v37, -v0, v36, v35
	v_fmac_f32_e32 v36, v37, v34
	v_fma_f32 v0, -v0, v36, v35
	v_div_fmas_f32 v0, v0, v34, v36
	v_div_fixup_f32 v0, v0, v33, v1
	v_cvt_f16_f32_e32 v34, v0
.LBB741_386:
	s_or_b32 exec_lo, exec_lo, s5
	v_add_co_u32 v0, vcc_lo, s36, v96
	v_add_co_ci_u32_e64 v1, null, s37, v97, vcc_lo
	global_store_short v[0:1], v34, off
	s_and_b32 exec_lo, exec_lo, s33
	s_cbranch_execz .LBB741_480
; %bb.387:
	v_mov_b32_e32 v34, 0x7e00
	s_and_saveexec_b32 s5, s4
	s_cbranch_execz .LBB741_389
; %bb.388:
	v_div_scale_f32 v34, null, v33, v33, v2
	v_rcp_f32_e32 v35, v34
	v_fma_f32 v36, -v34, v35, 1.0
	v_fmac_f32_e32 v35, v36, v35
	v_div_scale_f32 v36, vcc_lo, v2, v33, v2
	v_mul_f32_e32 v37, v36, v35
	v_fma_f32 v38, -v34, v37, v36
	v_fmac_f32_e32 v37, v38, v35
	v_fma_f32 v34, -v34, v37, v36
	v_div_fmas_f32 v34, v34, v35, v37
	v_div_fixup_f32 v2, v34, v33, v2
	v_cvt_f16_f32_e32 v34, v2
.LBB741_389:
	s_or_b32 exec_lo, exec_lo, s5
	global_store_short v[0:1], v34, off offset:64
	s_and_b32 exec_lo, exec_lo, s31
	s_cbranch_execz .LBB741_480
; %bb.390:
	v_mov_b32_e32 v2, 0x7e00
	s_and_saveexec_b32 s5, s4
	s_cbranch_execz .LBB741_392
; %bb.391:
	v_div_scale_f32 v2, null, v33, v33, v3
	v_rcp_f32_e32 v34, v2
	v_fma_f32 v35, -v2, v34, 1.0
	v_fmac_f32_e32 v34, v35, v34
	v_div_scale_f32 v35, vcc_lo, v3, v33, v3
	v_mul_f32_e32 v36, v35, v34
	v_fma_f32 v37, -v2, v36, v35
	v_fmac_f32_e32 v36, v37, v34
	v_fma_f32 v2, -v2, v36, v35
	v_div_fmas_f32 v2, v2, v34, v36
	v_div_fixup_f32 v2, v2, v33, v3
	v_cvt_f16_f32_e32 v2, v2
.LBB741_392:
	s_or_b32 exec_lo, exec_lo, s5
	global_store_short v[0:1], v2, off offset:128
	;; [unrolled: 22-line block ×31, first 2 shown]
.LBB741_480:
	s_endpgm
	.section	.rodata,"a",@progbits
	.p2align	6, 0x0
	.amdhsa_kernel _ZN12_GLOBAL__N_120softmax_warp_forwardIN3c104HalfES2_fLi10ELb0ELb1ELi32EEEvPT0_PKT_iiiPKbib
		.amdhsa_group_segment_fixed_size 0
		.amdhsa_private_segment_fixed_size 0
		.amdhsa_kernarg_size 304
		.amdhsa_user_sgpr_count 6
		.amdhsa_user_sgpr_private_segment_buffer 1
		.amdhsa_user_sgpr_dispatch_ptr 0
		.amdhsa_user_sgpr_queue_ptr 0
		.amdhsa_user_sgpr_kernarg_segment_ptr 1
		.amdhsa_user_sgpr_dispatch_id 0
		.amdhsa_user_sgpr_flat_scratch_init 0
		.amdhsa_user_sgpr_private_segment_size 0
		.amdhsa_wavefront_size32 1
		.amdhsa_uses_dynamic_stack 0
		.amdhsa_system_sgpr_private_segment_wavefront_offset 0
		.amdhsa_system_sgpr_workgroup_id_x 1
		.amdhsa_system_sgpr_workgroup_id_y 0
		.amdhsa_system_sgpr_workgroup_id_z 0
		.amdhsa_system_sgpr_workgroup_info 0
		.amdhsa_system_vgpr_workitem_id 1
		.amdhsa_next_free_vgpr 107
		.amdhsa_next_free_sgpr 71
		.amdhsa_reserve_vcc 1
		.amdhsa_reserve_flat_scratch 0
		.amdhsa_float_round_mode_32 0
		.amdhsa_float_round_mode_16_64 0
		.amdhsa_float_denorm_mode_32 3
		.amdhsa_float_denorm_mode_16_64 3
		.amdhsa_dx10_clamp 1
		.amdhsa_ieee_mode 1
		.amdhsa_fp16_overflow 0
		.amdhsa_workgroup_processor_mode 1
		.amdhsa_memory_ordered 1
		.amdhsa_forward_progress 1
		.amdhsa_shared_vgpr_count 0
		.amdhsa_exception_fp_ieee_invalid_op 0
		.amdhsa_exception_fp_denorm_src 0
		.amdhsa_exception_fp_ieee_div_zero 0
		.amdhsa_exception_fp_ieee_overflow 0
		.amdhsa_exception_fp_ieee_underflow 0
		.amdhsa_exception_fp_ieee_inexact 0
		.amdhsa_exception_int_div_zero 0
	.end_amdhsa_kernel
	.section	.text._ZN12_GLOBAL__N_120softmax_warp_forwardIN3c104HalfES2_fLi10ELb0ELb1ELi32EEEvPT0_PKT_iiiPKbib,"axG",@progbits,_ZN12_GLOBAL__N_120softmax_warp_forwardIN3c104HalfES2_fLi10ELb0ELb1ELi32EEEvPT0_PKT_iiiPKbib,comdat
.Lfunc_end741:
	.size	_ZN12_GLOBAL__N_120softmax_warp_forwardIN3c104HalfES2_fLi10ELb0ELb1ELi32EEEvPT0_PKT_iiiPKbib, .Lfunc_end741-_ZN12_GLOBAL__N_120softmax_warp_forwardIN3c104HalfES2_fLi10ELb0ELb1ELi32EEEvPT0_PKT_iiiPKbib
                                        ; -- End function
	.set _ZN12_GLOBAL__N_120softmax_warp_forwardIN3c104HalfES2_fLi10ELb0ELb1ELi32EEEvPT0_PKT_iiiPKbib.num_vgpr, 107
	.set _ZN12_GLOBAL__N_120softmax_warp_forwardIN3c104HalfES2_fLi10ELb0ELb1ELi32EEEvPT0_PKT_iiiPKbib.num_agpr, 0
	.set _ZN12_GLOBAL__N_120softmax_warp_forwardIN3c104HalfES2_fLi10ELb0ELb1ELi32EEEvPT0_PKT_iiiPKbib.numbered_sgpr, 71
	.set _ZN12_GLOBAL__N_120softmax_warp_forwardIN3c104HalfES2_fLi10ELb0ELb1ELi32EEEvPT0_PKT_iiiPKbib.num_named_barrier, 0
	.set _ZN12_GLOBAL__N_120softmax_warp_forwardIN3c104HalfES2_fLi10ELb0ELb1ELi32EEEvPT0_PKT_iiiPKbib.private_seg_size, 0
	.set _ZN12_GLOBAL__N_120softmax_warp_forwardIN3c104HalfES2_fLi10ELb0ELb1ELi32EEEvPT0_PKT_iiiPKbib.uses_vcc, 1
	.set _ZN12_GLOBAL__N_120softmax_warp_forwardIN3c104HalfES2_fLi10ELb0ELb1ELi32EEEvPT0_PKT_iiiPKbib.uses_flat_scratch, 0
	.set _ZN12_GLOBAL__N_120softmax_warp_forwardIN3c104HalfES2_fLi10ELb0ELb1ELi32EEEvPT0_PKT_iiiPKbib.has_dyn_sized_stack, 0
	.set _ZN12_GLOBAL__N_120softmax_warp_forwardIN3c104HalfES2_fLi10ELb0ELb1ELi32EEEvPT0_PKT_iiiPKbib.has_recursion, 0
	.set _ZN12_GLOBAL__N_120softmax_warp_forwardIN3c104HalfES2_fLi10ELb0ELb1ELi32EEEvPT0_PKT_iiiPKbib.has_indirect_call, 0
	.section	.AMDGPU.csdata,"",@progbits
; Kernel info:
; codeLenInByte = 28576
; TotalNumSgprs: 73
; NumVgprs: 107
; ScratchSize: 0
; MemoryBound: 0
; FloatMode: 240
; IeeeMode: 1
; LDSByteSize: 0 bytes/workgroup (compile time only)
; SGPRBlocks: 0
; VGPRBlocks: 13
; NumSGPRsForWavesPerEU: 73
; NumVGPRsForWavesPerEU: 107
; Occupancy: 9
; WaveLimiterHint : 0
; COMPUTE_PGM_RSRC2:SCRATCH_EN: 0
; COMPUTE_PGM_RSRC2:USER_SGPR: 6
; COMPUTE_PGM_RSRC2:TRAP_HANDLER: 0
; COMPUTE_PGM_RSRC2:TGID_X_EN: 1
; COMPUTE_PGM_RSRC2:TGID_Y_EN: 0
; COMPUTE_PGM_RSRC2:TGID_Z_EN: 0
; COMPUTE_PGM_RSRC2:TIDIG_COMP_CNT: 1
	.section	.text._ZN12_GLOBAL__N_120softmax_warp_forwardIN3c104HalfES2_fLi11ELb0ELb1ELi64EEEvPT0_PKT_iiiPKbib,"axG",@progbits,_ZN12_GLOBAL__N_120softmax_warp_forwardIN3c104HalfES2_fLi11ELb0ELb1ELi64EEEvPT0_PKT_iiiPKbib,comdat
	.globl	_ZN12_GLOBAL__N_120softmax_warp_forwardIN3c104HalfES2_fLi11ELb0ELb1ELi64EEEvPT0_PKT_iiiPKbib ; -- Begin function _ZN12_GLOBAL__N_120softmax_warp_forwardIN3c104HalfES2_fLi11ELb0ELb1ELi64EEEvPT0_PKT_iiiPKbib
	.p2align	8
	.type	_ZN12_GLOBAL__N_120softmax_warp_forwardIN3c104HalfES2_fLi11ELb0ELb1ELi64EEEvPT0_PKT_iiiPKbib,@function
_ZN12_GLOBAL__N_120softmax_warp_forwardIN3c104HalfES2_fLi11ELb0ELb1ELi64EEEvPT0_PKT_iiiPKbib: ; @_ZN12_GLOBAL__N_120softmax_warp_forwardIN3c104HalfES2_fLi11ELb0ELb1ELi64EEEvPT0_PKT_iiiPKbib
; %bb.0:
	s_clause 0x1
	s_load_dword s0, s[4:5], 0x3c
	s_load_dwordx4 s[40:43], s[4:5], 0x10
	s_waitcnt lgkmcnt(0)
	s_lshr_b32 s0, s0, 16
	v_mad_u64_u32 v[1:2], null, s6, s0, v[1:2]
	s_load_dwordx2 s[0:1], s[4:5], 0x28
	v_mul_lo_u32 v4, v1, s41
	v_add_nc_u32_e32 v2, v4, v0
	v_ashrrev_i32_e32 v3, 31, v2
	s_waitcnt lgkmcnt(0)
	s_bitcmp0_b32 s1, 0
	v_mov_b32_e32 v33, v3
	v_mov_b32_e32 v32, v2
	s_cbranch_scc1 .LBB742_2
; %bb.1:
	s_abs_i32 s1, s0
	v_sub_nc_u32_e32 v7, 0, v4
	v_cvt_f32_u32_e32 v5, s1
	s_sub_i32 s2, 0, s1
	v_max_i32_e32 v7, v4, v7
	v_rcp_iflag_f32_e32 v5, v5
	v_xor_b32_e32 v4, s0, v4
	v_ashrrev_i32_e32 v4, 31, v4
	v_mul_f32_e32 v5, 0x4f7ffffe, v5
	v_cvt_u32_f32_e32 v5, v5
	v_mul_lo_u32 v6, s2, v5
	v_mul_hi_u32 v6, v5, v6
	v_add_nc_u32_e32 v5, v5, v6
	v_mul_hi_u32 v5, v7, v5
	v_mul_lo_u32 v6, v5, s1
	v_sub_nc_u32_e32 v6, v7, v6
	v_add_nc_u32_e32 v7, 1, v5
	v_subrev_nc_u32_e32 v8, s1, v6
	v_cmp_le_u32_e32 vcc_lo, s1, v6
	v_cndmask_b32_e32 v5, v5, v7, vcc_lo
	v_cndmask_b32_e32 v6, v6, v8, vcc_lo
	v_add_nc_u32_e32 v7, 1, v5
	v_cmp_le_u32_e32 vcc_lo, s1, v6
	v_cndmask_b32_e32 v5, v5, v7, vcc_lo
	v_xor_b32_e32 v5, v5, v4
	v_sub_nc_u32_e32 v4, v5, v4
	v_mad_u64_u32 v[32:33], null, v4, s41, v[0:1]
	v_ashrrev_i32_e32 v33, 31, v32
.LBB742_2:
	s_load_dwordx4 s[36:39], s[4:5], 0x0
	v_lshlrev_b64 v[96:97], 1, v[2:3]
	v_sub_nc_u32_e32 v100, s40, v1
	v_cmp_gt_i32_e32 vcc_lo, s42, v0
	v_mov_b32_e32 v64, 0xff800000
	v_mov_b32_e32 v1, 0xff800000
	v_cmp_lt_i32_e64 s34, 0, v100
	s_and_b32 s68, s34, vcc_lo
	s_waitcnt lgkmcnt(0)
	v_add_co_u32 v34, s0, s38, v96
	v_add_co_ci_u32_e64 v35, null, s39, v97, s0
	s_and_saveexec_b32 s0, s68
	s_cbranch_execz .LBB742_4
; %bb.3:
	global_load_ushort v1, v[34:35], off
	s_waitcnt vmcnt(0)
	v_cvt_f32_f16_e32 v1, v1
.LBB742_4:
	s_or_b32 exec_lo, exec_lo, s0
	v_add_nc_u32_e32 v2, 64, v0
	v_cmp_gt_i32_e64 s33, s42, v2
	s_and_b32 s69, s34, s33
	s_and_saveexec_b32 s0, s69
	s_cbranch_execz .LBB742_6
; %bb.5:
	global_load_ushort v2, v[34:35], off offset:128
	s_waitcnt vmcnt(0)
	v_cvt_f32_f16_e32 v64, v2
.LBB742_6:
	s_or_b32 exec_lo, exec_lo, s0
	v_add_nc_u32_e32 v2, 0x80, v0
	v_mov_b32_e32 v3, 0xff800000
	v_cmp_gt_i32_e64 s31, s42, v2
	v_mov_b32_e32 v2, 0xff800000
	s_and_b32 s67, s34, s31
	s_and_saveexec_b32 s0, s67
	s_cbranch_execz .LBB742_8
; %bb.7:
	global_load_ushort v2, v[34:35], off offset:256
	s_waitcnt vmcnt(0)
	v_cvt_f32_f16_e32 v2, v2
.LBB742_8:
	s_or_b32 exec_lo, exec_lo, s0
	v_add_nc_u32_e32 v4, 0xc0, v0
	v_cmp_gt_i32_e64 s30, s42, v4
	s_and_b32 s66, s34, s30
	s_and_saveexec_b32 s0, s66
	s_cbranch_execz .LBB742_10
; %bb.9:
	global_load_ushort v3, v[34:35], off offset:384
	s_waitcnt vmcnt(0)
	v_cvt_f32_f16_e32 v3, v3
.LBB742_10:
	s_or_b32 exec_lo, exec_lo, s0
	v_add_nc_u32_e32 v4, 0x100, v0
	v_mov_b32_e32 v5, 0xff800000
	v_cmp_gt_i32_e64 s29, s42, v4
	v_mov_b32_e32 v4, 0xff800000
	s_and_b32 s65, s34, s29
	s_and_saveexec_b32 s0, s65
	s_cbranch_execz .LBB742_12
; %bb.11:
	global_load_ushort v4, v[34:35], off offset:512
	s_waitcnt vmcnt(0)
	v_cvt_f32_f16_e32 v4, v4
.LBB742_12:
	;; [unrolled: 24-line block ×7, first 2 shown]
	s_or_b32 exec_lo, exec_lo, s0
	v_add_nc_u32_e32 v16, 0x3c0, v0
	v_cmp_gt_i32_e64 s18, s42, v16
	s_and_b32 s54, s34, s18
	s_and_saveexec_b32 s0, s54
	s_cbranch_execz .LBB742_34
; %bb.33:
	global_load_ushort v15, v[34:35], off offset:1920
	s_waitcnt vmcnt(0)
	v_cvt_f32_f16_e32 v15, v15
.LBB742_34:
	s_or_b32 exec_lo, exec_lo, s0
	v_or_b32_e32 v16, 0x400, v0
	v_mov_b32_e32 v17, 0xff800000
	v_cmp_gt_i32_e64 s17, s42, v16
	v_mov_b32_e32 v16, 0xff800000
	s_and_b32 s53, s34, s17
	s_and_saveexec_b32 s1, s53
	s_cbranch_execz .LBB742_36
; %bb.35:
	v_add_co_u32 v18, s0, 0x800, v34
	v_add_co_ci_u32_e64 v19, null, 0, v35, s0
	global_load_ushort v16, v[18:19], off
	s_waitcnt vmcnt(0)
	v_cvt_f32_f16_e32 v16, v16
.LBB742_36:
	s_or_b32 exec_lo, exec_lo, s1
	v_add_nc_u32_e32 v18, 0x440, v0
	v_cmp_gt_i32_e64 s16, s42, v18
	s_and_b32 s52, s34, s16
	s_and_saveexec_b32 s1, s52
	s_cbranch_execz .LBB742_38
; %bb.37:
	v_add_co_u32 v17, s0, 0x800, v34
	v_add_co_ci_u32_e64 v18, null, 0, v35, s0
	global_load_ushort v17, v[17:18], off offset:128
	s_waitcnt vmcnt(0)
	v_cvt_f32_f16_e32 v17, v17
.LBB742_38:
	s_or_b32 exec_lo, exec_lo, s1
	v_add_nc_u32_e32 v18, 0x480, v0
	v_mov_b32_e32 v19, 0xff800000
	v_cmp_gt_i32_e64 s15, s42, v18
	v_mov_b32_e32 v18, 0xff800000
	s_and_b32 s51, s34, s15
	s_and_saveexec_b32 s1, s51
	s_cbranch_execz .LBB742_40
; %bb.39:
	v_add_co_u32 v20, s0, 0x800, v34
	v_add_co_ci_u32_e64 v21, null, 0, v35, s0
	global_load_ushort v18, v[20:21], off offset:256
	s_waitcnt vmcnt(0)
	v_cvt_f32_f16_e32 v18, v18
.LBB742_40:
	s_or_b32 exec_lo, exec_lo, s1
	v_add_nc_u32_e32 v20, 0x4c0, v0
	v_cmp_gt_i32_e64 s14, s42, v20
	s_and_b32 s50, s34, s14
	s_and_saveexec_b32 s1, s50
	s_cbranch_execz .LBB742_42
; %bb.41:
	v_add_co_u32 v19, s0, 0x800, v34
	v_add_co_ci_u32_e64 v20, null, 0, v35, s0
	global_load_ushort v19, v[19:20], off offset:384
	s_waitcnt vmcnt(0)
	v_cvt_f32_f16_e32 v19, v19
.LBB742_42:
	s_or_b32 exec_lo, exec_lo, s1
	v_add_nc_u32_e32 v20, 0x500, v0
	v_mov_b32_e32 v21, 0xff800000
	v_cmp_gt_i32_e64 s13, s42, v20
	v_mov_b32_e32 v20, 0xff800000
	s_and_b32 s49, s34, s13
	s_and_saveexec_b32 s1, s49
	s_cbranch_execz .LBB742_44
; %bb.43:
	v_add_co_u32 v22, s0, 0x800, v34
	v_add_co_ci_u32_e64 v23, null, 0, v35, s0
	global_load_ushort v20, v[22:23], off offset:512
	s_waitcnt vmcnt(0)
	v_cvt_f32_f16_e32 v20, v20
.LBB742_44:
	;; [unrolled: 28-line block ×7, first 2 shown]
	s_or_b32 exec_lo, exec_lo, s35
	v_add_nc_u32_e32 v0, 0x7c0, v0
	v_cmp_gt_i32_e64 s0, s42, v0
	s_and_b32 s35, s34, s0
	s_and_saveexec_b32 s42, s35
	s_cbranch_execz .LBB742_66
; %bb.65:
	v_add_co_u32 v34, s34, 0x800, v34
	v_add_co_ci_u32_e64 v35, null, 0, v35, s34
	global_load_ushort v0, v[34:35], off offset:1920
	s_waitcnt vmcnt(0)
	v_cvt_f32_f16_e32 v31, v0
.LBB742_66:
	s_or_b32 exec_lo, exec_lo, s42
	s_load_dwordx2 s[4:5], s[4:5], 0x20
	s_waitcnt lgkmcnt(0)
	v_add_co_u32 v98, s4, s4, v32
	v_add_co_ci_u32_e64 v99, null, s5, v33, s4
	s_mov_b32 s5, 0
	s_and_saveexec_b32 s34, s68
	s_cbranch_execz .LBB742_128
; %bb.67:
	global_load_ubyte v0, v[98:99], off
	s_waitcnt vmcnt(0)
	v_and_b32_e32 v0, 1, v0
	v_cmp_eq_u32_e64 s4, 1, v0
	s_xor_b32 s4, s4, -1
	s_and_b32 s5, s4, exec_lo
	s_or_b32 exec_lo, exec_lo, s34
	v_mov_b32_e32 v0, v1
	s_and_saveexec_b32 s34, s69
	s_cbranch_execnz .LBB742_129
.LBB742_68:
	s_or_b32 exec_lo, exec_lo, s34
	s_and_saveexec_b32 s34, s67
	s_cbranch_execz .LBB742_132
.LBB742_69:
	global_load_ubyte v32, v[98:99], off offset:128
	s_waitcnt vmcnt(0)
	v_and_b32_e32 v32, 1, v32
	v_cmp_eq_u32_e64 s4, 1, v32
	s_xor_b32 s70, s4, -1
	s_mov_b32 s4, s5
	s_and_saveexec_b32 s42, s70
; %bb.70:
	v_cmp_gt_f32_e64 s4, v0, v2
	s_and_b32 s4, s5, s4
	v_cndmask_b32_e64 v0, v2, v0, s4
	s_or_b32 s4, s5, exec_lo
; %bb.71:
	s_or_b32 exec_lo, exec_lo, s42
	s_andn2_b32 s5, s5, exec_lo
	s_and_b32 s4, s4, exec_lo
	s_or_b32 s5, s5, s4
	s_or_b32 exec_lo, exec_lo, s34
	s_and_saveexec_b32 s34, s66
	s_cbranch_execnz .LBB742_133
.LBB742_72:
	s_or_b32 exec_lo, exec_lo, s34
	s_and_saveexec_b32 s34, s65
	s_cbranch_execz .LBB742_136
.LBB742_73:
	global_load_ubyte v32, v[98:99], off offset:256
	s_waitcnt vmcnt(0)
	v_and_b32_e32 v32, 1, v32
	v_cmp_eq_u32_e64 s4, 1, v32
	s_xor_b32 s70, s4, -1
	s_mov_b32 s4, s5
	s_and_saveexec_b32 s42, s70
; %bb.74:
	v_cmp_gt_f32_e64 s4, v0, v4
	s_and_b32 s4, s5, s4
	v_cndmask_b32_e64 v0, v4, v0, s4
	s_or_b32 s4, s5, exec_lo
; %bb.75:
	s_or_b32 exec_lo, exec_lo, s42
	s_andn2_b32 s5, s5, exec_lo
	s_and_b32 s4, s4, exec_lo
	s_or_b32 s5, s5, s4
	s_or_b32 exec_lo, exec_lo, s34
	s_and_saveexec_b32 s34, s64
	s_cbranch_execnz .LBB742_137
.LBB742_76:
	s_or_b32 exec_lo, exec_lo, s34
	s_and_saveexec_b32 s34, s63
	s_cbranch_execz .LBB742_140
.LBB742_77:
	global_load_ubyte v32, v[98:99], off offset:384
	s_waitcnt vmcnt(0)
	v_and_b32_e32 v32, 1, v32
	v_cmp_eq_u32_e64 s4, 1, v32
	s_xor_b32 s70, s4, -1
	s_mov_b32 s4, s5
	s_and_saveexec_b32 s42, s70
; %bb.78:
	v_cmp_gt_f32_e64 s4, v0, v6
	s_and_b32 s4, s5, s4
	v_cndmask_b32_e64 v0, v6, v0, s4
	s_or_b32 s4, s5, exec_lo
; %bb.79:
	s_or_b32 exec_lo, exec_lo, s42
	s_andn2_b32 s5, s5, exec_lo
	s_and_b32 s4, s4, exec_lo
	s_or_b32 s5, s5, s4
	s_or_b32 exec_lo, exec_lo, s34
	s_and_saveexec_b32 s34, s62
	s_cbranch_execnz .LBB742_141
.LBB742_80:
	s_or_b32 exec_lo, exec_lo, s34
	s_and_saveexec_b32 s34, s61
	s_cbranch_execz .LBB742_144
.LBB742_81:
	global_load_ubyte v32, v[98:99], off offset:512
	s_waitcnt vmcnt(0)
	v_and_b32_e32 v32, 1, v32
	v_cmp_eq_u32_e64 s4, 1, v32
	s_xor_b32 s70, s4, -1
	s_mov_b32 s4, s5
	s_and_saveexec_b32 s42, s70
; %bb.82:
	v_cmp_gt_f32_e64 s4, v0, v8
	s_and_b32 s4, s5, s4
	v_cndmask_b32_e64 v0, v8, v0, s4
	s_or_b32 s4, s5, exec_lo
; %bb.83:
	s_or_b32 exec_lo, exec_lo, s42
	s_andn2_b32 s5, s5, exec_lo
	s_and_b32 s4, s4, exec_lo
	s_or_b32 s5, s5, s4
	s_or_b32 exec_lo, exec_lo, s34
	s_and_saveexec_b32 s34, s60
	s_cbranch_execnz .LBB742_145
.LBB742_84:
	s_or_b32 exec_lo, exec_lo, s34
	s_and_saveexec_b32 s34, s59
	s_cbranch_execz .LBB742_148
.LBB742_85:
	global_load_ubyte v32, v[98:99], off offset:640
	s_waitcnt vmcnt(0)
	v_and_b32_e32 v32, 1, v32
	v_cmp_eq_u32_e64 s4, 1, v32
	s_xor_b32 s70, s4, -1
	s_mov_b32 s4, s5
	s_and_saveexec_b32 s42, s70
; %bb.86:
	v_cmp_gt_f32_e64 s4, v0, v10
	s_and_b32 s4, s5, s4
	v_cndmask_b32_e64 v0, v10, v0, s4
	s_or_b32 s4, s5, exec_lo
; %bb.87:
	s_or_b32 exec_lo, exec_lo, s42
	s_andn2_b32 s5, s5, exec_lo
	s_and_b32 s4, s4, exec_lo
	s_or_b32 s5, s5, s4
	s_or_b32 exec_lo, exec_lo, s34
	s_and_saveexec_b32 s34, s58
	s_cbranch_execnz .LBB742_149
.LBB742_88:
	s_or_b32 exec_lo, exec_lo, s34
	s_and_saveexec_b32 s34, s57
	s_cbranch_execz .LBB742_152
.LBB742_89:
	global_load_ubyte v32, v[98:99], off offset:768
	s_waitcnt vmcnt(0)
	v_and_b32_e32 v32, 1, v32
	v_cmp_eq_u32_e64 s4, 1, v32
	s_xor_b32 s70, s4, -1
	s_mov_b32 s4, s5
	s_and_saveexec_b32 s42, s70
; %bb.90:
	v_cmp_gt_f32_e64 s4, v0, v12
	s_and_b32 s4, s5, s4
	v_cndmask_b32_e64 v0, v12, v0, s4
	s_or_b32 s4, s5, exec_lo
; %bb.91:
	s_or_b32 exec_lo, exec_lo, s42
	s_andn2_b32 s5, s5, exec_lo
	s_and_b32 s4, s4, exec_lo
	s_or_b32 s5, s5, s4
	s_or_b32 exec_lo, exec_lo, s34
	s_and_saveexec_b32 s34, s56
	s_cbranch_execnz .LBB742_153
.LBB742_92:
	s_or_b32 exec_lo, exec_lo, s34
	s_and_saveexec_b32 s34, s55
	s_cbranch_execz .LBB742_156
.LBB742_93:
	global_load_ubyte v32, v[98:99], off offset:896
	s_waitcnt vmcnt(0)
	v_and_b32_e32 v32, 1, v32
	v_cmp_eq_u32_e64 s4, 1, v32
	s_xor_b32 s70, s4, -1
	s_mov_b32 s4, s5
	s_and_saveexec_b32 s42, s70
; %bb.94:
	v_cmp_gt_f32_e64 s4, v0, v14
	s_and_b32 s4, s5, s4
	v_cndmask_b32_e64 v0, v14, v0, s4
	s_or_b32 s4, s5, exec_lo
; %bb.95:
	s_or_b32 exec_lo, exec_lo, s42
	s_andn2_b32 s5, s5, exec_lo
	s_and_b32 s4, s4, exec_lo
	s_or_b32 s5, s5, s4
	s_or_b32 exec_lo, exec_lo, s34
	s_and_saveexec_b32 s34, s54
	s_cbranch_execnz .LBB742_157
.LBB742_96:
	s_or_b32 exec_lo, exec_lo, s34
	s_and_saveexec_b32 s34, s53
	s_cbranch_execz .LBB742_160
.LBB742_97:
	global_load_ubyte v32, v[98:99], off offset:1024
	s_waitcnt vmcnt(0)
	v_and_b32_e32 v32, 1, v32
	v_cmp_eq_u32_e64 s4, 1, v32
	s_xor_b32 s70, s4, -1
	s_mov_b32 s4, s5
	s_and_saveexec_b32 s42, s70
; %bb.98:
	v_cmp_gt_f32_e64 s4, v0, v16
	s_and_b32 s4, s5, s4
	v_cndmask_b32_e64 v0, v16, v0, s4
	s_or_b32 s4, s5, exec_lo
; %bb.99:
	s_or_b32 exec_lo, exec_lo, s42
	s_andn2_b32 s5, s5, exec_lo
	s_and_b32 s4, s4, exec_lo
	s_or_b32 s5, s5, s4
	s_or_b32 exec_lo, exec_lo, s34
	s_and_saveexec_b32 s34, s52
	s_cbranch_execnz .LBB742_161
.LBB742_100:
	s_or_b32 exec_lo, exec_lo, s34
	s_and_saveexec_b32 s34, s51
	s_cbranch_execz .LBB742_164
.LBB742_101:
	global_load_ubyte v32, v[98:99], off offset:1152
	s_waitcnt vmcnt(0)
	v_and_b32_e32 v32, 1, v32
	v_cmp_eq_u32_e64 s4, 1, v32
	s_xor_b32 s70, s4, -1
	s_mov_b32 s4, s5
	s_and_saveexec_b32 s42, s70
; %bb.102:
	v_cmp_gt_f32_e64 s4, v0, v18
	s_and_b32 s4, s5, s4
	v_cndmask_b32_e64 v0, v18, v0, s4
	s_or_b32 s4, s5, exec_lo
; %bb.103:
	s_or_b32 exec_lo, exec_lo, s42
	s_andn2_b32 s5, s5, exec_lo
	s_and_b32 s4, s4, exec_lo
	s_or_b32 s5, s5, s4
	s_or_b32 exec_lo, exec_lo, s34
	s_and_saveexec_b32 s34, s50
	s_cbranch_execnz .LBB742_165
.LBB742_104:
	s_or_b32 exec_lo, exec_lo, s34
	s_and_saveexec_b32 s34, s49
	s_cbranch_execz .LBB742_168
.LBB742_105:
	global_load_ubyte v32, v[98:99], off offset:1280
	s_waitcnt vmcnt(0)
	v_and_b32_e32 v32, 1, v32
	v_cmp_eq_u32_e64 s4, 1, v32
	s_xor_b32 s70, s4, -1
	s_mov_b32 s4, s5
	s_and_saveexec_b32 s42, s70
; %bb.106:
	v_cmp_gt_f32_e64 s4, v0, v20
	s_and_b32 s4, s5, s4
	v_cndmask_b32_e64 v0, v20, v0, s4
	s_or_b32 s4, s5, exec_lo
; %bb.107:
	s_or_b32 exec_lo, exec_lo, s42
	s_andn2_b32 s5, s5, exec_lo
	s_and_b32 s4, s4, exec_lo
	s_or_b32 s5, s5, s4
	s_or_b32 exec_lo, exec_lo, s34
	s_and_saveexec_b32 s34, s48
	s_cbranch_execnz .LBB742_169
.LBB742_108:
	s_or_b32 exec_lo, exec_lo, s34
	s_and_saveexec_b32 s34, s47
	s_cbranch_execz .LBB742_172
.LBB742_109:
	global_load_ubyte v32, v[98:99], off offset:1408
	s_waitcnt vmcnt(0)
	v_and_b32_e32 v32, 1, v32
	v_cmp_eq_u32_e64 s4, 1, v32
	s_xor_b32 s70, s4, -1
	s_mov_b32 s4, s5
	s_and_saveexec_b32 s42, s70
; %bb.110:
	v_cmp_gt_f32_e64 s4, v0, v22
	s_and_b32 s4, s5, s4
	v_cndmask_b32_e64 v0, v22, v0, s4
	s_or_b32 s4, s5, exec_lo
; %bb.111:
	s_or_b32 exec_lo, exec_lo, s42
	s_andn2_b32 s5, s5, exec_lo
	s_and_b32 s4, s4, exec_lo
	s_or_b32 s5, s5, s4
	s_or_b32 exec_lo, exec_lo, s34
	s_and_saveexec_b32 s34, s46
	s_cbranch_execnz .LBB742_173
.LBB742_112:
	s_or_b32 exec_lo, exec_lo, s34
	s_and_saveexec_b32 s34, s45
	s_cbranch_execz .LBB742_176
.LBB742_113:
	global_load_ubyte v32, v[98:99], off offset:1536
	s_waitcnt vmcnt(0)
	v_and_b32_e32 v32, 1, v32
	v_cmp_eq_u32_e64 s4, 1, v32
	s_xor_b32 s70, s4, -1
	s_mov_b32 s4, s5
	s_and_saveexec_b32 s42, s70
; %bb.114:
	v_cmp_gt_f32_e64 s4, v0, v24
	s_and_b32 s4, s5, s4
	v_cndmask_b32_e64 v0, v24, v0, s4
	s_or_b32 s4, s5, exec_lo
; %bb.115:
	s_or_b32 exec_lo, exec_lo, s42
	s_andn2_b32 s5, s5, exec_lo
	s_and_b32 s4, s4, exec_lo
	s_or_b32 s5, s5, s4
	s_or_b32 exec_lo, exec_lo, s34
	s_and_saveexec_b32 s34, s44
	s_cbranch_execnz .LBB742_177
.LBB742_116:
	s_or_b32 exec_lo, exec_lo, s34
	s_and_saveexec_b32 s34, s43
	s_cbranch_execz .LBB742_180
.LBB742_117:
	global_load_ubyte v32, v[98:99], off offset:1664
	s_waitcnt vmcnt(0)
	v_and_b32_e32 v32, 1, v32
	v_cmp_eq_u32_e64 s4, 1, v32
	s_xor_b32 s70, s4, -1
	s_mov_b32 s4, s5
	s_and_saveexec_b32 s42, s70
; %bb.118:
	v_cmp_gt_f32_e64 s4, v0, v26
	s_and_b32 s4, s5, s4
	v_cndmask_b32_e64 v0, v26, v0, s4
	s_or_b32 s4, s5, exec_lo
; %bb.119:
	s_or_b32 exec_lo, exec_lo, s42
	s_andn2_b32 s5, s5, exec_lo
	s_and_b32 s4, s4, exec_lo
	s_or_b32 s5, s5, s4
	s_or_b32 exec_lo, exec_lo, s34
	s_and_saveexec_b32 s34, s41
	s_cbranch_execnz .LBB742_181
.LBB742_120:
	s_or_b32 exec_lo, exec_lo, s34
	s_and_saveexec_b32 s34, s40
	s_cbranch_execz .LBB742_184
.LBB742_121:
	global_load_ubyte v32, v[98:99], off offset:1792
	s_waitcnt vmcnt(0)
	v_and_b32_e32 v32, 1, v32
	v_cmp_eq_u32_e64 s4, 1, v32
	s_xor_b32 s70, s4, -1
	s_mov_b32 s4, s5
	s_and_saveexec_b32 s42, s70
; %bb.122:
	v_cmp_gt_f32_e64 s4, v0, v28
	s_and_b32 s4, s5, s4
	v_cndmask_b32_e64 v0, v28, v0, s4
	s_or_b32 s4, s5, exec_lo
; %bb.123:
	s_or_b32 exec_lo, exec_lo, s42
	s_andn2_b32 s5, s5, exec_lo
	s_and_b32 s4, s4, exec_lo
	s_or_b32 s5, s5, s4
	s_or_b32 exec_lo, exec_lo, s34
	s_and_saveexec_b32 s34, s39
	s_cbranch_execnz .LBB742_185
.LBB742_124:
	s_or_b32 exec_lo, exec_lo, s34
	s_and_saveexec_b32 s34, s38
	s_cbranch_execz .LBB742_188
.LBB742_125:
	global_load_ubyte v32, v[98:99], off offset:1920
	s_waitcnt vmcnt(0)
	v_and_b32_e32 v32, 1, v32
	v_cmp_eq_u32_e64 s4, 1, v32
	s_xor_b32 s70, s4, -1
	s_mov_b32 s4, s5
	s_and_saveexec_b32 s42, s70
; %bb.126:
	v_cmp_gt_f32_e64 s4, v0, v30
	s_and_b32 s4, s5, s4
	v_cndmask_b32_e64 v0, v30, v0, s4
	s_or_b32 s4, s5, exec_lo
; %bb.127:
	s_or_b32 exec_lo, exec_lo, s42
	s_andn2_b32 s5, s5, exec_lo
	s_and_b32 s4, s4, exec_lo
	s_or_b32 s5, s5, s4
	s_or_b32 exec_lo, exec_lo, s34
	s_and_saveexec_b32 s34, s35
	s_cbranch_execz .LBB742_192
	s_branch .LBB742_189
.LBB742_128:
	s_or_b32 exec_lo, exec_lo, s34
	v_mov_b32_e32 v0, v1
	s_and_saveexec_b32 s34, s69
	s_cbranch_execz .LBB742_68
.LBB742_129:
	global_load_ubyte v0, v[98:99], off offset:64
	s_waitcnt vmcnt(0)
	v_and_b32_e32 v0, 1, v0
	v_cmp_eq_u32_e64 s4, 1, v0
	v_mov_b32_e32 v0, v1
	s_xor_b32 s70, s4, -1
	s_mov_b32 s4, s5
	s_and_saveexec_b32 s42, s70
; %bb.130:
	v_cmp_gt_f32_e64 s4, v1, v64
	s_and_b32 s4, s5, s4
	v_cndmask_b32_e64 v0, v64, v1, s4
	s_or_b32 s4, s5, exec_lo
; %bb.131:
	s_or_b32 exec_lo, exec_lo, s42
	s_andn2_b32 s5, s5, exec_lo
	s_and_b32 s4, s4, exec_lo
	s_or_b32 s5, s5, s4
	s_or_b32 exec_lo, exec_lo, s34
	s_and_saveexec_b32 s34, s67
	s_cbranch_execnz .LBB742_69
.LBB742_132:
	s_or_b32 exec_lo, exec_lo, s34
	s_and_saveexec_b32 s34, s66
	s_cbranch_execz .LBB742_72
.LBB742_133:
	global_load_ubyte v32, v[98:99], off offset:192
	s_waitcnt vmcnt(0)
	v_and_b32_e32 v32, 1, v32
	v_cmp_eq_u32_e64 s4, 1, v32
	s_xor_b32 s70, s4, -1
	s_mov_b32 s4, s5
	s_and_saveexec_b32 s42, s70
; %bb.134:
	v_cmp_gt_f32_e64 s4, v0, v3
	s_and_b32 s4, s5, s4
	v_cndmask_b32_e64 v0, v3, v0, s4
	s_or_b32 s4, s5, exec_lo
; %bb.135:
	s_or_b32 exec_lo, exec_lo, s42
	s_andn2_b32 s5, s5, exec_lo
	s_and_b32 s4, s4, exec_lo
	s_or_b32 s5, s5, s4
	s_or_b32 exec_lo, exec_lo, s34
	s_and_saveexec_b32 s34, s65
	s_cbranch_execnz .LBB742_73
.LBB742_136:
	s_or_b32 exec_lo, exec_lo, s34
	s_and_saveexec_b32 s34, s64
	s_cbranch_execz .LBB742_76
.LBB742_137:
	global_load_ubyte v32, v[98:99], off offset:320
	s_waitcnt vmcnt(0)
	v_and_b32_e32 v32, 1, v32
	v_cmp_eq_u32_e64 s4, 1, v32
	s_xor_b32 s70, s4, -1
	s_mov_b32 s4, s5
	s_and_saveexec_b32 s42, s70
; %bb.138:
	v_cmp_gt_f32_e64 s4, v0, v5
	s_and_b32 s4, s5, s4
	v_cndmask_b32_e64 v0, v5, v0, s4
	s_or_b32 s4, s5, exec_lo
; %bb.139:
	s_or_b32 exec_lo, exec_lo, s42
	s_andn2_b32 s5, s5, exec_lo
	s_and_b32 s4, s4, exec_lo
	s_or_b32 s5, s5, s4
	s_or_b32 exec_lo, exec_lo, s34
	s_and_saveexec_b32 s34, s63
	s_cbranch_execnz .LBB742_77
.LBB742_140:
	s_or_b32 exec_lo, exec_lo, s34
	s_and_saveexec_b32 s34, s62
	s_cbranch_execz .LBB742_80
.LBB742_141:
	global_load_ubyte v32, v[98:99], off offset:448
	s_waitcnt vmcnt(0)
	v_and_b32_e32 v32, 1, v32
	v_cmp_eq_u32_e64 s4, 1, v32
	s_xor_b32 s70, s4, -1
	s_mov_b32 s4, s5
	s_and_saveexec_b32 s42, s70
; %bb.142:
	v_cmp_gt_f32_e64 s4, v0, v7
	s_and_b32 s4, s5, s4
	v_cndmask_b32_e64 v0, v7, v0, s4
	s_or_b32 s4, s5, exec_lo
; %bb.143:
	s_or_b32 exec_lo, exec_lo, s42
	s_andn2_b32 s5, s5, exec_lo
	s_and_b32 s4, s4, exec_lo
	s_or_b32 s5, s5, s4
	s_or_b32 exec_lo, exec_lo, s34
	s_and_saveexec_b32 s34, s61
	s_cbranch_execnz .LBB742_81
.LBB742_144:
	s_or_b32 exec_lo, exec_lo, s34
	s_and_saveexec_b32 s34, s60
	s_cbranch_execz .LBB742_84
.LBB742_145:
	global_load_ubyte v32, v[98:99], off offset:576
	s_waitcnt vmcnt(0)
	v_and_b32_e32 v32, 1, v32
	v_cmp_eq_u32_e64 s4, 1, v32
	s_xor_b32 s70, s4, -1
	s_mov_b32 s4, s5
	s_and_saveexec_b32 s42, s70
; %bb.146:
	v_cmp_gt_f32_e64 s4, v0, v9
	s_and_b32 s4, s5, s4
	v_cndmask_b32_e64 v0, v9, v0, s4
	s_or_b32 s4, s5, exec_lo
; %bb.147:
	s_or_b32 exec_lo, exec_lo, s42
	s_andn2_b32 s5, s5, exec_lo
	s_and_b32 s4, s4, exec_lo
	s_or_b32 s5, s5, s4
	s_or_b32 exec_lo, exec_lo, s34
	s_and_saveexec_b32 s34, s59
	s_cbranch_execnz .LBB742_85
.LBB742_148:
	s_or_b32 exec_lo, exec_lo, s34
	s_and_saveexec_b32 s34, s58
	s_cbranch_execz .LBB742_88
.LBB742_149:
	global_load_ubyte v32, v[98:99], off offset:704
	s_waitcnt vmcnt(0)
	v_and_b32_e32 v32, 1, v32
	v_cmp_eq_u32_e64 s4, 1, v32
	s_xor_b32 s70, s4, -1
	s_mov_b32 s4, s5
	s_and_saveexec_b32 s42, s70
; %bb.150:
	v_cmp_gt_f32_e64 s4, v0, v11
	s_and_b32 s4, s5, s4
	v_cndmask_b32_e64 v0, v11, v0, s4
	s_or_b32 s4, s5, exec_lo
; %bb.151:
	s_or_b32 exec_lo, exec_lo, s42
	s_andn2_b32 s5, s5, exec_lo
	s_and_b32 s4, s4, exec_lo
	s_or_b32 s5, s5, s4
	s_or_b32 exec_lo, exec_lo, s34
	s_and_saveexec_b32 s34, s57
	s_cbranch_execnz .LBB742_89
.LBB742_152:
	s_or_b32 exec_lo, exec_lo, s34
	s_and_saveexec_b32 s34, s56
	s_cbranch_execz .LBB742_92
.LBB742_153:
	global_load_ubyte v32, v[98:99], off offset:832
	s_waitcnt vmcnt(0)
	v_and_b32_e32 v32, 1, v32
	v_cmp_eq_u32_e64 s4, 1, v32
	s_xor_b32 s70, s4, -1
	s_mov_b32 s4, s5
	s_and_saveexec_b32 s42, s70
; %bb.154:
	v_cmp_gt_f32_e64 s4, v0, v13
	s_and_b32 s4, s5, s4
	v_cndmask_b32_e64 v0, v13, v0, s4
	s_or_b32 s4, s5, exec_lo
; %bb.155:
	s_or_b32 exec_lo, exec_lo, s42
	s_andn2_b32 s5, s5, exec_lo
	s_and_b32 s4, s4, exec_lo
	s_or_b32 s5, s5, s4
	s_or_b32 exec_lo, exec_lo, s34
	s_and_saveexec_b32 s34, s55
	s_cbranch_execnz .LBB742_93
.LBB742_156:
	s_or_b32 exec_lo, exec_lo, s34
	s_and_saveexec_b32 s34, s54
	s_cbranch_execz .LBB742_96
.LBB742_157:
	global_load_ubyte v32, v[98:99], off offset:960
	s_waitcnt vmcnt(0)
	v_and_b32_e32 v32, 1, v32
	v_cmp_eq_u32_e64 s4, 1, v32
	s_xor_b32 s70, s4, -1
	s_mov_b32 s4, s5
	s_and_saveexec_b32 s42, s70
; %bb.158:
	v_cmp_gt_f32_e64 s4, v0, v15
	s_and_b32 s4, s5, s4
	v_cndmask_b32_e64 v0, v15, v0, s4
	s_or_b32 s4, s5, exec_lo
; %bb.159:
	s_or_b32 exec_lo, exec_lo, s42
	s_andn2_b32 s5, s5, exec_lo
	s_and_b32 s4, s4, exec_lo
	s_or_b32 s5, s5, s4
	s_or_b32 exec_lo, exec_lo, s34
	s_and_saveexec_b32 s34, s53
	s_cbranch_execnz .LBB742_97
.LBB742_160:
	s_or_b32 exec_lo, exec_lo, s34
	s_and_saveexec_b32 s34, s52
	s_cbranch_execz .LBB742_100
.LBB742_161:
	global_load_ubyte v32, v[98:99], off offset:1088
	s_waitcnt vmcnt(0)
	v_and_b32_e32 v32, 1, v32
	v_cmp_eq_u32_e64 s4, 1, v32
	s_xor_b32 s70, s4, -1
	s_mov_b32 s4, s5
	s_and_saveexec_b32 s42, s70
; %bb.162:
	v_cmp_gt_f32_e64 s4, v0, v17
	s_and_b32 s4, s5, s4
	v_cndmask_b32_e64 v0, v17, v0, s4
	s_or_b32 s4, s5, exec_lo
; %bb.163:
	s_or_b32 exec_lo, exec_lo, s42
	s_andn2_b32 s5, s5, exec_lo
	s_and_b32 s4, s4, exec_lo
	s_or_b32 s5, s5, s4
	s_or_b32 exec_lo, exec_lo, s34
	s_and_saveexec_b32 s34, s51
	s_cbranch_execnz .LBB742_101
.LBB742_164:
	s_or_b32 exec_lo, exec_lo, s34
	s_and_saveexec_b32 s34, s50
	s_cbranch_execz .LBB742_104
.LBB742_165:
	global_load_ubyte v32, v[98:99], off offset:1216
	s_waitcnt vmcnt(0)
	v_and_b32_e32 v32, 1, v32
	v_cmp_eq_u32_e64 s4, 1, v32
	s_xor_b32 s70, s4, -1
	s_mov_b32 s4, s5
	s_and_saveexec_b32 s42, s70
; %bb.166:
	v_cmp_gt_f32_e64 s4, v0, v19
	s_and_b32 s4, s5, s4
	v_cndmask_b32_e64 v0, v19, v0, s4
	s_or_b32 s4, s5, exec_lo
; %bb.167:
	s_or_b32 exec_lo, exec_lo, s42
	s_andn2_b32 s5, s5, exec_lo
	s_and_b32 s4, s4, exec_lo
	s_or_b32 s5, s5, s4
	s_or_b32 exec_lo, exec_lo, s34
	s_and_saveexec_b32 s34, s49
	s_cbranch_execnz .LBB742_105
.LBB742_168:
	s_or_b32 exec_lo, exec_lo, s34
	s_and_saveexec_b32 s34, s48
	s_cbranch_execz .LBB742_108
.LBB742_169:
	global_load_ubyte v32, v[98:99], off offset:1344
	s_waitcnt vmcnt(0)
	v_and_b32_e32 v32, 1, v32
	v_cmp_eq_u32_e64 s4, 1, v32
	s_xor_b32 s70, s4, -1
	s_mov_b32 s4, s5
	s_and_saveexec_b32 s42, s70
; %bb.170:
	v_cmp_gt_f32_e64 s4, v0, v21
	s_and_b32 s4, s5, s4
	v_cndmask_b32_e64 v0, v21, v0, s4
	s_or_b32 s4, s5, exec_lo
; %bb.171:
	s_or_b32 exec_lo, exec_lo, s42
	s_andn2_b32 s5, s5, exec_lo
	s_and_b32 s4, s4, exec_lo
	s_or_b32 s5, s5, s4
	s_or_b32 exec_lo, exec_lo, s34
	s_and_saveexec_b32 s34, s47
	s_cbranch_execnz .LBB742_109
.LBB742_172:
	s_or_b32 exec_lo, exec_lo, s34
	s_and_saveexec_b32 s34, s46
	s_cbranch_execz .LBB742_112
.LBB742_173:
	global_load_ubyte v32, v[98:99], off offset:1472
	s_waitcnt vmcnt(0)
	v_and_b32_e32 v32, 1, v32
	v_cmp_eq_u32_e64 s4, 1, v32
	s_xor_b32 s70, s4, -1
	s_mov_b32 s4, s5
	s_and_saveexec_b32 s42, s70
; %bb.174:
	v_cmp_gt_f32_e64 s4, v0, v23
	s_and_b32 s4, s5, s4
	v_cndmask_b32_e64 v0, v23, v0, s4
	s_or_b32 s4, s5, exec_lo
; %bb.175:
	s_or_b32 exec_lo, exec_lo, s42
	s_andn2_b32 s5, s5, exec_lo
	s_and_b32 s4, s4, exec_lo
	s_or_b32 s5, s5, s4
	s_or_b32 exec_lo, exec_lo, s34
	s_and_saveexec_b32 s34, s45
	s_cbranch_execnz .LBB742_113
.LBB742_176:
	s_or_b32 exec_lo, exec_lo, s34
	s_and_saveexec_b32 s34, s44
	s_cbranch_execz .LBB742_116
.LBB742_177:
	global_load_ubyte v32, v[98:99], off offset:1600
	s_waitcnt vmcnt(0)
	v_and_b32_e32 v32, 1, v32
	v_cmp_eq_u32_e64 s4, 1, v32
	s_xor_b32 s70, s4, -1
	s_mov_b32 s4, s5
	s_and_saveexec_b32 s42, s70
; %bb.178:
	v_cmp_gt_f32_e64 s4, v0, v25
	s_and_b32 s4, s5, s4
	v_cndmask_b32_e64 v0, v25, v0, s4
	s_or_b32 s4, s5, exec_lo
; %bb.179:
	s_or_b32 exec_lo, exec_lo, s42
	s_andn2_b32 s5, s5, exec_lo
	s_and_b32 s4, s4, exec_lo
	s_or_b32 s5, s5, s4
	s_or_b32 exec_lo, exec_lo, s34
	s_and_saveexec_b32 s34, s43
	s_cbranch_execnz .LBB742_117
.LBB742_180:
	s_or_b32 exec_lo, exec_lo, s34
	s_and_saveexec_b32 s34, s41
	s_cbranch_execz .LBB742_120
.LBB742_181:
	global_load_ubyte v32, v[98:99], off offset:1728
	s_waitcnt vmcnt(0)
	v_and_b32_e32 v32, 1, v32
	v_cmp_eq_u32_e64 s4, 1, v32
	s_xor_b32 s70, s4, -1
	s_mov_b32 s4, s5
	s_and_saveexec_b32 s42, s70
; %bb.182:
	v_cmp_gt_f32_e64 s4, v0, v27
	s_and_b32 s4, s5, s4
	v_cndmask_b32_e64 v0, v27, v0, s4
	s_or_b32 s4, s5, exec_lo
; %bb.183:
	s_or_b32 exec_lo, exec_lo, s42
	s_andn2_b32 s5, s5, exec_lo
	s_and_b32 s4, s4, exec_lo
	s_or_b32 s5, s5, s4
	s_or_b32 exec_lo, exec_lo, s34
	s_and_saveexec_b32 s34, s40
	s_cbranch_execnz .LBB742_121
.LBB742_184:
	s_or_b32 exec_lo, exec_lo, s34
	s_and_saveexec_b32 s34, s39
	s_cbranch_execz .LBB742_124
.LBB742_185:
	global_load_ubyte v32, v[98:99], off offset:1856
	s_waitcnt vmcnt(0)
	v_and_b32_e32 v32, 1, v32
	v_cmp_eq_u32_e64 s4, 1, v32
	s_xor_b32 s70, s4, -1
	s_mov_b32 s4, s5
	s_and_saveexec_b32 s42, s70
; %bb.186:
	v_cmp_gt_f32_e64 s4, v0, v29
	s_and_b32 s4, s5, s4
	v_cndmask_b32_e64 v0, v29, v0, s4
	s_or_b32 s4, s5, exec_lo
; %bb.187:
	s_or_b32 exec_lo, exec_lo, s42
	s_andn2_b32 s5, s5, exec_lo
	s_and_b32 s4, s4, exec_lo
	s_or_b32 s5, s5, s4
	s_or_b32 exec_lo, exec_lo, s34
	s_and_saveexec_b32 s34, s38
	s_cbranch_execnz .LBB742_125
.LBB742_188:
	s_or_b32 exec_lo, exec_lo, s34
	s_and_saveexec_b32 s34, s35
	s_cbranch_execz .LBB742_192
.LBB742_189:
	global_load_ubyte v32, v[98:99], off offset:1984
	s_waitcnt vmcnt(0)
	v_and_b32_e32 v32, 1, v32
	v_cmp_eq_u32_e64 s4, 1, v32
	s_xor_b32 s70, s4, -1
	s_mov_b32 s4, s5
	s_and_saveexec_b32 s42, s70
; %bb.190:
	v_cmp_gt_f32_e64 s4, v0, v31
	s_and_b32 s4, s5, s4
	v_cndmask_b32_e64 v0, v31, v0, s4
	s_or_b32 s4, s5, exec_lo
; %bb.191:
	s_or_b32 exec_lo, exec_lo, s42
	s_andn2_b32 s5, s5, exec_lo
	s_and_b32 s4, s4, exec_lo
	s_or_b32 s5, s5, s4
.LBB742_192:
	s_or_b32 exec_lo, exec_lo, s34
	v_mbcnt_lo_u32_b32 v32, -1, 0
	v_cndmask_b32_e64 v0, 0xff800000, v0, s5
	s_xor_b32 s5, s69, -1
	v_or_b32_e32 v33, 32, v32
	v_xor_b32_e32 v34, 16, v32
	v_cmp_gt_i32_e64 s4, 64, v33
	v_cndmask_b32_e64 v33, v32, v33, s4
	v_cmp_gt_i32_e64 s4, 64, v34
	v_lshlrev_b32_e32 v101, 2, v33
	v_cndmask_b32_e64 v34, v32, v34, s4
	ds_bpermute_b32 v33, v101, v0
	v_lshlrev_b32_e32 v102, 2, v34
	v_xor_b32_e32 v34, 8, v32
	s_waitcnt lgkmcnt(0)
	v_cmp_lt_f32_e64 s4, v0, v33
	v_cndmask_b32_e64 v0, v0, v33, s4
	v_cmp_gt_i32_e64 s4, 64, v34
	ds_bpermute_b32 v33, v102, v0
	v_cndmask_b32_e64 v34, v32, v34, s4
	v_lshlrev_b32_e32 v103, 2, v34
	v_xor_b32_e32 v34, 4, v32
	s_waitcnt lgkmcnt(0)
	v_cmp_lt_f32_e64 s4, v0, v33
	v_cndmask_b32_e64 v0, v0, v33, s4
	v_cmp_gt_i32_e64 s4, 64, v34
	ds_bpermute_b32 v33, v103, v0
	v_cndmask_b32_e64 v34, v32, v34, s4
	v_lshlrev_b32_e32 v104, 2, v34
	v_xor_b32_e32 v34, 2, v32
	s_waitcnt lgkmcnt(0)
	v_cmp_lt_f32_e64 s4, v0, v33
	v_cndmask_b32_e64 v0, v0, v33, s4
	v_cmp_gt_i32_e64 s4, 64, v34
	ds_bpermute_b32 v33, v104, v0
	v_cndmask_b32_e64 v34, v32, v34, s4
	v_lshlrev_b32_e32 v105, 2, v34
	v_xor_b32_e32 v34, 1, v32
	s_waitcnt lgkmcnt(0)
	v_cmp_lt_f32_e64 s4, v0, v33
	v_cndmask_b32_e64 v0, v0, v33, s4
	v_cmp_gt_i32_e64 s4, 64, v34
	ds_bpermute_b32 v33, v105, v0
	v_cndmask_b32_e64 v32, v32, v34, s4
	v_lshlrev_b32_e32 v106, 2, v32
	s_waitcnt lgkmcnt(0)
	v_cmp_lt_f32_e64 s4, v0, v33
	v_cndmask_b32_e64 v0, v0, v33, s4
	ds_bpermute_b32 v32, v106, v0
	s_waitcnt lgkmcnt(0)
	v_cmp_lt_f32_e64 s4, v0, v32
	v_cndmask_b32_e64 v107, v0, v32, s4
	v_mov_b32_e32 v0, 0
	s_and_saveexec_b32 s34, s68
	s_cbranch_execz .LBB742_196
; %bb.193:
	global_load_ubyte v0, v[98:99], off
	s_waitcnt vmcnt(0)
	v_and_b32_e32 v0, 1, v0
	v_cmp_eq_u32_e64 s4, 1, v0
	v_mov_b32_e32 v0, 0
	s_xor_b32 s4, s4, -1
	s_and_saveexec_b32 s42, s4
	s_cbranch_execz .LBB742_195
; %bb.194:
	v_sub_f32_e32 v0, v1, v107
	v_mul_f32_e32 v1, 0x3fb8aa3b, v0
	v_cmp_ngt_f32_e64 s4, 0xc2ce8ed0, v0
	v_fma_f32 v32, 0x3fb8aa3b, v0, -v1
	v_rndne_f32_e32 v33, v1
	v_fmamk_f32 v32, v0, 0x32a5705f, v32
	v_sub_f32_e32 v1, v1, v33
	v_add_f32_e32 v1, v1, v32
	v_cvt_i32_f32_e32 v32, v33
	v_exp_f32_e32 v1, v1
	v_ldexp_f32 v1, v1, v32
	v_cndmask_b32_e64 v1, 0, v1, s4
	v_cmp_nlt_f32_e64 s4, 0x42b17218, v0
	v_cndmask_b32_e64 v0, 0x7f800000, v1, s4
.LBB742_195:
	s_or_b32 exec_lo, exec_lo, s42
.LBB742_196:
	s_or_b32 exec_lo, exec_lo, s34
                                        ; implicit-def: $vgpr32_vgpr33_vgpr34_vgpr35_vgpr36_vgpr37_vgpr38_vgpr39_vgpr40_vgpr41_vgpr42_vgpr43_vgpr44_vgpr45_vgpr46_vgpr47_vgpr48_vgpr49_vgpr50_vgpr51_vgpr52_vgpr53_vgpr54_vgpr55_vgpr56_vgpr57_vgpr58_vgpr59_vgpr60_vgpr61_vgpr62_vgpr63
	s_and_saveexec_b32 s4, s5
	s_xor_b32 s4, exec_lo, s4
	s_cbranch_execz .LBB742_258
; %bb.197:
	s_mov_b32 s5, 0
                                        ; implicit-def: $vgpr64
	v_mov_b32_e32 v1, s5
	v_mov_b32_e32 v63, v31
	;; [unrolled: 1-line block ×33, first 2 shown]
	s_or_saveexec_b32 s34, s4
	s_xor_b32 s5, s67, -1
	s_xor_b32 exec_lo, exec_lo, s34
	s_cbranch_execnz .LBB742_259
.LBB742_198:
	s_or_b32 exec_lo, exec_lo, s34
                                        ; implicit-def: $vgpr64_vgpr65_vgpr66_vgpr67_vgpr68_vgpr69_vgpr70_vgpr71_vgpr72_vgpr73_vgpr74_vgpr75_vgpr76_vgpr77_vgpr78_vgpr79_vgpr80_vgpr81_vgpr82_vgpr83_vgpr84_vgpr85_vgpr86_vgpr87_vgpr88_vgpr89_vgpr90_vgpr91_vgpr92_vgpr93_vgpr94_vgpr95
	s_and_saveexec_b32 s4, s5
	s_xor_b32 s4, exec_lo, s4
	s_cbranch_execz .LBB742_262
.LBB742_199:
	s_mov_b32 s5, 0
	v_mov_b32_e32 v34, s5
	v_mov_b32_e32 v95, v63
	;; [unrolled: 1-line block ×33, first 2 shown]
                                        ; implicit-def: $vgpr32_vgpr33_vgpr34_vgpr35_vgpr36_vgpr37_vgpr38_vgpr39_vgpr40_vgpr41_vgpr42_vgpr43_vgpr44_vgpr45_vgpr46_vgpr47_vgpr48_vgpr49_vgpr50_vgpr51_vgpr52_vgpr53_vgpr54_vgpr55_vgpr56_vgpr57_vgpr58_vgpr59_vgpr60_vgpr61_vgpr62_vgpr63
	s_or_saveexec_b32 s34, s4
	s_xor_b32 s5, s66, -1
	s_xor_b32 exec_lo, exec_lo, s34
	s_cbranch_execnz .LBB742_263
.LBB742_200:
	s_or_b32 exec_lo, exec_lo, s34
                                        ; implicit-def: $vgpr1_vgpr2_vgpr3_vgpr4_vgpr5_vgpr6_vgpr7_vgpr8_vgpr9_vgpr10_vgpr11_vgpr12_vgpr13_vgpr14_vgpr15_vgpr16_vgpr17_vgpr18_vgpr19_vgpr20_vgpr21_vgpr22_vgpr23_vgpr24_vgpr25_vgpr26_vgpr27_vgpr28_vgpr29_vgpr30_vgpr31_vgpr32
	s_and_saveexec_b32 s4, s5
	s_xor_b32 s4, exec_lo, s4
	s_cbranch_execz .LBB742_266
.LBB742_201:
	s_mov_b32 s5, 0
	v_mov_b32_e32 v67, s5
	v_mov_b32_e32 v1, v64
	;; [unrolled: 1-line block ×33, first 2 shown]
                                        ; implicit-def: $vgpr64_vgpr65_vgpr66_vgpr67_vgpr68_vgpr69_vgpr70_vgpr71_vgpr72_vgpr73_vgpr74_vgpr75_vgpr76_vgpr77_vgpr78_vgpr79_vgpr80_vgpr81_vgpr82_vgpr83_vgpr84_vgpr85_vgpr86_vgpr87_vgpr88_vgpr89_vgpr90_vgpr91_vgpr92_vgpr93_vgpr94_vgpr95
	s_or_saveexec_b32 s34, s4
	s_xor_b32 s5, s65, -1
	s_xor_b32 exec_lo, exec_lo, s34
	s_cbranch_execnz .LBB742_267
.LBB742_202:
	s_or_b32 exec_lo, exec_lo, s34
                                        ; implicit-def: $vgpr33_vgpr34_vgpr35_vgpr36_vgpr37_vgpr38_vgpr39_vgpr40_vgpr41_vgpr42_vgpr43_vgpr44_vgpr45_vgpr46_vgpr47_vgpr48_vgpr49_vgpr50_vgpr51_vgpr52_vgpr53_vgpr54_vgpr55_vgpr56_vgpr57_vgpr58_vgpr59_vgpr60_vgpr61_vgpr62_vgpr63_vgpr64
	s_and_saveexec_b32 s4, s5
	s_xor_b32 s4, exec_lo, s4
	s_cbranch_execz .LBB742_270
.LBB742_203:
	s_mov_b32 s5, 0
	v_mov_b32_e32 v5, s5
	v_mov_b32_e32 v64, v32
	;; [unrolled: 1-line block ×33, first 2 shown]
                                        ; implicit-def: $vgpr1_vgpr2_vgpr3_vgpr4_vgpr5_vgpr6_vgpr7_vgpr8_vgpr9_vgpr10_vgpr11_vgpr12_vgpr13_vgpr14_vgpr15_vgpr16_vgpr17_vgpr18_vgpr19_vgpr20_vgpr21_vgpr22_vgpr23_vgpr24_vgpr25_vgpr26_vgpr27_vgpr28_vgpr29_vgpr30_vgpr31_vgpr32
	s_or_saveexec_b32 s34, s4
	s_xor_b32 s5, s64, -1
	s_xor_b32 exec_lo, exec_lo, s34
	s_cbranch_execnz .LBB742_271
.LBB742_204:
	s_or_b32 exec_lo, exec_lo, s34
                                        ; implicit-def: $vgpr1_vgpr2_vgpr3_vgpr4_vgpr5_vgpr6_vgpr7_vgpr8_vgpr9_vgpr10_vgpr11_vgpr12_vgpr13_vgpr14_vgpr15_vgpr16_vgpr17_vgpr18_vgpr19_vgpr20_vgpr21_vgpr22_vgpr23_vgpr24_vgpr25_vgpr26_vgpr27_vgpr28_vgpr29_vgpr30_vgpr31_vgpr32
	s_and_saveexec_b32 s4, s5
	s_xor_b32 s4, exec_lo, s4
	s_cbranch_execz .LBB742_274
.LBB742_205:
	s_mov_b32 s5, 0
	v_mov_b32_e32 v38, s5
	v_mov_b32_e32 v1, v33
	v_mov_b32_e32 v2, v34
	v_mov_b32_e32 v3, v35
	v_mov_b32_e32 v4, v36
	v_mov_b32_e32 v5, v37
	v_mov_b32_e32 v6, v38
	v_mov_b32_e32 v7, v39
	v_mov_b32_e32 v8, v40
	v_mov_b32_e32 v9, v41
	v_mov_b32_e32 v10, v42
	v_mov_b32_e32 v11, v43
	v_mov_b32_e32 v12, v44
	v_mov_b32_e32 v13, v45
	v_mov_b32_e32 v14, v46
	v_mov_b32_e32 v15, v47
	v_mov_b32_e32 v16, v48
	v_mov_b32_e32 v17, v49
	v_mov_b32_e32 v18, v50
	v_mov_b32_e32 v19, v51
	v_mov_b32_e32 v20, v52
	v_mov_b32_e32 v21, v53
	v_mov_b32_e32 v22, v54
	v_mov_b32_e32 v23, v55
	v_mov_b32_e32 v24, v56
	v_mov_b32_e32 v25, v57
	v_mov_b32_e32 v26, v58
	v_mov_b32_e32 v27, v59
	v_mov_b32_e32 v28, v60
	v_mov_b32_e32 v29, v61
	v_mov_b32_e32 v30, v62
	v_mov_b32_e32 v31, v63
	v_mov_b32_e32 v32, v64
                                        ; implicit-def: $vgpr33_vgpr34_vgpr35_vgpr36_vgpr37_vgpr38_vgpr39_vgpr40_vgpr41_vgpr42_vgpr43_vgpr44_vgpr45_vgpr46_vgpr47_vgpr48_vgpr49_vgpr50_vgpr51_vgpr52_vgpr53_vgpr54_vgpr55_vgpr56_vgpr57_vgpr58_vgpr59_vgpr60_vgpr61_vgpr62_vgpr63_vgpr64
	s_or_saveexec_b32 s34, s4
	s_xor_b32 s5, s63, -1
	s_xor_b32 exec_lo, exec_lo, s34
	s_cbranch_execnz .LBB742_275
.LBB742_206:
	s_or_b32 exec_lo, exec_lo, s34
                                        ; implicit-def: $vgpr33_vgpr34_vgpr35_vgpr36_vgpr37_vgpr38_vgpr39_vgpr40_vgpr41_vgpr42_vgpr43_vgpr44_vgpr45_vgpr46_vgpr47_vgpr48_vgpr49_vgpr50_vgpr51_vgpr52_vgpr53_vgpr54_vgpr55_vgpr56_vgpr57_vgpr58_vgpr59_vgpr60_vgpr61_vgpr62_vgpr63_vgpr64
	s_and_saveexec_b32 s4, s5
	s_xor_b32 s4, exec_lo, s4
	s_cbranch_execz .LBB742_278
.LBB742_207:
	s_mov_b32 s5, 0
	v_mov_b32_e32 v7, s5
	v_mov_b32_e32 v64, v32
	;; [unrolled: 1-line block ×33, first 2 shown]
                                        ; implicit-def: $vgpr1_vgpr2_vgpr3_vgpr4_vgpr5_vgpr6_vgpr7_vgpr8_vgpr9_vgpr10_vgpr11_vgpr12_vgpr13_vgpr14_vgpr15_vgpr16_vgpr17_vgpr18_vgpr19_vgpr20_vgpr21_vgpr22_vgpr23_vgpr24_vgpr25_vgpr26_vgpr27_vgpr28_vgpr29_vgpr30_vgpr31_vgpr32
	s_or_saveexec_b32 s34, s4
	s_xor_b32 s5, s62, -1
	s_xor_b32 exec_lo, exec_lo, s34
	s_cbranch_execnz .LBB742_279
.LBB742_208:
	s_or_b32 exec_lo, exec_lo, s34
                                        ; implicit-def: $vgpr1_vgpr2_vgpr3_vgpr4_vgpr5_vgpr6_vgpr7_vgpr8_vgpr9_vgpr10_vgpr11_vgpr12_vgpr13_vgpr14_vgpr15_vgpr16_vgpr17_vgpr18_vgpr19_vgpr20_vgpr21_vgpr22_vgpr23_vgpr24_vgpr25_vgpr26_vgpr27_vgpr28_vgpr29_vgpr30_vgpr31_vgpr32
	s_and_saveexec_b32 s4, s5
	s_xor_b32 s4, exec_lo, s4
	s_cbranch_execz .LBB742_282
.LBB742_209:
	s_mov_b32 s5, 0
	v_mov_b32_e32 v40, s5
	v_mov_b32_e32 v1, v33
	;; [unrolled: 1-line block ×33, first 2 shown]
                                        ; implicit-def: $vgpr33_vgpr34_vgpr35_vgpr36_vgpr37_vgpr38_vgpr39_vgpr40_vgpr41_vgpr42_vgpr43_vgpr44_vgpr45_vgpr46_vgpr47_vgpr48_vgpr49_vgpr50_vgpr51_vgpr52_vgpr53_vgpr54_vgpr55_vgpr56_vgpr57_vgpr58_vgpr59_vgpr60_vgpr61_vgpr62_vgpr63_vgpr64
	s_or_saveexec_b32 s34, s4
	s_xor_b32 s5, s61, -1
	s_xor_b32 exec_lo, exec_lo, s34
	s_cbranch_execnz .LBB742_283
.LBB742_210:
	s_or_b32 exec_lo, exec_lo, s34
                                        ; implicit-def: $vgpr33_vgpr34_vgpr35_vgpr36_vgpr37_vgpr38_vgpr39_vgpr40_vgpr41_vgpr42_vgpr43_vgpr44_vgpr45_vgpr46_vgpr47_vgpr48_vgpr49_vgpr50_vgpr51_vgpr52_vgpr53_vgpr54_vgpr55_vgpr56_vgpr57_vgpr58_vgpr59_vgpr60_vgpr61_vgpr62_vgpr63_vgpr64
	s_and_saveexec_b32 s4, s5
	s_xor_b32 s4, exec_lo, s4
	s_cbranch_execz .LBB742_286
.LBB742_211:
	s_mov_b32 s5, 0
	v_mov_b32_e32 v9, s5
	v_mov_b32_e32 v64, v32
	;; [unrolled: 1-line block ×33, first 2 shown]
                                        ; implicit-def: $vgpr1_vgpr2_vgpr3_vgpr4_vgpr5_vgpr6_vgpr7_vgpr8_vgpr9_vgpr10_vgpr11_vgpr12_vgpr13_vgpr14_vgpr15_vgpr16_vgpr17_vgpr18_vgpr19_vgpr20_vgpr21_vgpr22_vgpr23_vgpr24_vgpr25_vgpr26_vgpr27_vgpr28_vgpr29_vgpr30_vgpr31_vgpr32
	s_or_saveexec_b32 s34, s4
	s_xor_b32 s5, s60, -1
	s_xor_b32 exec_lo, exec_lo, s34
	s_cbranch_execnz .LBB742_287
.LBB742_212:
	s_or_b32 exec_lo, exec_lo, s34
                                        ; implicit-def: $vgpr1_vgpr2_vgpr3_vgpr4_vgpr5_vgpr6_vgpr7_vgpr8_vgpr9_vgpr10_vgpr11_vgpr12_vgpr13_vgpr14_vgpr15_vgpr16_vgpr17_vgpr18_vgpr19_vgpr20_vgpr21_vgpr22_vgpr23_vgpr24_vgpr25_vgpr26_vgpr27_vgpr28_vgpr29_vgpr30_vgpr31_vgpr32
	s_and_saveexec_b32 s4, s5
	s_xor_b32 s4, exec_lo, s4
	s_cbranch_execz .LBB742_290
.LBB742_213:
	s_mov_b32 s5, 0
	v_mov_b32_e32 v42, s5
	v_mov_b32_e32 v1, v33
	;; [unrolled: 1-line block ×33, first 2 shown]
                                        ; implicit-def: $vgpr33_vgpr34_vgpr35_vgpr36_vgpr37_vgpr38_vgpr39_vgpr40_vgpr41_vgpr42_vgpr43_vgpr44_vgpr45_vgpr46_vgpr47_vgpr48_vgpr49_vgpr50_vgpr51_vgpr52_vgpr53_vgpr54_vgpr55_vgpr56_vgpr57_vgpr58_vgpr59_vgpr60_vgpr61_vgpr62_vgpr63_vgpr64
	s_or_saveexec_b32 s34, s4
	s_xor_b32 s5, s59, -1
	s_xor_b32 exec_lo, exec_lo, s34
	s_cbranch_execnz .LBB742_291
.LBB742_214:
	s_or_b32 exec_lo, exec_lo, s34
                                        ; implicit-def: $vgpr33_vgpr34_vgpr35_vgpr36_vgpr37_vgpr38_vgpr39_vgpr40_vgpr41_vgpr42_vgpr43_vgpr44_vgpr45_vgpr46_vgpr47_vgpr48_vgpr49_vgpr50_vgpr51_vgpr52_vgpr53_vgpr54_vgpr55_vgpr56_vgpr57_vgpr58_vgpr59_vgpr60_vgpr61_vgpr62_vgpr63_vgpr64
	s_and_saveexec_b32 s4, s5
	s_xor_b32 s4, exec_lo, s4
	s_cbranch_execz .LBB742_294
.LBB742_215:
	s_mov_b32 s5, 0
	v_mov_b32_e32 v11, s5
	v_mov_b32_e32 v64, v32
	;; [unrolled: 1-line block ×33, first 2 shown]
                                        ; implicit-def: $vgpr1_vgpr2_vgpr3_vgpr4_vgpr5_vgpr6_vgpr7_vgpr8_vgpr9_vgpr10_vgpr11_vgpr12_vgpr13_vgpr14_vgpr15_vgpr16_vgpr17_vgpr18_vgpr19_vgpr20_vgpr21_vgpr22_vgpr23_vgpr24_vgpr25_vgpr26_vgpr27_vgpr28_vgpr29_vgpr30_vgpr31_vgpr32
	s_or_saveexec_b32 s34, s4
	s_xor_b32 s5, s58, -1
	s_xor_b32 exec_lo, exec_lo, s34
	s_cbranch_execnz .LBB742_295
.LBB742_216:
	s_or_b32 exec_lo, exec_lo, s34
                                        ; implicit-def: $vgpr1_vgpr2_vgpr3_vgpr4_vgpr5_vgpr6_vgpr7_vgpr8_vgpr9_vgpr10_vgpr11_vgpr12_vgpr13_vgpr14_vgpr15_vgpr16_vgpr17_vgpr18_vgpr19_vgpr20_vgpr21_vgpr22_vgpr23_vgpr24_vgpr25_vgpr26_vgpr27_vgpr28_vgpr29_vgpr30_vgpr31_vgpr32
	s_and_saveexec_b32 s4, s5
	s_xor_b32 s4, exec_lo, s4
	s_cbranch_execz .LBB742_298
.LBB742_217:
	s_mov_b32 s5, 0
	v_mov_b32_e32 v44, s5
	v_mov_b32_e32 v1, v33
	;; [unrolled: 1-line block ×33, first 2 shown]
                                        ; implicit-def: $vgpr33_vgpr34_vgpr35_vgpr36_vgpr37_vgpr38_vgpr39_vgpr40_vgpr41_vgpr42_vgpr43_vgpr44_vgpr45_vgpr46_vgpr47_vgpr48_vgpr49_vgpr50_vgpr51_vgpr52_vgpr53_vgpr54_vgpr55_vgpr56_vgpr57_vgpr58_vgpr59_vgpr60_vgpr61_vgpr62_vgpr63_vgpr64
	s_or_saveexec_b32 s34, s4
	s_xor_b32 s5, s57, -1
	s_xor_b32 exec_lo, exec_lo, s34
	s_cbranch_execnz .LBB742_299
.LBB742_218:
	s_or_b32 exec_lo, exec_lo, s34
                                        ; implicit-def: $vgpr33_vgpr34_vgpr35_vgpr36_vgpr37_vgpr38_vgpr39_vgpr40_vgpr41_vgpr42_vgpr43_vgpr44_vgpr45_vgpr46_vgpr47_vgpr48_vgpr49_vgpr50_vgpr51_vgpr52_vgpr53_vgpr54_vgpr55_vgpr56_vgpr57_vgpr58_vgpr59_vgpr60_vgpr61_vgpr62_vgpr63_vgpr64
	s_and_saveexec_b32 s4, s5
	s_xor_b32 s4, exec_lo, s4
	s_cbranch_execz .LBB742_302
.LBB742_219:
	s_mov_b32 s5, 0
	v_mov_b32_e32 v13, s5
	v_mov_b32_e32 v64, v32
	;; [unrolled: 1-line block ×33, first 2 shown]
                                        ; implicit-def: $vgpr1_vgpr2_vgpr3_vgpr4_vgpr5_vgpr6_vgpr7_vgpr8_vgpr9_vgpr10_vgpr11_vgpr12_vgpr13_vgpr14_vgpr15_vgpr16_vgpr17_vgpr18_vgpr19_vgpr20_vgpr21_vgpr22_vgpr23_vgpr24_vgpr25_vgpr26_vgpr27_vgpr28_vgpr29_vgpr30_vgpr31_vgpr32
	s_or_saveexec_b32 s34, s4
	s_xor_b32 s5, s56, -1
	s_xor_b32 exec_lo, exec_lo, s34
	s_cbranch_execnz .LBB742_303
.LBB742_220:
	s_or_b32 exec_lo, exec_lo, s34
                                        ; implicit-def: $vgpr1_vgpr2_vgpr3_vgpr4_vgpr5_vgpr6_vgpr7_vgpr8_vgpr9_vgpr10_vgpr11_vgpr12_vgpr13_vgpr14_vgpr15_vgpr16_vgpr17_vgpr18_vgpr19_vgpr20_vgpr21_vgpr22_vgpr23_vgpr24_vgpr25_vgpr26_vgpr27_vgpr28_vgpr29_vgpr30_vgpr31_vgpr32
	s_and_saveexec_b32 s4, s5
	s_xor_b32 s4, exec_lo, s4
	s_cbranch_execz .LBB742_306
.LBB742_221:
	s_mov_b32 s5, 0
	v_mov_b32_e32 v46, s5
	v_mov_b32_e32 v1, v33
	v_mov_b32_e32 v2, v34
	v_mov_b32_e32 v3, v35
	v_mov_b32_e32 v4, v36
	v_mov_b32_e32 v5, v37
	v_mov_b32_e32 v6, v38
	v_mov_b32_e32 v7, v39
	v_mov_b32_e32 v8, v40
	v_mov_b32_e32 v9, v41
	v_mov_b32_e32 v10, v42
	v_mov_b32_e32 v11, v43
	v_mov_b32_e32 v12, v44
	v_mov_b32_e32 v13, v45
	v_mov_b32_e32 v14, v46
	v_mov_b32_e32 v15, v47
	v_mov_b32_e32 v16, v48
	v_mov_b32_e32 v17, v49
	v_mov_b32_e32 v18, v50
	v_mov_b32_e32 v19, v51
	v_mov_b32_e32 v20, v52
	v_mov_b32_e32 v21, v53
	v_mov_b32_e32 v22, v54
	v_mov_b32_e32 v23, v55
	v_mov_b32_e32 v24, v56
	v_mov_b32_e32 v25, v57
	v_mov_b32_e32 v26, v58
	v_mov_b32_e32 v27, v59
	v_mov_b32_e32 v28, v60
	v_mov_b32_e32 v29, v61
	v_mov_b32_e32 v30, v62
	v_mov_b32_e32 v31, v63
	v_mov_b32_e32 v32, v64
                                        ; implicit-def: $vgpr33_vgpr34_vgpr35_vgpr36_vgpr37_vgpr38_vgpr39_vgpr40_vgpr41_vgpr42_vgpr43_vgpr44_vgpr45_vgpr46_vgpr47_vgpr48_vgpr49_vgpr50_vgpr51_vgpr52_vgpr53_vgpr54_vgpr55_vgpr56_vgpr57_vgpr58_vgpr59_vgpr60_vgpr61_vgpr62_vgpr63_vgpr64
	s_or_saveexec_b32 s34, s4
	s_xor_b32 s5, s55, -1
	s_xor_b32 exec_lo, exec_lo, s34
	s_cbranch_execnz .LBB742_307
.LBB742_222:
	s_or_b32 exec_lo, exec_lo, s34
                                        ; implicit-def: $vgpr33_vgpr34_vgpr35_vgpr36_vgpr37_vgpr38_vgpr39_vgpr40_vgpr41_vgpr42_vgpr43_vgpr44_vgpr45_vgpr46_vgpr47_vgpr48_vgpr49_vgpr50_vgpr51_vgpr52_vgpr53_vgpr54_vgpr55_vgpr56_vgpr57_vgpr58_vgpr59_vgpr60_vgpr61_vgpr62_vgpr63_vgpr64
	s_and_saveexec_b32 s4, s5
	s_xor_b32 s4, exec_lo, s4
	s_cbranch_execz .LBB742_310
.LBB742_223:
	s_mov_b32 s5, 0
	v_mov_b32_e32 v15, s5
	v_mov_b32_e32 v64, v32
	;; [unrolled: 1-line block ×33, first 2 shown]
                                        ; implicit-def: $vgpr1_vgpr2_vgpr3_vgpr4_vgpr5_vgpr6_vgpr7_vgpr8_vgpr9_vgpr10_vgpr11_vgpr12_vgpr13_vgpr14_vgpr15_vgpr16_vgpr17_vgpr18_vgpr19_vgpr20_vgpr21_vgpr22_vgpr23_vgpr24_vgpr25_vgpr26_vgpr27_vgpr28_vgpr29_vgpr30_vgpr31_vgpr32
	s_or_saveexec_b32 s34, s4
	s_xor_b32 s5, s54, -1
	s_xor_b32 exec_lo, exec_lo, s34
	s_cbranch_execnz .LBB742_311
.LBB742_224:
	s_or_b32 exec_lo, exec_lo, s34
                                        ; implicit-def: $vgpr1_vgpr2_vgpr3_vgpr4_vgpr5_vgpr6_vgpr7_vgpr8_vgpr9_vgpr10_vgpr11_vgpr12_vgpr13_vgpr14_vgpr15_vgpr16_vgpr17_vgpr18_vgpr19_vgpr20_vgpr21_vgpr22_vgpr23_vgpr24_vgpr25_vgpr26_vgpr27_vgpr28_vgpr29_vgpr30_vgpr31_vgpr32
	s_and_saveexec_b32 s4, s5
	s_xor_b32 s4, exec_lo, s4
	s_cbranch_execz .LBB742_314
.LBB742_225:
	s_mov_b32 s5, 0
	v_mov_b32_e32 v48, s5
	v_mov_b32_e32 v1, v33
	;; [unrolled: 1-line block ×33, first 2 shown]
                                        ; implicit-def: $vgpr33_vgpr34_vgpr35_vgpr36_vgpr37_vgpr38_vgpr39_vgpr40_vgpr41_vgpr42_vgpr43_vgpr44_vgpr45_vgpr46_vgpr47_vgpr48_vgpr49_vgpr50_vgpr51_vgpr52_vgpr53_vgpr54_vgpr55_vgpr56_vgpr57_vgpr58_vgpr59_vgpr60_vgpr61_vgpr62_vgpr63_vgpr64
	s_or_saveexec_b32 s34, s4
	s_xor_b32 s5, s53, -1
	s_xor_b32 exec_lo, exec_lo, s34
	s_cbranch_execnz .LBB742_315
.LBB742_226:
	s_or_b32 exec_lo, exec_lo, s34
                                        ; implicit-def: $vgpr33_vgpr34_vgpr35_vgpr36_vgpr37_vgpr38_vgpr39_vgpr40_vgpr41_vgpr42_vgpr43_vgpr44_vgpr45_vgpr46_vgpr47_vgpr48_vgpr49_vgpr50_vgpr51_vgpr52_vgpr53_vgpr54_vgpr55_vgpr56_vgpr57_vgpr58_vgpr59_vgpr60_vgpr61_vgpr62_vgpr63_vgpr64
	s_and_saveexec_b32 s4, s5
	s_xor_b32 s4, exec_lo, s4
	s_cbranch_execz .LBB742_318
.LBB742_227:
	s_mov_b32 s5, 0
	v_mov_b32_e32 v17, s5
	v_mov_b32_e32 v64, v32
	v_mov_b32_e32 v63, v31
	v_mov_b32_e32 v62, v30
	v_mov_b32_e32 v61, v29
	v_mov_b32_e32 v60, v28
	v_mov_b32_e32 v59, v27
	v_mov_b32_e32 v58, v26
	v_mov_b32_e32 v57, v25
	v_mov_b32_e32 v56, v24
	v_mov_b32_e32 v55, v23
	v_mov_b32_e32 v54, v22
	v_mov_b32_e32 v53, v21
	v_mov_b32_e32 v52, v20
	v_mov_b32_e32 v51, v19
	v_mov_b32_e32 v50, v18
	v_mov_b32_e32 v49, v17
	v_mov_b32_e32 v48, v16
	v_mov_b32_e32 v47, v15
	v_mov_b32_e32 v46, v14
	v_mov_b32_e32 v45, v13
	v_mov_b32_e32 v44, v12
	v_mov_b32_e32 v43, v11
	v_mov_b32_e32 v42, v10
	v_mov_b32_e32 v41, v9
	v_mov_b32_e32 v40, v8
	v_mov_b32_e32 v39, v7
	v_mov_b32_e32 v38, v6
	v_mov_b32_e32 v37, v5
	v_mov_b32_e32 v36, v4
	v_mov_b32_e32 v35, v3
	v_mov_b32_e32 v34, v2
	v_mov_b32_e32 v33, v1
                                        ; implicit-def: $vgpr1_vgpr2_vgpr3_vgpr4_vgpr5_vgpr6_vgpr7_vgpr8_vgpr9_vgpr10_vgpr11_vgpr12_vgpr13_vgpr14_vgpr15_vgpr16_vgpr17_vgpr18_vgpr19_vgpr20_vgpr21_vgpr22_vgpr23_vgpr24_vgpr25_vgpr26_vgpr27_vgpr28_vgpr29_vgpr30_vgpr31_vgpr32
	s_or_saveexec_b32 s34, s4
	s_xor_b32 s5, s52, -1
	s_xor_b32 exec_lo, exec_lo, s34
	s_cbranch_execnz .LBB742_319
.LBB742_228:
	s_or_b32 exec_lo, exec_lo, s34
                                        ; implicit-def: $vgpr1_vgpr2_vgpr3_vgpr4_vgpr5_vgpr6_vgpr7_vgpr8_vgpr9_vgpr10_vgpr11_vgpr12_vgpr13_vgpr14_vgpr15_vgpr16_vgpr17_vgpr18_vgpr19_vgpr20_vgpr21_vgpr22_vgpr23_vgpr24_vgpr25_vgpr26_vgpr27_vgpr28_vgpr29_vgpr30_vgpr31_vgpr32
	s_and_saveexec_b32 s4, s5
	s_xor_b32 s4, exec_lo, s4
	s_cbranch_execz .LBB742_322
.LBB742_229:
	s_mov_b32 s5, 0
	v_mov_b32_e32 v50, s5
	v_mov_b32_e32 v1, v33
	;; [unrolled: 1-line block ×33, first 2 shown]
                                        ; implicit-def: $vgpr33_vgpr34_vgpr35_vgpr36_vgpr37_vgpr38_vgpr39_vgpr40_vgpr41_vgpr42_vgpr43_vgpr44_vgpr45_vgpr46_vgpr47_vgpr48_vgpr49_vgpr50_vgpr51_vgpr52_vgpr53_vgpr54_vgpr55_vgpr56_vgpr57_vgpr58_vgpr59_vgpr60_vgpr61_vgpr62_vgpr63_vgpr64
	s_or_saveexec_b32 s34, s4
	s_xor_b32 s5, s51, -1
	s_xor_b32 exec_lo, exec_lo, s34
	s_cbranch_execnz .LBB742_323
.LBB742_230:
	s_or_b32 exec_lo, exec_lo, s34
                                        ; implicit-def: $vgpr33_vgpr34_vgpr35_vgpr36_vgpr37_vgpr38_vgpr39_vgpr40_vgpr41_vgpr42_vgpr43_vgpr44_vgpr45_vgpr46_vgpr47_vgpr48_vgpr49_vgpr50_vgpr51_vgpr52_vgpr53_vgpr54_vgpr55_vgpr56_vgpr57_vgpr58_vgpr59_vgpr60_vgpr61_vgpr62_vgpr63_vgpr64
	s_and_saveexec_b32 s4, s5
	s_xor_b32 s4, exec_lo, s4
	s_cbranch_execz .LBB742_326
.LBB742_231:
	s_mov_b32 s5, 0
	v_mov_b32_e32 v19, s5
	v_mov_b32_e32 v64, v32
	;; [unrolled: 1-line block ×33, first 2 shown]
                                        ; implicit-def: $vgpr1_vgpr2_vgpr3_vgpr4_vgpr5_vgpr6_vgpr7_vgpr8_vgpr9_vgpr10_vgpr11_vgpr12_vgpr13_vgpr14_vgpr15_vgpr16_vgpr17_vgpr18_vgpr19_vgpr20_vgpr21_vgpr22_vgpr23_vgpr24_vgpr25_vgpr26_vgpr27_vgpr28_vgpr29_vgpr30_vgpr31_vgpr32
	s_or_saveexec_b32 s34, s4
	s_xor_b32 s5, s50, -1
	s_xor_b32 exec_lo, exec_lo, s34
	s_cbranch_execnz .LBB742_327
.LBB742_232:
	s_or_b32 exec_lo, exec_lo, s34
                                        ; implicit-def: $vgpr1_vgpr2_vgpr3_vgpr4_vgpr5_vgpr6_vgpr7_vgpr8_vgpr9_vgpr10_vgpr11_vgpr12_vgpr13_vgpr14_vgpr15_vgpr16_vgpr17_vgpr18_vgpr19_vgpr20_vgpr21_vgpr22_vgpr23_vgpr24_vgpr25_vgpr26_vgpr27_vgpr28_vgpr29_vgpr30_vgpr31_vgpr32
	s_and_saveexec_b32 s4, s5
	s_xor_b32 s4, exec_lo, s4
	s_cbranch_execz .LBB742_330
.LBB742_233:
	s_mov_b32 s5, 0
	v_mov_b32_e32 v52, s5
	v_mov_b32_e32 v1, v33
	;; [unrolled: 1-line block ×33, first 2 shown]
                                        ; implicit-def: $vgpr33_vgpr34_vgpr35_vgpr36_vgpr37_vgpr38_vgpr39_vgpr40_vgpr41_vgpr42_vgpr43_vgpr44_vgpr45_vgpr46_vgpr47_vgpr48_vgpr49_vgpr50_vgpr51_vgpr52_vgpr53_vgpr54_vgpr55_vgpr56_vgpr57_vgpr58_vgpr59_vgpr60_vgpr61_vgpr62_vgpr63_vgpr64
	s_or_saveexec_b32 s34, s4
	s_xor_b32 s5, s49, -1
	s_xor_b32 exec_lo, exec_lo, s34
	s_cbranch_execnz .LBB742_331
.LBB742_234:
	s_or_b32 exec_lo, exec_lo, s34
                                        ; implicit-def: $vgpr33_vgpr34_vgpr35_vgpr36_vgpr37_vgpr38_vgpr39_vgpr40_vgpr41_vgpr42_vgpr43_vgpr44_vgpr45_vgpr46_vgpr47_vgpr48_vgpr49_vgpr50_vgpr51_vgpr52_vgpr53_vgpr54_vgpr55_vgpr56_vgpr57_vgpr58_vgpr59_vgpr60_vgpr61_vgpr62_vgpr63_vgpr64
	s_and_saveexec_b32 s4, s5
	s_xor_b32 s4, exec_lo, s4
	s_cbranch_execz .LBB742_334
.LBB742_235:
	s_mov_b32 s5, 0
	v_mov_b32_e32 v21, s5
	v_mov_b32_e32 v64, v32
	;; [unrolled: 1-line block ×33, first 2 shown]
                                        ; implicit-def: $vgpr1_vgpr2_vgpr3_vgpr4_vgpr5_vgpr6_vgpr7_vgpr8_vgpr9_vgpr10_vgpr11_vgpr12_vgpr13_vgpr14_vgpr15_vgpr16_vgpr17_vgpr18_vgpr19_vgpr20_vgpr21_vgpr22_vgpr23_vgpr24_vgpr25_vgpr26_vgpr27_vgpr28_vgpr29_vgpr30_vgpr31_vgpr32
	s_or_saveexec_b32 s34, s4
	s_xor_b32 s5, s48, -1
	s_xor_b32 exec_lo, exec_lo, s34
	s_cbranch_execnz .LBB742_335
.LBB742_236:
	s_or_b32 exec_lo, exec_lo, s34
                                        ; implicit-def: $vgpr1_vgpr2_vgpr3_vgpr4_vgpr5_vgpr6_vgpr7_vgpr8_vgpr9_vgpr10_vgpr11_vgpr12_vgpr13_vgpr14_vgpr15_vgpr16_vgpr17_vgpr18_vgpr19_vgpr20_vgpr21_vgpr22_vgpr23_vgpr24_vgpr25_vgpr26_vgpr27_vgpr28_vgpr29_vgpr30_vgpr31_vgpr32
	s_and_saveexec_b32 s4, s5
	s_xor_b32 s4, exec_lo, s4
	s_cbranch_execz .LBB742_338
.LBB742_237:
	s_mov_b32 s5, 0
	v_mov_b32_e32 v54, s5
	v_mov_b32_e32 v1, v33
	;; [unrolled: 1-line block ×33, first 2 shown]
                                        ; implicit-def: $vgpr33_vgpr34_vgpr35_vgpr36_vgpr37_vgpr38_vgpr39_vgpr40_vgpr41_vgpr42_vgpr43_vgpr44_vgpr45_vgpr46_vgpr47_vgpr48_vgpr49_vgpr50_vgpr51_vgpr52_vgpr53_vgpr54_vgpr55_vgpr56_vgpr57_vgpr58_vgpr59_vgpr60_vgpr61_vgpr62_vgpr63_vgpr64
	s_or_saveexec_b32 s34, s4
	s_xor_b32 s5, s47, -1
	s_xor_b32 exec_lo, exec_lo, s34
	s_cbranch_execnz .LBB742_339
.LBB742_238:
	s_or_b32 exec_lo, exec_lo, s34
                                        ; implicit-def: $vgpr33_vgpr34_vgpr35_vgpr36_vgpr37_vgpr38_vgpr39_vgpr40_vgpr41_vgpr42_vgpr43_vgpr44_vgpr45_vgpr46_vgpr47_vgpr48_vgpr49_vgpr50_vgpr51_vgpr52_vgpr53_vgpr54_vgpr55_vgpr56_vgpr57_vgpr58_vgpr59_vgpr60_vgpr61_vgpr62_vgpr63_vgpr64
	s_and_saveexec_b32 s4, s5
	s_xor_b32 s4, exec_lo, s4
	s_cbranch_execz .LBB742_342
.LBB742_239:
	s_mov_b32 s5, 0
	v_mov_b32_e32 v23, s5
	v_mov_b32_e32 v64, v32
	;; [unrolled: 1-line block ×33, first 2 shown]
                                        ; implicit-def: $vgpr1_vgpr2_vgpr3_vgpr4_vgpr5_vgpr6_vgpr7_vgpr8_vgpr9_vgpr10_vgpr11_vgpr12_vgpr13_vgpr14_vgpr15_vgpr16_vgpr17_vgpr18_vgpr19_vgpr20_vgpr21_vgpr22_vgpr23_vgpr24_vgpr25_vgpr26_vgpr27_vgpr28_vgpr29_vgpr30_vgpr31_vgpr32
	s_or_saveexec_b32 s34, s4
	s_xor_b32 s5, s46, -1
	s_xor_b32 exec_lo, exec_lo, s34
	s_cbranch_execnz .LBB742_343
.LBB742_240:
	s_or_b32 exec_lo, exec_lo, s34
                                        ; implicit-def: $vgpr1_vgpr2_vgpr3_vgpr4_vgpr5_vgpr6_vgpr7_vgpr8_vgpr9_vgpr10_vgpr11_vgpr12_vgpr13_vgpr14_vgpr15_vgpr16_vgpr17_vgpr18_vgpr19_vgpr20_vgpr21_vgpr22_vgpr23_vgpr24_vgpr25_vgpr26_vgpr27_vgpr28_vgpr29_vgpr30_vgpr31_vgpr32
	s_and_saveexec_b32 s4, s5
	s_xor_b32 s4, exec_lo, s4
	s_cbranch_execz .LBB742_346
.LBB742_241:
	s_mov_b32 s5, 0
	v_mov_b32_e32 v56, s5
	v_mov_b32_e32 v1, v33
	;; [unrolled: 1-line block ×33, first 2 shown]
                                        ; implicit-def: $vgpr33_vgpr34_vgpr35_vgpr36_vgpr37_vgpr38_vgpr39_vgpr40_vgpr41_vgpr42_vgpr43_vgpr44_vgpr45_vgpr46_vgpr47_vgpr48_vgpr49_vgpr50_vgpr51_vgpr52_vgpr53_vgpr54_vgpr55_vgpr56_vgpr57_vgpr58_vgpr59_vgpr60_vgpr61_vgpr62_vgpr63_vgpr64
	s_or_saveexec_b32 s34, s4
	s_xor_b32 s5, s45, -1
	s_xor_b32 exec_lo, exec_lo, s34
	s_cbranch_execnz .LBB742_347
.LBB742_242:
	s_or_b32 exec_lo, exec_lo, s34
                                        ; implicit-def: $vgpr33_vgpr34_vgpr35_vgpr36_vgpr37_vgpr38_vgpr39_vgpr40_vgpr41_vgpr42_vgpr43_vgpr44_vgpr45_vgpr46_vgpr47_vgpr48_vgpr49_vgpr50_vgpr51_vgpr52_vgpr53_vgpr54_vgpr55_vgpr56_vgpr57_vgpr58_vgpr59_vgpr60_vgpr61_vgpr62_vgpr63_vgpr64
	s_and_saveexec_b32 s4, s5
	s_xor_b32 s4, exec_lo, s4
	s_cbranch_execz .LBB742_350
.LBB742_243:
	s_mov_b32 s5, 0
	v_mov_b32_e32 v25, s5
	v_mov_b32_e32 v64, v32
	;; [unrolled: 1-line block ×33, first 2 shown]
                                        ; implicit-def: $vgpr1_vgpr2_vgpr3_vgpr4_vgpr5_vgpr6_vgpr7_vgpr8_vgpr9_vgpr10_vgpr11_vgpr12_vgpr13_vgpr14_vgpr15_vgpr16_vgpr17_vgpr18_vgpr19_vgpr20_vgpr21_vgpr22_vgpr23_vgpr24_vgpr25_vgpr26_vgpr27_vgpr28_vgpr29_vgpr30_vgpr31_vgpr32
	s_or_saveexec_b32 s34, s4
	s_xor_b32 s5, s44, -1
	s_xor_b32 exec_lo, exec_lo, s34
	s_cbranch_execnz .LBB742_351
.LBB742_244:
	s_or_b32 exec_lo, exec_lo, s34
                                        ; implicit-def: $vgpr1_vgpr2_vgpr3_vgpr4_vgpr5_vgpr6_vgpr7_vgpr8_vgpr9_vgpr10_vgpr11_vgpr12_vgpr13_vgpr14_vgpr15_vgpr16_vgpr17_vgpr18_vgpr19_vgpr20_vgpr21_vgpr22_vgpr23_vgpr24_vgpr25_vgpr26_vgpr27_vgpr28_vgpr29_vgpr30_vgpr31_vgpr32
	s_and_saveexec_b32 s4, s5
	s_xor_b32 s4, exec_lo, s4
	s_cbranch_execz .LBB742_354
.LBB742_245:
	s_mov_b32 s5, 0
	v_mov_b32_e32 v58, s5
	v_mov_b32_e32 v1, v33
	;; [unrolled: 1-line block ×33, first 2 shown]
                                        ; implicit-def: $vgpr33_vgpr34_vgpr35_vgpr36_vgpr37_vgpr38_vgpr39_vgpr40_vgpr41_vgpr42_vgpr43_vgpr44_vgpr45_vgpr46_vgpr47_vgpr48_vgpr49_vgpr50_vgpr51_vgpr52_vgpr53_vgpr54_vgpr55_vgpr56_vgpr57_vgpr58_vgpr59_vgpr60_vgpr61_vgpr62_vgpr63_vgpr64
	s_or_saveexec_b32 s34, s4
	s_xor_b32 s5, s43, -1
	s_xor_b32 exec_lo, exec_lo, s34
	s_cbranch_execnz .LBB742_355
.LBB742_246:
	s_or_b32 exec_lo, exec_lo, s34
                                        ; implicit-def: $vgpr33_vgpr34_vgpr35_vgpr36_vgpr37_vgpr38_vgpr39_vgpr40_vgpr41_vgpr42_vgpr43_vgpr44_vgpr45_vgpr46_vgpr47_vgpr48_vgpr49_vgpr50_vgpr51_vgpr52_vgpr53_vgpr54_vgpr55_vgpr56_vgpr57_vgpr58_vgpr59_vgpr60_vgpr61_vgpr62_vgpr63_vgpr64
	s_and_saveexec_b32 s4, s5
	s_xor_b32 s4, exec_lo, s4
	s_cbranch_execz .LBB742_358
.LBB742_247:
	s_mov_b32 s5, 0
	v_mov_b32_e32 v27, s5
	v_mov_b32_e32 v64, v32
	;; [unrolled: 1-line block ×33, first 2 shown]
                                        ; implicit-def: $vgpr1_vgpr2_vgpr3_vgpr4_vgpr5_vgpr6_vgpr7_vgpr8_vgpr9_vgpr10_vgpr11_vgpr12_vgpr13_vgpr14_vgpr15_vgpr16_vgpr17_vgpr18_vgpr19_vgpr20_vgpr21_vgpr22_vgpr23_vgpr24_vgpr25_vgpr26_vgpr27_vgpr28_vgpr29_vgpr30_vgpr31_vgpr32
	s_or_saveexec_b32 s34, s4
	s_xor_b32 s5, s41, -1
	s_xor_b32 exec_lo, exec_lo, s34
	s_cbranch_execnz .LBB742_359
.LBB742_248:
	s_or_b32 exec_lo, exec_lo, s34
                                        ; implicit-def: $vgpr1_vgpr2_vgpr3_vgpr4_vgpr5_vgpr6_vgpr7_vgpr8_vgpr9_vgpr10_vgpr11_vgpr12_vgpr13_vgpr14_vgpr15_vgpr16_vgpr17_vgpr18_vgpr19_vgpr20_vgpr21_vgpr22_vgpr23_vgpr24_vgpr25_vgpr26_vgpr27_vgpr28_vgpr29_vgpr30_vgpr31_vgpr32
	s_and_saveexec_b32 s4, s5
	s_xor_b32 s4, exec_lo, s4
	s_cbranch_execz .LBB742_362
.LBB742_249:
	s_mov_b32 s5, 0
	v_mov_b32_e32 v60, s5
	v_mov_b32_e32 v1, v33
	;; [unrolled: 1-line block ×33, first 2 shown]
                                        ; implicit-def: $vgpr33_vgpr34_vgpr35_vgpr36_vgpr37_vgpr38_vgpr39_vgpr40_vgpr41_vgpr42_vgpr43_vgpr44_vgpr45_vgpr46_vgpr47_vgpr48_vgpr49_vgpr50_vgpr51_vgpr52_vgpr53_vgpr54_vgpr55_vgpr56_vgpr57_vgpr58_vgpr59_vgpr60_vgpr61_vgpr62_vgpr63_vgpr64
	s_or_saveexec_b32 s34, s4
	s_xor_b32 s5, s40, -1
	s_xor_b32 exec_lo, exec_lo, s34
	s_cbranch_execnz .LBB742_363
.LBB742_250:
	s_or_b32 exec_lo, exec_lo, s34
                                        ; implicit-def: $vgpr33_vgpr34_vgpr35_vgpr36_vgpr37_vgpr38_vgpr39_vgpr40_vgpr41_vgpr42_vgpr43_vgpr44_vgpr45_vgpr46_vgpr47_vgpr48_vgpr49_vgpr50_vgpr51_vgpr52_vgpr53_vgpr54_vgpr55_vgpr56_vgpr57_vgpr58_vgpr59_vgpr60_vgpr61_vgpr62_vgpr63_vgpr64
	s_and_saveexec_b32 s4, s5
	s_xor_b32 s4, exec_lo, s4
	s_cbranch_execz .LBB742_366
.LBB742_251:
	s_mov_b32 s5, 0
	v_mov_b32_e32 v29, s5
	v_mov_b32_e32 v64, v32
	;; [unrolled: 1-line block ×33, first 2 shown]
                                        ; implicit-def: $vgpr1_vgpr2_vgpr3_vgpr4_vgpr5_vgpr6_vgpr7_vgpr8_vgpr9_vgpr10_vgpr11_vgpr12_vgpr13_vgpr14_vgpr15_vgpr16_vgpr17_vgpr18_vgpr19_vgpr20_vgpr21_vgpr22_vgpr23_vgpr24_vgpr25_vgpr26_vgpr27_vgpr28_vgpr29_vgpr30_vgpr31_vgpr32
	s_or_saveexec_b32 s34, s4
	s_xor_b32 s5, s39, -1
	s_xor_b32 exec_lo, exec_lo, s34
	s_cbranch_execnz .LBB742_367
.LBB742_252:
	s_or_b32 exec_lo, exec_lo, s34
                                        ; implicit-def: $vgpr1_vgpr2_vgpr3_vgpr4_vgpr5_vgpr6_vgpr7_vgpr8_vgpr9_vgpr10_vgpr11_vgpr12_vgpr13_vgpr14_vgpr15_vgpr16_vgpr17_vgpr18_vgpr19_vgpr20_vgpr21_vgpr22_vgpr23_vgpr24_vgpr25_vgpr26_vgpr27_vgpr28_vgpr29_vgpr30_vgpr31_vgpr32
	s_and_saveexec_b32 s4, s5
	s_xor_b32 s4, exec_lo, s4
	s_cbranch_execz .LBB742_370
.LBB742_253:
	s_mov_b32 s5, 0
	v_mov_b32_e32 v62, s5
	v_mov_b32_e32 v1, v33
	;; [unrolled: 1-line block ×33, first 2 shown]
                                        ; implicit-def: $vgpr33_vgpr34_vgpr35_vgpr36_vgpr37_vgpr38_vgpr39_vgpr40_vgpr41_vgpr42_vgpr43_vgpr44_vgpr45_vgpr46_vgpr47_vgpr48_vgpr49_vgpr50_vgpr51_vgpr52_vgpr53_vgpr54_vgpr55_vgpr56_vgpr57_vgpr58_vgpr59_vgpr60_vgpr61_vgpr62_vgpr63_vgpr64
	s_or_saveexec_b32 s34, s4
	s_xor_b32 s5, s38, -1
	s_xor_b32 exec_lo, exec_lo, s34
	s_cbranch_execnz .LBB742_371
.LBB742_254:
	s_or_b32 exec_lo, exec_lo, s34
                                        ; implicit-def: $vgpr33_vgpr34_vgpr35_vgpr36_vgpr37_vgpr38_vgpr39_vgpr40_vgpr41_vgpr42_vgpr43_vgpr44_vgpr45_vgpr46_vgpr47_vgpr48_vgpr49_vgpr50_vgpr51_vgpr52_vgpr53_vgpr54_vgpr55_vgpr56_vgpr57_vgpr58_vgpr59_vgpr60_vgpr61_vgpr62_vgpr63_vgpr64
	s_and_saveexec_b32 s4, s5
	s_xor_b32 s4, exec_lo, s4
	s_cbranch_execz .LBB742_374
.LBB742_255:
	s_mov_b32 s5, 0
	v_mov_b32_e32 v31, s5
	v_mov_b32_e32 v64, v32
	;; [unrolled: 1-line block ×33, first 2 shown]
                                        ; implicit-def: $vgpr1_vgpr2_vgpr3_vgpr4_vgpr5_vgpr6_vgpr7_vgpr8_vgpr9_vgpr10_vgpr11_vgpr12_vgpr13_vgpr14_vgpr15_vgpr16_vgpr17_vgpr18_vgpr19_vgpr20_vgpr21_vgpr22_vgpr23_vgpr24_vgpr25_vgpr26_vgpr27_vgpr28_vgpr29_vgpr30_vgpr31_vgpr32
	s_or_saveexec_b32 s34, s4
	s_xor_b32 s5, s35, -1
	s_xor_b32 exec_lo, exec_lo, s34
	s_cbranch_execnz .LBB742_375
.LBB742_256:
	s_or_b32 exec_lo, exec_lo, s34
                                        ; implicit-def: $vgpr1_vgpr2_vgpr3_vgpr4_vgpr5_vgpr6_vgpr7_vgpr8_vgpr9_vgpr10_vgpr11_vgpr12_vgpr13_vgpr14_vgpr15_vgpr16_vgpr17_vgpr18_vgpr19_vgpr20_vgpr21_vgpr22_vgpr23_vgpr24_vgpr25_vgpr26_vgpr27_vgpr28_vgpr29_vgpr30_vgpr31_vgpr32
	s_and_saveexec_b32 s4, s5
	s_xor_b32 s4, exec_lo, s4
	s_cbranch_execz .LBB742_378
.LBB742_257:
	s_mov_b32 s5, 0
                                        ; implicit-def: $vgpr98_vgpr99
                                        ; implicit-def: $vgpr107
	v_mov_b32_e32 v64, s5
	v_mov_b32_e32 v1, v33
	;; [unrolled: 1-line block ×33, first 2 shown]
                                        ; implicit-def: $vgpr33_vgpr34_vgpr35_vgpr36_vgpr37_vgpr38_vgpr39_vgpr40_vgpr41_vgpr42_vgpr43_vgpr44_vgpr45_vgpr46_vgpr47_vgpr48_vgpr49_vgpr50_vgpr51_vgpr52_vgpr53_vgpr54_vgpr55_vgpr56_vgpr57_vgpr58_vgpr59_vgpr60_vgpr61_vgpr62_vgpr63_vgpr64
	s_andn2_saveexec_b32 s5, s4
	s_cbranch_execz .LBB742_382
	s_branch .LBB742_379
.LBB742_258:
	s_or_saveexec_b32 s34, s4
	s_xor_b32 s5, s67, -1
	s_xor_b32 exec_lo, exec_lo, s34
	s_cbranch_execz .LBB742_198
.LBB742_259:
	global_load_ubyte v32, v[98:99], off offset:64
	s_mov_b32 s42, 0
	s_waitcnt vmcnt(0)
	v_and_b32_e32 v32, 1, v32
	v_cmp_eq_u32_e64 s4, 1, v32
	v_mov_b32_e32 v63, v31
	v_mov_b32_e32 v33, v1
	;; [unrolled: 1-line block ×33, first 2 shown]
	s_xor_b32 s4, s4, -1
	s_and_saveexec_b32 s42, s4
	s_xor_b32 s42, exec_lo, s42
	s_cbranch_execz .LBB742_261
; %bb.260:
	v_sub_f32_e32 v1, v64, v107
	v_mul_f32_e32 v32, 0x3fb8aa3b, v1
	v_cmp_ngt_f32_e64 s4, 0xc2ce8ed0, v1
	v_fma_f32 v33, 0x3fb8aa3b, v1, -v32
	v_rndne_f32_e32 v34, v32
	v_fmamk_f32 v33, v1, 0x32a5705f, v33
	v_sub_f32_e32 v32, v32, v34
	v_add_f32_e32 v32, v32, v33
	v_cvt_i32_f32_e32 v33, v34
	v_exp_f32_e32 v32, v32
	v_ldexp_f32 v32, v32, v33
	v_cndmask_b32_e64 v32, 0, v32, s4
	v_cmp_nlt_f32_e64 s4, 0x42b17218, v1
	v_cndmask_b32_e64 v1, 0x7f800000, v32, s4
	v_mov_b32_e32 v63, v31
	v_mov_b32_e32 v62, v30
	;; [unrolled: 1-line block ×4, first 2 shown]
	v_add_f32_e32 v64, v0, v1
	v_mov_b32_e32 v59, v27
	v_mov_b32_e32 v58, v26
	;; [unrolled: 1-line block ×29, first 2 shown]
.LBB742_261:
	s_andn2_saveexec_b32 s4, s42
	s_or_b32 exec_lo, exec_lo, s4
	s_or_b32 exec_lo, exec_lo, s34
                                        ; implicit-def: $vgpr64_vgpr65_vgpr66_vgpr67_vgpr68_vgpr69_vgpr70_vgpr71_vgpr72_vgpr73_vgpr74_vgpr75_vgpr76_vgpr77_vgpr78_vgpr79_vgpr80_vgpr81_vgpr82_vgpr83_vgpr84_vgpr85_vgpr86_vgpr87_vgpr88_vgpr89_vgpr90_vgpr91_vgpr92_vgpr93_vgpr94_vgpr95
	s_and_saveexec_b32 s4, s5
	s_xor_b32 s4, exec_lo, s4
	s_cbranch_execnz .LBB742_199
.LBB742_262:
	s_or_saveexec_b32 s34, s4
	s_xor_b32 s5, s66, -1
	s_xor_b32 exec_lo, exec_lo, s34
	s_cbranch_execz .LBB742_200
.LBB742_263:
	global_load_ubyte v1, v[98:99], off offset:128
	s_mov_b32 s42, 0
	v_mov_b32_e32 v95, v63
	v_mov_b32_e32 v66, v34
	;; [unrolled: 1-line block ×33, first 2 shown]
	s_waitcnt vmcnt(0)
	v_and_b32_e32 v1, 1, v1
	v_cmp_eq_u32_e64 s4, 1, v1
	s_xor_b32 s4, s4, -1
	s_and_saveexec_b32 s42, s4
	s_xor_b32 s42, exec_lo, s42
	s_cbranch_execz .LBB742_265
; %bb.264:
	v_sub_f32_e32 v1, v34, v107
	v_mul_f32_e32 v2, 0x3fb8aa3b, v1
	v_cmp_ngt_f32_e64 s4, 0xc2ce8ed0, v1
	v_fma_f32 v3, 0x3fb8aa3b, v1, -v2
	v_rndne_f32_e32 v4, v2
	v_fmamk_f32 v3, v1, 0x32a5705f, v3
	v_sub_f32_e32 v2, v2, v4
	v_add_f32_e32 v2, v2, v3
	v_cvt_i32_f32_e32 v3, v4
	v_exp_f32_e32 v2, v2
	v_ldexp_f32 v2, v2, v3
	v_cndmask_b32_e64 v2, 0, v2, s4
	v_cmp_nlt_f32_e64 s4, 0x42b17218, v1
	v_cndmask_b32_e64 v34, 0x7f800000, v2, s4
	v_mov_b32_e32 v95, v63
	v_mov_b32_e32 v94, v62
	;; [unrolled: 1-line block ×4, first 2 shown]
	v_add_f32_e32 v0, v0, v34
	v_mov_b32_e32 v91, v59
	v_mov_b32_e32 v90, v58
	;; [unrolled: 1-line block ×28, first 2 shown]
.LBB742_265:
	s_andn2_saveexec_b32 s4, s42
	s_or_b32 exec_lo, exec_lo, s4
	s_or_b32 exec_lo, exec_lo, s34
                                        ; implicit-def: $vgpr1_vgpr2_vgpr3_vgpr4_vgpr5_vgpr6_vgpr7_vgpr8_vgpr9_vgpr10_vgpr11_vgpr12_vgpr13_vgpr14_vgpr15_vgpr16_vgpr17_vgpr18_vgpr19_vgpr20_vgpr21_vgpr22_vgpr23_vgpr24_vgpr25_vgpr26_vgpr27_vgpr28_vgpr29_vgpr30_vgpr31_vgpr32
	s_and_saveexec_b32 s4, s5
	s_xor_b32 s4, exec_lo, s4
	s_cbranch_execnz .LBB742_201
.LBB742_266:
	s_or_saveexec_b32 s34, s4
	s_xor_b32 s5, s65, -1
	s_xor_b32 exec_lo, exec_lo, s34
	s_cbranch_execz .LBB742_202
.LBB742_267:
	global_load_ubyte v1, v[98:99], off offset:192
	s_mov_b32 s42, 0
	s_waitcnt vmcnt(0)
	v_and_b32_e32 v1, 1, v1
	v_cmp_eq_u32_e64 s4, 1, v1
	v_mov_b32_e32 v1, v64
	v_mov_b32_e32 v4, v67
	v_mov_b32_e32 v2, v65
	v_mov_b32_e32 v3, v66
	v_mov_b32_e32 v5, v68
	v_mov_b32_e32 v6, v69
	v_mov_b32_e32 v7, v70
	v_mov_b32_e32 v8, v71
	v_mov_b32_e32 v9, v72
	v_mov_b32_e32 v10, v73
	v_mov_b32_e32 v11, v74
	v_mov_b32_e32 v12, v75
	v_mov_b32_e32 v13, v76
	v_mov_b32_e32 v14, v77
	v_mov_b32_e32 v15, v78
	v_mov_b32_e32 v16, v79
	v_mov_b32_e32 v17, v80
	v_mov_b32_e32 v18, v81
	v_mov_b32_e32 v19, v82
	v_mov_b32_e32 v20, v83
	v_mov_b32_e32 v21, v84
	v_mov_b32_e32 v22, v85
	v_mov_b32_e32 v23, v86
	v_mov_b32_e32 v24, v87
	v_mov_b32_e32 v25, v88
	v_mov_b32_e32 v26, v89
	v_mov_b32_e32 v27, v90
	v_mov_b32_e32 v28, v91
	v_mov_b32_e32 v29, v92
	v_mov_b32_e32 v30, v93
	v_mov_b32_e32 v31, v94
	v_mov_b32_e32 v32, v95
	v_mov_b32_e32 v4, s42
	s_xor_b32 s4, s4, -1
	s_and_saveexec_b32 s42, s4
	s_xor_b32 s42, exec_lo, s42
	s_cbranch_execz .LBB742_269
; %bb.268:
	v_sub_f32_e32 v1, v67, v107
	v_mul_f32_e32 v2, 0x3fb8aa3b, v1
	v_cmp_ngt_f32_e64 s4, 0xc2ce8ed0, v1
	v_fma_f32 v3, 0x3fb8aa3b, v1, -v2
	v_rndne_f32_e32 v4, v2
	v_fmamk_f32 v3, v1, 0x32a5705f, v3
	v_sub_f32_e32 v2, v2, v4
	v_add_f32_e32 v2, v2, v3
	v_cvt_i32_f32_e32 v3, v4
	v_exp_f32_e32 v2, v2
	v_ldexp_f32 v2, v2, v3
	v_cndmask_b32_e64 v2, 0, v2, s4
	v_cmp_nlt_f32_e64 s4, 0x42b17218, v1
	v_cndmask_b32_e64 v67, 0x7f800000, v2, s4
	v_mov_b32_e32 v1, v64
	v_mov_b32_e32 v2, v65
	;; [unrolled: 1-line block ×4, first 2 shown]
	v_add_f32_e32 v0, v0, v67
	v_mov_b32_e32 v4, v67
	v_mov_b32_e32 v6, v69
	;; [unrolled: 1-line block ×28, first 2 shown]
.LBB742_269:
	s_andn2_saveexec_b32 s4, s42
	s_or_b32 exec_lo, exec_lo, s4
	s_or_b32 exec_lo, exec_lo, s34
                                        ; implicit-def: $vgpr33_vgpr34_vgpr35_vgpr36_vgpr37_vgpr38_vgpr39_vgpr40_vgpr41_vgpr42_vgpr43_vgpr44_vgpr45_vgpr46_vgpr47_vgpr48_vgpr49_vgpr50_vgpr51_vgpr52_vgpr53_vgpr54_vgpr55_vgpr56_vgpr57_vgpr58_vgpr59_vgpr60_vgpr61_vgpr62_vgpr63_vgpr64
	s_and_saveexec_b32 s4, s5
	s_xor_b32 s4, exec_lo, s4
	s_cbranch_execnz .LBB742_203
.LBB742_270:
	s_or_saveexec_b32 s34, s4
	s_xor_b32 s5, s64, -1
	s_xor_b32 exec_lo, exec_lo, s34
	s_cbranch_execz .LBB742_204
.LBB742_271:
	global_load_ubyte v33, v[98:99], off offset:256
	s_mov_b32 s42, 0
	s_waitcnt vmcnt(0)
	v_and_b32_e32 v33, 1, v33
	v_cmp_eq_u32_e64 s4, 1, v33
	v_mov_b32_e32 v64, v32
	v_mov_b32_e32 v37, v5
	;; [unrolled: 1-line block ×33, first 2 shown]
	s_xor_b32 s4, s4, -1
	s_and_saveexec_b32 s42, s4
	s_xor_b32 s42, exec_lo, s42
	s_cbranch_execz .LBB742_273
; %bb.272:
	v_sub_f32_e32 v5, v5, v107
	v_mul_f32_e32 v33, 0x3fb8aa3b, v5
	v_cmp_ngt_f32_e64 s4, 0xc2ce8ed0, v5
	v_fma_f32 v34, 0x3fb8aa3b, v5, -v33
	v_rndne_f32_e32 v35, v33
	v_fmamk_f32 v34, v5, 0x32a5705f, v34
	v_sub_f32_e32 v33, v33, v35
	v_add_f32_e32 v33, v33, v34
	v_cvt_i32_f32_e32 v34, v35
	v_exp_f32_e32 v33, v33
	v_ldexp_f32 v33, v33, v34
	v_cndmask_b32_e64 v33, 0, v33, s4
	v_cmp_nlt_f32_e64 s4, 0x42b17218, v5
	v_cndmask_b32_e64 v5, 0x7f800000, v33, s4
	v_mov_b32_e32 v64, v32
	v_mov_b32_e32 v63, v31
	;; [unrolled: 1-line block ×4, first 2 shown]
	v_add_f32_e32 v0, v0, v5
	v_mov_b32_e32 v60, v28
	v_mov_b32_e32 v59, v27
	;; [unrolled: 1-line block ×28, first 2 shown]
.LBB742_273:
	s_andn2_saveexec_b32 s4, s42
	s_or_b32 exec_lo, exec_lo, s4
	s_or_b32 exec_lo, exec_lo, s34
                                        ; implicit-def: $vgpr1_vgpr2_vgpr3_vgpr4_vgpr5_vgpr6_vgpr7_vgpr8_vgpr9_vgpr10_vgpr11_vgpr12_vgpr13_vgpr14_vgpr15_vgpr16_vgpr17_vgpr18_vgpr19_vgpr20_vgpr21_vgpr22_vgpr23_vgpr24_vgpr25_vgpr26_vgpr27_vgpr28_vgpr29_vgpr30_vgpr31_vgpr32
	s_and_saveexec_b32 s4, s5
	s_xor_b32 s4, exec_lo, s4
	s_cbranch_execnz .LBB742_205
.LBB742_274:
	s_or_saveexec_b32 s34, s4
	s_xor_b32 s5, s63, -1
	s_xor_b32 exec_lo, exec_lo, s34
	s_cbranch_execz .LBB742_206
.LBB742_275:
	global_load_ubyte v1, v[98:99], off offset:320
	s_mov_b32 s42, 0
	s_waitcnt vmcnt(0)
	v_and_b32_e32 v1, 1, v1
	v_cmp_eq_u32_e64 s4, 1, v1
	v_mov_b32_e32 v1, v33
	v_mov_b32_e32 v6, v38
	;; [unrolled: 1-line block ×33, first 2 shown]
	s_xor_b32 s4, s4, -1
	s_and_saveexec_b32 s42, s4
	s_xor_b32 s42, exec_lo, s42
	s_cbranch_execz .LBB742_277
; %bb.276:
	v_sub_f32_e32 v1, v38, v107
	v_mul_f32_e32 v2, 0x3fb8aa3b, v1
	v_cmp_ngt_f32_e64 s4, 0xc2ce8ed0, v1
	v_fma_f32 v3, 0x3fb8aa3b, v1, -v2
	v_rndne_f32_e32 v4, v2
	v_fmamk_f32 v3, v1, 0x32a5705f, v3
	v_sub_f32_e32 v2, v2, v4
	v_add_f32_e32 v2, v2, v3
	v_cvt_i32_f32_e32 v3, v4
	v_exp_f32_e32 v2, v2
	v_ldexp_f32 v2, v2, v3
	v_cndmask_b32_e64 v2, 0, v2, s4
	v_cmp_nlt_f32_e64 s4, 0x42b17218, v1
	v_cndmask_b32_e64 v38, 0x7f800000, v2, s4
	v_mov_b32_e32 v1, v33
	v_mov_b32_e32 v2, v34
	;; [unrolled: 1-line block ×4, first 2 shown]
	v_add_f32_e32 v0, v0, v38
	v_mov_b32_e32 v5, v37
	v_mov_b32_e32 v6, v38
	;; [unrolled: 1-line block ×28, first 2 shown]
.LBB742_277:
	s_andn2_saveexec_b32 s4, s42
	s_or_b32 exec_lo, exec_lo, s4
	s_or_b32 exec_lo, exec_lo, s34
                                        ; implicit-def: $vgpr33_vgpr34_vgpr35_vgpr36_vgpr37_vgpr38_vgpr39_vgpr40_vgpr41_vgpr42_vgpr43_vgpr44_vgpr45_vgpr46_vgpr47_vgpr48_vgpr49_vgpr50_vgpr51_vgpr52_vgpr53_vgpr54_vgpr55_vgpr56_vgpr57_vgpr58_vgpr59_vgpr60_vgpr61_vgpr62_vgpr63_vgpr64
	s_and_saveexec_b32 s4, s5
	s_xor_b32 s4, exec_lo, s4
	s_cbranch_execnz .LBB742_207
.LBB742_278:
	s_or_saveexec_b32 s34, s4
	s_xor_b32 s5, s62, -1
	s_xor_b32 exec_lo, exec_lo, s34
	s_cbranch_execz .LBB742_208
.LBB742_279:
	global_load_ubyte v33, v[98:99], off offset:384
	s_mov_b32 s42, 0
	s_waitcnt vmcnt(0)
	v_and_b32_e32 v33, 1, v33
	v_cmp_eq_u32_e64 s4, 1, v33
	v_mov_b32_e32 v64, v32
	v_mov_b32_e32 v39, v7
	;; [unrolled: 1-line block ×33, first 2 shown]
	s_xor_b32 s4, s4, -1
	s_and_saveexec_b32 s42, s4
	s_xor_b32 s42, exec_lo, s42
	s_cbranch_execz .LBB742_281
; %bb.280:
	v_sub_f32_e32 v7, v7, v107
	v_mul_f32_e32 v33, 0x3fb8aa3b, v7
	v_cmp_ngt_f32_e64 s4, 0xc2ce8ed0, v7
	v_fma_f32 v34, 0x3fb8aa3b, v7, -v33
	v_rndne_f32_e32 v35, v33
	v_fmamk_f32 v34, v7, 0x32a5705f, v34
	v_sub_f32_e32 v33, v33, v35
	v_add_f32_e32 v33, v33, v34
	v_cvt_i32_f32_e32 v34, v35
	v_exp_f32_e32 v33, v33
	v_ldexp_f32 v33, v33, v34
	v_cndmask_b32_e64 v33, 0, v33, s4
	v_cmp_nlt_f32_e64 s4, 0x42b17218, v7
	v_cndmask_b32_e64 v7, 0x7f800000, v33, s4
	v_mov_b32_e32 v64, v32
	v_mov_b32_e32 v63, v31
	;; [unrolled: 1-line block ×4, first 2 shown]
	v_add_f32_e32 v0, v0, v7
	v_mov_b32_e32 v60, v28
	v_mov_b32_e32 v59, v27
	v_mov_b32_e32 v58, v26
	v_mov_b32_e32 v57, v25
	v_mov_b32_e32 v56, v24
	v_mov_b32_e32 v55, v23
	v_mov_b32_e32 v54, v22
	v_mov_b32_e32 v53, v21
	v_mov_b32_e32 v52, v20
	v_mov_b32_e32 v51, v19
	v_mov_b32_e32 v50, v18
	v_mov_b32_e32 v49, v17
	v_mov_b32_e32 v48, v16
	v_mov_b32_e32 v47, v15
	v_mov_b32_e32 v46, v14
	v_mov_b32_e32 v45, v13
	v_mov_b32_e32 v44, v12
	v_mov_b32_e32 v43, v11
	v_mov_b32_e32 v42, v10
	v_mov_b32_e32 v41, v9
	v_mov_b32_e32 v40, v8
	v_mov_b32_e32 v39, v7
	v_mov_b32_e32 v38, v6
	v_mov_b32_e32 v37, v5
	v_mov_b32_e32 v36, v4
	v_mov_b32_e32 v35, v3
	v_mov_b32_e32 v34, v2
	v_mov_b32_e32 v33, v1
.LBB742_281:
	s_andn2_saveexec_b32 s4, s42
	s_or_b32 exec_lo, exec_lo, s4
	s_or_b32 exec_lo, exec_lo, s34
                                        ; implicit-def: $vgpr1_vgpr2_vgpr3_vgpr4_vgpr5_vgpr6_vgpr7_vgpr8_vgpr9_vgpr10_vgpr11_vgpr12_vgpr13_vgpr14_vgpr15_vgpr16_vgpr17_vgpr18_vgpr19_vgpr20_vgpr21_vgpr22_vgpr23_vgpr24_vgpr25_vgpr26_vgpr27_vgpr28_vgpr29_vgpr30_vgpr31_vgpr32
	s_and_saveexec_b32 s4, s5
	s_xor_b32 s4, exec_lo, s4
	s_cbranch_execnz .LBB742_209
.LBB742_282:
	s_or_saveexec_b32 s34, s4
	s_xor_b32 s5, s61, -1
	s_xor_b32 exec_lo, exec_lo, s34
	s_cbranch_execz .LBB742_210
.LBB742_283:
	global_load_ubyte v1, v[98:99], off offset:448
	s_mov_b32 s42, 0
	s_waitcnt vmcnt(0)
	v_and_b32_e32 v1, 1, v1
	v_cmp_eq_u32_e64 s4, 1, v1
	v_mov_b32_e32 v1, v33
	v_mov_b32_e32 v8, v40
	;; [unrolled: 1-line block ×33, first 2 shown]
	s_xor_b32 s4, s4, -1
	s_and_saveexec_b32 s42, s4
	s_xor_b32 s42, exec_lo, s42
	s_cbranch_execz .LBB742_285
; %bb.284:
	v_sub_f32_e32 v1, v40, v107
	v_mul_f32_e32 v2, 0x3fb8aa3b, v1
	v_cmp_ngt_f32_e64 s4, 0xc2ce8ed0, v1
	v_fma_f32 v3, 0x3fb8aa3b, v1, -v2
	v_rndne_f32_e32 v4, v2
	v_fmamk_f32 v3, v1, 0x32a5705f, v3
	v_sub_f32_e32 v2, v2, v4
	v_add_f32_e32 v2, v2, v3
	v_cvt_i32_f32_e32 v3, v4
	v_exp_f32_e32 v2, v2
	v_ldexp_f32 v2, v2, v3
	v_cndmask_b32_e64 v2, 0, v2, s4
	v_cmp_nlt_f32_e64 s4, 0x42b17218, v1
	v_cndmask_b32_e64 v40, 0x7f800000, v2, s4
	v_mov_b32_e32 v1, v33
	v_mov_b32_e32 v2, v34
	v_mov_b32_e32 v3, v35
	v_mov_b32_e32 v4, v36
	v_add_f32_e32 v0, v0, v40
	v_mov_b32_e32 v5, v37
	v_mov_b32_e32 v6, v38
	;; [unrolled: 1-line block ×28, first 2 shown]
.LBB742_285:
	s_andn2_saveexec_b32 s4, s42
	s_or_b32 exec_lo, exec_lo, s4
	s_or_b32 exec_lo, exec_lo, s34
                                        ; implicit-def: $vgpr33_vgpr34_vgpr35_vgpr36_vgpr37_vgpr38_vgpr39_vgpr40_vgpr41_vgpr42_vgpr43_vgpr44_vgpr45_vgpr46_vgpr47_vgpr48_vgpr49_vgpr50_vgpr51_vgpr52_vgpr53_vgpr54_vgpr55_vgpr56_vgpr57_vgpr58_vgpr59_vgpr60_vgpr61_vgpr62_vgpr63_vgpr64
	s_and_saveexec_b32 s4, s5
	s_xor_b32 s4, exec_lo, s4
	s_cbranch_execnz .LBB742_211
.LBB742_286:
	s_or_saveexec_b32 s34, s4
	s_xor_b32 s5, s60, -1
	s_xor_b32 exec_lo, exec_lo, s34
	s_cbranch_execz .LBB742_212
.LBB742_287:
	global_load_ubyte v33, v[98:99], off offset:512
	s_mov_b32 s42, 0
	s_waitcnt vmcnt(0)
	v_and_b32_e32 v33, 1, v33
	v_cmp_eq_u32_e64 s4, 1, v33
	v_mov_b32_e32 v64, v32
	v_mov_b32_e32 v41, v9
	;; [unrolled: 1-line block ×33, first 2 shown]
	s_xor_b32 s4, s4, -1
	s_and_saveexec_b32 s42, s4
	s_xor_b32 s42, exec_lo, s42
	s_cbranch_execz .LBB742_289
; %bb.288:
	v_sub_f32_e32 v9, v9, v107
	v_mul_f32_e32 v33, 0x3fb8aa3b, v9
	v_cmp_ngt_f32_e64 s4, 0xc2ce8ed0, v9
	v_fma_f32 v34, 0x3fb8aa3b, v9, -v33
	v_rndne_f32_e32 v35, v33
	v_fmamk_f32 v34, v9, 0x32a5705f, v34
	v_sub_f32_e32 v33, v33, v35
	v_add_f32_e32 v33, v33, v34
	v_cvt_i32_f32_e32 v34, v35
	v_exp_f32_e32 v33, v33
	v_ldexp_f32 v33, v33, v34
	v_cndmask_b32_e64 v33, 0, v33, s4
	v_cmp_nlt_f32_e64 s4, 0x42b17218, v9
	v_cndmask_b32_e64 v9, 0x7f800000, v33, s4
	v_mov_b32_e32 v64, v32
	v_mov_b32_e32 v63, v31
	;; [unrolled: 1-line block ×4, first 2 shown]
	v_add_f32_e32 v0, v0, v9
	v_mov_b32_e32 v60, v28
	v_mov_b32_e32 v59, v27
	;; [unrolled: 1-line block ×28, first 2 shown]
.LBB742_289:
	s_andn2_saveexec_b32 s4, s42
	s_or_b32 exec_lo, exec_lo, s4
	s_or_b32 exec_lo, exec_lo, s34
                                        ; implicit-def: $vgpr1_vgpr2_vgpr3_vgpr4_vgpr5_vgpr6_vgpr7_vgpr8_vgpr9_vgpr10_vgpr11_vgpr12_vgpr13_vgpr14_vgpr15_vgpr16_vgpr17_vgpr18_vgpr19_vgpr20_vgpr21_vgpr22_vgpr23_vgpr24_vgpr25_vgpr26_vgpr27_vgpr28_vgpr29_vgpr30_vgpr31_vgpr32
	s_and_saveexec_b32 s4, s5
	s_xor_b32 s4, exec_lo, s4
	s_cbranch_execnz .LBB742_213
.LBB742_290:
	s_or_saveexec_b32 s34, s4
	s_xor_b32 s5, s59, -1
	s_xor_b32 exec_lo, exec_lo, s34
	s_cbranch_execz .LBB742_214
.LBB742_291:
	global_load_ubyte v1, v[98:99], off offset:576
	s_mov_b32 s42, 0
	s_waitcnt vmcnt(0)
	v_and_b32_e32 v1, 1, v1
	v_cmp_eq_u32_e64 s4, 1, v1
	v_mov_b32_e32 v1, v33
	v_mov_b32_e32 v10, v42
	v_mov_b32_e32 v2, v34
	v_mov_b32_e32 v3, v35
	v_mov_b32_e32 v4, v36
	v_mov_b32_e32 v5, v37
	v_mov_b32_e32 v6, v38
	v_mov_b32_e32 v7, v39
	v_mov_b32_e32 v8, v40
	v_mov_b32_e32 v9, v41
	v_mov_b32_e32 v11, v43
	v_mov_b32_e32 v12, v44
	v_mov_b32_e32 v13, v45
	v_mov_b32_e32 v14, v46
	v_mov_b32_e32 v15, v47
	v_mov_b32_e32 v16, v48
	v_mov_b32_e32 v17, v49
	v_mov_b32_e32 v18, v50
	v_mov_b32_e32 v19, v51
	v_mov_b32_e32 v20, v52
	v_mov_b32_e32 v21, v53
	v_mov_b32_e32 v22, v54
	v_mov_b32_e32 v23, v55
	v_mov_b32_e32 v24, v56
	v_mov_b32_e32 v25, v57
	v_mov_b32_e32 v26, v58
	v_mov_b32_e32 v27, v59
	v_mov_b32_e32 v28, v60
	v_mov_b32_e32 v29, v61
	v_mov_b32_e32 v30, v62
	v_mov_b32_e32 v31, v63
	v_mov_b32_e32 v32, v64
	v_mov_b32_e32 v10, s42
	s_xor_b32 s4, s4, -1
	s_and_saveexec_b32 s42, s4
	s_xor_b32 s42, exec_lo, s42
	s_cbranch_execz .LBB742_293
; %bb.292:
	v_sub_f32_e32 v1, v42, v107
	v_mul_f32_e32 v2, 0x3fb8aa3b, v1
	v_cmp_ngt_f32_e64 s4, 0xc2ce8ed0, v1
	v_fma_f32 v3, 0x3fb8aa3b, v1, -v2
	v_rndne_f32_e32 v4, v2
	v_fmamk_f32 v3, v1, 0x32a5705f, v3
	v_sub_f32_e32 v2, v2, v4
	v_add_f32_e32 v2, v2, v3
	v_cvt_i32_f32_e32 v3, v4
	v_exp_f32_e32 v2, v2
	v_ldexp_f32 v2, v2, v3
	v_cndmask_b32_e64 v2, 0, v2, s4
	v_cmp_nlt_f32_e64 s4, 0x42b17218, v1
	v_cndmask_b32_e64 v42, 0x7f800000, v2, s4
	v_mov_b32_e32 v1, v33
	v_mov_b32_e32 v2, v34
	;; [unrolled: 1-line block ×4, first 2 shown]
	v_add_f32_e32 v0, v0, v42
	v_mov_b32_e32 v5, v37
	v_mov_b32_e32 v6, v38
	v_mov_b32_e32 v7, v39
	v_mov_b32_e32 v8, v40
	v_mov_b32_e32 v9, v41
	v_mov_b32_e32 v10, v42
	v_mov_b32_e32 v11, v43
	v_mov_b32_e32 v12, v44
	v_mov_b32_e32 v13, v45
	v_mov_b32_e32 v14, v46
	v_mov_b32_e32 v15, v47
	v_mov_b32_e32 v16, v48
	v_mov_b32_e32 v17, v49
	v_mov_b32_e32 v18, v50
	v_mov_b32_e32 v19, v51
	v_mov_b32_e32 v20, v52
	v_mov_b32_e32 v21, v53
	v_mov_b32_e32 v22, v54
	v_mov_b32_e32 v23, v55
	v_mov_b32_e32 v24, v56
	v_mov_b32_e32 v25, v57
	v_mov_b32_e32 v26, v58
	v_mov_b32_e32 v27, v59
	v_mov_b32_e32 v28, v60
	v_mov_b32_e32 v29, v61
	v_mov_b32_e32 v30, v62
	v_mov_b32_e32 v31, v63
	v_mov_b32_e32 v32, v64
.LBB742_293:
	s_andn2_saveexec_b32 s4, s42
	s_or_b32 exec_lo, exec_lo, s4
	s_or_b32 exec_lo, exec_lo, s34
                                        ; implicit-def: $vgpr33_vgpr34_vgpr35_vgpr36_vgpr37_vgpr38_vgpr39_vgpr40_vgpr41_vgpr42_vgpr43_vgpr44_vgpr45_vgpr46_vgpr47_vgpr48_vgpr49_vgpr50_vgpr51_vgpr52_vgpr53_vgpr54_vgpr55_vgpr56_vgpr57_vgpr58_vgpr59_vgpr60_vgpr61_vgpr62_vgpr63_vgpr64
	s_and_saveexec_b32 s4, s5
	s_xor_b32 s4, exec_lo, s4
	s_cbranch_execnz .LBB742_215
.LBB742_294:
	s_or_saveexec_b32 s34, s4
	s_xor_b32 s5, s58, -1
	s_xor_b32 exec_lo, exec_lo, s34
	s_cbranch_execz .LBB742_216
.LBB742_295:
	global_load_ubyte v33, v[98:99], off offset:640
	s_mov_b32 s42, 0
	s_waitcnt vmcnt(0)
	v_and_b32_e32 v33, 1, v33
	v_cmp_eq_u32_e64 s4, 1, v33
	v_mov_b32_e32 v64, v32
	v_mov_b32_e32 v43, v11
	;; [unrolled: 1-line block ×33, first 2 shown]
	s_xor_b32 s4, s4, -1
	s_and_saveexec_b32 s42, s4
	s_xor_b32 s42, exec_lo, s42
	s_cbranch_execz .LBB742_297
; %bb.296:
	v_sub_f32_e32 v11, v11, v107
	v_mul_f32_e32 v33, 0x3fb8aa3b, v11
	v_cmp_ngt_f32_e64 s4, 0xc2ce8ed0, v11
	v_fma_f32 v34, 0x3fb8aa3b, v11, -v33
	v_rndne_f32_e32 v35, v33
	v_fmamk_f32 v34, v11, 0x32a5705f, v34
	v_sub_f32_e32 v33, v33, v35
	v_add_f32_e32 v33, v33, v34
	v_cvt_i32_f32_e32 v34, v35
	v_exp_f32_e32 v33, v33
	v_ldexp_f32 v33, v33, v34
	v_cndmask_b32_e64 v33, 0, v33, s4
	v_cmp_nlt_f32_e64 s4, 0x42b17218, v11
	v_cndmask_b32_e64 v11, 0x7f800000, v33, s4
	v_mov_b32_e32 v64, v32
	v_mov_b32_e32 v63, v31
	;; [unrolled: 1-line block ×4, first 2 shown]
	v_add_f32_e32 v0, v0, v11
	v_mov_b32_e32 v60, v28
	v_mov_b32_e32 v59, v27
	;; [unrolled: 1-line block ×28, first 2 shown]
.LBB742_297:
	s_andn2_saveexec_b32 s4, s42
	s_or_b32 exec_lo, exec_lo, s4
	s_or_b32 exec_lo, exec_lo, s34
                                        ; implicit-def: $vgpr1_vgpr2_vgpr3_vgpr4_vgpr5_vgpr6_vgpr7_vgpr8_vgpr9_vgpr10_vgpr11_vgpr12_vgpr13_vgpr14_vgpr15_vgpr16_vgpr17_vgpr18_vgpr19_vgpr20_vgpr21_vgpr22_vgpr23_vgpr24_vgpr25_vgpr26_vgpr27_vgpr28_vgpr29_vgpr30_vgpr31_vgpr32
	s_and_saveexec_b32 s4, s5
	s_xor_b32 s4, exec_lo, s4
	s_cbranch_execnz .LBB742_217
.LBB742_298:
	s_or_saveexec_b32 s34, s4
	s_xor_b32 s5, s57, -1
	s_xor_b32 exec_lo, exec_lo, s34
	s_cbranch_execz .LBB742_218
.LBB742_299:
	global_load_ubyte v1, v[98:99], off offset:704
	s_mov_b32 s42, 0
	s_waitcnt vmcnt(0)
	v_and_b32_e32 v1, 1, v1
	v_cmp_eq_u32_e64 s4, 1, v1
	v_mov_b32_e32 v1, v33
	v_mov_b32_e32 v12, v44
	;; [unrolled: 1-line block ×33, first 2 shown]
	s_xor_b32 s4, s4, -1
	s_and_saveexec_b32 s42, s4
	s_xor_b32 s42, exec_lo, s42
	s_cbranch_execz .LBB742_301
; %bb.300:
	v_sub_f32_e32 v1, v44, v107
	v_mul_f32_e32 v2, 0x3fb8aa3b, v1
	v_cmp_ngt_f32_e64 s4, 0xc2ce8ed0, v1
	v_fma_f32 v3, 0x3fb8aa3b, v1, -v2
	v_rndne_f32_e32 v4, v2
	v_fmamk_f32 v3, v1, 0x32a5705f, v3
	v_sub_f32_e32 v2, v2, v4
	v_add_f32_e32 v2, v2, v3
	v_cvt_i32_f32_e32 v3, v4
	v_exp_f32_e32 v2, v2
	v_ldexp_f32 v2, v2, v3
	v_cndmask_b32_e64 v2, 0, v2, s4
	v_cmp_nlt_f32_e64 s4, 0x42b17218, v1
	v_cndmask_b32_e64 v44, 0x7f800000, v2, s4
	v_mov_b32_e32 v1, v33
	v_mov_b32_e32 v2, v34
	;; [unrolled: 1-line block ×4, first 2 shown]
	v_add_f32_e32 v0, v0, v44
	v_mov_b32_e32 v5, v37
	v_mov_b32_e32 v6, v38
	;; [unrolled: 1-line block ×28, first 2 shown]
.LBB742_301:
	s_andn2_saveexec_b32 s4, s42
	s_or_b32 exec_lo, exec_lo, s4
	s_or_b32 exec_lo, exec_lo, s34
                                        ; implicit-def: $vgpr33_vgpr34_vgpr35_vgpr36_vgpr37_vgpr38_vgpr39_vgpr40_vgpr41_vgpr42_vgpr43_vgpr44_vgpr45_vgpr46_vgpr47_vgpr48_vgpr49_vgpr50_vgpr51_vgpr52_vgpr53_vgpr54_vgpr55_vgpr56_vgpr57_vgpr58_vgpr59_vgpr60_vgpr61_vgpr62_vgpr63_vgpr64
	s_and_saveexec_b32 s4, s5
	s_xor_b32 s4, exec_lo, s4
	s_cbranch_execnz .LBB742_219
.LBB742_302:
	s_or_saveexec_b32 s34, s4
	s_xor_b32 s5, s56, -1
	s_xor_b32 exec_lo, exec_lo, s34
	s_cbranch_execz .LBB742_220
.LBB742_303:
	global_load_ubyte v33, v[98:99], off offset:768
	s_mov_b32 s42, 0
	s_waitcnt vmcnt(0)
	v_and_b32_e32 v33, 1, v33
	v_cmp_eq_u32_e64 s4, 1, v33
	v_mov_b32_e32 v64, v32
	v_mov_b32_e32 v45, v13
	;; [unrolled: 1-line block ×33, first 2 shown]
	s_xor_b32 s4, s4, -1
	s_and_saveexec_b32 s42, s4
	s_xor_b32 s42, exec_lo, s42
	s_cbranch_execz .LBB742_305
; %bb.304:
	v_sub_f32_e32 v13, v13, v107
	v_mul_f32_e32 v33, 0x3fb8aa3b, v13
	v_cmp_ngt_f32_e64 s4, 0xc2ce8ed0, v13
	v_fma_f32 v34, 0x3fb8aa3b, v13, -v33
	v_rndne_f32_e32 v35, v33
	v_fmamk_f32 v34, v13, 0x32a5705f, v34
	v_sub_f32_e32 v33, v33, v35
	v_add_f32_e32 v33, v33, v34
	v_cvt_i32_f32_e32 v34, v35
	v_exp_f32_e32 v33, v33
	v_ldexp_f32 v33, v33, v34
	v_cndmask_b32_e64 v33, 0, v33, s4
	v_cmp_nlt_f32_e64 s4, 0x42b17218, v13
	v_cndmask_b32_e64 v13, 0x7f800000, v33, s4
	v_mov_b32_e32 v64, v32
	v_mov_b32_e32 v63, v31
	;; [unrolled: 1-line block ×4, first 2 shown]
	v_add_f32_e32 v0, v0, v13
	v_mov_b32_e32 v60, v28
	v_mov_b32_e32 v59, v27
	;; [unrolled: 1-line block ×28, first 2 shown]
.LBB742_305:
	s_andn2_saveexec_b32 s4, s42
	s_or_b32 exec_lo, exec_lo, s4
	s_or_b32 exec_lo, exec_lo, s34
                                        ; implicit-def: $vgpr1_vgpr2_vgpr3_vgpr4_vgpr5_vgpr6_vgpr7_vgpr8_vgpr9_vgpr10_vgpr11_vgpr12_vgpr13_vgpr14_vgpr15_vgpr16_vgpr17_vgpr18_vgpr19_vgpr20_vgpr21_vgpr22_vgpr23_vgpr24_vgpr25_vgpr26_vgpr27_vgpr28_vgpr29_vgpr30_vgpr31_vgpr32
	s_and_saveexec_b32 s4, s5
	s_xor_b32 s4, exec_lo, s4
	s_cbranch_execnz .LBB742_221
.LBB742_306:
	s_or_saveexec_b32 s34, s4
	s_xor_b32 s5, s55, -1
	s_xor_b32 exec_lo, exec_lo, s34
	s_cbranch_execz .LBB742_222
.LBB742_307:
	global_load_ubyte v1, v[98:99], off offset:832
	s_mov_b32 s42, 0
	s_waitcnt vmcnt(0)
	v_and_b32_e32 v1, 1, v1
	v_cmp_eq_u32_e64 s4, 1, v1
	v_mov_b32_e32 v1, v33
	v_mov_b32_e32 v14, v46
	;; [unrolled: 1-line block ×33, first 2 shown]
	s_xor_b32 s4, s4, -1
	s_and_saveexec_b32 s42, s4
	s_xor_b32 s42, exec_lo, s42
	s_cbranch_execz .LBB742_309
; %bb.308:
	v_sub_f32_e32 v1, v46, v107
	v_mul_f32_e32 v2, 0x3fb8aa3b, v1
	v_cmp_ngt_f32_e64 s4, 0xc2ce8ed0, v1
	v_fma_f32 v3, 0x3fb8aa3b, v1, -v2
	v_rndne_f32_e32 v4, v2
	v_fmamk_f32 v3, v1, 0x32a5705f, v3
	v_sub_f32_e32 v2, v2, v4
	v_add_f32_e32 v2, v2, v3
	v_cvt_i32_f32_e32 v3, v4
	v_exp_f32_e32 v2, v2
	v_ldexp_f32 v2, v2, v3
	v_cndmask_b32_e64 v2, 0, v2, s4
	v_cmp_nlt_f32_e64 s4, 0x42b17218, v1
	v_cndmask_b32_e64 v46, 0x7f800000, v2, s4
	v_mov_b32_e32 v1, v33
	v_mov_b32_e32 v2, v34
	;; [unrolled: 1-line block ×4, first 2 shown]
	v_add_f32_e32 v0, v0, v46
	v_mov_b32_e32 v5, v37
	v_mov_b32_e32 v6, v38
	;; [unrolled: 1-line block ×28, first 2 shown]
.LBB742_309:
	s_andn2_saveexec_b32 s4, s42
	s_or_b32 exec_lo, exec_lo, s4
	s_or_b32 exec_lo, exec_lo, s34
                                        ; implicit-def: $vgpr33_vgpr34_vgpr35_vgpr36_vgpr37_vgpr38_vgpr39_vgpr40_vgpr41_vgpr42_vgpr43_vgpr44_vgpr45_vgpr46_vgpr47_vgpr48_vgpr49_vgpr50_vgpr51_vgpr52_vgpr53_vgpr54_vgpr55_vgpr56_vgpr57_vgpr58_vgpr59_vgpr60_vgpr61_vgpr62_vgpr63_vgpr64
	s_and_saveexec_b32 s4, s5
	s_xor_b32 s4, exec_lo, s4
	s_cbranch_execnz .LBB742_223
.LBB742_310:
	s_or_saveexec_b32 s34, s4
	s_xor_b32 s5, s54, -1
	s_xor_b32 exec_lo, exec_lo, s34
	s_cbranch_execz .LBB742_224
.LBB742_311:
	global_load_ubyte v33, v[98:99], off offset:896
	s_mov_b32 s42, 0
	s_waitcnt vmcnt(0)
	v_and_b32_e32 v33, 1, v33
	v_cmp_eq_u32_e64 s4, 1, v33
	v_mov_b32_e32 v64, v32
	v_mov_b32_e32 v47, v15
	;; [unrolled: 1-line block ×33, first 2 shown]
	s_xor_b32 s4, s4, -1
	s_and_saveexec_b32 s42, s4
	s_xor_b32 s42, exec_lo, s42
	s_cbranch_execz .LBB742_313
; %bb.312:
	v_sub_f32_e32 v15, v15, v107
	v_mul_f32_e32 v33, 0x3fb8aa3b, v15
	v_cmp_ngt_f32_e64 s4, 0xc2ce8ed0, v15
	v_fma_f32 v34, 0x3fb8aa3b, v15, -v33
	v_rndne_f32_e32 v35, v33
	v_fmamk_f32 v34, v15, 0x32a5705f, v34
	v_sub_f32_e32 v33, v33, v35
	v_add_f32_e32 v33, v33, v34
	v_cvt_i32_f32_e32 v34, v35
	v_exp_f32_e32 v33, v33
	v_ldexp_f32 v33, v33, v34
	v_cndmask_b32_e64 v33, 0, v33, s4
	v_cmp_nlt_f32_e64 s4, 0x42b17218, v15
	v_cndmask_b32_e64 v15, 0x7f800000, v33, s4
	v_mov_b32_e32 v64, v32
	v_mov_b32_e32 v63, v31
	;; [unrolled: 1-line block ×4, first 2 shown]
	v_add_f32_e32 v0, v0, v15
	v_mov_b32_e32 v60, v28
	v_mov_b32_e32 v59, v27
	;; [unrolled: 1-line block ×28, first 2 shown]
.LBB742_313:
	s_andn2_saveexec_b32 s4, s42
	s_or_b32 exec_lo, exec_lo, s4
	s_or_b32 exec_lo, exec_lo, s34
                                        ; implicit-def: $vgpr1_vgpr2_vgpr3_vgpr4_vgpr5_vgpr6_vgpr7_vgpr8_vgpr9_vgpr10_vgpr11_vgpr12_vgpr13_vgpr14_vgpr15_vgpr16_vgpr17_vgpr18_vgpr19_vgpr20_vgpr21_vgpr22_vgpr23_vgpr24_vgpr25_vgpr26_vgpr27_vgpr28_vgpr29_vgpr30_vgpr31_vgpr32
	s_and_saveexec_b32 s4, s5
	s_xor_b32 s4, exec_lo, s4
	s_cbranch_execnz .LBB742_225
.LBB742_314:
	s_or_saveexec_b32 s34, s4
	s_xor_b32 s5, s53, -1
	s_xor_b32 exec_lo, exec_lo, s34
	s_cbranch_execz .LBB742_226
.LBB742_315:
	global_load_ubyte v1, v[98:99], off offset:960
	s_mov_b32 s42, 0
	s_waitcnt vmcnt(0)
	v_and_b32_e32 v1, 1, v1
	v_cmp_eq_u32_e64 s4, 1, v1
	v_mov_b32_e32 v1, v33
	v_mov_b32_e32 v16, v48
	;; [unrolled: 1-line block ×33, first 2 shown]
	s_xor_b32 s4, s4, -1
	s_and_saveexec_b32 s42, s4
	s_xor_b32 s42, exec_lo, s42
	s_cbranch_execz .LBB742_317
; %bb.316:
	v_sub_f32_e32 v1, v48, v107
	v_mul_f32_e32 v2, 0x3fb8aa3b, v1
	v_cmp_ngt_f32_e64 s4, 0xc2ce8ed0, v1
	v_fma_f32 v3, 0x3fb8aa3b, v1, -v2
	v_rndne_f32_e32 v4, v2
	v_fmamk_f32 v3, v1, 0x32a5705f, v3
	v_sub_f32_e32 v2, v2, v4
	v_add_f32_e32 v2, v2, v3
	v_cvt_i32_f32_e32 v3, v4
	v_exp_f32_e32 v2, v2
	v_ldexp_f32 v2, v2, v3
	v_cndmask_b32_e64 v2, 0, v2, s4
	v_cmp_nlt_f32_e64 s4, 0x42b17218, v1
	v_cndmask_b32_e64 v48, 0x7f800000, v2, s4
	v_mov_b32_e32 v1, v33
	v_mov_b32_e32 v2, v34
	;; [unrolled: 1-line block ×4, first 2 shown]
	v_add_f32_e32 v0, v0, v48
	v_mov_b32_e32 v5, v37
	v_mov_b32_e32 v6, v38
	;; [unrolled: 1-line block ×28, first 2 shown]
.LBB742_317:
	s_andn2_saveexec_b32 s4, s42
	s_or_b32 exec_lo, exec_lo, s4
	s_or_b32 exec_lo, exec_lo, s34
                                        ; implicit-def: $vgpr33_vgpr34_vgpr35_vgpr36_vgpr37_vgpr38_vgpr39_vgpr40_vgpr41_vgpr42_vgpr43_vgpr44_vgpr45_vgpr46_vgpr47_vgpr48_vgpr49_vgpr50_vgpr51_vgpr52_vgpr53_vgpr54_vgpr55_vgpr56_vgpr57_vgpr58_vgpr59_vgpr60_vgpr61_vgpr62_vgpr63_vgpr64
	s_and_saveexec_b32 s4, s5
	s_xor_b32 s4, exec_lo, s4
	s_cbranch_execnz .LBB742_227
.LBB742_318:
	s_or_saveexec_b32 s34, s4
	s_xor_b32 s5, s52, -1
	s_xor_b32 exec_lo, exec_lo, s34
	s_cbranch_execz .LBB742_228
.LBB742_319:
	global_load_ubyte v33, v[98:99], off offset:1024
	s_mov_b32 s42, 0
	s_waitcnt vmcnt(0)
	v_and_b32_e32 v33, 1, v33
	v_cmp_eq_u32_e64 s4, 1, v33
	v_mov_b32_e32 v64, v32
	v_mov_b32_e32 v49, v17
	;; [unrolled: 1-line block ×33, first 2 shown]
	s_xor_b32 s4, s4, -1
	s_and_saveexec_b32 s42, s4
	s_xor_b32 s42, exec_lo, s42
	s_cbranch_execz .LBB742_321
; %bb.320:
	v_sub_f32_e32 v17, v17, v107
	v_mul_f32_e32 v33, 0x3fb8aa3b, v17
	v_cmp_ngt_f32_e64 s4, 0xc2ce8ed0, v17
	v_fma_f32 v34, 0x3fb8aa3b, v17, -v33
	v_rndne_f32_e32 v35, v33
	v_fmamk_f32 v34, v17, 0x32a5705f, v34
	v_sub_f32_e32 v33, v33, v35
	v_add_f32_e32 v33, v33, v34
	v_cvt_i32_f32_e32 v34, v35
	v_exp_f32_e32 v33, v33
	v_ldexp_f32 v33, v33, v34
	v_cndmask_b32_e64 v33, 0, v33, s4
	v_cmp_nlt_f32_e64 s4, 0x42b17218, v17
	v_cndmask_b32_e64 v17, 0x7f800000, v33, s4
	v_mov_b32_e32 v64, v32
	v_mov_b32_e32 v63, v31
	;; [unrolled: 1-line block ×4, first 2 shown]
	v_add_f32_e32 v0, v0, v17
	v_mov_b32_e32 v60, v28
	v_mov_b32_e32 v59, v27
	;; [unrolled: 1-line block ×28, first 2 shown]
.LBB742_321:
	s_andn2_saveexec_b32 s4, s42
	s_or_b32 exec_lo, exec_lo, s4
	s_or_b32 exec_lo, exec_lo, s34
                                        ; implicit-def: $vgpr1_vgpr2_vgpr3_vgpr4_vgpr5_vgpr6_vgpr7_vgpr8_vgpr9_vgpr10_vgpr11_vgpr12_vgpr13_vgpr14_vgpr15_vgpr16_vgpr17_vgpr18_vgpr19_vgpr20_vgpr21_vgpr22_vgpr23_vgpr24_vgpr25_vgpr26_vgpr27_vgpr28_vgpr29_vgpr30_vgpr31_vgpr32
	s_and_saveexec_b32 s4, s5
	s_xor_b32 s4, exec_lo, s4
	s_cbranch_execnz .LBB742_229
.LBB742_322:
	s_or_saveexec_b32 s34, s4
	s_xor_b32 s5, s51, -1
	s_xor_b32 exec_lo, exec_lo, s34
	s_cbranch_execz .LBB742_230
.LBB742_323:
	global_load_ubyte v1, v[98:99], off offset:1088
	s_mov_b32 s42, 0
	s_waitcnt vmcnt(0)
	v_and_b32_e32 v1, 1, v1
	v_cmp_eq_u32_e64 s4, 1, v1
	v_mov_b32_e32 v1, v33
	v_mov_b32_e32 v18, v50
	;; [unrolled: 1-line block ×33, first 2 shown]
	s_xor_b32 s4, s4, -1
	s_and_saveexec_b32 s42, s4
	s_xor_b32 s42, exec_lo, s42
	s_cbranch_execz .LBB742_325
; %bb.324:
	v_sub_f32_e32 v1, v50, v107
	v_mul_f32_e32 v2, 0x3fb8aa3b, v1
	v_cmp_ngt_f32_e64 s4, 0xc2ce8ed0, v1
	v_fma_f32 v3, 0x3fb8aa3b, v1, -v2
	v_rndne_f32_e32 v4, v2
	v_fmamk_f32 v3, v1, 0x32a5705f, v3
	v_sub_f32_e32 v2, v2, v4
	v_add_f32_e32 v2, v2, v3
	v_cvt_i32_f32_e32 v3, v4
	v_exp_f32_e32 v2, v2
	v_ldexp_f32 v2, v2, v3
	v_cndmask_b32_e64 v2, 0, v2, s4
	v_cmp_nlt_f32_e64 s4, 0x42b17218, v1
	v_cndmask_b32_e64 v50, 0x7f800000, v2, s4
	v_mov_b32_e32 v1, v33
	v_mov_b32_e32 v2, v34
	;; [unrolled: 1-line block ×4, first 2 shown]
	v_add_f32_e32 v0, v0, v50
	v_mov_b32_e32 v5, v37
	v_mov_b32_e32 v6, v38
	;; [unrolled: 1-line block ×28, first 2 shown]
.LBB742_325:
	s_andn2_saveexec_b32 s4, s42
	s_or_b32 exec_lo, exec_lo, s4
	s_or_b32 exec_lo, exec_lo, s34
                                        ; implicit-def: $vgpr33_vgpr34_vgpr35_vgpr36_vgpr37_vgpr38_vgpr39_vgpr40_vgpr41_vgpr42_vgpr43_vgpr44_vgpr45_vgpr46_vgpr47_vgpr48_vgpr49_vgpr50_vgpr51_vgpr52_vgpr53_vgpr54_vgpr55_vgpr56_vgpr57_vgpr58_vgpr59_vgpr60_vgpr61_vgpr62_vgpr63_vgpr64
	s_and_saveexec_b32 s4, s5
	s_xor_b32 s4, exec_lo, s4
	s_cbranch_execnz .LBB742_231
.LBB742_326:
	s_or_saveexec_b32 s34, s4
	s_xor_b32 s5, s50, -1
	s_xor_b32 exec_lo, exec_lo, s34
	s_cbranch_execz .LBB742_232
.LBB742_327:
	global_load_ubyte v33, v[98:99], off offset:1152
	s_mov_b32 s42, 0
	s_waitcnt vmcnt(0)
	v_and_b32_e32 v33, 1, v33
	v_cmp_eq_u32_e64 s4, 1, v33
	v_mov_b32_e32 v64, v32
	v_mov_b32_e32 v51, v19
	;; [unrolled: 1-line block ×33, first 2 shown]
	s_xor_b32 s4, s4, -1
	s_and_saveexec_b32 s42, s4
	s_xor_b32 s42, exec_lo, s42
	s_cbranch_execz .LBB742_329
; %bb.328:
	v_sub_f32_e32 v19, v19, v107
	v_mul_f32_e32 v33, 0x3fb8aa3b, v19
	v_cmp_ngt_f32_e64 s4, 0xc2ce8ed0, v19
	v_fma_f32 v34, 0x3fb8aa3b, v19, -v33
	v_rndne_f32_e32 v35, v33
	v_fmamk_f32 v34, v19, 0x32a5705f, v34
	v_sub_f32_e32 v33, v33, v35
	v_add_f32_e32 v33, v33, v34
	v_cvt_i32_f32_e32 v34, v35
	v_exp_f32_e32 v33, v33
	v_ldexp_f32 v33, v33, v34
	v_cndmask_b32_e64 v33, 0, v33, s4
	v_cmp_nlt_f32_e64 s4, 0x42b17218, v19
	v_cndmask_b32_e64 v19, 0x7f800000, v33, s4
	v_mov_b32_e32 v64, v32
	v_mov_b32_e32 v63, v31
	;; [unrolled: 1-line block ×4, first 2 shown]
	v_add_f32_e32 v0, v0, v19
	v_mov_b32_e32 v60, v28
	v_mov_b32_e32 v59, v27
	;; [unrolled: 1-line block ×28, first 2 shown]
.LBB742_329:
	s_andn2_saveexec_b32 s4, s42
	s_or_b32 exec_lo, exec_lo, s4
	s_or_b32 exec_lo, exec_lo, s34
                                        ; implicit-def: $vgpr1_vgpr2_vgpr3_vgpr4_vgpr5_vgpr6_vgpr7_vgpr8_vgpr9_vgpr10_vgpr11_vgpr12_vgpr13_vgpr14_vgpr15_vgpr16_vgpr17_vgpr18_vgpr19_vgpr20_vgpr21_vgpr22_vgpr23_vgpr24_vgpr25_vgpr26_vgpr27_vgpr28_vgpr29_vgpr30_vgpr31_vgpr32
	s_and_saveexec_b32 s4, s5
	s_xor_b32 s4, exec_lo, s4
	s_cbranch_execnz .LBB742_233
.LBB742_330:
	s_or_saveexec_b32 s34, s4
	s_xor_b32 s5, s49, -1
	s_xor_b32 exec_lo, exec_lo, s34
	s_cbranch_execz .LBB742_234
.LBB742_331:
	global_load_ubyte v1, v[98:99], off offset:1216
	s_mov_b32 s42, 0
	s_waitcnt vmcnt(0)
	v_and_b32_e32 v1, 1, v1
	v_cmp_eq_u32_e64 s4, 1, v1
	v_mov_b32_e32 v1, v33
	v_mov_b32_e32 v20, v52
	;; [unrolled: 1-line block ×33, first 2 shown]
	s_xor_b32 s4, s4, -1
	s_and_saveexec_b32 s42, s4
	s_xor_b32 s42, exec_lo, s42
	s_cbranch_execz .LBB742_333
; %bb.332:
	v_sub_f32_e32 v1, v52, v107
	v_mul_f32_e32 v2, 0x3fb8aa3b, v1
	v_cmp_ngt_f32_e64 s4, 0xc2ce8ed0, v1
	v_fma_f32 v3, 0x3fb8aa3b, v1, -v2
	v_rndne_f32_e32 v4, v2
	v_fmamk_f32 v3, v1, 0x32a5705f, v3
	v_sub_f32_e32 v2, v2, v4
	v_add_f32_e32 v2, v2, v3
	v_cvt_i32_f32_e32 v3, v4
	v_exp_f32_e32 v2, v2
	v_ldexp_f32 v2, v2, v3
	v_cndmask_b32_e64 v2, 0, v2, s4
	v_cmp_nlt_f32_e64 s4, 0x42b17218, v1
	v_cndmask_b32_e64 v52, 0x7f800000, v2, s4
	v_mov_b32_e32 v1, v33
	v_mov_b32_e32 v2, v34
	;; [unrolled: 1-line block ×4, first 2 shown]
	v_add_f32_e32 v0, v0, v52
	v_mov_b32_e32 v5, v37
	v_mov_b32_e32 v6, v38
	;; [unrolled: 1-line block ×28, first 2 shown]
.LBB742_333:
	s_andn2_saveexec_b32 s4, s42
	s_or_b32 exec_lo, exec_lo, s4
	s_or_b32 exec_lo, exec_lo, s34
                                        ; implicit-def: $vgpr33_vgpr34_vgpr35_vgpr36_vgpr37_vgpr38_vgpr39_vgpr40_vgpr41_vgpr42_vgpr43_vgpr44_vgpr45_vgpr46_vgpr47_vgpr48_vgpr49_vgpr50_vgpr51_vgpr52_vgpr53_vgpr54_vgpr55_vgpr56_vgpr57_vgpr58_vgpr59_vgpr60_vgpr61_vgpr62_vgpr63_vgpr64
	s_and_saveexec_b32 s4, s5
	s_xor_b32 s4, exec_lo, s4
	s_cbranch_execnz .LBB742_235
.LBB742_334:
	s_or_saveexec_b32 s34, s4
	s_xor_b32 s5, s48, -1
	s_xor_b32 exec_lo, exec_lo, s34
	s_cbranch_execz .LBB742_236
.LBB742_335:
	global_load_ubyte v33, v[98:99], off offset:1280
	s_mov_b32 s42, 0
	s_waitcnt vmcnt(0)
	v_and_b32_e32 v33, 1, v33
	v_cmp_eq_u32_e64 s4, 1, v33
	v_mov_b32_e32 v64, v32
	v_mov_b32_e32 v53, v21
	;; [unrolled: 1-line block ×33, first 2 shown]
	s_xor_b32 s4, s4, -1
	s_and_saveexec_b32 s42, s4
	s_xor_b32 s42, exec_lo, s42
	s_cbranch_execz .LBB742_337
; %bb.336:
	v_sub_f32_e32 v21, v21, v107
	v_mul_f32_e32 v33, 0x3fb8aa3b, v21
	v_cmp_ngt_f32_e64 s4, 0xc2ce8ed0, v21
	v_fma_f32 v34, 0x3fb8aa3b, v21, -v33
	v_rndne_f32_e32 v35, v33
	v_fmamk_f32 v34, v21, 0x32a5705f, v34
	v_sub_f32_e32 v33, v33, v35
	v_add_f32_e32 v33, v33, v34
	v_cvt_i32_f32_e32 v34, v35
	v_exp_f32_e32 v33, v33
	v_ldexp_f32 v33, v33, v34
	v_cndmask_b32_e64 v33, 0, v33, s4
	v_cmp_nlt_f32_e64 s4, 0x42b17218, v21
	v_cndmask_b32_e64 v21, 0x7f800000, v33, s4
	v_mov_b32_e32 v64, v32
	v_mov_b32_e32 v63, v31
	;; [unrolled: 1-line block ×4, first 2 shown]
	v_add_f32_e32 v0, v0, v21
	v_mov_b32_e32 v60, v28
	v_mov_b32_e32 v59, v27
	;; [unrolled: 1-line block ×28, first 2 shown]
.LBB742_337:
	s_andn2_saveexec_b32 s4, s42
	s_or_b32 exec_lo, exec_lo, s4
	s_or_b32 exec_lo, exec_lo, s34
                                        ; implicit-def: $vgpr1_vgpr2_vgpr3_vgpr4_vgpr5_vgpr6_vgpr7_vgpr8_vgpr9_vgpr10_vgpr11_vgpr12_vgpr13_vgpr14_vgpr15_vgpr16_vgpr17_vgpr18_vgpr19_vgpr20_vgpr21_vgpr22_vgpr23_vgpr24_vgpr25_vgpr26_vgpr27_vgpr28_vgpr29_vgpr30_vgpr31_vgpr32
	s_and_saveexec_b32 s4, s5
	s_xor_b32 s4, exec_lo, s4
	s_cbranch_execnz .LBB742_237
.LBB742_338:
	s_or_saveexec_b32 s34, s4
	s_xor_b32 s5, s47, -1
	s_xor_b32 exec_lo, exec_lo, s34
	s_cbranch_execz .LBB742_238
.LBB742_339:
	global_load_ubyte v1, v[98:99], off offset:1344
	s_mov_b32 s42, 0
	s_waitcnt vmcnt(0)
	v_and_b32_e32 v1, 1, v1
	v_cmp_eq_u32_e64 s4, 1, v1
	v_mov_b32_e32 v1, v33
	v_mov_b32_e32 v22, v54
	;; [unrolled: 1-line block ×33, first 2 shown]
	s_xor_b32 s4, s4, -1
	s_and_saveexec_b32 s42, s4
	s_xor_b32 s42, exec_lo, s42
	s_cbranch_execz .LBB742_341
; %bb.340:
	v_sub_f32_e32 v1, v54, v107
	v_mul_f32_e32 v2, 0x3fb8aa3b, v1
	v_cmp_ngt_f32_e64 s4, 0xc2ce8ed0, v1
	v_fma_f32 v3, 0x3fb8aa3b, v1, -v2
	v_rndne_f32_e32 v4, v2
	v_fmamk_f32 v3, v1, 0x32a5705f, v3
	v_sub_f32_e32 v2, v2, v4
	v_add_f32_e32 v2, v2, v3
	v_cvt_i32_f32_e32 v3, v4
	v_exp_f32_e32 v2, v2
	v_ldexp_f32 v2, v2, v3
	v_cndmask_b32_e64 v2, 0, v2, s4
	v_cmp_nlt_f32_e64 s4, 0x42b17218, v1
	v_cndmask_b32_e64 v54, 0x7f800000, v2, s4
	v_mov_b32_e32 v1, v33
	v_mov_b32_e32 v2, v34
	;; [unrolled: 1-line block ×4, first 2 shown]
	v_add_f32_e32 v0, v0, v54
	v_mov_b32_e32 v5, v37
	v_mov_b32_e32 v6, v38
	;; [unrolled: 1-line block ×28, first 2 shown]
.LBB742_341:
	s_andn2_saveexec_b32 s4, s42
	s_or_b32 exec_lo, exec_lo, s4
	s_or_b32 exec_lo, exec_lo, s34
                                        ; implicit-def: $vgpr33_vgpr34_vgpr35_vgpr36_vgpr37_vgpr38_vgpr39_vgpr40_vgpr41_vgpr42_vgpr43_vgpr44_vgpr45_vgpr46_vgpr47_vgpr48_vgpr49_vgpr50_vgpr51_vgpr52_vgpr53_vgpr54_vgpr55_vgpr56_vgpr57_vgpr58_vgpr59_vgpr60_vgpr61_vgpr62_vgpr63_vgpr64
	s_and_saveexec_b32 s4, s5
	s_xor_b32 s4, exec_lo, s4
	s_cbranch_execnz .LBB742_239
.LBB742_342:
	s_or_saveexec_b32 s34, s4
	s_xor_b32 s5, s46, -1
	s_xor_b32 exec_lo, exec_lo, s34
	s_cbranch_execz .LBB742_240
.LBB742_343:
	global_load_ubyte v33, v[98:99], off offset:1408
	s_mov_b32 s42, 0
	s_waitcnt vmcnt(0)
	v_and_b32_e32 v33, 1, v33
	v_cmp_eq_u32_e64 s4, 1, v33
	v_mov_b32_e32 v64, v32
	v_mov_b32_e32 v55, v23
	;; [unrolled: 1-line block ×33, first 2 shown]
	s_xor_b32 s4, s4, -1
	s_and_saveexec_b32 s42, s4
	s_xor_b32 s42, exec_lo, s42
	s_cbranch_execz .LBB742_345
; %bb.344:
	v_sub_f32_e32 v23, v23, v107
	v_mul_f32_e32 v33, 0x3fb8aa3b, v23
	v_cmp_ngt_f32_e64 s4, 0xc2ce8ed0, v23
	v_fma_f32 v34, 0x3fb8aa3b, v23, -v33
	v_rndne_f32_e32 v35, v33
	v_fmamk_f32 v34, v23, 0x32a5705f, v34
	v_sub_f32_e32 v33, v33, v35
	v_add_f32_e32 v33, v33, v34
	v_cvt_i32_f32_e32 v34, v35
	v_exp_f32_e32 v33, v33
	v_ldexp_f32 v33, v33, v34
	v_cndmask_b32_e64 v33, 0, v33, s4
	v_cmp_nlt_f32_e64 s4, 0x42b17218, v23
	v_cndmask_b32_e64 v23, 0x7f800000, v33, s4
	v_mov_b32_e32 v64, v32
	v_mov_b32_e32 v63, v31
	;; [unrolled: 1-line block ×4, first 2 shown]
	v_add_f32_e32 v0, v0, v23
	v_mov_b32_e32 v60, v28
	v_mov_b32_e32 v59, v27
	;; [unrolled: 1-line block ×28, first 2 shown]
.LBB742_345:
	s_andn2_saveexec_b32 s4, s42
	s_or_b32 exec_lo, exec_lo, s4
	s_or_b32 exec_lo, exec_lo, s34
                                        ; implicit-def: $vgpr1_vgpr2_vgpr3_vgpr4_vgpr5_vgpr6_vgpr7_vgpr8_vgpr9_vgpr10_vgpr11_vgpr12_vgpr13_vgpr14_vgpr15_vgpr16_vgpr17_vgpr18_vgpr19_vgpr20_vgpr21_vgpr22_vgpr23_vgpr24_vgpr25_vgpr26_vgpr27_vgpr28_vgpr29_vgpr30_vgpr31_vgpr32
	s_and_saveexec_b32 s4, s5
	s_xor_b32 s4, exec_lo, s4
	s_cbranch_execnz .LBB742_241
.LBB742_346:
	s_or_saveexec_b32 s34, s4
	s_xor_b32 s5, s45, -1
	s_xor_b32 exec_lo, exec_lo, s34
	s_cbranch_execz .LBB742_242
.LBB742_347:
	global_load_ubyte v1, v[98:99], off offset:1472
	s_mov_b32 s42, 0
	s_waitcnt vmcnt(0)
	v_and_b32_e32 v1, 1, v1
	v_cmp_eq_u32_e64 s4, 1, v1
	v_mov_b32_e32 v1, v33
	v_mov_b32_e32 v24, v56
	v_mov_b32_e32 v2, v34
	v_mov_b32_e32 v3, v35
	v_mov_b32_e32 v4, v36
	v_mov_b32_e32 v5, v37
	v_mov_b32_e32 v6, v38
	v_mov_b32_e32 v7, v39
	v_mov_b32_e32 v8, v40
	v_mov_b32_e32 v9, v41
	v_mov_b32_e32 v10, v42
	v_mov_b32_e32 v11, v43
	v_mov_b32_e32 v12, v44
	v_mov_b32_e32 v13, v45
	v_mov_b32_e32 v14, v46
	v_mov_b32_e32 v15, v47
	v_mov_b32_e32 v16, v48
	v_mov_b32_e32 v17, v49
	v_mov_b32_e32 v18, v50
	v_mov_b32_e32 v19, v51
	v_mov_b32_e32 v20, v52
	v_mov_b32_e32 v21, v53
	v_mov_b32_e32 v22, v54
	v_mov_b32_e32 v23, v55
	v_mov_b32_e32 v25, v57
	v_mov_b32_e32 v26, v58
	v_mov_b32_e32 v27, v59
	v_mov_b32_e32 v28, v60
	v_mov_b32_e32 v29, v61
	v_mov_b32_e32 v30, v62
	v_mov_b32_e32 v31, v63
	v_mov_b32_e32 v32, v64
	v_mov_b32_e32 v24, s42
	s_xor_b32 s4, s4, -1
	s_and_saveexec_b32 s42, s4
	s_xor_b32 s42, exec_lo, s42
	s_cbranch_execz .LBB742_349
; %bb.348:
	v_sub_f32_e32 v1, v56, v107
	v_mul_f32_e32 v2, 0x3fb8aa3b, v1
	v_cmp_ngt_f32_e64 s4, 0xc2ce8ed0, v1
	v_fma_f32 v3, 0x3fb8aa3b, v1, -v2
	v_rndne_f32_e32 v4, v2
	v_fmamk_f32 v3, v1, 0x32a5705f, v3
	v_sub_f32_e32 v2, v2, v4
	v_add_f32_e32 v2, v2, v3
	v_cvt_i32_f32_e32 v3, v4
	v_exp_f32_e32 v2, v2
	v_ldexp_f32 v2, v2, v3
	v_cndmask_b32_e64 v2, 0, v2, s4
	v_cmp_nlt_f32_e64 s4, 0x42b17218, v1
	v_cndmask_b32_e64 v56, 0x7f800000, v2, s4
	v_mov_b32_e32 v1, v33
	v_mov_b32_e32 v2, v34
	;; [unrolled: 1-line block ×4, first 2 shown]
	v_add_f32_e32 v0, v0, v56
	v_mov_b32_e32 v5, v37
	v_mov_b32_e32 v6, v38
	;; [unrolled: 1-line block ×28, first 2 shown]
.LBB742_349:
	s_andn2_saveexec_b32 s4, s42
	s_or_b32 exec_lo, exec_lo, s4
	s_or_b32 exec_lo, exec_lo, s34
                                        ; implicit-def: $vgpr33_vgpr34_vgpr35_vgpr36_vgpr37_vgpr38_vgpr39_vgpr40_vgpr41_vgpr42_vgpr43_vgpr44_vgpr45_vgpr46_vgpr47_vgpr48_vgpr49_vgpr50_vgpr51_vgpr52_vgpr53_vgpr54_vgpr55_vgpr56_vgpr57_vgpr58_vgpr59_vgpr60_vgpr61_vgpr62_vgpr63_vgpr64
	s_and_saveexec_b32 s4, s5
	s_xor_b32 s4, exec_lo, s4
	s_cbranch_execnz .LBB742_243
.LBB742_350:
	s_or_saveexec_b32 s34, s4
	s_xor_b32 s5, s44, -1
	s_xor_b32 exec_lo, exec_lo, s34
	s_cbranch_execz .LBB742_244
.LBB742_351:
	global_load_ubyte v33, v[98:99], off offset:1536
	s_mov_b32 s42, 0
	s_waitcnt vmcnt(0)
	v_and_b32_e32 v33, 1, v33
	v_cmp_eq_u32_e64 s4, 1, v33
	v_mov_b32_e32 v64, v32
	v_mov_b32_e32 v57, v25
	;; [unrolled: 1-line block ×33, first 2 shown]
	s_xor_b32 s4, s4, -1
	s_and_saveexec_b32 s42, s4
	s_xor_b32 s42, exec_lo, s42
	s_cbranch_execz .LBB742_353
; %bb.352:
	v_sub_f32_e32 v25, v25, v107
	v_mul_f32_e32 v33, 0x3fb8aa3b, v25
	v_cmp_ngt_f32_e64 s4, 0xc2ce8ed0, v25
	v_fma_f32 v34, 0x3fb8aa3b, v25, -v33
	v_rndne_f32_e32 v35, v33
	v_fmamk_f32 v34, v25, 0x32a5705f, v34
	v_sub_f32_e32 v33, v33, v35
	v_add_f32_e32 v33, v33, v34
	v_cvt_i32_f32_e32 v34, v35
	v_exp_f32_e32 v33, v33
	v_ldexp_f32 v33, v33, v34
	v_cndmask_b32_e64 v33, 0, v33, s4
	v_cmp_nlt_f32_e64 s4, 0x42b17218, v25
	v_cndmask_b32_e64 v25, 0x7f800000, v33, s4
	v_mov_b32_e32 v64, v32
	v_mov_b32_e32 v63, v31
	v_mov_b32_e32 v62, v30
	v_mov_b32_e32 v61, v29
	v_add_f32_e32 v0, v0, v25
	v_mov_b32_e32 v60, v28
	v_mov_b32_e32 v59, v27
	;; [unrolled: 1-line block ×28, first 2 shown]
.LBB742_353:
	s_andn2_saveexec_b32 s4, s42
	s_or_b32 exec_lo, exec_lo, s4
	s_or_b32 exec_lo, exec_lo, s34
                                        ; implicit-def: $vgpr1_vgpr2_vgpr3_vgpr4_vgpr5_vgpr6_vgpr7_vgpr8_vgpr9_vgpr10_vgpr11_vgpr12_vgpr13_vgpr14_vgpr15_vgpr16_vgpr17_vgpr18_vgpr19_vgpr20_vgpr21_vgpr22_vgpr23_vgpr24_vgpr25_vgpr26_vgpr27_vgpr28_vgpr29_vgpr30_vgpr31_vgpr32
	s_and_saveexec_b32 s4, s5
	s_xor_b32 s4, exec_lo, s4
	s_cbranch_execnz .LBB742_245
.LBB742_354:
	s_or_saveexec_b32 s34, s4
	s_xor_b32 s5, s43, -1
	s_xor_b32 exec_lo, exec_lo, s34
	s_cbranch_execz .LBB742_246
.LBB742_355:
	global_load_ubyte v1, v[98:99], off offset:1600
	s_mov_b32 s42, 0
	s_waitcnt vmcnt(0)
	v_and_b32_e32 v1, 1, v1
	v_cmp_eq_u32_e64 s4, 1, v1
	v_mov_b32_e32 v1, v33
	v_mov_b32_e32 v26, v58
	;; [unrolled: 1-line block ×33, first 2 shown]
	s_xor_b32 s4, s4, -1
	s_and_saveexec_b32 s42, s4
	s_xor_b32 s42, exec_lo, s42
	s_cbranch_execz .LBB742_357
; %bb.356:
	v_sub_f32_e32 v1, v58, v107
	v_mul_f32_e32 v2, 0x3fb8aa3b, v1
	v_cmp_ngt_f32_e64 s4, 0xc2ce8ed0, v1
	v_fma_f32 v3, 0x3fb8aa3b, v1, -v2
	v_rndne_f32_e32 v4, v2
	v_fmamk_f32 v3, v1, 0x32a5705f, v3
	v_sub_f32_e32 v2, v2, v4
	v_add_f32_e32 v2, v2, v3
	v_cvt_i32_f32_e32 v3, v4
	v_exp_f32_e32 v2, v2
	v_ldexp_f32 v2, v2, v3
	v_cndmask_b32_e64 v2, 0, v2, s4
	v_cmp_nlt_f32_e64 s4, 0x42b17218, v1
	v_cndmask_b32_e64 v58, 0x7f800000, v2, s4
	v_mov_b32_e32 v1, v33
	v_mov_b32_e32 v2, v34
	;; [unrolled: 1-line block ×4, first 2 shown]
	v_add_f32_e32 v0, v0, v58
	v_mov_b32_e32 v5, v37
	v_mov_b32_e32 v6, v38
	;; [unrolled: 1-line block ×28, first 2 shown]
.LBB742_357:
	s_andn2_saveexec_b32 s4, s42
	s_or_b32 exec_lo, exec_lo, s4
	s_or_b32 exec_lo, exec_lo, s34
                                        ; implicit-def: $vgpr33_vgpr34_vgpr35_vgpr36_vgpr37_vgpr38_vgpr39_vgpr40_vgpr41_vgpr42_vgpr43_vgpr44_vgpr45_vgpr46_vgpr47_vgpr48_vgpr49_vgpr50_vgpr51_vgpr52_vgpr53_vgpr54_vgpr55_vgpr56_vgpr57_vgpr58_vgpr59_vgpr60_vgpr61_vgpr62_vgpr63_vgpr64
	s_and_saveexec_b32 s4, s5
	s_xor_b32 s4, exec_lo, s4
	s_cbranch_execnz .LBB742_247
.LBB742_358:
	s_or_saveexec_b32 s34, s4
	s_xor_b32 s5, s41, -1
	s_xor_b32 exec_lo, exec_lo, s34
	s_cbranch_execz .LBB742_248
.LBB742_359:
	global_load_ubyte v33, v[98:99], off offset:1664
	s_mov_b32 s41, 0
	s_waitcnt vmcnt(0)
	v_and_b32_e32 v33, 1, v33
	v_cmp_eq_u32_e64 s4, 1, v33
	v_mov_b32_e32 v64, v32
	v_mov_b32_e32 v59, v27
	;; [unrolled: 1-line block ×33, first 2 shown]
	s_xor_b32 s4, s4, -1
	s_and_saveexec_b32 s41, s4
	s_xor_b32 s41, exec_lo, s41
	s_cbranch_execz .LBB742_361
; %bb.360:
	v_sub_f32_e32 v27, v27, v107
	v_mul_f32_e32 v33, 0x3fb8aa3b, v27
	v_cmp_ngt_f32_e64 s4, 0xc2ce8ed0, v27
	v_fma_f32 v34, 0x3fb8aa3b, v27, -v33
	v_rndne_f32_e32 v35, v33
	v_fmamk_f32 v34, v27, 0x32a5705f, v34
	v_sub_f32_e32 v33, v33, v35
	v_add_f32_e32 v33, v33, v34
	v_cvt_i32_f32_e32 v34, v35
	v_exp_f32_e32 v33, v33
	v_ldexp_f32 v33, v33, v34
	v_cndmask_b32_e64 v33, 0, v33, s4
	v_cmp_nlt_f32_e64 s4, 0x42b17218, v27
	v_cndmask_b32_e64 v27, 0x7f800000, v33, s4
	v_mov_b32_e32 v64, v32
	v_mov_b32_e32 v63, v31
	v_mov_b32_e32 v62, v30
	v_mov_b32_e32 v61, v29
	v_add_f32_e32 v0, v0, v27
	v_mov_b32_e32 v60, v28
	v_mov_b32_e32 v59, v27
	;; [unrolled: 1-line block ×28, first 2 shown]
.LBB742_361:
	s_andn2_saveexec_b32 s4, s41
	s_or_b32 exec_lo, exec_lo, s4
	s_or_b32 exec_lo, exec_lo, s34
                                        ; implicit-def: $vgpr1_vgpr2_vgpr3_vgpr4_vgpr5_vgpr6_vgpr7_vgpr8_vgpr9_vgpr10_vgpr11_vgpr12_vgpr13_vgpr14_vgpr15_vgpr16_vgpr17_vgpr18_vgpr19_vgpr20_vgpr21_vgpr22_vgpr23_vgpr24_vgpr25_vgpr26_vgpr27_vgpr28_vgpr29_vgpr30_vgpr31_vgpr32
	s_and_saveexec_b32 s4, s5
	s_xor_b32 s4, exec_lo, s4
	s_cbranch_execnz .LBB742_249
.LBB742_362:
	s_or_saveexec_b32 s34, s4
	s_xor_b32 s5, s40, -1
	s_xor_b32 exec_lo, exec_lo, s34
	s_cbranch_execz .LBB742_250
.LBB742_363:
	global_load_ubyte v1, v[98:99], off offset:1728
	s_mov_b32 s40, 0
	s_waitcnt vmcnt(0)
	v_and_b32_e32 v1, 1, v1
	v_cmp_eq_u32_e64 s4, 1, v1
	v_mov_b32_e32 v1, v33
	v_mov_b32_e32 v28, v60
	v_mov_b32_e32 v2, v34
	v_mov_b32_e32 v3, v35
	v_mov_b32_e32 v4, v36
	v_mov_b32_e32 v5, v37
	v_mov_b32_e32 v6, v38
	v_mov_b32_e32 v7, v39
	v_mov_b32_e32 v8, v40
	v_mov_b32_e32 v9, v41
	v_mov_b32_e32 v10, v42
	v_mov_b32_e32 v11, v43
	v_mov_b32_e32 v12, v44
	v_mov_b32_e32 v13, v45
	v_mov_b32_e32 v14, v46
	v_mov_b32_e32 v15, v47
	v_mov_b32_e32 v16, v48
	v_mov_b32_e32 v17, v49
	v_mov_b32_e32 v18, v50
	v_mov_b32_e32 v19, v51
	v_mov_b32_e32 v20, v52
	v_mov_b32_e32 v21, v53
	v_mov_b32_e32 v22, v54
	v_mov_b32_e32 v23, v55
	v_mov_b32_e32 v24, v56
	v_mov_b32_e32 v25, v57
	v_mov_b32_e32 v26, v58
	v_mov_b32_e32 v27, v59
	v_mov_b32_e32 v29, v61
	v_mov_b32_e32 v30, v62
	v_mov_b32_e32 v31, v63
	v_mov_b32_e32 v32, v64
	v_mov_b32_e32 v28, s40
	s_xor_b32 s4, s4, -1
	s_and_saveexec_b32 s40, s4
	s_xor_b32 s40, exec_lo, s40
	s_cbranch_execz .LBB742_365
; %bb.364:
	v_sub_f32_e32 v1, v60, v107
	v_mul_f32_e32 v2, 0x3fb8aa3b, v1
	v_cmp_ngt_f32_e64 s4, 0xc2ce8ed0, v1
	v_fma_f32 v3, 0x3fb8aa3b, v1, -v2
	v_rndne_f32_e32 v4, v2
	v_fmamk_f32 v3, v1, 0x32a5705f, v3
	v_sub_f32_e32 v2, v2, v4
	v_add_f32_e32 v2, v2, v3
	v_cvt_i32_f32_e32 v3, v4
	v_exp_f32_e32 v2, v2
	v_ldexp_f32 v2, v2, v3
	v_cndmask_b32_e64 v2, 0, v2, s4
	v_cmp_nlt_f32_e64 s4, 0x42b17218, v1
	v_cndmask_b32_e64 v60, 0x7f800000, v2, s4
	v_mov_b32_e32 v1, v33
	v_mov_b32_e32 v2, v34
	;; [unrolled: 1-line block ×4, first 2 shown]
	v_add_f32_e32 v0, v0, v60
	v_mov_b32_e32 v5, v37
	v_mov_b32_e32 v6, v38
	;; [unrolled: 1-line block ×28, first 2 shown]
.LBB742_365:
	s_andn2_saveexec_b32 s4, s40
	s_or_b32 exec_lo, exec_lo, s4
	s_or_b32 exec_lo, exec_lo, s34
                                        ; implicit-def: $vgpr33_vgpr34_vgpr35_vgpr36_vgpr37_vgpr38_vgpr39_vgpr40_vgpr41_vgpr42_vgpr43_vgpr44_vgpr45_vgpr46_vgpr47_vgpr48_vgpr49_vgpr50_vgpr51_vgpr52_vgpr53_vgpr54_vgpr55_vgpr56_vgpr57_vgpr58_vgpr59_vgpr60_vgpr61_vgpr62_vgpr63_vgpr64
	s_and_saveexec_b32 s4, s5
	s_xor_b32 s4, exec_lo, s4
	s_cbranch_execnz .LBB742_251
.LBB742_366:
	s_or_saveexec_b32 s34, s4
	s_xor_b32 s5, s39, -1
	s_xor_b32 exec_lo, exec_lo, s34
	s_cbranch_execz .LBB742_252
.LBB742_367:
	global_load_ubyte v33, v[98:99], off offset:1792
	s_mov_b32 s39, 0
	s_waitcnt vmcnt(0)
	v_and_b32_e32 v33, 1, v33
	v_cmp_eq_u32_e64 s4, 1, v33
	v_mov_b32_e32 v64, v32
	v_mov_b32_e32 v61, v29
	;; [unrolled: 1-line block ×33, first 2 shown]
	s_xor_b32 s4, s4, -1
	s_and_saveexec_b32 s39, s4
	s_xor_b32 s39, exec_lo, s39
	s_cbranch_execz .LBB742_369
; %bb.368:
	v_sub_f32_e32 v29, v29, v107
	v_mul_f32_e32 v33, 0x3fb8aa3b, v29
	v_cmp_ngt_f32_e64 s4, 0xc2ce8ed0, v29
	v_fma_f32 v34, 0x3fb8aa3b, v29, -v33
	v_rndne_f32_e32 v35, v33
	v_fmamk_f32 v34, v29, 0x32a5705f, v34
	v_sub_f32_e32 v33, v33, v35
	v_add_f32_e32 v33, v33, v34
	v_cvt_i32_f32_e32 v34, v35
	v_exp_f32_e32 v33, v33
	v_ldexp_f32 v33, v33, v34
	v_cndmask_b32_e64 v33, 0, v33, s4
	v_cmp_nlt_f32_e64 s4, 0x42b17218, v29
	v_cndmask_b32_e64 v29, 0x7f800000, v33, s4
	v_mov_b32_e32 v64, v32
	v_mov_b32_e32 v63, v31
	;; [unrolled: 1-line block ×4, first 2 shown]
	v_add_f32_e32 v0, v0, v29
	v_mov_b32_e32 v61, v29
	v_mov_b32_e32 v59, v27
	;; [unrolled: 1-line block ×28, first 2 shown]
.LBB742_369:
	s_andn2_saveexec_b32 s4, s39
	s_or_b32 exec_lo, exec_lo, s4
	s_or_b32 exec_lo, exec_lo, s34
                                        ; implicit-def: $vgpr1_vgpr2_vgpr3_vgpr4_vgpr5_vgpr6_vgpr7_vgpr8_vgpr9_vgpr10_vgpr11_vgpr12_vgpr13_vgpr14_vgpr15_vgpr16_vgpr17_vgpr18_vgpr19_vgpr20_vgpr21_vgpr22_vgpr23_vgpr24_vgpr25_vgpr26_vgpr27_vgpr28_vgpr29_vgpr30_vgpr31_vgpr32
	s_and_saveexec_b32 s4, s5
	s_xor_b32 s4, exec_lo, s4
	s_cbranch_execnz .LBB742_253
.LBB742_370:
	s_or_saveexec_b32 s34, s4
	s_xor_b32 s5, s38, -1
	s_xor_b32 exec_lo, exec_lo, s34
	s_cbranch_execz .LBB742_254
.LBB742_371:
	global_load_ubyte v1, v[98:99], off offset:1856
	s_mov_b32 s38, 0
	s_waitcnt vmcnt(0)
	v_and_b32_e32 v1, 1, v1
	v_cmp_eq_u32_e64 s4, 1, v1
	v_mov_b32_e32 v1, v33
	v_mov_b32_e32 v30, v62
	v_mov_b32_e32 v2, v34
	v_mov_b32_e32 v3, v35
	v_mov_b32_e32 v4, v36
	v_mov_b32_e32 v5, v37
	v_mov_b32_e32 v6, v38
	v_mov_b32_e32 v7, v39
	v_mov_b32_e32 v8, v40
	v_mov_b32_e32 v9, v41
	v_mov_b32_e32 v10, v42
	v_mov_b32_e32 v11, v43
	v_mov_b32_e32 v12, v44
	v_mov_b32_e32 v13, v45
	v_mov_b32_e32 v14, v46
	v_mov_b32_e32 v15, v47
	v_mov_b32_e32 v16, v48
	v_mov_b32_e32 v17, v49
	v_mov_b32_e32 v18, v50
	v_mov_b32_e32 v19, v51
	v_mov_b32_e32 v20, v52
	v_mov_b32_e32 v21, v53
	v_mov_b32_e32 v22, v54
	v_mov_b32_e32 v23, v55
	v_mov_b32_e32 v24, v56
	v_mov_b32_e32 v25, v57
	v_mov_b32_e32 v26, v58
	v_mov_b32_e32 v27, v59
	v_mov_b32_e32 v28, v60
	v_mov_b32_e32 v29, v61
	v_mov_b32_e32 v31, v63
	v_mov_b32_e32 v32, v64
	v_mov_b32_e32 v30, s38
	s_xor_b32 s4, s4, -1
	s_and_saveexec_b32 s38, s4
	s_xor_b32 s38, exec_lo, s38
	s_cbranch_execz .LBB742_373
; %bb.372:
	v_sub_f32_e32 v1, v62, v107
	v_mul_f32_e32 v2, 0x3fb8aa3b, v1
	v_cmp_ngt_f32_e64 s4, 0xc2ce8ed0, v1
	v_fma_f32 v3, 0x3fb8aa3b, v1, -v2
	v_rndne_f32_e32 v4, v2
	v_fmamk_f32 v3, v1, 0x32a5705f, v3
	v_sub_f32_e32 v2, v2, v4
	v_add_f32_e32 v2, v2, v3
	v_cvt_i32_f32_e32 v3, v4
	v_exp_f32_e32 v2, v2
	v_ldexp_f32 v2, v2, v3
	v_cndmask_b32_e64 v2, 0, v2, s4
	v_cmp_nlt_f32_e64 s4, 0x42b17218, v1
	v_cndmask_b32_e64 v62, 0x7f800000, v2, s4
	v_mov_b32_e32 v1, v33
	v_mov_b32_e32 v2, v34
	;; [unrolled: 1-line block ×4, first 2 shown]
	v_add_f32_e32 v0, v0, v62
	v_mov_b32_e32 v5, v37
	v_mov_b32_e32 v6, v38
	;; [unrolled: 1-line block ×28, first 2 shown]
.LBB742_373:
	s_andn2_saveexec_b32 s4, s38
	s_or_b32 exec_lo, exec_lo, s4
	s_or_b32 exec_lo, exec_lo, s34
                                        ; implicit-def: $vgpr33_vgpr34_vgpr35_vgpr36_vgpr37_vgpr38_vgpr39_vgpr40_vgpr41_vgpr42_vgpr43_vgpr44_vgpr45_vgpr46_vgpr47_vgpr48_vgpr49_vgpr50_vgpr51_vgpr52_vgpr53_vgpr54_vgpr55_vgpr56_vgpr57_vgpr58_vgpr59_vgpr60_vgpr61_vgpr62_vgpr63_vgpr64
	s_and_saveexec_b32 s4, s5
	s_xor_b32 s4, exec_lo, s4
	s_cbranch_execnz .LBB742_255
.LBB742_374:
	s_or_saveexec_b32 s34, s4
	s_xor_b32 s5, s35, -1
	s_xor_b32 exec_lo, exec_lo, s34
	s_cbranch_execz .LBB742_256
.LBB742_375:
	global_load_ubyte v33, v[98:99], off offset:1920
	s_mov_b32 s35, 0
	s_waitcnt vmcnt(0)
	v_and_b32_e32 v33, 1, v33
	v_cmp_eq_u32_e64 s4, 1, v33
	v_mov_b32_e32 v64, v32
	v_mov_b32_e32 v63, v31
	;; [unrolled: 1-line block ×33, first 2 shown]
	s_xor_b32 s4, s4, -1
	s_and_saveexec_b32 s35, s4
	s_xor_b32 s35, exec_lo, s35
	s_cbranch_execz .LBB742_377
; %bb.376:
	v_sub_f32_e32 v31, v31, v107
	v_mul_f32_e32 v33, 0x3fb8aa3b, v31
	v_cmp_ngt_f32_e64 s4, 0xc2ce8ed0, v31
	v_fma_f32 v34, 0x3fb8aa3b, v31, -v33
	v_rndne_f32_e32 v35, v33
	v_fmamk_f32 v34, v31, 0x32a5705f, v34
	v_sub_f32_e32 v33, v33, v35
	v_add_f32_e32 v33, v33, v34
	v_cvt_i32_f32_e32 v34, v35
	v_exp_f32_e32 v33, v33
	v_ldexp_f32 v33, v33, v34
	v_cndmask_b32_e64 v33, 0, v33, s4
	v_cmp_nlt_f32_e64 s4, 0x42b17218, v31
	v_cndmask_b32_e64 v31, 0x7f800000, v33, s4
	v_mov_b32_e32 v64, v32
	v_mov_b32_e32 v62, v30
	;; [unrolled: 1-line block ×4, first 2 shown]
	v_add_f32_e32 v0, v0, v31
	v_mov_b32_e32 v63, v31
	v_mov_b32_e32 v59, v27
	;; [unrolled: 1-line block ×28, first 2 shown]
.LBB742_377:
	s_andn2_saveexec_b32 s4, s35
	s_or_b32 exec_lo, exec_lo, s4
	s_or_b32 exec_lo, exec_lo, s34
                                        ; implicit-def: $vgpr1_vgpr2_vgpr3_vgpr4_vgpr5_vgpr6_vgpr7_vgpr8_vgpr9_vgpr10_vgpr11_vgpr12_vgpr13_vgpr14_vgpr15_vgpr16_vgpr17_vgpr18_vgpr19_vgpr20_vgpr21_vgpr22_vgpr23_vgpr24_vgpr25_vgpr26_vgpr27_vgpr28_vgpr29_vgpr30_vgpr31_vgpr32
	s_and_saveexec_b32 s4, s5
	s_xor_b32 s4, exec_lo, s4
	s_cbranch_execnz .LBB742_257
.LBB742_378:
	s_andn2_saveexec_b32 s5, s4
	s_cbranch_execz .LBB742_382
.LBB742_379:
	global_load_ubyte v1, v[98:99], off offset:1984
	s_mov_b32 s34, 0
	s_waitcnt vmcnt(0)
	v_and_b32_e32 v1, 1, v1
	v_cmp_eq_u32_e64 s4, 1, v1
	v_mov_b32_e32 v1, v33
	v_mov_b32_e32 v32, v64
	;; [unrolled: 1-line block ×33, first 2 shown]
	s_xor_b32 s4, s4, -1
	s_and_saveexec_b32 s34, s4
	s_xor_b32 s34, exec_lo, s34
	s_cbranch_execz .LBB742_381
; %bb.380:
	v_sub_f32_e32 v1, v64, v107
	v_mul_f32_e32 v2, 0x3fb8aa3b, v1
	v_cmp_ngt_f32_e64 s4, 0xc2ce8ed0, v1
	v_fma_f32 v3, 0x3fb8aa3b, v1, -v2
	v_rndne_f32_e32 v4, v2
	v_fmamk_f32 v3, v1, 0x32a5705f, v3
	v_sub_f32_e32 v2, v2, v4
	v_add_f32_e32 v2, v2, v3
	v_cvt_i32_f32_e32 v3, v4
	v_exp_f32_e32 v2, v2
	v_ldexp_f32 v2, v2, v3
	v_cndmask_b32_e64 v2, 0, v2, s4
	v_cmp_nlt_f32_e64 s4, 0x42b17218, v1
	v_cndmask_b32_e64 v64, 0x7f800000, v2, s4
	v_mov_b32_e32 v1, v33
	v_mov_b32_e32 v2, v34
	v_mov_b32_e32 v3, v35
	v_mov_b32_e32 v4, v36
	v_add_f32_e32 v0, v0, v64
	v_mov_b32_e32 v5, v37
	v_mov_b32_e32 v6, v38
	;; [unrolled: 1-line block ×28, first 2 shown]
.LBB742_381:
	s_andn2_saveexec_b32 s4, s34
	s_or_b32 exec_lo, exec_lo, s4
.LBB742_382:
	s_or_b32 exec_lo, exec_lo, s5
	ds_bpermute_b32 v33, v101, v0
	s_mov_b32 s5, exec_lo
	s_waitcnt lgkmcnt(0)
	v_add_f32_e32 v0, v0, v33
	ds_bpermute_b32 v33, v102, v0
	s_waitcnt lgkmcnt(0)
	v_add_f32_e32 v0, v0, v33
	ds_bpermute_b32 v33, v103, v0
	;; [unrolled: 3-line block ×5, first 2 shown]
	v_cmpx_lt_i32_e32 0, v100
	s_cbranch_execz .LBB742_480
; %bb.383:
	s_and_b32 exec_lo, exec_lo, vcc_lo
	s_cbranch_execz .LBB742_480
; %bb.384:
	s_waitcnt lgkmcnt(0)
	v_add_f32_e32 v33, v0, v33
	v_mov_b32_e32 v34, 0x7e00
	v_cmp_neq_f32_e64 s4, 0, v33
	s_and_saveexec_b32 s5, s4
	s_cbranch_execz .LBB742_386
; %bb.385:
	v_div_scale_f32 v0, null, v33, v33, v1
	v_rcp_f32_e32 v34, v0
	v_fma_f32 v35, -v0, v34, 1.0
	v_fmac_f32_e32 v34, v35, v34
	v_div_scale_f32 v35, vcc_lo, v1, v33, v1
	v_mul_f32_e32 v36, v35, v34
	v_fma_f32 v37, -v0, v36, v35
	v_fmac_f32_e32 v36, v37, v34
	v_fma_f32 v0, -v0, v36, v35
	v_div_fmas_f32 v0, v0, v34, v36
	v_div_fixup_f32 v0, v0, v33, v1
	v_cvt_f16_f32_e32 v34, v0
.LBB742_386:
	s_or_b32 exec_lo, exec_lo, s5
	v_add_co_u32 v0, vcc_lo, s36, v96
	v_add_co_ci_u32_e64 v1, null, s37, v97, vcc_lo
	global_store_short v[0:1], v34, off
	s_and_b32 exec_lo, exec_lo, s33
	s_cbranch_execz .LBB742_480
; %bb.387:
	v_mov_b32_e32 v34, 0x7e00
	s_and_saveexec_b32 s5, s4
	s_cbranch_execz .LBB742_389
; %bb.388:
	v_div_scale_f32 v34, null, v33, v33, v2
	v_rcp_f32_e32 v35, v34
	v_fma_f32 v36, -v34, v35, 1.0
	v_fmac_f32_e32 v35, v36, v35
	v_div_scale_f32 v36, vcc_lo, v2, v33, v2
	v_mul_f32_e32 v37, v36, v35
	v_fma_f32 v38, -v34, v37, v36
	v_fmac_f32_e32 v37, v38, v35
	v_fma_f32 v34, -v34, v37, v36
	v_div_fmas_f32 v34, v34, v35, v37
	v_div_fixup_f32 v2, v34, v33, v2
	v_cvt_f16_f32_e32 v34, v2
.LBB742_389:
	s_or_b32 exec_lo, exec_lo, s5
	global_store_short v[0:1], v34, off offset:128
	s_and_b32 exec_lo, exec_lo, s31
	s_cbranch_execz .LBB742_480
; %bb.390:
	v_mov_b32_e32 v2, 0x7e00
	s_and_saveexec_b32 s5, s4
	s_cbranch_execz .LBB742_392
; %bb.391:
	v_div_scale_f32 v2, null, v33, v33, v3
	v_rcp_f32_e32 v34, v2
	v_fma_f32 v35, -v2, v34, 1.0
	v_fmac_f32_e32 v34, v35, v34
	v_div_scale_f32 v35, vcc_lo, v3, v33, v3
	v_mul_f32_e32 v36, v35, v34
	v_fma_f32 v37, -v2, v36, v35
	v_fmac_f32_e32 v36, v37, v34
	v_fma_f32 v2, -v2, v36, v35
	v_div_fmas_f32 v2, v2, v34, v36
	v_div_fixup_f32 v2, v2, v33, v3
	v_cvt_f16_f32_e32 v2, v2
.LBB742_392:
	s_or_b32 exec_lo, exec_lo, s5
	global_store_short v[0:1], v2, off offset:256
	;; [unrolled: 22-line block ×15, first 2 shown]
	s_and_b32 exec_lo, exec_lo, s17
	s_cbranch_execz .LBB742_480
; %bb.432:
	v_mov_b32_e32 v2, 0x7e00
	s_and_saveexec_b32 s5, s4
	s_cbranch_execz .LBB742_434
; %bb.433:
	v_div_scale_f32 v2, null, v33, v33, v17
	v_rcp_f32_e32 v3, v2
	v_fma_f32 v4, -v2, v3, 1.0
	v_fmac_f32_e32 v3, v4, v3
	v_div_scale_f32 v4, vcc_lo, v17, v33, v17
	v_mul_f32_e32 v5, v4, v3
	v_fma_f32 v6, -v2, v5, v4
	v_fmac_f32_e32 v5, v6, v3
	v_fma_f32 v2, -v2, v5, v4
	v_div_fmas_f32 v2, v2, v3, v5
	v_div_fixup_f32 v2, v2, v33, v17
	v_cvt_f16_f32_e32 v2, v2
.LBB742_434:
	s_or_b32 exec_lo, exec_lo, s5
	v_add_co_u32 v0, vcc_lo, 0x800, v0
	v_add_co_ci_u32_e64 v1, null, 0, v1, vcc_lo
	global_store_short v[0:1], v2, off
	s_and_b32 exec_lo, exec_lo, s16
	s_cbranch_execz .LBB742_480
; %bb.435:
	v_mov_b32_e32 v2, 0x7e00
	s_and_saveexec_b32 s5, s4
	s_cbranch_execz .LBB742_437
; %bb.436:
	v_div_scale_f32 v2, null, v33, v33, v18
	v_rcp_f32_e32 v3, v2
	v_fma_f32 v4, -v2, v3, 1.0
	v_fmac_f32_e32 v3, v4, v3
	v_div_scale_f32 v4, vcc_lo, v18, v33, v18
	v_mul_f32_e32 v5, v4, v3
	v_fma_f32 v6, -v2, v5, v4
	v_fmac_f32_e32 v5, v6, v3
	v_fma_f32 v2, -v2, v5, v4
	v_div_fmas_f32 v2, v2, v3, v5
	v_div_fixup_f32 v2, v2, v33, v18
	v_cvt_f16_f32_e32 v2, v2
.LBB742_437:
	s_or_b32 exec_lo, exec_lo, s5
	global_store_short v[0:1], v2, off offset:128
	s_and_b32 exec_lo, exec_lo, s15
	s_cbranch_execz .LBB742_480
; %bb.438:
	v_mov_b32_e32 v2, 0x7e00
	s_and_saveexec_b32 s5, s4
	s_cbranch_execz .LBB742_440
; %bb.439:
	v_div_scale_f32 v2, null, v33, v33, v19
	v_rcp_f32_e32 v3, v2
	v_fma_f32 v4, -v2, v3, 1.0
	v_fmac_f32_e32 v3, v4, v3
	v_div_scale_f32 v4, vcc_lo, v19, v33, v19
	v_mul_f32_e32 v5, v4, v3
	v_fma_f32 v6, -v2, v5, v4
	v_fmac_f32_e32 v5, v6, v3
	v_fma_f32 v2, -v2, v5, v4
	v_div_fmas_f32 v2, v2, v3, v5
	v_div_fixup_f32 v2, v2, v33, v19
	v_cvt_f16_f32_e32 v2, v2
.LBB742_440:
	s_or_b32 exec_lo, exec_lo, s5
	global_store_short v[0:1], v2, off offset:256
	;; [unrolled: 22-line block ×15, first 2 shown]
.LBB742_480:
	s_endpgm
	.section	.rodata,"a",@progbits
	.p2align	6, 0x0
	.amdhsa_kernel _ZN12_GLOBAL__N_120softmax_warp_forwardIN3c104HalfES2_fLi11ELb0ELb1ELi64EEEvPT0_PKT_iiiPKbib
		.amdhsa_group_segment_fixed_size 0
		.amdhsa_private_segment_fixed_size 0
		.amdhsa_kernarg_size 304
		.amdhsa_user_sgpr_count 6
		.amdhsa_user_sgpr_private_segment_buffer 1
		.amdhsa_user_sgpr_dispatch_ptr 0
		.amdhsa_user_sgpr_queue_ptr 0
		.amdhsa_user_sgpr_kernarg_segment_ptr 1
		.amdhsa_user_sgpr_dispatch_id 0
		.amdhsa_user_sgpr_flat_scratch_init 0
		.amdhsa_user_sgpr_private_segment_size 0
		.amdhsa_wavefront_size32 1
		.amdhsa_uses_dynamic_stack 0
		.amdhsa_system_sgpr_private_segment_wavefront_offset 0
		.amdhsa_system_sgpr_workgroup_id_x 1
		.amdhsa_system_sgpr_workgroup_id_y 0
		.amdhsa_system_sgpr_workgroup_id_z 0
		.amdhsa_system_sgpr_workgroup_info 0
		.amdhsa_system_vgpr_workitem_id 1
		.amdhsa_next_free_vgpr 108
		.amdhsa_next_free_sgpr 71
		.amdhsa_reserve_vcc 1
		.amdhsa_reserve_flat_scratch 0
		.amdhsa_float_round_mode_32 0
		.amdhsa_float_round_mode_16_64 0
		.amdhsa_float_denorm_mode_32 3
		.amdhsa_float_denorm_mode_16_64 3
		.amdhsa_dx10_clamp 1
		.amdhsa_ieee_mode 1
		.amdhsa_fp16_overflow 0
		.amdhsa_workgroup_processor_mode 1
		.amdhsa_memory_ordered 1
		.amdhsa_forward_progress 1
		.amdhsa_shared_vgpr_count 0
		.amdhsa_exception_fp_ieee_invalid_op 0
		.amdhsa_exception_fp_denorm_src 0
		.amdhsa_exception_fp_ieee_div_zero 0
		.amdhsa_exception_fp_ieee_overflow 0
		.amdhsa_exception_fp_ieee_underflow 0
		.amdhsa_exception_fp_ieee_inexact 0
		.amdhsa_exception_int_div_zero 0
	.end_amdhsa_kernel
	.section	.text._ZN12_GLOBAL__N_120softmax_warp_forwardIN3c104HalfES2_fLi11ELb0ELb1ELi64EEEvPT0_PKT_iiiPKbib,"axG",@progbits,_ZN12_GLOBAL__N_120softmax_warp_forwardIN3c104HalfES2_fLi11ELb0ELb1ELi64EEEvPT0_PKT_iiiPKbib,comdat
.Lfunc_end742:
	.size	_ZN12_GLOBAL__N_120softmax_warp_forwardIN3c104HalfES2_fLi11ELb0ELb1ELi64EEEvPT0_PKT_iiiPKbib, .Lfunc_end742-_ZN12_GLOBAL__N_120softmax_warp_forwardIN3c104HalfES2_fLi11ELb0ELb1ELi64EEEvPT0_PKT_iiiPKbib
                                        ; -- End function
	.set _ZN12_GLOBAL__N_120softmax_warp_forwardIN3c104HalfES2_fLi11ELb0ELb1ELi64EEEvPT0_PKT_iiiPKbib.num_vgpr, 108
	.set _ZN12_GLOBAL__N_120softmax_warp_forwardIN3c104HalfES2_fLi11ELb0ELb1ELi64EEEvPT0_PKT_iiiPKbib.num_agpr, 0
	.set _ZN12_GLOBAL__N_120softmax_warp_forwardIN3c104HalfES2_fLi11ELb0ELb1ELi64EEEvPT0_PKT_iiiPKbib.numbered_sgpr, 71
	.set _ZN12_GLOBAL__N_120softmax_warp_forwardIN3c104HalfES2_fLi11ELb0ELb1ELi64EEEvPT0_PKT_iiiPKbib.num_named_barrier, 0
	.set _ZN12_GLOBAL__N_120softmax_warp_forwardIN3c104HalfES2_fLi11ELb0ELb1ELi64EEEvPT0_PKT_iiiPKbib.private_seg_size, 0
	.set _ZN12_GLOBAL__N_120softmax_warp_forwardIN3c104HalfES2_fLi11ELb0ELb1ELi64EEEvPT0_PKT_iiiPKbib.uses_vcc, 1
	.set _ZN12_GLOBAL__N_120softmax_warp_forwardIN3c104HalfES2_fLi11ELb0ELb1ELi64EEEvPT0_PKT_iiiPKbib.uses_flat_scratch, 0
	.set _ZN12_GLOBAL__N_120softmax_warp_forwardIN3c104HalfES2_fLi11ELb0ELb1ELi64EEEvPT0_PKT_iiiPKbib.has_dyn_sized_stack, 0
	.set _ZN12_GLOBAL__N_120softmax_warp_forwardIN3c104HalfES2_fLi11ELb0ELb1ELi64EEEvPT0_PKT_iiiPKbib.has_recursion, 0
	.set _ZN12_GLOBAL__N_120softmax_warp_forwardIN3c104HalfES2_fLi11ELb0ELb1ELi64EEEvPT0_PKT_iiiPKbib.has_indirect_call, 0
	.section	.AMDGPU.csdata,"",@progbits
; Kernel info:
; codeLenInByte = 28988
; TotalNumSgprs: 73
; NumVgprs: 108
; ScratchSize: 0
; MemoryBound: 0
; FloatMode: 240
; IeeeMode: 1
; LDSByteSize: 0 bytes/workgroup (compile time only)
; SGPRBlocks: 0
; VGPRBlocks: 13
; NumSGPRsForWavesPerEU: 73
; NumVGPRsForWavesPerEU: 108
; Occupancy: 9
; WaveLimiterHint : 0
; COMPUTE_PGM_RSRC2:SCRATCH_EN: 0
; COMPUTE_PGM_RSRC2:USER_SGPR: 6
; COMPUTE_PGM_RSRC2:TRAP_HANDLER: 0
; COMPUTE_PGM_RSRC2:TGID_X_EN: 1
; COMPUTE_PGM_RSRC2:TGID_Y_EN: 0
; COMPUTE_PGM_RSRC2:TGID_Z_EN: 0
; COMPUTE_PGM_RSRC2:TIDIG_COMP_CNT: 1
	.section	.text._ZN12_GLOBAL__N_120softmax_warp_forwardIN3c104HalfES2_fLi11ELb0ELb1ELi32EEEvPT0_PKT_iiiPKbib,"axG",@progbits,_ZN12_GLOBAL__N_120softmax_warp_forwardIN3c104HalfES2_fLi11ELb0ELb1ELi32EEEvPT0_PKT_iiiPKbib,comdat
	.globl	_ZN12_GLOBAL__N_120softmax_warp_forwardIN3c104HalfES2_fLi11ELb0ELb1ELi32EEEvPT0_PKT_iiiPKbib ; -- Begin function _ZN12_GLOBAL__N_120softmax_warp_forwardIN3c104HalfES2_fLi11ELb0ELb1ELi32EEEvPT0_PKT_iiiPKbib
	.p2align	8
	.type	_ZN12_GLOBAL__N_120softmax_warp_forwardIN3c104HalfES2_fLi11ELb0ELb1ELi32EEEvPT0_PKT_iiiPKbib,@function
_ZN12_GLOBAL__N_120softmax_warp_forwardIN3c104HalfES2_fLi11ELb0ELb1ELi32EEEvPT0_PKT_iiiPKbib: ; @_ZN12_GLOBAL__N_120softmax_warp_forwardIN3c104HalfES2_fLi11ELb0ELb1ELi32EEEvPT0_PKT_iiiPKbib
; %bb.0:
	s_clause 0x1
	s_load_dword s0, s[4:5], 0x3c
	s_load_dwordx4 s[72:75], s[4:5], 0x10
	s_waitcnt lgkmcnt(0)
	s_lshr_b32 s0, s0, 16
	v_mad_u64_u32 v[1:2], null, s6, s0, v[1:2]
	s_load_dwordx2 s[0:1], s[4:5], 0x28
	v_mul_lo_u32 v2, v1, s73
	v_add_nc_u32_e32 v5, v2, v0
	v_ashrrev_i32_e32 v6, 31, v5
	v_mov_b32_e32 v3, v5
	s_waitcnt lgkmcnt(0)
	s_bitcmp0_b32 s1, 0
	v_mov_b32_e32 v4, v6
	s_cbranch_scc1 .LBB743_2
; %bb.1:
	s_abs_i32 s1, s0
	v_sub_nc_u32_e32 v7, 0, v2
	v_cvt_f32_u32_e32 v3, s1
	s_sub_i32 s2, 0, s1
	v_max_i32_e32 v7, v2, v7
	v_rcp_iflag_f32_e32 v3, v3
	v_xor_b32_e32 v2, s0, v2
	v_ashrrev_i32_e32 v2, 31, v2
	v_mul_f32_e32 v3, 0x4f7ffffe, v3
	v_cvt_u32_f32_e32 v3, v3
	v_mul_lo_u32 v4, s2, v3
	v_mul_hi_u32 v4, v3, v4
	v_add_nc_u32_e32 v3, v3, v4
	v_mul_hi_u32 v3, v7, v3
	v_mul_lo_u32 v4, v3, s1
	v_sub_nc_u32_e32 v4, v7, v4
	v_add_nc_u32_e32 v7, 1, v3
	v_subrev_nc_u32_e32 v8, s1, v4
	v_cmp_le_u32_e32 vcc_lo, s1, v4
	v_cndmask_b32_e32 v3, v3, v7, vcc_lo
	v_cndmask_b32_e32 v4, v4, v8, vcc_lo
	v_add_nc_u32_e32 v7, 1, v3
	v_cmp_le_u32_e32 vcc_lo, s1, v4
	v_cndmask_b32_e32 v3, v3, v7, vcc_lo
	v_xor_b32_e32 v3, v3, v2
	v_sub_nc_u32_e32 v2, v3, v2
	v_mad_u64_u32 v[3:4], null, v2, s73, v[0:1]
	v_ashrrev_i32_e32 v4, 31, v3
.LBB743_2:
	s_load_dwordx4 s[68:71], s[4:5], 0x0
	v_sub_nc_u32_e32 v7, s72, v1
	v_lshlrev_b64 v[1:2], 1, v[5:6]
	v_cmp_gt_i32_e32 vcc_lo, s74, v0
	v_mov_b32_e32 v70, 0xff800000
	v_mov_b32_e32 v71, 0xff800000
	v_cmp_lt_i32_e64 s66, 0, v7
	s_and_b32 s35, s66, vcc_lo
	s_waitcnt lgkmcnt(0)
	v_add_co_u32 v5, s0, s70, v1
	v_add_co_ci_u32_e64 v6, null, s71, v2, s0
	s_and_saveexec_b32 s0, s35
	s_cbranch_execz .LBB743_4
; %bb.3:
	global_load_ushort v8, v[5:6], off
	s_waitcnt vmcnt(0)
	v_cvt_f32_f16_e32 v71, v8
.LBB743_4:
	s_or_b32 exec_lo, exec_lo, s0
	v_add_nc_u32_e32 v8, 32, v0
	v_cmp_gt_i32_e64 s65, s74, v8
	s_and_b32 s34, s66, s65
	s_and_saveexec_b32 s0, s34
	s_cbranch_execz .LBB743_6
; %bb.5:
	global_load_ushort v8, v[5:6], off offset:64
	s_waitcnt vmcnt(0)
	v_cvt_f32_f16_e32 v70, v8
.LBB743_6:
	s_or_b32 exec_lo, exec_lo, s0
	v_add_nc_u32_e32 v8, 64, v0
	v_mov_b32_e32 v68, 0xff800000
	v_mov_b32_e32 v69, 0xff800000
	v_cmp_gt_i32_e64 s64, s74, v8
	s_and_b32 s33, s66, s64
	s_and_saveexec_b32 s0, s33
	s_cbranch_execz .LBB743_8
; %bb.7:
	global_load_ushort v8, v[5:6], off offset:128
	s_waitcnt vmcnt(0)
	v_cvt_f32_f16_e32 v69, v8
.LBB743_8:
	s_or_b32 exec_lo, exec_lo, s0
	v_add_nc_u32_e32 v8, 0x60, v0
	v_cmp_gt_i32_e64 s63, s74, v8
	s_and_b32 s31, s66, s63
	s_and_saveexec_b32 s0, s31
	s_cbranch_execz .LBB743_10
; %bb.9:
	global_load_ushort v8, v[5:6], off offset:192
	s_waitcnt vmcnt(0)
	v_cvt_f32_f16_e32 v68, v8
.LBB743_10:
	s_or_b32 exec_lo, exec_lo, s0
	v_add_nc_u32_e32 v8, 0x80, v0
	v_mov_b32_e32 v66, 0xff800000
	v_mov_b32_e32 v67, 0xff800000
	v_cmp_gt_i32_e64 s62, s74, v8
	s_and_b32 s30, s66, s62
	s_and_saveexec_b32 s0, s30
	s_cbranch_execz .LBB743_12
; %bb.11:
	global_load_ushort v8, v[5:6], off offset:256
	s_waitcnt vmcnt(0)
	v_cvt_f32_f16_e32 v67, v8
.LBB743_12:
	;; [unrolled: 24-line block ×15, first 2 shown]
	s_or_b32 exec_lo, exec_lo, s0
	v_add_nc_u32_e32 v8, 0x3e0, v0
                                        ; implicit-def: $vgpr81 : SGPR spill to VGPR lane
	v_cmp_gt_i32_e64 s0, s74, v8
	s_and_b32 s1, s66, s0
	v_writelane_b32 v81, s0, 0
	s_and_saveexec_b32 s0, s1
	s_cbranch_execz .LBB743_66
; %bb.65:
	global_load_ushort v8, v[5:6], off offset:1984
	s_waitcnt vmcnt(0)
	v_cvt_f32_f16_e32 v40, v8
.LBB743_66:
	s_or_b32 exec_lo, exec_lo, s0
	v_or_b32_e32 v8, 0x400, v0
	v_mov_b32_e32 v38, 0xff800000
	v_mov_b32_e32 v39, 0xff800000
	v_cmp_gt_i32_e64 s0, s74, v8
	s_and_b32 vcc_hi, s66, s0
	v_writelane_b32 v81, s0, 1
	s_and_saveexec_b32 s67, vcc_hi
	s_cbranch_execz .LBB743_68
; %bb.67:
	v_add_co_u32 v8, s0, 0x800, v5
	v_add_co_ci_u32_e64 v9, null, 0, v6, s0
	global_load_ushort v8, v[8:9], off
	s_waitcnt vmcnt(0)
	v_cvt_f32_f16_e32 v39, v8
.LBB743_68:
	s_or_b32 exec_lo, exec_lo, s67
	v_add_nc_u32_e32 v8, 0x420, v0
	v_cmp_gt_i32_e64 s0, s74, v8
	s_and_b32 s104, s66, s0
	v_writelane_b32 v81, s0, 2
	s_and_saveexec_b32 s67, s104
	s_cbranch_execz .LBB743_70
; %bb.69:
	v_add_co_u32 v8, s0, 0x800, v5
	v_add_co_ci_u32_e64 v9, null, 0, v6, s0
	global_load_ushort v8, v[8:9], off offset:64
	s_waitcnt vmcnt(0)
	v_cvt_f32_f16_e32 v38, v8
.LBB743_70:
	s_or_b32 exec_lo, exec_lo, s67
	v_add_nc_u32_e32 v8, 0x440, v0
	v_mov_b32_e32 v36, 0xff800000
	v_mov_b32_e32 v37, 0xff800000
	v_cmp_gt_i32_e64 s0, s74, v8
	s_and_b32 s99, s66, s0
	v_writelane_b32 v81, s0, 3
	s_and_saveexec_b32 s67, s99
	s_cbranch_execz .LBB743_72
; %bb.71:
	v_add_co_u32 v8, s0, 0x800, v5
	v_add_co_ci_u32_e64 v9, null, 0, v6, s0
	global_load_ushort v8, v[8:9], off offset:128
	s_waitcnt vmcnt(0)
	v_cvt_f32_f16_e32 v37, v8
.LBB743_72:
	s_or_b32 exec_lo, exec_lo, s67
	v_add_nc_u32_e32 v8, 0x460, v0
	v_cmp_gt_i32_e64 s0, s74, v8
	s_and_b32 s98, s66, s0
	v_writelane_b32 v81, s0, 4
	s_and_saveexec_b32 s67, s98
	s_cbranch_execz .LBB743_74
; %bb.73:
	v_add_co_u32 v8, s0, 0x800, v5
	v_add_co_ci_u32_e64 v9, null, 0, v6, s0
	global_load_ushort v8, v[8:9], off offset:192
	s_waitcnt vmcnt(0)
	v_cvt_f32_f16_e32 v36, v8
.LBB743_74:
	s_or_b32 exec_lo, exec_lo, s67
	v_add_nc_u32_e32 v8, 0x480, v0
	v_mov_b32_e32 v34, 0xff800000
	v_mov_b32_e32 v35, 0xff800000
	v_cmp_gt_i32_e64 s0, s74, v8
	s_and_b32 s97, s66, s0
	v_writelane_b32 v81, s0, 5
	s_and_saveexec_b32 s67, s97
	s_cbranch_execz .LBB743_76
; %bb.75:
	v_add_co_u32 v8, s0, 0x800, v5
	v_add_co_ci_u32_e64 v9, null, 0, v6, s0
	global_load_ushort v8, v[8:9], off offset:256
	s_waitcnt vmcnt(0)
	v_cvt_f32_f16_e32 v35, v8
.LBB743_76:
	;; [unrolled: 30-line block ×14, first 2 shown]
	s_or_b32 exec_lo, exec_lo, s67
	v_add_nc_u32_e32 v8, 0x7a0, v0
	v_cmp_gt_i32_e64 s0, s74, v8
	s_and_b32 s71, s66, s0
	v_writelane_b32 v81, s0, 30
	s_and_saveexec_b32 s67, s71
	s_cbranch_execz .LBB743_126
; %bb.125:
	v_add_co_u32 v8, s0, 0x800, v5
	v_add_co_ci_u32_e64 v9, null, 0, v6, s0
	global_load_ushort v8, v[8:9], off offset:1856
	s_waitcnt vmcnt(0)
	v_cvt_f32_f16_e32 v10, v8
.LBB743_126:
	s_or_b32 exec_lo, exec_lo, s67
	v_add_nc_u32_e32 v8, 0x7c0, v0
	v_mov_b32_e32 v9, 0xff800000
	v_cmp_gt_i32_e64 s0, s74, v8
	v_mov_b32_e32 v8, 0xff800000
	s_and_b32 s70, s66, s0
	v_writelane_b32 v81, s0, 31
	s_and_saveexec_b32 s67, s70
	s_cbranch_execz .LBB743_128
; %bb.127:
	v_add_co_u32 v72, s0, 0x800, v5
	v_add_co_ci_u32_e64 v73, null, 0, v6, s0
	global_load_ushort v9, v[72:73], off offset:1920
	s_waitcnt vmcnt(0)
	v_cvt_f32_f16_e32 v9, v9
.LBB743_128:
	s_or_b32 exec_lo, exec_lo, s67
	v_add_nc_u32_e32 v0, 0x7e0, v0
                                        ; implicit-def: $vgpr80 : SGPR spill to VGPR lane
	v_cmp_gt_i32_e64 s0, s74, v0
	s_and_b32 s67, s66, s0
	v_writelane_b32 v80, s0, 0
	s_and_saveexec_b32 s74, s67
	s_cbranch_execz .LBB743_130
; %bb.129:
	v_add_co_u32 v5, s66, 0x800, v5
	v_add_co_ci_u32_e64 v6, null, 0, v6, s66
	global_load_ushort v0, v[5:6], off offset:1984
	s_waitcnt vmcnt(0)
	v_cvt_f32_f16_e32 v8, v0
.LBB743_130:
	s_or_b32 exec_lo, exec_lo, s74
	s_load_dwordx2 s[4:5], s[4:5], 0x20
	s_waitcnt lgkmcnt(0)
	v_add_co_u32 v3, s4, s4, v3
	v_add_co_ci_u32_e64 v4, null, s5, v4, s4
	s_mov_b32 s5, 0
	s_and_saveexec_b32 s66, s35
	s_cbranch_execnz .LBB743_194
; %bb.131:
	s_or_b32 exec_lo, exec_lo, s66
	v_mov_b32_e32 v0, v71
	s_and_saveexec_b32 s66, s34
	s_cbranch_execnz .LBB743_195
.LBB743_132:
	s_or_b32 exec_lo, exec_lo, s66
	s_and_saveexec_b32 s66, s33
	s_cbranch_execnz .LBB743_198
.LBB743_133:
	s_or_b32 exec_lo, exec_lo, s66
	s_and_saveexec_b32 s66, s31
	s_cbranch_execnz .LBB743_201
.LBB743_134:
	s_or_b32 exec_lo, exec_lo, s66
	s_and_saveexec_b32 s66, s30
	s_cbranch_execnz .LBB743_204
.LBB743_135:
	s_or_b32 exec_lo, exec_lo, s66
	s_and_saveexec_b32 s66, s29
	s_cbranch_execnz .LBB743_207
.LBB743_136:
	s_or_b32 exec_lo, exec_lo, s66
	s_and_saveexec_b32 s66, s28
	s_cbranch_execnz .LBB743_210
.LBB743_137:
	s_or_b32 exec_lo, exec_lo, s66
	s_and_saveexec_b32 s66, s27
	s_cbranch_execnz .LBB743_213
.LBB743_138:
	s_or_b32 exec_lo, exec_lo, s66
	s_and_saveexec_b32 s66, s26
	s_cbranch_execnz .LBB743_216
.LBB743_139:
	s_or_b32 exec_lo, exec_lo, s66
	s_and_saveexec_b32 s66, s25
	s_cbranch_execnz .LBB743_219
.LBB743_140:
	s_or_b32 exec_lo, exec_lo, s66
	s_and_saveexec_b32 s66, s24
	s_cbranch_execnz .LBB743_222
.LBB743_141:
	s_or_b32 exec_lo, exec_lo, s66
	s_and_saveexec_b32 s66, s23
	s_cbranch_execnz .LBB743_225
.LBB743_142:
	s_or_b32 exec_lo, exec_lo, s66
	s_and_saveexec_b32 s66, s22
	s_cbranch_execnz .LBB743_228
.LBB743_143:
	s_or_b32 exec_lo, exec_lo, s66
	s_and_saveexec_b32 s66, s21
	s_cbranch_execnz .LBB743_231
.LBB743_144:
	s_or_b32 exec_lo, exec_lo, s66
	s_and_saveexec_b32 s66, s20
	s_cbranch_execnz .LBB743_234
.LBB743_145:
	s_or_b32 exec_lo, exec_lo, s66
	s_and_saveexec_b32 s66, s19
	s_cbranch_execnz .LBB743_237
.LBB743_146:
	s_or_b32 exec_lo, exec_lo, s66
	s_and_saveexec_b32 s66, s18
	s_cbranch_execnz .LBB743_240
.LBB743_147:
	s_or_b32 exec_lo, exec_lo, s66
	s_and_saveexec_b32 s66, s17
	s_cbranch_execnz .LBB743_243
.LBB743_148:
	s_or_b32 exec_lo, exec_lo, s66
	s_and_saveexec_b32 s66, s16
	s_cbranch_execnz .LBB743_246
.LBB743_149:
	s_or_b32 exec_lo, exec_lo, s66
	s_and_saveexec_b32 s66, s15
	s_cbranch_execnz .LBB743_249
.LBB743_150:
	s_or_b32 exec_lo, exec_lo, s66
	s_and_saveexec_b32 s66, s14
	s_cbranch_execnz .LBB743_252
.LBB743_151:
	s_or_b32 exec_lo, exec_lo, s66
	s_and_saveexec_b32 s66, s13
	s_cbranch_execnz .LBB743_255
.LBB743_152:
	s_or_b32 exec_lo, exec_lo, s66
	s_and_saveexec_b32 s66, s12
	s_cbranch_execnz .LBB743_258
.LBB743_153:
	s_or_b32 exec_lo, exec_lo, s66
	s_and_saveexec_b32 s66, s11
	s_cbranch_execnz .LBB743_261
.LBB743_154:
	s_or_b32 exec_lo, exec_lo, s66
	s_and_saveexec_b32 s66, s10
	s_cbranch_execnz .LBB743_264
.LBB743_155:
	s_or_b32 exec_lo, exec_lo, s66
	s_and_saveexec_b32 s66, s9
	s_cbranch_execnz .LBB743_267
.LBB743_156:
	s_or_b32 exec_lo, exec_lo, s66
	s_and_saveexec_b32 s66, s8
	s_cbranch_execnz .LBB743_270
.LBB743_157:
	s_or_b32 exec_lo, exec_lo, s66
	s_and_saveexec_b32 s66, s7
	s_cbranch_execnz .LBB743_273
.LBB743_158:
	s_or_b32 exec_lo, exec_lo, s66
	s_and_saveexec_b32 s66, s6
	s_cbranch_execnz .LBB743_276
.LBB743_159:
	s_or_b32 exec_lo, exec_lo, s66
	s_and_saveexec_b32 s66, s3
	s_cbranch_execnz .LBB743_279
.LBB743_160:
	s_or_b32 exec_lo, exec_lo, s66
	s_and_saveexec_b32 s66, s2
	s_cbranch_execnz .LBB743_282
.LBB743_161:
	s_or_b32 exec_lo, exec_lo, s66
	s_and_saveexec_b32 s66, s1
	s_cbranch_execnz .LBB743_285
.LBB743_162:
	s_or_b32 exec_lo, exec_lo, s66
	s_and_saveexec_b32 s66, vcc_hi
	s_cbranch_execnz .LBB743_288
.LBB743_163:
	s_or_b32 exec_lo, exec_lo, s66
	s_and_saveexec_b32 s66, s104
	s_cbranch_execnz .LBB743_291
.LBB743_164:
	s_or_b32 exec_lo, exec_lo, s66
	s_and_saveexec_b32 s66, s99
	s_cbranch_execnz .LBB743_294
.LBB743_165:
	s_or_b32 exec_lo, exec_lo, s66
	s_and_saveexec_b32 s66, s98
	s_cbranch_execnz .LBB743_297
.LBB743_166:
	s_or_b32 exec_lo, exec_lo, s66
	s_and_saveexec_b32 s66, s97
	s_cbranch_execnz .LBB743_300
.LBB743_167:
	s_or_b32 exec_lo, exec_lo, s66
	s_and_saveexec_b32 s66, s96
	s_cbranch_execnz .LBB743_303
.LBB743_168:
	s_or_b32 exec_lo, exec_lo, s66
	s_and_saveexec_b32 s66, s95
	s_cbranch_execnz .LBB743_306
.LBB743_169:
	s_or_b32 exec_lo, exec_lo, s66
	s_and_saveexec_b32 s66, s94
	s_cbranch_execnz .LBB743_309
.LBB743_170:
	s_or_b32 exec_lo, exec_lo, s66
	s_and_saveexec_b32 s66, s93
	s_cbranch_execnz .LBB743_312
.LBB743_171:
	s_or_b32 exec_lo, exec_lo, s66
	s_and_saveexec_b32 s66, s92
	s_cbranch_execnz .LBB743_315
.LBB743_172:
	s_or_b32 exec_lo, exec_lo, s66
	s_and_saveexec_b32 s66, s91
	s_cbranch_execnz .LBB743_318
.LBB743_173:
	s_or_b32 exec_lo, exec_lo, s66
	s_and_saveexec_b32 s66, s90
	s_cbranch_execnz .LBB743_321
.LBB743_174:
	s_or_b32 exec_lo, exec_lo, s66
	s_and_saveexec_b32 s66, s89
	s_cbranch_execnz .LBB743_324
.LBB743_175:
	s_or_b32 exec_lo, exec_lo, s66
	s_and_saveexec_b32 s66, s88
	s_cbranch_execnz .LBB743_327
.LBB743_176:
	s_or_b32 exec_lo, exec_lo, s66
	s_and_saveexec_b32 s66, s87
	s_cbranch_execnz .LBB743_330
.LBB743_177:
	s_or_b32 exec_lo, exec_lo, s66
	s_and_saveexec_b32 s66, s86
	s_cbranch_execnz .LBB743_333
.LBB743_178:
	s_or_b32 exec_lo, exec_lo, s66
	s_and_saveexec_b32 s66, s85
	s_cbranch_execnz .LBB743_336
.LBB743_179:
	s_or_b32 exec_lo, exec_lo, s66
	s_and_saveexec_b32 s66, s84
	s_cbranch_execnz .LBB743_339
.LBB743_180:
	s_or_b32 exec_lo, exec_lo, s66
	s_and_saveexec_b32 s66, s83
	s_cbranch_execnz .LBB743_342
.LBB743_181:
	s_or_b32 exec_lo, exec_lo, s66
	s_and_saveexec_b32 s66, s82
	s_cbranch_execnz .LBB743_345
.LBB743_182:
	s_or_b32 exec_lo, exec_lo, s66
	s_and_saveexec_b32 s66, s81
	s_cbranch_execnz .LBB743_348
.LBB743_183:
	s_or_b32 exec_lo, exec_lo, s66
	s_and_saveexec_b32 s66, s80
	s_cbranch_execnz .LBB743_351
.LBB743_184:
	s_or_b32 exec_lo, exec_lo, s66
	s_and_saveexec_b32 s66, s79
	s_cbranch_execnz .LBB743_354
.LBB743_185:
	s_or_b32 exec_lo, exec_lo, s66
	s_and_saveexec_b32 s66, s78
	s_cbranch_execnz .LBB743_357
.LBB743_186:
	s_or_b32 exec_lo, exec_lo, s66
	s_and_saveexec_b32 s66, s77
	s_cbranch_execnz .LBB743_360
.LBB743_187:
	s_or_b32 exec_lo, exec_lo, s66
	s_and_saveexec_b32 s66, s76
	s_cbranch_execnz .LBB743_363
.LBB743_188:
	s_or_b32 exec_lo, exec_lo, s66
	s_and_saveexec_b32 s66, s75
	s_cbranch_execnz .LBB743_366
.LBB743_189:
	s_or_b32 exec_lo, exec_lo, s66
	s_and_saveexec_b32 s66, s73
	s_cbranch_execnz .LBB743_369
.LBB743_190:
	s_or_b32 exec_lo, exec_lo, s66
	s_and_saveexec_b32 s66, s72
	s_cbranch_execnz .LBB743_372
.LBB743_191:
	s_or_b32 exec_lo, exec_lo, s66
	s_and_saveexec_b32 s66, s71
	s_cbranch_execnz .LBB743_375
.LBB743_192:
	s_or_b32 exec_lo, exec_lo, s66
	s_and_saveexec_b32 s66, s70
	s_cbranch_execnz .LBB743_378
.LBB743_193:
	s_or_b32 exec_lo, exec_lo, s66
	s_and_saveexec_b32 s66, s67
	s_cbranch_execnz .LBB743_381
	s_branch .LBB743_384
.LBB743_194:
	global_load_ubyte v0, v[3:4], off
	s_waitcnt vmcnt(0)
	v_and_b32_e32 v0, 1, v0
	v_cmp_eq_u32_e64 s4, 1, v0
	s_xor_b32 s4, s4, -1
	s_and_b32 s5, s4, exec_lo
	s_or_b32 exec_lo, exec_lo, s66
	v_mov_b32_e32 v0, v71
	s_and_saveexec_b32 s66, s34
	s_cbranch_execz .LBB743_132
.LBB743_195:
	global_load_ubyte v0, v[3:4], off offset:32
	s_waitcnt vmcnt(0)
	v_and_b32_e32 v0, 1, v0
	v_cmp_eq_u32_e64 s4, 1, v0
	v_mov_b32_e32 v0, v71
	s_xor_b32 s0, s4, -1
	s_mov_b32 s4, s5
	s_and_saveexec_b32 s74, s0
; %bb.196:
	v_cmp_gt_f32_e64 s4, v71, v70
	s_and_b32 s4, s5, s4
	v_cndmask_b32_e64 v0, v70, v71, s4
	s_or_b32 s4, s5, exec_lo
; %bb.197:
	s_or_b32 exec_lo, exec_lo, s74
	s_andn2_b32 s0, s5, exec_lo
	s_and_b32 s4, s4, exec_lo
	s_or_b32 s5, s0, s4
	s_or_b32 exec_lo, exec_lo, s66
	s_and_saveexec_b32 s66, s33
	s_cbranch_execz .LBB743_133
.LBB743_198:
	global_load_ubyte v5, v[3:4], off offset:64
	s_waitcnt vmcnt(0)
	v_and_b32_e32 v5, 1, v5
	v_cmp_eq_u32_e64 s4, 1, v5
	s_xor_b32 s0, s4, -1
	s_mov_b32 s4, s5
	s_and_saveexec_b32 s74, s0
; %bb.199:
	v_cmp_gt_f32_e64 s4, v0, v69
	s_and_b32 s4, s5, s4
	v_cndmask_b32_e64 v0, v69, v0, s4
	s_or_b32 s4, s5, exec_lo
; %bb.200:
	s_or_b32 exec_lo, exec_lo, s74
	s_andn2_b32 s0, s5, exec_lo
	s_and_b32 s4, s4, exec_lo
	s_or_b32 s5, s0, s4
	s_or_b32 exec_lo, exec_lo, s66
	s_and_saveexec_b32 s66, s31
	s_cbranch_execz .LBB743_134
.LBB743_201:
	global_load_ubyte v5, v[3:4], off offset:96
	s_waitcnt vmcnt(0)
	v_and_b32_e32 v5, 1, v5
	v_cmp_eq_u32_e64 s4, 1, v5
	s_xor_b32 s0, s4, -1
	s_mov_b32 s4, s5
	s_and_saveexec_b32 s74, s0
; %bb.202:
	v_cmp_gt_f32_e64 s4, v0, v68
	s_and_b32 s4, s5, s4
	v_cndmask_b32_e64 v0, v68, v0, s4
	s_or_b32 s4, s5, exec_lo
; %bb.203:
	s_or_b32 exec_lo, exec_lo, s74
	s_andn2_b32 s0, s5, exec_lo
	s_and_b32 s4, s4, exec_lo
	s_or_b32 s5, s0, s4
	s_or_b32 exec_lo, exec_lo, s66
	s_and_saveexec_b32 s66, s30
	s_cbranch_execz .LBB743_135
.LBB743_204:
	global_load_ubyte v5, v[3:4], off offset:128
	s_waitcnt vmcnt(0)
	v_and_b32_e32 v5, 1, v5
	v_cmp_eq_u32_e64 s4, 1, v5
	s_xor_b32 s0, s4, -1
	s_mov_b32 s4, s5
	s_and_saveexec_b32 s74, s0
; %bb.205:
	v_cmp_gt_f32_e64 s4, v0, v67
	s_and_b32 s4, s5, s4
	v_cndmask_b32_e64 v0, v67, v0, s4
	s_or_b32 s4, s5, exec_lo
; %bb.206:
	s_or_b32 exec_lo, exec_lo, s74
	s_andn2_b32 s0, s5, exec_lo
	s_and_b32 s4, s4, exec_lo
	s_or_b32 s5, s0, s4
	s_or_b32 exec_lo, exec_lo, s66
	s_and_saveexec_b32 s66, s29
	s_cbranch_execz .LBB743_136
.LBB743_207:
	global_load_ubyte v5, v[3:4], off offset:160
	s_waitcnt vmcnt(0)
	v_and_b32_e32 v5, 1, v5
	v_cmp_eq_u32_e64 s4, 1, v5
	s_xor_b32 s0, s4, -1
	s_mov_b32 s4, s5
	s_and_saveexec_b32 s74, s0
; %bb.208:
	v_cmp_gt_f32_e64 s4, v0, v66
	s_and_b32 s4, s5, s4
	v_cndmask_b32_e64 v0, v66, v0, s4
	s_or_b32 s4, s5, exec_lo
; %bb.209:
	s_or_b32 exec_lo, exec_lo, s74
	s_andn2_b32 s0, s5, exec_lo
	s_and_b32 s4, s4, exec_lo
	s_or_b32 s5, s0, s4
	s_or_b32 exec_lo, exec_lo, s66
	s_and_saveexec_b32 s66, s28
	s_cbranch_execz .LBB743_137
.LBB743_210:
	global_load_ubyte v5, v[3:4], off offset:192
	s_waitcnt vmcnt(0)
	v_and_b32_e32 v5, 1, v5
	v_cmp_eq_u32_e64 s4, 1, v5
	s_xor_b32 s0, s4, -1
	s_mov_b32 s4, s5
	s_and_saveexec_b32 s74, s0
; %bb.211:
	v_cmp_gt_f32_e64 s4, v0, v65
	s_and_b32 s4, s5, s4
	v_cndmask_b32_e64 v0, v65, v0, s4
	s_or_b32 s4, s5, exec_lo
; %bb.212:
	s_or_b32 exec_lo, exec_lo, s74
	s_andn2_b32 s0, s5, exec_lo
	s_and_b32 s4, s4, exec_lo
	s_or_b32 s5, s0, s4
	s_or_b32 exec_lo, exec_lo, s66
	s_and_saveexec_b32 s66, s27
	s_cbranch_execz .LBB743_138
.LBB743_213:
	global_load_ubyte v5, v[3:4], off offset:224
	s_waitcnt vmcnt(0)
	v_and_b32_e32 v5, 1, v5
	v_cmp_eq_u32_e64 s4, 1, v5
	s_xor_b32 s0, s4, -1
	s_mov_b32 s4, s5
	s_and_saveexec_b32 s74, s0
; %bb.214:
	v_cmp_gt_f32_e64 s4, v0, v64
	s_and_b32 s4, s5, s4
	v_cndmask_b32_e64 v0, v64, v0, s4
	s_or_b32 s4, s5, exec_lo
; %bb.215:
	s_or_b32 exec_lo, exec_lo, s74
	s_andn2_b32 s0, s5, exec_lo
	s_and_b32 s4, s4, exec_lo
	s_or_b32 s5, s0, s4
	s_or_b32 exec_lo, exec_lo, s66
	s_and_saveexec_b32 s66, s26
	s_cbranch_execz .LBB743_139
.LBB743_216:
	global_load_ubyte v5, v[3:4], off offset:256
	s_waitcnt vmcnt(0)
	v_and_b32_e32 v5, 1, v5
	v_cmp_eq_u32_e64 s4, 1, v5
	s_xor_b32 s0, s4, -1
	s_mov_b32 s4, s5
	s_and_saveexec_b32 s74, s0
; %bb.217:
	v_cmp_gt_f32_e64 s4, v0, v63
	s_and_b32 s4, s5, s4
	v_cndmask_b32_e64 v0, v63, v0, s4
	s_or_b32 s4, s5, exec_lo
; %bb.218:
	s_or_b32 exec_lo, exec_lo, s74
	s_andn2_b32 s0, s5, exec_lo
	s_and_b32 s4, s4, exec_lo
	s_or_b32 s5, s0, s4
	s_or_b32 exec_lo, exec_lo, s66
	s_and_saveexec_b32 s66, s25
	s_cbranch_execz .LBB743_140
.LBB743_219:
	global_load_ubyte v5, v[3:4], off offset:288
	s_waitcnt vmcnt(0)
	v_and_b32_e32 v5, 1, v5
	v_cmp_eq_u32_e64 s4, 1, v5
	s_xor_b32 s0, s4, -1
	s_mov_b32 s4, s5
	s_and_saveexec_b32 s74, s0
; %bb.220:
	v_cmp_gt_f32_e64 s4, v0, v62
	s_and_b32 s4, s5, s4
	v_cndmask_b32_e64 v0, v62, v0, s4
	s_or_b32 s4, s5, exec_lo
; %bb.221:
	s_or_b32 exec_lo, exec_lo, s74
	s_andn2_b32 s0, s5, exec_lo
	s_and_b32 s4, s4, exec_lo
	s_or_b32 s5, s0, s4
	s_or_b32 exec_lo, exec_lo, s66
	s_and_saveexec_b32 s66, s24
	s_cbranch_execz .LBB743_141
.LBB743_222:
	global_load_ubyte v5, v[3:4], off offset:320
	s_waitcnt vmcnt(0)
	v_and_b32_e32 v5, 1, v5
	v_cmp_eq_u32_e64 s4, 1, v5
	s_xor_b32 s0, s4, -1
	s_mov_b32 s4, s5
	s_and_saveexec_b32 s74, s0
; %bb.223:
	v_cmp_gt_f32_e64 s4, v0, v61
	s_and_b32 s4, s5, s4
	v_cndmask_b32_e64 v0, v61, v0, s4
	s_or_b32 s4, s5, exec_lo
; %bb.224:
	s_or_b32 exec_lo, exec_lo, s74
	s_andn2_b32 s0, s5, exec_lo
	s_and_b32 s4, s4, exec_lo
	s_or_b32 s5, s0, s4
	s_or_b32 exec_lo, exec_lo, s66
	s_and_saveexec_b32 s66, s23
	s_cbranch_execz .LBB743_142
.LBB743_225:
	global_load_ubyte v5, v[3:4], off offset:352
	s_waitcnt vmcnt(0)
	v_and_b32_e32 v5, 1, v5
	v_cmp_eq_u32_e64 s4, 1, v5
	s_xor_b32 s0, s4, -1
	s_mov_b32 s4, s5
	s_and_saveexec_b32 s74, s0
; %bb.226:
	v_cmp_gt_f32_e64 s4, v0, v60
	s_and_b32 s4, s5, s4
	v_cndmask_b32_e64 v0, v60, v0, s4
	s_or_b32 s4, s5, exec_lo
; %bb.227:
	s_or_b32 exec_lo, exec_lo, s74
	s_andn2_b32 s0, s5, exec_lo
	s_and_b32 s4, s4, exec_lo
	s_or_b32 s5, s0, s4
	s_or_b32 exec_lo, exec_lo, s66
	s_and_saveexec_b32 s66, s22
	s_cbranch_execz .LBB743_143
.LBB743_228:
	global_load_ubyte v5, v[3:4], off offset:384
	s_waitcnt vmcnt(0)
	v_and_b32_e32 v5, 1, v5
	v_cmp_eq_u32_e64 s4, 1, v5
	s_xor_b32 s0, s4, -1
	s_mov_b32 s4, s5
	s_and_saveexec_b32 s74, s0
; %bb.229:
	v_cmp_gt_f32_e64 s4, v0, v59
	s_and_b32 s4, s5, s4
	v_cndmask_b32_e64 v0, v59, v0, s4
	s_or_b32 s4, s5, exec_lo
; %bb.230:
	s_or_b32 exec_lo, exec_lo, s74
	s_andn2_b32 s0, s5, exec_lo
	s_and_b32 s4, s4, exec_lo
	s_or_b32 s5, s0, s4
	s_or_b32 exec_lo, exec_lo, s66
	s_and_saveexec_b32 s66, s21
	s_cbranch_execz .LBB743_144
.LBB743_231:
	global_load_ubyte v5, v[3:4], off offset:416
	s_waitcnt vmcnt(0)
	v_and_b32_e32 v5, 1, v5
	v_cmp_eq_u32_e64 s4, 1, v5
	s_xor_b32 s0, s4, -1
	s_mov_b32 s4, s5
	s_and_saveexec_b32 s74, s0
; %bb.232:
	v_cmp_gt_f32_e64 s4, v0, v58
	s_and_b32 s4, s5, s4
	v_cndmask_b32_e64 v0, v58, v0, s4
	s_or_b32 s4, s5, exec_lo
; %bb.233:
	s_or_b32 exec_lo, exec_lo, s74
	s_andn2_b32 s0, s5, exec_lo
	s_and_b32 s4, s4, exec_lo
	s_or_b32 s5, s0, s4
	s_or_b32 exec_lo, exec_lo, s66
	s_and_saveexec_b32 s66, s20
	s_cbranch_execz .LBB743_145
.LBB743_234:
	global_load_ubyte v5, v[3:4], off offset:448
	s_waitcnt vmcnt(0)
	v_and_b32_e32 v5, 1, v5
	v_cmp_eq_u32_e64 s4, 1, v5
	s_xor_b32 s0, s4, -1
	s_mov_b32 s4, s5
	s_and_saveexec_b32 s74, s0
; %bb.235:
	v_cmp_gt_f32_e64 s4, v0, v57
	s_and_b32 s4, s5, s4
	v_cndmask_b32_e64 v0, v57, v0, s4
	s_or_b32 s4, s5, exec_lo
; %bb.236:
	s_or_b32 exec_lo, exec_lo, s74
	s_andn2_b32 s0, s5, exec_lo
	s_and_b32 s4, s4, exec_lo
	s_or_b32 s5, s0, s4
	s_or_b32 exec_lo, exec_lo, s66
	s_and_saveexec_b32 s66, s19
	s_cbranch_execz .LBB743_146
.LBB743_237:
	global_load_ubyte v5, v[3:4], off offset:480
	s_waitcnt vmcnt(0)
	v_and_b32_e32 v5, 1, v5
	v_cmp_eq_u32_e64 s4, 1, v5
	s_xor_b32 s0, s4, -1
	s_mov_b32 s4, s5
	s_and_saveexec_b32 s74, s0
; %bb.238:
	v_cmp_gt_f32_e64 s4, v0, v56
	s_and_b32 s4, s5, s4
	v_cndmask_b32_e64 v0, v56, v0, s4
	s_or_b32 s4, s5, exec_lo
; %bb.239:
	s_or_b32 exec_lo, exec_lo, s74
	s_andn2_b32 s0, s5, exec_lo
	s_and_b32 s4, s4, exec_lo
	s_or_b32 s5, s0, s4
	s_or_b32 exec_lo, exec_lo, s66
	s_and_saveexec_b32 s66, s18
	s_cbranch_execz .LBB743_147
.LBB743_240:
	global_load_ubyte v5, v[3:4], off offset:512
	s_waitcnt vmcnt(0)
	v_and_b32_e32 v5, 1, v5
	v_cmp_eq_u32_e64 s4, 1, v5
	s_xor_b32 s0, s4, -1
	s_mov_b32 s4, s5
	s_and_saveexec_b32 s74, s0
; %bb.241:
	v_cmp_gt_f32_e64 s4, v0, v55
	s_and_b32 s4, s5, s4
	v_cndmask_b32_e64 v0, v55, v0, s4
	s_or_b32 s4, s5, exec_lo
; %bb.242:
	s_or_b32 exec_lo, exec_lo, s74
	s_andn2_b32 s0, s5, exec_lo
	s_and_b32 s4, s4, exec_lo
	s_or_b32 s5, s0, s4
	s_or_b32 exec_lo, exec_lo, s66
	s_and_saveexec_b32 s66, s17
	s_cbranch_execz .LBB743_148
.LBB743_243:
	global_load_ubyte v5, v[3:4], off offset:544
	s_waitcnt vmcnt(0)
	v_and_b32_e32 v5, 1, v5
	v_cmp_eq_u32_e64 s4, 1, v5
	s_xor_b32 s0, s4, -1
	s_mov_b32 s4, s5
	s_and_saveexec_b32 s74, s0
; %bb.244:
	v_cmp_gt_f32_e64 s4, v0, v54
	s_and_b32 s4, s5, s4
	v_cndmask_b32_e64 v0, v54, v0, s4
	s_or_b32 s4, s5, exec_lo
; %bb.245:
	s_or_b32 exec_lo, exec_lo, s74
	s_andn2_b32 s0, s5, exec_lo
	s_and_b32 s4, s4, exec_lo
	s_or_b32 s5, s0, s4
	s_or_b32 exec_lo, exec_lo, s66
	s_and_saveexec_b32 s66, s16
	s_cbranch_execz .LBB743_149
.LBB743_246:
	global_load_ubyte v5, v[3:4], off offset:576
	s_waitcnt vmcnt(0)
	v_and_b32_e32 v5, 1, v5
	v_cmp_eq_u32_e64 s4, 1, v5
	s_xor_b32 s0, s4, -1
	s_mov_b32 s4, s5
	s_and_saveexec_b32 s74, s0
; %bb.247:
	v_cmp_gt_f32_e64 s4, v0, v53
	s_and_b32 s4, s5, s4
	v_cndmask_b32_e64 v0, v53, v0, s4
	s_or_b32 s4, s5, exec_lo
; %bb.248:
	s_or_b32 exec_lo, exec_lo, s74
	s_andn2_b32 s0, s5, exec_lo
	s_and_b32 s4, s4, exec_lo
	s_or_b32 s5, s0, s4
	s_or_b32 exec_lo, exec_lo, s66
	s_and_saveexec_b32 s66, s15
	s_cbranch_execz .LBB743_150
.LBB743_249:
	global_load_ubyte v5, v[3:4], off offset:608
	s_waitcnt vmcnt(0)
	v_and_b32_e32 v5, 1, v5
	v_cmp_eq_u32_e64 s4, 1, v5
	s_xor_b32 s0, s4, -1
	s_mov_b32 s4, s5
	s_and_saveexec_b32 s74, s0
; %bb.250:
	v_cmp_gt_f32_e64 s4, v0, v52
	s_and_b32 s4, s5, s4
	v_cndmask_b32_e64 v0, v52, v0, s4
	s_or_b32 s4, s5, exec_lo
; %bb.251:
	s_or_b32 exec_lo, exec_lo, s74
	s_andn2_b32 s0, s5, exec_lo
	s_and_b32 s4, s4, exec_lo
	s_or_b32 s5, s0, s4
	s_or_b32 exec_lo, exec_lo, s66
	s_and_saveexec_b32 s66, s14
	s_cbranch_execz .LBB743_151
.LBB743_252:
	global_load_ubyte v5, v[3:4], off offset:640
	s_waitcnt vmcnt(0)
	v_and_b32_e32 v5, 1, v5
	v_cmp_eq_u32_e64 s4, 1, v5
	s_xor_b32 s0, s4, -1
	s_mov_b32 s4, s5
	s_and_saveexec_b32 s74, s0
; %bb.253:
	v_cmp_gt_f32_e64 s4, v0, v51
	s_and_b32 s4, s5, s4
	v_cndmask_b32_e64 v0, v51, v0, s4
	s_or_b32 s4, s5, exec_lo
; %bb.254:
	s_or_b32 exec_lo, exec_lo, s74
	s_andn2_b32 s0, s5, exec_lo
	s_and_b32 s4, s4, exec_lo
	s_or_b32 s5, s0, s4
	s_or_b32 exec_lo, exec_lo, s66
	s_and_saveexec_b32 s66, s13
	s_cbranch_execz .LBB743_152
.LBB743_255:
	global_load_ubyte v5, v[3:4], off offset:672
	s_waitcnt vmcnt(0)
	v_and_b32_e32 v5, 1, v5
	v_cmp_eq_u32_e64 s4, 1, v5
	s_xor_b32 s0, s4, -1
	s_mov_b32 s4, s5
	s_and_saveexec_b32 s74, s0
; %bb.256:
	v_cmp_gt_f32_e64 s4, v0, v50
	s_and_b32 s4, s5, s4
	v_cndmask_b32_e64 v0, v50, v0, s4
	s_or_b32 s4, s5, exec_lo
; %bb.257:
	s_or_b32 exec_lo, exec_lo, s74
	s_andn2_b32 s0, s5, exec_lo
	s_and_b32 s4, s4, exec_lo
	s_or_b32 s5, s0, s4
	s_or_b32 exec_lo, exec_lo, s66
	s_and_saveexec_b32 s66, s12
	s_cbranch_execz .LBB743_153
.LBB743_258:
	global_load_ubyte v5, v[3:4], off offset:704
	s_waitcnt vmcnt(0)
	v_and_b32_e32 v5, 1, v5
	v_cmp_eq_u32_e64 s4, 1, v5
	s_xor_b32 s0, s4, -1
	s_mov_b32 s4, s5
	s_and_saveexec_b32 s74, s0
; %bb.259:
	v_cmp_gt_f32_e64 s4, v0, v49
	s_and_b32 s4, s5, s4
	v_cndmask_b32_e64 v0, v49, v0, s4
	s_or_b32 s4, s5, exec_lo
; %bb.260:
	s_or_b32 exec_lo, exec_lo, s74
	s_andn2_b32 s0, s5, exec_lo
	s_and_b32 s4, s4, exec_lo
	s_or_b32 s5, s0, s4
	s_or_b32 exec_lo, exec_lo, s66
	s_and_saveexec_b32 s66, s11
	s_cbranch_execz .LBB743_154
.LBB743_261:
	global_load_ubyte v5, v[3:4], off offset:736
	s_waitcnt vmcnt(0)
	v_and_b32_e32 v5, 1, v5
	v_cmp_eq_u32_e64 s4, 1, v5
	s_xor_b32 s0, s4, -1
	s_mov_b32 s4, s5
	s_and_saveexec_b32 s74, s0
; %bb.262:
	v_cmp_gt_f32_e64 s4, v0, v48
	s_and_b32 s4, s5, s4
	v_cndmask_b32_e64 v0, v48, v0, s4
	s_or_b32 s4, s5, exec_lo
; %bb.263:
	s_or_b32 exec_lo, exec_lo, s74
	s_andn2_b32 s0, s5, exec_lo
	s_and_b32 s4, s4, exec_lo
	s_or_b32 s5, s0, s4
	s_or_b32 exec_lo, exec_lo, s66
	s_and_saveexec_b32 s66, s10
	s_cbranch_execz .LBB743_155
.LBB743_264:
	global_load_ubyte v5, v[3:4], off offset:768
	s_waitcnt vmcnt(0)
	v_and_b32_e32 v5, 1, v5
	v_cmp_eq_u32_e64 s4, 1, v5
	s_xor_b32 s0, s4, -1
	s_mov_b32 s4, s5
	s_and_saveexec_b32 s74, s0
; %bb.265:
	v_cmp_gt_f32_e64 s4, v0, v47
	s_and_b32 s4, s5, s4
	v_cndmask_b32_e64 v0, v47, v0, s4
	s_or_b32 s4, s5, exec_lo
; %bb.266:
	s_or_b32 exec_lo, exec_lo, s74
	s_andn2_b32 s0, s5, exec_lo
	s_and_b32 s4, s4, exec_lo
	s_or_b32 s5, s0, s4
	s_or_b32 exec_lo, exec_lo, s66
	s_and_saveexec_b32 s66, s9
	s_cbranch_execz .LBB743_156
.LBB743_267:
	global_load_ubyte v5, v[3:4], off offset:800
	s_waitcnt vmcnt(0)
	v_and_b32_e32 v5, 1, v5
	v_cmp_eq_u32_e64 s4, 1, v5
	s_xor_b32 s0, s4, -1
	s_mov_b32 s4, s5
	s_and_saveexec_b32 s74, s0
; %bb.268:
	v_cmp_gt_f32_e64 s4, v0, v46
	s_and_b32 s4, s5, s4
	v_cndmask_b32_e64 v0, v46, v0, s4
	s_or_b32 s4, s5, exec_lo
; %bb.269:
	s_or_b32 exec_lo, exec_lo, s74
	s_andn2_b32 s0, s5, exec_lo
	s_and_b32 s4, s4, exec_lo
	s_or_b32 s5, s0, s4
	s_or_b32 exec_lo, exec_lo, s66
	s_and_saveexec_b32 s66, s8
	s_cbranch_execz .LBB743_157
.LBB743_270:
	global_load_ubyte v5, v[3:4], off offset:832
	s_waitcnt vmcnt(0)
	v_and_b32_e32 v5, 1, v5
	v_cmp_eq_u32_e64 s4, 1, v5
	s_xor_b32 s0, s4, -1
	s_mov_b32 s4, s5
	s_and_saveexec_b32 s74, s0
; %bb.271:
	v_cmp_gt_f32_e64 s4, v0, v45
	s_and_b32 s4, s5, s4
	v_cndmask_b32_e64 v0, v45, v0, s4
	s_or_b32 s4, s5, exec_lo
; %bb.272:
	s_or_b32 exec_lo, exec_lo, s74
	s_andn2_b32 s0, s5, exec_lo
	s_and_b32 s4, s4, exec_lo
	s_or_b32 s5, s0, s4
	s_or_b32 exec_lo, exec_lo, s66
	s_and_saveexec_b32 s66, s7
	s_cbranch_execz .LBB743_158
.LBB743_273:
	global_load_ubyte v5, v[3:4], off offset:864
	s_waitcnt vmcnt(0)
	v_and_b32_e32 v5, 1, v5
	v_cmp_eq_u32_e64 s4, 1, v5
	s_xor_b32 s0, s4, -1
	s_mov_b32 s4, s5
	s_and_saveexec_b32 s74, s0
; %bb.274:
	v_cmp_gt_f32_e64 s4, v0, v44
	s_and_b32 s4, s5, s4
	v_cndmask_b32_e64 v0, v44, v0, s4
	s_or_b32 s4, s5, exec_lo
; %bb.275:
	s_or_b32 exec_lo, exec_lo, s74
	s_andn2_b32 s0, s5, exec_lo
	s_and_b32 s4, s4, exec_lo
	s_or_b32 s5, s0, s4
	s_or_b32 exec_lo, exec_lo, s66
	s_and_saveexec_b32 s66, s6
	s_cbranch_execz .LBB743_159
.LBB743_276:
	global_load_ubyte v5, v[3:4], off offset:896
	s_waitcnt vmcnt(0)
	v_and_b32_e32 v5, 1, v5
	v_cmp_eq_u32_e64 s4, 1, v5
	s_xor_b32 s0, s4, -1
	s_mov_b32 s4, s5
	s_and_saveexec_b32 s74, s0
; %bb.277:
	v_cmp_gt_f32_e64 s4, v0, v43
	s_and_b32 s4, s5, s4
	v_cndmask_b32_e64 v0, v43, v0, s4
	s_or_b32 s4, s5, exec_lo
; %bb.278:
	s_or_b32 exec_lo, exec_lo, s74
	s_andn2_b32 s0, s5, exec_lo
	s_and_b32 s4, s4, exec_lo
	s_or_b32 s5, s0, s4
	s_or_b32 exec_lo, exec_lo, s66
	s_and_saveexec_b32 s66, s3
	s_cbranch_execz .LBB743_160
.LBB743_279:
	global_load_ubyte v5, v[3:4], off offset:928
	s_waitcnt vmcnt(0)
	v_and_b32_e32 v5, 1, v5
	v_cmp_eq_u32_e64 s4, 1, v5
	s_xor_b32 s0, s4, -1
	s_mov_b32 s4, s5
	s_and_saveexec_b32 s74, s0
; %bb.280:
	v_cmp_gt_f32_e64 s4, v0, v42
	s_and_b32 s4, s5, s4
	v_cndmask_b32_e64 v0, v42, v0, s4
	s_or_b32 s4, s5, exec_lo
; %bb.281:
	s_or_b32 exec_lo, exec_lo, s74
	s_andn2_b32 s0, s5, exec_lo
	s_and_b32 s4, s4, exec_lo
	s_or_b32 s5, s0, s4
	s_or_b32 exec_lo, exec_lo, s66
	s_and_saveexec_b32 s66, s2
	s_cbranch_execz .LBB743_161
.LBB743_282:
	global_load_ubyte v5, v[3:4], off offset:960
	s_waitcnt vmcnt(0)
	v_and_b32_e32 v5, 1, v5
	v_cmp_eq_u32_e64 s4, 1, v5
	s_xor_b32 s0, s4, -1
	s_mov_b32 s4, s5
	s_and_saveexec_b32 s74, s0
; %bb.283:
	v_cmp_gt_f32_e64 s4, v0, v41
	s_and_b32 s4, s5, s4
	v_cndmask_b32_e64 v0, v41, v0, s4
	s_or_b32 s4, s5, exec_lo
; %bb.284:
	s_or_b32 exec_lo, exec_lo, s74
	s_andn2_b32 s0, s5, exec_lo
	s_and_b32 s4, s4, exec_lo
	s_or_b32 s5, s0, s4
	s_or_b32 exec_lo, exec_lo, s66
	s_and_saveexec_b32 s66, s1
	s_cbranch_execz .LBB743_162
.LBB743_285:
	global_load_ubyte v5, v[3:4], off offset:992
	s_waitcnt vmcnt(0)
	v_and_b32_e32 v5, 1, v5
	v_cmp_eq_u32_e64 s4, 1, v5
	s_xor_b32 s0, s4, -1
	s_mov_b32 s4, s5
	s_and_saveexec_b32 s74, s0
; %bb.286:
	v_cmp_gt_f32_e64 s4, v0, v40
	s_and_b32 s4, s5, s4
	v_cndmask_b32_e64 v0, v40, v0, s4
	s_or_b32 s4, s5, exec_lo
; %bb.287:
	s_or_b32 exec_lo, exec_lo, s74
	s_andn2_b32 s0, s5, exec_lo
	s_and_b32 s4, s4, exec_lo
	s_or_b32 s5, s0, s4
	s_or_b32 exec_lo, exec_lo, s66
	s_and_saveexec_b32 s66, vcc_hi
	s_cbranch_execz .LBB743_163
.LBB743_288:
	global_load_ubyte v5, v[3:4], off offset:1024
	s_waitcnt vmcnt(0)
	v_and_b32_e32 v5, 1, v5
	v_cmp_eq_u32_e64 s4, 1, v5
	s_xor_b32 s0, s4, -1
	s_mov_b32 s4, s5
	s_and_saveexec_b32 s74, s0
; %bb.289:
	v_cmp_gt_f32_e64 s4, v0, v39
	s_and_b32 s4, s5, s4
	v_cndmask_b32_e64 v0, v39, v0, s4
	s_or_b32 s4, s5, exec_lo
; %bb.290:
	s_or_b32 exec_lo, exec_lo, s74
	s_andn2_b32 s0, s5, exec_lo
	s_and_b32 s4, s4, exec_lo
	s_or_b32 s5, s0, s4
	s_or_b32 exec_lo, exec_lo, s66
	s_and_saveexec_b32 s66, s104
	s_cbranch_execz .LBB743_164
.LBB743_291:
	global_load_ubyte v5, v[3:4], off offset:1056
	s_waitcnt vmcnt(0)
	v_and_b32_e32 v5, 1, v5
	v_cmp_eq_u32_e64 s4, 1, v5
	s_xor_b32 s0, s4, -1
	s_mov_b32 s4, s5
	s_and_saveexec_b32 s74, s0
; %bb.292:
	v_cmp_gt_f32_e64 s4, v0, v38
	s_and_b32 s4, s5, s4
	v_cndmask_b32_e64 v0, v38, v0, s4
	s_or_b32 s4, s5, exec_lo
; %bb.293:
	s_or_b32 exec_lo, exec_lo, s74
	s_andn2_b32 s0, s5, exec_lo
	s_and_b32 s4, s4, exec_lo
	s_or_b32 s5, s0, s4
	s_or_b32 exec_lo, exec_lo, s66
	s_and_saveexec_b32 s66, s99
	s_cbranch_execz .LBB743_165
.LBB743_294:
	global_load_ubyte v5, v[3:4], off offset:1088
	s_waitcnt vmcnt(0)
	v_and_b32_e32 v5, 1, v5
	v_cmp_eq_u32_e64 s4, 1, v5
	s_xor_b32 s0, s4, -1
	s_mov_b32 s4, s5
	s_and_saveexec_b32 s74, s0
; %bb.295:
	v_cmp_gt_f32_e64 s4, v0, v37
	s_and_b32 s4, s5, s4
	v_cndmask_b32_e64 v0, v37, v0, s4
	s_or_b32 s4, s5, exec_lo
; %bb.296:
	s_or_b32 exec_lo, exec_lo, s74
	s_andn2_b32 s0, s5, exec_lo
	s_and_b32 s4, s4, exec_lo
	s_or_b32 s5, s0, s4
	s_or_b32 exec_lo, exec_lo, s66
	s_and_saveexec_b32 s66, s98
	s_cbranch_execz .LBB743_166
.LBB743_297:
	global_load_ubyte v5, v[3:4], off offset:1120
	s_waitcnt vmcnt(0)
	v_and_b32_e32 v5, 1, v5
	v_cmp_eq_u32_e64 s4, 1, v5
	s_xor_b32 s0, s4, -1
	s_mov_b32 s4, s5
	s_and_saveexec_b32 s74, s0
; %bb.298:
	v_cmp_gt_f32_e64 s4, v0, v36
	s_and_b32 s4, s5, s4
	v_cndmask_b32_e64 v0, v36, v0, s4
	s_or_b32 s4, s5, exec_lo
; %bb.299:
	s_or_b32 exec_lo, exec_lo, s74
	s_andn2_b32 s0, s5, exec_lo
	s_and_b32 s4, s4, exec_lo
	s_or_b32 s5, s0, s4
	s_or_b32 exec_lo, exec_lo, s66
	s_and_saveexec_b32 s66, s97
	s_cbranch_execz .LBB743_167
.LBB743_300:
	global_load_ubyte v5, v[3:4], off offset:1152
	s_waitcnt vmcnt(0)
	v_and_b32_e32 v5, 1, v5
	v_cmp_eq_u32_e64 s4, 1, v5
	s_xor_b32 s0, s4, -1
	s_mov_b32 s4, s5
	s_and_saveexec_b32 s74, s0
; %bb.301:
	v_cmp_gt_f32_e64 s4, v0, v35
	s_and_b32 s4, s5, s4
	v_cndmask_b32_e64 v0, v35, v0, s4
	s_or_b32 s4, s5, exec_lo
; %bb.302:
	s_or_b32 exec_lo, exec_lo, s74
	s_andn2_b32 s0, s5, exec_lo
	s_and_b32 s4, s4, exec_lo
	s_or_b32 s5, s0, s4
	s_or_b32 exec_lo, exec_lo, s66
	s_and_saveexec_b32 s66, s96
	s_cbranch_execz .LBB743_168
.LBB743_303:
	global_load_ubyte v5, v[3:4], off offset:1184
	s_waitcnt vmcnt(0)
	v_and_b32_e32 v5, 1, v5
	v_cmp_eq_u32_e64 s4, 1, v5
	s_xor_b32 s0, s4, -1
	s_mov_b32 s4, s5
	s_and_saveexec_b32 s74, s0
; %bb.304:
	v_cmp_gt_f32_e64 s4, v0, v34
	s_and_b32 s4, s5, s4
	v_cndmask_b32_e64 v0, v34, v0, s4
	s_or_b32 s4, s5, exec_lo
; %bb.305:
	s_or_b32 exec_lo, exec_lo, s74
	s_andn2_b32 s0, s5, exec_lo
	s_and_b32 s4, s4, exec_lo
	s_or_b32 s5, s0, s4
	s_or_b32 exec_lo, exec_lo, s66
	s_and_saveexec_b32 s66, s95
	s_cbranch_execz .LBB743_169
.LBB743_306:
	global_load_ubyte v5, v[3:4], off offset:1216
	s_waitcnt vmcnt(0)
	v_and_b32_e32 v5, 1, v5
	v_cmp_eq_u32_e64 s4, 1, v5
	s_xor_b32 s0, s4, -1
	s_mov_b32 s4, s5
	s_and_saveexec_b32 s74, s0
; %bb.307:
	v_cmp_gt_f32_e64 s4, v0, v33
	s_and_b32 s4, s5, s4
	v_cndmask_b32_e64 v0, v33, v0, s4
	s_or_b32 s4, s5, exec_lo
; %bb.308:
	s_or_b32 exec_lo, exec_lo, s74
	s_andn2_b32 s0, s5, exec_lo
	s_and_b32 s4, s4, exec_lo
	s_or_b32 s5, s0, s4
	s_or_b32 exec_lo, exec_lo, s66
	s_and_saveexec_b32 s66, s94
	s_cbranch_execz .LBB743_170
.LBB743_309:
	global_load_ubyte v5, v[3:4], off offset:1248
	s_waitcnt vmcnt(0)
	v_and_b32_e32 v5, 1, v5
	v_cmp_eq_u32_e64 s4, 1, v5
	s_xor_b32 s0, s4, -1
	s_mov_b32 s4, s5
	s_and_saveexec_b32 s74, s0
; %bb.310:
	v_cmp_gt_f32_e64 s4, v0, v32
	s_and_b32 s4, s5, s4
	v_cndmask_b32_e64 v0, v32, v0, s4
	s_or_b32 s4, s5, exec_lo
; %bb.311:
	s_or_b32 exec_lo, exec_lo, s74
	s_andn2_b32 s0, s5, exec_lo
	s_and_b32 s4, s4, exec_lo
	s_or_b32 s5, s0, s4
	s_or_b32 exec_lo, exec_lo, s66
	s_and_saveexec_b32 s66, s93
	s_cbranch_execz .LBB743_171
.LBB743_312:
	global_load_ubyte v5, v[3:4], off offset:1280
	s_waitcnt vmcnt(0)
	v_and_b32_e32 v5, 1, v5
	v_cmp_eq_u32_e64 s4, 1, v5
	s_xor_b32 s0, s4, -1
	s_mov_b32 s4, s5
	s_and_saveexec_b32 s74, s0
; %bb.313:
	v_cmp_gt_f32_e64 s4, v0, v31
	s_and_b32 s4, s5, s4
	v_cndmask_b32_e64 v0, v31, v0, s4
	s_or_b32 s4, s5, exec_lo
; %bb.314:
	s_or_b32 exec_lo, exec_lo, s74
	s_andn2_b32 s0, s5, exec_lo
	s_and_b32 s4, s4, exec_lo
	s_or_b32 s5, s0, s4
	s_or_b32 exec_lo, exec_lo, s66
	s_and_saveexec_b32 s66, s92
	s_cbranch_execz .LBB743_172
.LBB743_315:
	global_load_ubyte v5, v[3:4], off offset:1312
	s_waitcnt vmcnt(0)
	v_and_b32_e32 v5, 1, v5
	v_cmp_eq_u32_e64 s4, 1, v5
	s_xor_b32 s0, s4, -1
	s_mov_b32 s4, s5
	s_and_saveexec_b32 s74, s0
; %bb.316:
	v_cmp_gt_f32_e64 s4, v0, v30
	s_and_b32 s4, s5, s4
	v_cndmask_b32_e64 v0, v30, v0, s4
	s_or_b32 s4, s5, exec_lo
; %bb.317:
	s_or_b32 exec_lo, exec_lo, s74
	s_andn2_b32 s0, s5, exec_lo
	s_and_b32 s4, s4, exec_lo
	s_or_b32 s5, s0, s4
	s_or_b32 exec_lo, exec_lo, s66
	s_and_saveexec_b32 s66, s91
	s_cbranch_execz .LBB743_173
.LBB743_318:
	global_load_ubyte v5, v[3:4], off offset:1344
	s_waitcnt vmcnt(0)
	v_and_b32_e32 v5, 1, v5
	v_cmp_eq_u32_e64 s4, 1, v5
	s_xor_b32 s0, s4, -1
	s_mov_b32 s4, s5
	s_and_saveexec_b32 s74, s0
; %bb.319:
	v_cmp_gt_f32_e64 s4, v0, v29
	s_and_b32 s4, s5, s4
	v_cndmask_b32_e64 v0, v29, v0, s4
	s_or_b32 s4, s5, exec_lo
; %bb.320:
	s_or_b32 exec_lo, exec_lo, s74
	s_andn2_b32 s0, s5, exec_lo
	s_and_b32 s4, s4, exec_lo
	s_or_b32 s5, s0, s4
	s_or_b32 exec_lo, exec_lo, s66
	s_and_saveexec_b32 s66, s90
	s_cbranch_execz .LBB743_174
.LBB743_321:
	global_load_ubyte v5, v[3:4], off offset:1376
	s_waitcnt vmcnt(0)
	v_and_b32_e32 v5, 1, v5
	v_cmp_eq_u32_e64 s4, 1, v5
	s_xor_b32 s0, s4, -1
	s_mov_b32 s4, s5
	s_and_saveexec_b32 s74, s0
; %bb.322:
	v_cmp_gt_f32_e64 s4, v0, v28
	s_and_b32 s4, s5, s4
	v_cndmask_b32_e64 v0, v28, v0, s4
	s_or_b32 s4, s5, exec_lo
; %bb.323:
	s_or_b32 exec_lo, exec_lo, s74
	s_andn2_b32 s0, s5, exec_lo
	s_and_b32 s4, s4, exec_lo
	s_or_b32 s5, s0, s4
	s_or_b32 exec_lo, exec_lo, s66
	s_and_saveexec_b32 s66, s89
	s_cbranch_execz .LBB743_175
.LBB743_324:
	global_load_ubyte v5, v[3:4], off offset:1408
	s_waitcnt vmcnt(0)
	v_and_b32_e32 v5, 1, v5
	v_cmp_eq_u32_e64 s4, 1, v5
	s_xor_b32 s0, s4, -1
	s_mov_b32 s4, s5
	s_and_saveexec_b32 s74, s0
; %bb.325:
	v_cmp_gt_f32_e64 s4, v0, v27
	s_and_b32 s4, s5, s4
	v_cndmask_b32_e64 v0, v27, v0, s4
	s_or_b32 s4, s5, exec_lo
; %bb.326:
	s_or_b32 exec_lo, exec_lo, s74
	s_andn2_b32 s0, s5, exec_lo
	s_and_b32 s4, s4, exec_lo
	s_or_b32 s5, s0, s4
	s_or_b32 exec_lo, exec_lo, s66
	s_and_saveexec_b32 s66, s88
	s_cbranch_execz .LBB743_176
.LBB743_327:
	global_load_ubyte v5, v[3:4], off offset:1440
	s_waitcnt vmcnt(0)
	v_and_b32_e32 v5, 1, v5
	v_cmp_eq_u32_e64 s4, 1, v5
	s_xor_b32 s0, s4, -1
	s_mov_b32 s4, s5
	s_and_saveexec_b32 s74, s0
; %bb.328:
	v_cmp_gt_f32_e64 s4, v0, v26
	s_and_b32 s4, s5, s4
	v_cndmask_b32_e64 v0, v26, v0, s4
	s_or_b32 s4, s5, exec_lo
; %bb.329:
	s_or_b32 exec_lo, exec_lo, s74
	s_andn2_b32 s0, s5, exec_lo
	s_and_b32 s4, s4, exec_lo
	s_or_b32 s5, s0, s4
	s_or_b32 exec_lo, exec_lo, s66
	s_and_saveexec_b32 s66, s87
	s_cbranch_execz .LBB743_177
.LBB743_330:
	global_load_ubyte v5, v[3:4], off offset:1472
	s_waitcnt vmcnt(0)
	v_and_b32_e32 v5, 1, v5
	v_cmp_eq_u32_e64 s4, 1, v5
	s_xor_b32 s0, s4, -1
	s_mov_b32 s4, s5
	s_and_saveexec_b32 s74, s0
; %bb.331:
	v_cmp_gt_f32_e64 s4, v0, v25
	s_and_b32 s4, s5, s4
	v_cndmask_b32_e64 v0, v25, v0, s4
	s_or_b32 s4, s5, exec_lo
; %bb.332:
	s_or_b32 exec_lo, exec_lo, s74
	s_andn2_b32 s0, s5, exec_lo
	s_and_b32 s4, s4, exec_lo
	s_or_b32 s5, s0, s4
	s_or_b32 exec_lo, exec_lo, s66
	s_and_saveexec_b32 s66, s86
	s_cbranch_execz .LBB743_178
.LBB743_333:
	global_load_ubyte v5, v[3:4], off offset:1504
	s_waitcnt vmcnt(0)
	v_and_b32_e32 v5, 1, v5
	v_cmp_eq_u32_e64 s4, 1, v5
	s_xor_b32 s0, s4, -1
	s_mov_b32 s4, s5
	s_and_saveexec_b32 s74, s0
; %bb.334:
	v_cmp_gt_f32_e64 s4, v0, v24
	s_and_b32 s4, s5, s4
	v_cndmask_b32_e64 v0, v24, v0, s4
	s_or_b32 s4, s5, exec_lo
; %bb.335:
	s_or_b32 exec_lo, exec_lo, s74
	s_andn2_b32 s0, s5, exec_lo
	s_and_b32 s4, s4, exec_lo
	s_or_b32 s5, s0, s4
	s_or_b32 exec_lo, exec_lo, s66
	s_and_saveexec_b32 s66, s85
	s_cbranch_execz .LBB743_179
.LBB743_336:
	global_load_ubyte v5, v[3:4], off offset:1536
	s_waitcnt vmcnt(0)
	v_and_b32_e32 v5, 1, v5
	v_cmp_eq_u32_e64 s4, 1, v5
	s_xor_b32 s0, s4, -1
	s_mov_b32 s4, s5
	s_and_saveexec_b32 s74, s0
; %bb.337:
	v_cmp_gt_f32_e64 s4, v0, v23
	s_and_b32 s4, s5, s4
	v_cndmask_b32_e64 v0, v23, v0, s4
	s_or_b32 s4, s5, exec_lo
; %bb.338:
	s_or_b32 exec_lo, exec_lo, s74
	s_andn2_b32 s0, s5, exec_lo
	s_and_b32 s4, s4, exec_lo
	s_or_b32 s5, s0, s4
	s_or_b32 exec_lo, exec_lo, s66
	s_and_saveexec_b32 s66, s84
	s_cbranch_execz .LBB743_180
.LBB743_339:
	global_load_ubyte v5, v[3:4], off offset:1568
	s_waitcnt vmcnt(0)
	v_and_b32_e32 v5, 1, v5
	v_cmp_eq_u32_e64 s4, 1, v5
	s_xor_b32 s0, s4, -1
	s_mov_b32 s4, s5
	s_and_saveexec_b32 s74, s0
; %bb.340:
	v_cmp_gt_f32_e64 s4, v0, v22
	s_and_b32 s4, s5, s4
	v_cndmask_b32_e64 v0, v22, v0, s4
	s_or_b32 s4, s5, exec_lo
; %bb.341:
	s_or_b32 exec_lo, exec_lo, s74
	s_andn2_b32 s0, s5, exec_lo
	s_and_b32 s4, s4, exec_lo
	s_or_b32 s5, s0, s4
	s_or_b32 exec_lo, exec_lo, s66
	s_and_saveexec_b32 s66, s83
	s_cbranch_execz .LBB743_181
.LBB743_342:
	global_load_ubyte v5, v[3:4], off offset:1600
	s_waitcnt vmcnt(0)
	v_and_b32_e32 v5, 1, v5
	v_cmp_eq_u32_e64 s4, 1, v5
	s_xor_b32 s0, s4, -1
	s_mov_b32 s4, s5
	s_and_saveexec_b32 s74, s0
; %bb.343:
	v_cmp_gt_f32_e64 s4, v0, v21
	s_and_b32 s4, s5, s4
	v_cndmask_b32_e64 v0, v21, v0, s4
	s_or_b32 s4, s5, exec_lo
; %bb.344:
	s_or_b32 exec_lo, exec_lo, s74
	s_andn2_b32 s0, s5, exec_lo
	s_and_b32 s4, s4, exec_lo
	s_or_b32 s5, s0, s4
	s_or_b32 exec_lo, exec_lo, s66
	s_and_saveexec_b32 s66, s82
	s_cbranch_execz .LBB743_182
.LBB743_345:
	global_load_ubyte v5, v[3:4], off offset:1632
	s_waitcnt vmcnt(0)
	v_and_b32_e32 v5, 1, v5
	v_cmp_eq_u32_e64 s4, 1, v5
	s_xor_b32 s0, s4, -1
	s_mov_b32 s4, s5
	s_and_saveexec_b32 s74, s0
; %bb.346:
	v_cmp_gt_f32_e64 s4, v0, v20
	s_and_b32 s4, s5, s4
	v_cndmask_b32_e64 v0, v20, v0, s4
	s_or_b32 s4, s5, exec_lo
; %bb.347:
	s_or_b32 exec_lo, exec_lo, s74
	s_andn2_b32 s0, s5, exec_lo
	s_and_b32 s4, s4, exec_lo
	s_or_b32 s5, s0, s4
	s_or_b32 exec_lo, exec_lo, s66
	s_and_saveexec_b32 s66, s81
	s_cbranch_execz .LBB743_183
.LBB743_348:
	global_load_ubyte v5, v[3:4], off offset:1664
	s_waitcnt vmcnt(0)
	v_and_b32_e32 v5, 1, v5
	v_cmp_eq_u32_e64 s4, 1, v5
	s_xor_b32 s0, s4, -1
	s_mov_b32 s4, s5
	s_and_saveexec_b32 s74, s0
; %bb.349:
	v_cmp_gt_f32_e64 s4, v0, v19
	s_and_b32 s4, s5, s4
	v_cndmask_b32_e64 v0, v19, v0, s4
	s_or_b32 s4, s5, exec_lo
; %bb.350:
	s_or_b32 exec_lo, exec_lo, s74
	s_andn2_b32 s0, s5, exec_lo
	s_and_b32 s4, s4, exec_lo
	s_or_b32 s5, s0, s4
	s_or_b32 exec_lo, exec_lo, s66
	s_and_saveexec_b32 s66, s80
	s_cbranch_execz .LBB743_184
.LBB743_351:
	global_load_ubyte v5, v[3:4], off offset:1696
	s_waitcnt vmcnt(0)
	v_and_b32_e32 v5, 1, v5
	v_cmp_eq_u32_e64 s4, 1, v5
	s_xor_b32 s0, s4, -1
	s_mov_b32 s4, s5
	s_and_saveexec_b32 s74, s0
; %bb.352:
	v_cmp_gt_f32_e64 s4, v0, v18
	s_and_b32 s4, s5, s4
	v_cndmask_b32_e64 v0, v18, v0, s4
	s_or_b32 s4, s5, exec_lo
; %bb.353:
	s_or_b32 exec_lo, exec_lo, s74
	s_andn2_b32 s0, s5, exec_lo
	s_and_b32 s4, s4, exec_lo
	s_or_b32 s5, s0, s4
	s_or_b32 exec_lo, exec_lo, s66
	s_and_saveexec_b32 s66, s79
	s_cbranch_execz .LBB743_185
.LBB743_354:
	global_load_ubyte v5, v[3:4], off offset:1728
	s_waitcnt vmcnt(0)
	v_and_b32_e32 v5, 1, v5
	v_cmp_eq_u32_e64 s4, 1, v5
	s_xor_b32 s0, s4, -1
	s_mov_b32 s4, s5
	s_and_saveexec_b32 s74, s0
; %bb.355:
	v_cmp_gt_f32_e64 s4, v0, v17
	s_and_b32 s4, s5, s4
	v_cndmask_b32_e64 v0, v17, v0, s4
	s_or_b32 s4, s5, exec_lo
; %bb.356:
	s_or_b32 exec_lo, exec_lo, s74
	s_andn2_b32 s0, s5, exec_lo
	s_and_b32 s4, s4, exec_lo
	s_or_b32 s5, s0, s4
	s_or_b32 exec_lo, exec_lo, s66
	s_and_saveexec_b32 s66, s78
	s_cbranch_execz .LBB743_186
.LBB743_357:
	global_load_ubyte v5, v[3:4], off offset:1760
	s_waitcnt vmcnt(0)
	v_and_b32_e32 v5, 1, v5
	v_cmp_eq_u32_e64 s4, 1, v5
	s_xor_b32 s0, s4, -1
	s_mov_b32 s4, s5
	s_and_saveexec_b32 s74, s0
; %bb.358:
	v_cmp_gt_f32_e64 s4, v0, v16
	s_and_b32 s4, s5, s4
	v_cndmask_b32_e64 v0, v16, v0, s4
	s_or_b32 s4, s5, exec_lo
; %bb.359:
	s_or_b32 exec_lo, exec_lo, s74
	s_andn2_b32 s0, s5, exec_lo
	s_and_b32 s4, s4, exec_lo
	s_or_b32 s5, s0, s4
	s_or_b32 exec_lo, exec_lo, s66
	s_and_saveexec_b32 s66, s77
	s_cbranch_execz .LBB743_187
.LBB743_360:
	global_load_ubyte v5, v[3:4], off offset:1792
	s_waitcnt vmcnt(0)
	v_and_b32_e32 v5, 1, v5
	v_cmp_eq_u32_e64 s4, 1, v5
	s_xor_b32 s0, s4, -1
	s_mov_b32 s4, s5
	s_and_saveexec_b32 s74, s0
; %bb.361:
	v_cmp_gt_f32_e64 s4, v0, v15
	s_and_b32 s4, s5, s4
	v_cndmask_b32_e64 v0, v15, v0, s4
	s_or_b32 s4, s5, exec_lo
; %bb.362:
	s_or_b32 exec_lo, exec_lo, s74
	s_andn2_b32 s0, s5, exec_lo
	s_and_b32 s4, s4, exec_lo
	s_or_b32 s5, s0, s4
	s_or_b32 exec_lo, exec_lo, s66
	s_and_saveexec_b32 s66, s76
	s_cbranch_execz .LBB743_188
.LBB743_363:
	global_load_ubyte v5, v[3:4], off offset:1824
	s_waitcnt vmcnt(0)
	v_and_b32_e32 v5, 1, v5
	v_cmp_eq_u32_e64 s4, 1, v5
	s_xor_b32 s0, s4, -1
	s_mov_b32 s4, s5
	s_and_saveexec_b32 s74, s0
; %bb.364:
	v_cmp_gt_f32_e64 s4, v0, v14
	s_and_b32 s4, s5, s4
	v_cndmask_b32_e64 v0, v14, v0, s4
	s_or_b32 s4, s5, exec_lo
; %bb.365:
	s_or_b32 exec_lo, exec_lo, s74
	s_andn2_b32 s0, s5, exec_lo
	s_and_b32 s4, s4, exec_lo
	s_or_b32 s5, s0, s4
	s_or_b32 exec_lo, exec_lo, s66
	s_and_saveexec_b32 s66, s75
	s_cbranch_execz .LBB743_189
.LBB743_366:
	global_load_ubyte v5, v[3:4], off offset:1856
	s_waitcnt vmcnt(0)
	v_and_b32_e32 v5, 1, v5
	v_cmp_eq_u32_e64 s4, 1, v5
	s_xor_b32 s0, s4, -1
	s_mov_b32 s4, s5
	s_and_saveexec_b32 s74, s0
; %bb.367:
	v_cmp_gt_f32_e64 s4, v0, v13
	s_and_b32 s4, s5, s4
	v_cndmask_b32_e64 v0, v13, v0, s4
	s_or_b32 s4, s5, exec_lo
; %bb.368:
	s_or_b32 exec_lo, exec_lo, s74
	s_andn2_b32 s0, s5, exec_lo
	s_and_b32 s4, s4, exec_lo
	s_or_b32 s5, s0, s4
	s_or_b32 exec_lo, exec_lo, s66
	s_and_saveexec_b32 s66, s73
	s_cbranch_execz .LBB743_190
.LBB743_369:
	global_load_ubyte v5, v[3:4], off offset:1888
	s_waitcnt vmcnt(0)
	v_and_b32_e32 v5, 1, v5
	v_cmp_eq_u32_e64 s4, 1, v5
	s_xor_b32 s0, s4, -1
	s_mov_b32 s4, s5
	s_and_saveexec_b32 s74, s0
; %bb.370:
	v_cmp_gt_f32_e64 s4, v0, v12
	s_and_b32 s4, s5, s4
	v_cndmask_b32_e64 v0, v12, v0, s4
	s_or_b32 s4, s5, exec_lo
; %bb.371:
	s_or_b32 exec_lo, exec_lo, s74
	s_andn2_b32 s0, s5, exec_lo
	s_and_b32 s4, s4, exec_lo
	s_or_b32 s5, s0, s4
	s_or_b32 exec_lo, exec_lo, s66
	s_and_saveexec_b32 s66, s72
	s_cbranch_execz .LBB743_191
.LBB743_372:
	global_load_ubyte v5, v[3:4], off offset:1920
	s_waitcnt vmcnt(0)
	v_and_b32_e32 v5, 1, v5
	v_cmp_eq_u32_e64 s4, 1, v5
	s_xor_b32 s0, s4, -1
	s_mov_b32 s4, s5
	s_and_saveexec_b32 s74, s0
; %bb.373:
	v_cmp_gt_f32_e64 s4, v0, v11
	s_and_b32 s4, s5, s4
	v_cndmask_b32_e64 v0, v11, v0, s4
	s_or_b32 s4, s5, exec_lo
; %bb.374:
	s_or_b32 exec_lo, exec_lo, s74
	s_andn2_b32 s0, s5, exec_lo
	s_and_b32 s4, s4, exec_lo
	s_or_b32 s5, s0, s4
	s_or_b32 exec_lo, exec_lo, s66
	s_and_saveexec_b32 s66, s71
	s_cbranch_execz .LBB743_192
.LBB743_375:
	global_load_ubyte v5, v[3:4], off offset:1952
	s_waitcnt vmcnt(0)
	v_and_b32_e32 v5, 1, v5
	v_cmp_eq_u32_e64 s4, 1, v5
	s_xor_b32 s0, s4, -1
	s_mov_b32 s4, s5
	s_and_saveexec_b32 s74, s0
; %bb.376:
	v_cmp_gt_f32_e64 s4, v0, v10
	s_and_b32 s4, s5, s4
	v_cndmask_b32_e64 v0, v10, v0, s4
	s_or_b32 s4, s5, exec_lo
; %bb.377:
	s_or_b32 exec_lo, exec_lo, s74
	s_andn2_b32 s0, s5, exec_lo
	s_and_b32 s4, s4, exec_lo
	s_or_b32 s5, s0, s4
	s_or_b32 exec_lo, exec_lo, s66
	s_and_saveexec_b32 s66, s70
	s_cbranch_execz .LBB743_193
.LBB743_378:
	global_load_ubyte v5, v[3:4], off offset:1984
	s_waitcnt vmcnt(0)
	v_and_b32_e32 v5, 1, v5
	v_cmp_eq_u32_e64 s4, 1, v5
	s_xor_b32 s0, s4, -1
	s_mov_b32 s4, s5
	s_and_saveexec_b32 s74, s0
; %bb.379:
	v_cmp_gt_f32_e64 s4, v0, v9
	s_and_b32 s4, s5, s4
	v_cndmask_b32_e64 v0, v9, v0, s4
	s_or_b32 s4, s5, exec_lo
; %bb.380:
	s_or_b32 exec_lo, exec_lo, s74
	s_andn2_b32 s0, s5, exec_lo
	s_and_b32 s4, s4, exec_lo
	s_or_b32 s5, s0, s4
	s_or_b32 exec_lo, exec_lo, s66
	s_and_saveexec_b32 s66, s67
	s_cbranch_execz .LBB743_384
.LBB743_381:
	global_load_ubyte v5, v[3:4], off offset:2016
	s_waitcnt vmcnt(0)
	v_and_b32_e32 v5, 1, v5
	v_cmp_eq_u32_e64 s4, 1, v5
	s_xor_b32 s0, s4, -1
	s_mov_b32 s4, s5
	s_and_saveexec_b32 s74, s0
; %bb.382:
	v_cmp_gt_f32_e64 s4, v0, v8
	s_and_b32 s4, s5, s4
	v_cndmask_b32_e64 v0, v8, v0, s4
	s_or_b32 s4, s5, exec_lo
; %bb.383:
	s_or_b32 exec_lo, exec_lo, s74
	s_andn2_b32 s0, s5, exec_lo
	s_and_b32 s4, s4, exec_lo
	s_or_b32 s5, s0, s4
.LBB743_384:
	s_or_b32 exec_lo, exec_lo, s66
	v_mbcnt_lo_u32_b32 v5, -1, 0
	v_cndmask_b32_e64 v72, 0xff800000, v0, s5
	v_xor_b32_e32 v6, 16, v5
	v_cmp_gt_i32_e64 s4, 32, v6
	v_cndmask_b32_e64 v6, v5, v6, s4
	v_lshlrev_b32_e32 v0, 2, v6
	v_xor_b32_e32 v6, 8, v5
	ds_bpermute_b32 v73, v0, v72
	v_cmp_gt_i32_e64 s4, 32, v6
	v_cndmask_b32_e64 v6, v5, v6, s4
	v_lshlrev_b32_e32 v6, 2, v6
	s_waitcnt lgkmcnt(0)
	v_cmp_lt_f32_e64 s4, v72, v73
	v_cndmask_b32_e64 v73, v72, v73, s4
	v_xor_b32_e32 v72, 4, v5
	ds_bpermute_b32 v74, v6, v73
	v_cmp_gt_i32_e64 s4, 32, v72
	v_cndmask_b32_e64 v72, v5, v72, s4
	v_lshlrev_b32_e32 v72, 2, v72
	s_waitcnt lgkmcnt(0)
	v_cmp_lt_f32_e64 s4, v73, v74
	v_cndmask_b32_e64 v74, v73, v74, s4
	;; [unrolled: 8-line block ×3, first 2 shown]
	v_xor_b32_e32 v75, 1, v5
	ds_bpermute_b32 v76, v73, v74
	v_cmp_gt_i32_e64 s4, 32, v75
	v_cndmask_b32_e64 v5, v5, v75, s4
	v_lshlrev_b32_e32 v75, 2, v5
	v_mov_b32_e32 v5, 0
	s_waitcnt lgkmcnt(0)
	v_cmp_lt_f32_e64 s4, v74, v76
	v_cndmask_b32_e64 v74, v74, v76, s4
	ds_bpermute_b32 v76, v75, v74
	s_waitcnt lgkmcnt(0)
	v_cmp_lt_f32_e64 s4, v74, v76
	v_cndmask_b32_e64 v76, v74, v76, s4
	v_mov_b32_e32 v74, 0
	s_and_saveexec_b32 s5, s35
	s_cbranch_execz .LBB743_388
; %bb.385:
	global_load_ubyte v74, v[3:4], off
	s_waitcnt vmcnt(0)
	v_and_b32_e32 v74, 1, v74
	v_cmp_eq_u32_e64 s4, 1, v74
	v_mov_b32_e32 v74, 0
	s_xor_b32 s0, s4, -1
	s_and_saveexec_b32 s35, s0
	s_cbranch_execz .LBB743_387
; %bb.386:
	v_sub_f32_e32 v71, v71, v76
	v_mul_f32_e32 v74, 0x3fb8aa3b, v71
	v_cmp_ngt_f32_e64 s4, 0xc2ce8ed0, v71
	v_fma_f32 v77, 0x3fb8aa3b, v71, -v74
	v_rndne_f32_e32 v78, v74
	v_fmamk_f32 v77, v71, 0x32a5705f, v77
	v_sub_f32_e32 v74, v74, v78
	v_add_f32_e32 v74, v74, v77
	v_cvt_i32_f32_e32 v77, v78
	v_exp_f32_e32 v74, v74
	v_ldexp_f32 v74, v74, v77
	v_cndmask_b32_e64 v74, 0, v74, s4
	v_cmp_nlt_f32_e64 s4, 0x42b17218, v71
	v_cndmask_b32_e64 v74, 0x7f800000, v74, s4
.LBB743_387:
	s_or_b32 exec_lo, exec_lo, s35
.LBB743_388:
	s_or_b32 exec_lo, exec_lo, s5
	v_mov_b32_e32 v77, v74
	s_and_saveexec_b32 s5, s34
	s_cbranch_execz .LBB743_392
; %bb.389:
	global_load_ubyte v5, v[3:4], off offset:32
	v_mov_b32_e32 v77, v74
	s_waitcnt vmcnt(0)
	v_and_b32_e32 v5, 1, v5
	v_cmp_eq_u32_e64 s4, 1, v5
	v_mov_b32_e32 v5, 0
	s_xor_b32 s0, s4, -1
	s_and_saveexec_b32 s34, s0
	s_cbranch_execz .LBB743_391
; %bb.390:
	v_sub_f32_e32 v5, v70, v76
	v_mul_f32_e32 v70, 0x3fb8aa3b, v5
	v_cmp_ngt_f32_e64 s4, 0xc2ce8ed0, v5
	v_fma_f32 v71, 0x3fb8aa3b, v5, -v70
	v_rndne_f32_e32 v77, v70
	v_fmamk_f32 v71, v5, 0x32a5705f, v71
	v_sub_f32_e32 v70, v70, v77
	v_add_f32_e32 v70, v70, v71
	v_cvt_i32_f32_e32 v71, v77
	v_exp_f32_e32 v70, v70
	v_ldexp_f32 v70, v70, v71
	v_cndmask_b32_e64 v70, 0, v70, s4
	v_cmp_nlt_f32_e64 s4, 0x42b17218, v5
	v_cndmask_b32_e64 v5, 0x7f800000, v70, s4
	v_add_f32_e32 v77, v74, v5
.LBB743_391:
	s_or_b32 exec_lo, exec_lo, s34
.LBB743_392:
	s_or_b32 exec_lo, exec_lo, s5
	v_mov_b32_e32 v70, 0
	v_mov_b32_e32 v71, 0
	s_and_saveexec_b32 s5, s33
	s_cbranch_execz .LBB743_396
; %bb.393:
	global_load_ubyte v71, v[3:4], off offset:64
	s_waitcnt vmcnt(0)
	v_and_b32_e32 v71, 1, v71
	v_cmp_eq_u32_e64 s4, 1, v71
	v_mov_b32_e32 v71, 0
	s_xor_b32 s0, s4, -1
	s_and_saveexec_b32 s33, s0
	s_cbranch_execz .LBB743_395
; %bb.394:
	v_sub_f32_e32 v69, v69, v76
	v_mul_f32_e32 v71, 0x3fb8aa3b, v69
	v_cmp_ngt_f32_e64 s4, 0xc2ce8ed0, v69
	v_fma_f32 v78, 0x3fb8aa3b, v69, -v71
	v_rndne_f32_e32 v79, v71
	v_fmamk_f32 v78, v69, 0x32a5705f, v78
	v_sub_f32_e32 v71, v71, v79
	v_add_f32_e32 v71, v71, v78
	v_cvt_i32_f32_e32 v78, v79
	v_exp_f32_e32 v71, v71
	v_ldexp_f32 v71, v71, v78
	v_cndmask_b32_e64 v71, 0, v71, s4
	v_cmp_nlt_f32_e64 s4, 0x42b17218, v69
	v_cndmask_b32_e64 v71, 0x7f800000, v71, s4
	v_add_f32_e32 v77, v77, v71
.LBB743_395:
	s_or_b32 exec_lo, exec_lo, s33
.LBB743_396:
	s_or_b32 exec_lo, exec_lo, s5
	s_and_saveexec_b32 s5, s31
	s_cbranch_execz .LBB743_400
; %bb.397:
	global_load_ubyte v69, v[3:4], off offset:96
	v_mov_b32_e32 v70, 0
	s_waitcnt vmcnt(0)
	v_and_b32_e32 v69, 1, v69
	v_cmp_eq_u32_e64 s4, 1, v69
	s_xor_b32 s0, s4, -1
	s_and_saveexec_b32 s31, s0
	s_cbranch_execz .LBB743_399
; %bb.398:
	v_sub_f32_e32 v68, v68, v76
	v_mul_f32_e32 v69, 0x3fb8aa3b, v68
	v_cmp_ngt_f32_e64 s4, 0xc2ce8ed0, v68
	v_fma_f32 v70, 0x3fb8aa3b, v68, -v69
	v_rndne_f32_e32 v78, v69
	v_fmamk_f32 v70, v68, 0x32a5705f, v70
	v_sub_f32_e32 v69, v69, v78
	v_add_f32_e32 v69, v69, v70
	v_cvt_i32_f32_e32 v70, v78
	v_exp_f32_e32 v69, v69
	v_ldexp_f32 v69, v69, v70
	v_cndmask_b32_e64 v69, 0, v69, s4
	v_cmp_nlt_f32_e64 s4, 0x42b17218, v68
	v_cndmask_b32_e64 v70, 0x7f800000, v69, s4
	v_add_f32_e32 v77, v77, v70
.LBB743_399:
	s_or_b32 exec_lo, exec_lo, s31
.LBB743_400:
	s_or_b32 exec_lo, exec_lo, s5
	v_mov_b32_e32 v68, 0
	v_mov_b32_e32 v69, 0
	s_and_saveexec_b32 s5, s30
	s_cbranch_execz .LBB743_404
; %bb.401:
	global_load_ubyte v69, v[3:4], off offset:128
	s_waitcnt vmcnt(0)
	v_and_b32_e32 v69, 1, v69
	v_cmp_eq_u32_e64 s4, 1, v69
	v_mov_b32_e32 v69, 0
	s_xor_b32 s0, s4, -1
	s_and_saveexec_b32 s30, s0
	s_cbranch_execz .LBB743_403
; %bb.402:
	v_sub_f32_e32 v67, v67, v76
	v_mul_f32_e32 v69, 0x3fb8aa3b, v67
	v_cmp_ngt_f32_e64 s4, 0xc2ce8ed0, v67
	v_fma_f32 v78, 0x3fb8aa3b, v67, -v69
	v_rndne_f32_e32 v79, v69
	v_fmamk_f32 v78, v67, 0x32a5705f, v78
	v_sub_f32_e32 v69, v69, v79
	v_add_f32_e32 v69, v69, v78
	v_cvt_i32_f32_e32 v78, v79
	v_exp_f32_e32 v69, v69
	v_ldexp_f32 v69, v69, v78
	v_cndmask_b32_e64 v69, 0, v69, s4
	v_cmp_nlt_f32_e64 s4, 0x42b17218, v67
	v_cndmask_b32_e64 v69, 0x7f800000, v69, s4
	v_add_f32_e32 v77, v77, v69
.LBB743_403:
	s_or_b32 exec_lo, exec_lo, s30
.LBB743_404:
	s_or_b32 exec_lo, exec_lo, s5
	s_and_saveexec_b32 s5, s29
	s_cbranch_execz .LBB743_408
; %bb.405:
	global_load_ubyte v67, v[3:4], off offset:160
	v_mov_b32_e32 v68, 0
	s_waitcnt vmcnt(0)
	v_and_b32_e32 v67, 1, v67
	v_cmp_eq_u32_e64 s4, 1, v67
	s_xor_b32 s0, s4, -1
	s_and_saveexec_b32 s29, s0
	s_cbranch_execz .LBB743_407
; %bb.406:
	v_sub_f32_e32 v66, v66, v76
	v_mul_f32_e32 v67, 0x3fb8aa3b, v66
	v_cmp_ngt_f32_e64 s4, 0xc2ce8ed0, v66
	v_fma_f32 v68, 0x3fb8aa3b, v66, -v67
	v_rndne_f32_e32 v78, v67
	v_fmamk_f32 v68, v66, 0x32a5705f, v68
	v_sub_f32_e32 v67, v67, v78
	v_add_f32_e32 v67, v67, v68
	v_cvt_i32_f32_e32 v68, v78
	v_exp_f32_e32 v67, v67
	v_ldexp_f32 v67, v67, v68
	v_cndmask_b32_e64 v67, 0, v67, s4
	v_cmp_nlt_f32_e64 s4, 0x42b17218, v66
	v_cndmask_b32_e64 v68, 0x7f800000, v67, s4
	v_add_f32_e32 v77, v77, v68
.LBB743_407:
	s_or_b32 exec_lo, exec_lo, s29
.LBB743_408:
	;; [unrolled: 64-line block ×15, first 2 shown]
	s_or_b32 exec_lo, exec_lo, s2
	v_mov_b32_e32 v40, 0
	v_mov_b32_e32 v41, 0
	s_and_saveexec_b32 s1, vcc_hi
	s_cbranch_execz .LBB743_516
; %bb.513:
	global_load_ubyte v41, v[3:4], off offset:1024
	s_waitcnt vmcnt(0)
	v_and_b32_e32 v41, 1, v41
	v_cmp_eq_u32_e64 s4, 1, v41
	v_mov_b32_e32 v41, 0
	s_xor_b32 s0, s4, -1
	s_and_saveexec_b32 s2, s0
	s_cbranch_execz .LBB743_515
; %bb.514:
	v_sub_f32_e32 v39, v39, v76
	v_mul_f32_e32 v41, 0x3fb8aa3b, v39
	v_cmp_ngt_f32_e64 s4, 0xc2ce8ed0, v39
	v_fma_f32 v78, 0x3fb8aa3b, v39, -v41
	v_rndne_f32_e32 v79, v41
	v_fmamk_f32 v78, v39, 0x32a5705f, v78
	v_sub_f32_e32 v41, v41, v79
	v_add_f32_e32 v41, v41, v78
	v_cvt_i32_f32_e32 v78, v79
	v_exp_f32_e32 v41, v41
	v_ldexp_f32 v41, v41, v78
	v_cndmask_b32_e64 v41, 0, v41, s4
	v_cmp_nlt_f32_e64 s4, 0x42b17218, v39
	v_cndmask_b32_e64 v41, 0x7f800000, v41, s4
	v_add_f32_e32 v77, v77, v41
.LBB743_515:
	s_or_b32 exec_lo, exec_lo, s2
.LBB743_516:
	s_or_b32 exec_lo, exec_lo, s1
	s_and_saveexec_b32 s1, s104
	s_cbranch_execz .LBB743_520
; %bb.517:
	global_load_ubyte v39, v[3:4], off offset:1056
	v_mov_b32_e32 v40, 0
	s_waitcnt vmcnt(0)
	v_and_b32_e32 v39, 1, v39
	v_cmp_eq_u32_e64 s4, 1, v39
	s_xor_b32 s0, s4, -1
	s_and_saveexec_b32 s2, s0
	s_cbranch_execz .LBB743_519
; %bb.518:
	v_sub_f32_e32 v38, v38, v76
	v_mul_f32_e32 v39, 0x3fb8aa3b, v38
	v_cmp_ngt_f32_e64 s4, 0xc2ce8ed0, v38
	v_fma_f32 v40, 0x3fb8aa3b, v38, -v39
	v_rndne_f32_e32 v78, v39
	v_fmamk_f32 v40, v38, 0x32a5705f, v40
	v_sub_f32_e32 v39, v39, v78
	v_add_f32_e32 v39, v39, v40
	v_cvt_i32_f32_e32 v40, v78
	v_exp_f32_e32 v39, v39
	v_ldexp_f32 v39, v39, v40
	v_cndmask_b32_e64 v39, 0, v39, s4
	v_cmp_nlt_f32_e64 s4, 0x42b17218, v38
	v_cndmask_b32_e64 v40, 0x7f800000, v39, s4
	v_add_f32_e32 v77, v77, v40
.LBB743_519:
	s_or_b32 exec_lo, exec_lo, s2
.LBB743_520:
	s_or_b32 exec_lo, exec_lo, s1
	v_mov_b32_e32 v38, 0
	v_mov_b32_e32 v39, 0
	s_and_saveexec_b32 s1, s99
	s_cbranch_execz .LBB743_524
; %bb.521:
	global_load_ubyte v39, v[3:4], off offset:1088
	s_waitcnt vmcnt(0)
	v_and_b32_e32 v39, 1, v39
	v_cmp_eq_u32_e64 s4, 1, v39
	v_mov_b32_e32 v39, 0
	s_xor_b32 s0, s4, -1
	s_and_saveexec_b32 s2, s0
	s_cbranch_execz .LBB743_523
; %bb.522:
	v_sub_f32_e32 v37, v37, v76
	v_mul_f32_e32 v39, 0x3fb8aa3b, v37
	v_cmp_ngt_f32_e64 s4, 0xc2ce8ed0, v37
	v_fma_f32 v78, 0x3fb8aa3b, v37, -v39
	v_rndne_f32_e32 v79, v39
	v_fmamk_f32 v78, v37, 0x32a5705f, v78
	v_sub_f32_e32 v39, v39, v79
	v_add_f32_e32 v39, v39, v78
	v_cvt_i32_f32_e32 v78, v79
	v_exp_f32_e32 v39, v39
	v_ldexp_f32 v39, v39, v78
	v_cndmask_b32_e64 v39, 0, v39, s4
	v_cmp_nlt_f32_e64 s4, 0x42b17218, v37
	v_cndmask_b32_e64 v39, 0x7f800000, v39, s4
	v_add_f32_e32 v77, v77, v39
.LBB743_523:
	s_or_b32 exec_lo, exec_lo, s2
.LBB743_524:
	s_or_b32 exec_lo, exec_lo, s1
	s_and_saveexec_b32 s1, s98
	s_cbranch_execz .LBB743_528
; %bb.525:
	global_load_ubyte v37, v[3:4], off offset:1120
	v_mov_b32_e32 v38, 0
	s_waitcnt vmcnt(0)
	v_and_b32_e32 v37, 1, v37
	v_cmp_eq_u32_e64 s4, 1, v37
	s_xor_b32 s0, s4, -1
	s_and_saveexec_b32 s2, s0
	s_cbranch_execz .LBB743_527
; %bb.526:
	v_sub_f32_e32 v36, v36, v76
	v_mul_f32_e32 v37, 0x3fb8aa3b, v36
	v_cmp_ngt_f32_e64 s4, 0xc2ce8ed0, v36
	v_fma_f32 v38, 0x3fb8aa3b, v36, -v37
	v_rndne_f32_e32 v78, v37
	v_fmamk_f32 v38, v36, 0x32a5705f, v38
	v_sub_f32_e32 v37, v37, v78
	v_add_f32_e32 v37, v37, v38
	v_cvt_i32_f32_e32 v38, v78
	v_exp_f32_e32 v37, v37
	v_ldexp_f32 v37, v37, v38
	v_cndmask_b32_e64 v37, 0, v37, s4
	v_cmp_nlt_f32_e64 s4, 0x42b17218, v36
	v_cndmask_b32_e64 v38, 0x7f800000, v37, s4
	v_add_f32_e32 v77, v77, v38
.LBB743_527:
	s_or_b32 exec_lo, exec_lo, s2
.LBB743_528:
	s_or_b32 exec_lo, exec_lo, s1
	v_mov_b32_e32 v36, 0
	v_mov_b32_e32 v37, 0
	s_and_saveexec_b32 s1, s97
	;; [unrolled: 64-line block ×15, first 2 shown]
	s_cbranch_execz .LBB743_636
; %bb.633:
	global_load_ubyte v11, v[3:4], off offset:1984
	s_waitcnt vmcnt(0)
	v_and_b32_e32 v11, 1, v11
	v_cmp_eq_u32_e64 s4, 1, v11
	v_mov_b32_e32 v11, 0
	s_xor_b32 s0, s4, -1
	s_and_saveexec_b32 s2, s0
	s_cbranch_execz .LBB743_635
; %bb.634:
	v_sub_f32_e32 v9, v9, v76
	v_mul_f32_e32 v11, 0x3fb8aa3b, v9
	v_cmp_ngt_f32_e64 s4, 0xc2ce8ed0, v9
	v_fma_f32 v78, 0x3fb8aa3b, v9, -v11
	v_rndne_f32_e32 v79, v11
	v_fmamk_f32 v78, v9, 0x32a5705f, v78
	v_sub_f32_e32 v11, v11, v79
	v_add_f32_e32 v11, v11, v78
	v_cvt_i32_f32_e32 v78, v79
	v_exp_f32_e32 v11, v11
	v_ldexp_f32 v11, v11, v78
	v_cndmask_b32_e64 v11, 0, v11, s4
	v_cmp_nlt_f32_e64 s4, 0x42b17218, v9
	v_cndmask_b32_e64 v11, 0x7f800000, v11, s4
	v_add_f32_e32 v77, v77, v11
.LBB743_635:
	s_or_b32 exec_lo, exec_lo, s2
.LBB743_636:
	s_or_b32 exec_lo, exec_lo, s1
	s_and_saveexec_b32 s1, s67
	s_cbranch_execz .LBB743_640
; %bb.637:
	global_load_ubyte v3, v[3:4], off offset:2016
	v_mov_b32_e32 v10, 0
	s_waitcnt vmcnt(0)
	v_and_b32_e32 v3, 1, v3
	v_cmp_eq_u32_e64 s4, 1, v3
	s_xor_b32 s0, s4, -1
	s_and_saveexec_b32 s2, s0
	s_cbranch_execz .LBB743_639
; %bb.638:
	v_sub_f32_e32 v3, v8, v76
	v_mul_f32_e32 v4, 0x3fb8aa3b, v3
	v_cmp_ngt_f32_e64 s4, 0xc2ce8ed0, v3
	v_fma_f32 v8, 0x3fb8aa3b, v3, -v4
	v_rndne_f32_e32 v9, v4
	v_fmamk_f32 v8, v3, 0x32a5705f, v8
	v_sub_f32_e32 v4, v4, v9
	v_add_f32_e32 v4, v4, v8
	v_cvt_i32_f32_e32 v8, v9
	v_exp_f32_e32 v4, v4
	v_ldexp_f32 v4, v4, v8
	v_cndmask_b32_e64 v4, 0, v4, s4
	v_cmp_nlt_f32_e64 s4, 0x42b17218, v3
	v_cndmask_b32_e64 v10, 0x7f800000, v4, s4
	v_add_f32_e32 v77, v77, v10
.LBB743_639:
	s_or_b32 exec_lo, exec_lo, s2
.LBB743_640:
	s_or_b32 exec_lo, exec_lo, s1
	ds_bpermute_b32 v0, v0, v77
	s_mov_b32 s0, exec_lo
	s_waitcnt lgkmcnt(0)
	v_add_f32_e32 v0, v77, v0
	ds_bpermute_b32 v3, v6, v0
	s_waitcnt lgkmcnt(0)
	v_add_f32_e32 v0, v0, v3
	ds_bpermute_b32 v3, v72, v0
	;; [unrolled: 3-line block ×4, first 2 shown]
	v_cmpx_lt_i32_e32 0, v7
	s_cbranch_execz .LBB743_834
; %bb.641:
	s_and_b32 exec_lo, exec_lo, vcc_lo
	s_cbranch_execz .LBB743_834
; %bb.642:
	s_waitcnt lgkmcnt(0)
	v_add_f32_e32 v3, v0, v3
	v_mov_b32_e32 v4, 0x7e00
	v_cmp_neq_f32_e64 s4, 0, v3
	s_and_saveexec_b32 s1, s4
	s_cbranch_execz .LBB743_644
; %bb.643:
	v_div_scale_f32 v0, null, v3, v3, v74
	v_rcp_f32_e32 v4, v0
	v_fma_f32 v6, -v0, v4, 1.0
	v_fmac_f32_e32 v4, v6, v4
	v_div_scale_f32 v6, vcc_lo, v74, v3, v74
	v_mul_f32_e32 v7, v6, v4
	v_fma_f32 v8, -v0, v7, v6
	v_fmac_f32_e32 v7, v8, v4
	v_fma_f32 v0, -v0, v7, v6
	v_div_fmas_f32 v0, v0, v4, v7
	v_div_fixup_f32 v0, v0, v3, v74
	v_cvt_f16_f32_e32 v4, v0
.LBB743_644:
	s_or_b32 exec_lo, exec_lo, s1
	v_add_co_u32 v0, vcc_lo, s68, v1
	v_add_co_ci_u32_e64 v1, null, s69, v2, vcc_lo
	global_store_short v[0:1], v4, off
	s_and_b32 exec_lo, exec_lo, s65
	s_cbranch_execz .LBB743_834
; %bb.645:
	v_mov_b32_e32 v2, 0x7e00
	s_and_saveexec_b32 s1, s4
	s_cbranch_execz .LBB743_647
; %bb.646:
	v_div_scale_f32 v2, null, v3, v3, v5
	v_rcp_f32_e32 v4, v2
	v_fma_f32 v6, -v2, v4, 1.0
	v_fmac_f32_e32 v4, v6, v4
	v_div_scale_f32 v6, vcc_lo, v5, v3, v5
	v_mul_f32_e32 v7, v6, v4
	v_fma_f32 v8, -v2, v7, v6
	v_fmac_f32_e32 v7, v8, v4
	v_fma_f32 v2, -v2, v7, v6
	v_div_fmas_f32 v2, v2, v4, v7
	v_div_fixup_f32 v2, v2, v3, v5
	v_cvt_f16_f32_e32 v2, v2
.LBB743_647:
	s_or_b32 exec_lo, exec_lo, s1
	global_store_short v[0:1], v2, off offset:64
	s_and_b32 exec_lo, exec_lo, s64
	s_cbranch_execz .LBB743_834
; %bb.648:
	v_mov_b32_e32 v2, 0x7e00
	s_and_saveexec_b32 s1, s4
	s_cbranch_execz .LBB743_650
; %bb.649:
	v_div_scale_f32 v2, null, v3, v3, v71
	v_rcp_f32_e32 v4, v2
	v_fma_f32 v5, -v2, v4, 1.0
	v_fmac_f32_e32 v4, v5, v4
	v_div_scale_f32 v5, vcc_lo, v71, v3, v71
	v_mul_f32_e32 v6, v5, v4
	v_fma_f32 v7, -v2, v6, v5
	v_fmac_f32_e32 v6, v7, v4
	v_fma_f32 v2, -v2, v6, v5
	v_div_fmas_f32 v2, v2, v4, v6
	v_div_fixup_f32 v2, v2, v3, v71
	v_cvt_f16_f32_e32 v2, v2
.LBB743_650:
	s_or_b32 exec_lo, exec_lo, s1
	global_store_short v[0:1], v2, off offset:128
	;; [unrolled: 22-line block ×29, first 2 shown]
	s_and_b32 exec_lo, exec_lo, s36
	s_cbranch_execz .LBB743_834
; %bb.732:
	v_mov_b32_e32 v2, 0x7e00
	s_and_saveexec_b32 s1, s4
	s_cbranch_execz .LBB743_734
; %bb.733:
	v_div_scale_f32 v2, null, v3, v3, v43
	v_rcp_f32_e32 v4, v2
	v_fma_f32 v5, -v2, v4, 1.0
	v_fmac_f32_e32 v4, v5, v4
	v_div_scale_f32 v5, vcc_lo, v43, v3, v43
	v_mul_f32_e32 v6, v5, v4
	v_fma_f32 v7, -v2, v6, v5
	v_fmac_f32_e32 v6, v7, v4
	v_fma_f32 v2, -v2, v6, v5
	v_div_fmas_f32 v2, v2, v4, v6
	v_div_fixup_f32 v2, v2, v3, v43
	v_cvt_f16_f32_e32 v2, v2
.LBB743_734:
	s_or_b32 exec_lo, exec_lo, s1
	v_readlane_b32 s0, v81, 0
	global_store_short v[0:1], v2, off offset:1920
	s_and_b32 exec_lo, exec_lo, s0
	s_cbranch_execz .LBB743_834
; %bb.735:
	v_mov_b32_e32 v2, 0x7e00
	s_and_saveexec_b32 s1, s4
	s_cbranch_execz .LBB743_737
; %bb.736:
	v_div_scale_f32 v2, null, v3, v3, v42
	v_rcp_f32_e32 v4, v2
	v_fma_f32 v5, -v2, v4, 1.0
	v_fmac_f32_e32 v4, v5, v4
	v_div_scale_f32 v5, vcc_lo, v42, v3, v42
	v_mul_f32_e32 v6, v5, v4
	v_fma_f32 v7, -v2, v6, v5
	v_fmac_f32_e32 v6, v7, v4
	v_fma_f32 v2, -v2, v6, v5
	v_div_fmas_f32 v2, v2, v4, v6
	v_div_fixup_f32 v2, v2, v3, v42
	v_cvt_f16_f32_e32 v2, v2
.LBB743_737:
	s_or_b32 exec_lo, exec_lo, s1
	v_readlane_b32 s0, v81, 1
	global_store_short v[0:1], v2, off offset:1984
	s_and_b32 exec_lo, exec_lo, s0
	s_cbranch_execz .LBB743_834
; %bb.738:
	v_mov_b32_e32 v2, 0x7e00
	s_and_saveexec_b32 s1, s4
	s_cbranch_execz .LBB743_740
; %bb.739:
	v_div_scale_f32 v2, null, v3, v3, v41
	v_rcp_f32_e32 v4, v2
	v_fma_f32 v5, -v2, v4, 1.0
	v_fmac_f32_e32 v4, v5, v4
	v_div_scale_f32 v5, vcc_lo, v41, v3, v41
	v_mul_f32_e32 v6, v5, v4
	v_fma_f32 v7, -v2, v6, v5
	v_fmac_f32_e32 v6, v7, v4
	v_fma_f32 v2, -v2, v6, v5
	v_div_fmas_f32 v2, v2, v4, v6
	v_div_fixup_f32 v2, v2, v3, v41
	v_cvt_f16_f32_e32 v2, v2
.LBB743_740:
	s_or_b32 exec_lo, exec_lo, s1
	v_add_co_u32 v0, vcc_lo, 0x800, v0
	v_add_co_ci_u32_e64 v1, null, 0, v1, vcc_lo
	v_readlane_b32 s0, v81, 2
	global_store_short v[0:1], v2, off
	s_and_b32 exec_lo, exec_lo, s0
	s_cbranch_execz .LBB743_834
; %bb.741:
	v_mov_b32_e32 v2, 0x7e00
	s_and_saveexec_b32 s1, s4
	s_cbranch_execz .LBB743_743
; %bb.742:
	v_div_scale_f32 v2, null, v3, v3, v40
	v_rcp_f32_e32 v4, v2
	v_fma_f32 v5, -v2, v4, 1.0
	v_fmac_f32_e32 v4, v5, v4
	v_div_scale_f32 v5, vcc_lo, v40, v3, v40
	v_mul_f32_e32 v6, v5, v4
	v_fma_f32 v7, -v2, v6, v5
	v_fmac_f32_e32 v6, v7, v4
	v_fma_f32 v2, -v2, v6, v5
	v_div_fmas_f32 v2, v2, v4, v6
	v_div_fixup_f32 v2, v2, v3, v40
	v_cvt_f16_f32_e32 v2, v2
.LBB743_743:
	s_or_b32 exec_lo, exec_lo, s1
	v_readlane_b32 s0, v81, 3
	global_store_short v[0:1], v2, off offset:64
	s_and_b32 exec_lo, exec_lo, s0
	s_cbranch_execz .LBB743_834
; %bb.744:
	v_mov_b32_e32 v2, 0x7e00
	s_and_saveexec_b32 s1, s4
	s_cbranch_execz .LBB743_746
; %bb.745:
	v_div_scale_f32 v2, null, v3, v3, v39
	v_rcp_f32_e32 v4, v2
	v_fma_f32 v5, -v2, v4, 1.0
	v_fmac_f32_e32 v4, v5, v4
	v_div_scale_f32 v5, vcc_lo, v39, v3, v39
	v_mul_f32_e32 v6, v5, v4
	v_fma_f32 v7, -v2, v6, v5
	v_fmac_f32_e32 v6, v7, v4
	v_fma_f32 v2, -v2, v6, v5
	v_div_fmas_f32 v2, v2, v4, v6
	v_div_fixup_f32 v2, v2, v3, v39
	v_cvt_f16_f32_e32 v2, v2
.LBB743_746:
	s_or_b32 exec_lo, exec_lo, s1
	v_readlane_b32 s0, v81, 4
	global_store_short v[0:1], v2, off offset:128
	s_and_b32 exec_lo, exec_lo, s0
	s_cbranch_execz .LBB743_834
; %bb.747:
	v_mov_b32_e32 v2, 0x7e00
	s_and_saveexec_b32 s1, s4
	s_cbranch_execz .LBB743_749
; %bb.748:
	v_div_scale_f32 v2, null, v3, v3, v38
	v_rcp_f32_e32 v4, v2
	v_fma_f32 v5, -v2, v4, 1.0
	v_fmac_f32_e32 v4, v5, v4
	v_div_scale_f32 v5, vcc_lo, v38, v3, v38
	v_mul_f32_e32 v6, v5, v4
	v_fma_f32 v7, -v2, v6, v5
	v_fmac_f32_e32 v6, v7, v4
	v_fma_f32 v2, -v2, v6, v5
	v_div_fmas_f32 v2, v2, v4, v6
	v_div_fixup_f32 v2, v2, v3, v38
	v_cvt_f16_f32_e32 v2, v2
.LBB743_749:
	s_or_b32 exec_lo, exec_lo, s1
	v_readlane_b32 s0, v81, 5
	global_store_short v[0:1], v2, off offset:192
	s_and_b32 exec_lo, exec_lo, s0
	s_cbranch_execz .LBB743_834
; %bb.750:
	v_mov_b32_e32 v2, 0x7e00
	s_and_saveexec_b32 s1, s4
	s_cbranch_execz .LBB743_752
; %bb.751:
	v_div_scale_f32 v2, null, v3, v3, v37
	v_rcp_f32_e32 v4, v2
	v_fma_f32 v5, -v2, v4, 1.0
	v_fmac_f32_e32 v4, v5, v4
	v_div_scale_f32 v5, vcc_lo, v37, v3, v37
	v_mul_f32_e32 v6, v5, v4
	v_fma_f32 v7, -v2, v6, v5
	v_fmac_f32_e32 v6, v7, v4
	v_fma_f32 v2, -v2, v6, v5
	v_div_fmas_f32 v2, v2, v4, v6
	v_div_fixup_f32 v2, v2, v3, v37
	v_cvt_f16_f32_e32 v2, v2
.LBB743_752:
	s_or_b32 exec_lo, exec_lo, s1
	v_readlane_b32 s0, v81, 6
	global_store_short v[0:1], v2, off offset:256
	s_and_b32 exec_lo, exec_lo, s0
	s_cbranch_execz .LBB743_834
; %bb.753:
	v_mov_b32_e32 v2, 0x7e00
	s_and_saveexec_b32 s1, s4
	s_cbranch_execz .LBB743_755
; %bb.754:
	v_div_scale_f32 v2, null, v3, v3, v36
	v_rcp_f32_e32 v4, v2
	v_fma_f32 v5, -v2, v4, 1.0
	v_fmac_f32_e32 v4, v5, v4
	v_div_scale_f32 v5, vcc_lo, v36, v3, v36
	v_mul_f32_e32 v6, v5, v4
	v_fma_f32 v7, -v2, v6, v5
	v_fmac_f32_e32 v6, v7, v4
	v_fma_f32 v2, -v2, v6, v5
	v_div_fmas_f32 v2, v2, v4, v6
	v_div_fixup_f32 v2, v2, v3, v36
	v_cvt_f16_f32_e32 v2, v2
.LBB743_755:
	s_or_b32 exec_lo, exec_lo, s1
	v_readlane_b32 s0, v81, 7
	global_store_short v[0:1], v2, off offset:320
	s_and_b32 exec_lo, exec_lo, s0
	s_cbranch_execz .LBB743_834
; %bb.756:
	v_mov_b32_e32 v2, 0x7e00
	s_and_saveexec_b32 s1, s4
	s_cbranch_execz .LBB743_758
; %bb.757:
	v_div_scale_f32 v2, null, v3, v3, v35
	v_rcp_f32_e32 v4, v2
	v_fma_f32 v5, -v2, v4, 1.0
	v_fmac_f32_e32 v4, v5, v4
	v_div_scale_f32 v5, vcc_lo, v35, v3, v35
	v_mul_f32_e32 v6, v5, v4
	v_fma_f32 v7, -v2, v6, v5
	v_fmac_f32_e32 v6, v7, v4
	v_fma_f32 v2, -v2, v6, v5
	v_div_fmas_f32 v2, v2, v4, v6
	v_div_fixup_f32 v2, v2, v3, v35
	v_cvt_f16_f32_e32 v2, v2
.LBB743_758:
	s_or_b32 exec_lo, exec_lo, s1
	v_readlane_b32 s0, v81, 8
	global_store_short v[0:1], v2, off offset:384
	s_and_b32 exec_lo, exec_lo, s0
	s_cbranch_execz .LBB743_834
; %bb.759:
	v_mov_b32_e32 v2, 0x7e00
	s_and_saveexec_b32 s1, s4
	s_cbranch_execz .LBB743_761
; %bb.760:
	v_div_scale_f32 v2, null, v3, v3, v34
	v_rcp_f32_e32 v4, v2
	v_fma_f32 v5, -v2, v4, 1.0
	v_fmac_f32_e32 v4, v5, v4
	v_div_scale_f32 v5, vcc_lo, v34, v3, v34
	v_mul_f32_e32 v6, v5, v4
	v_fma_f32 v7, -v2, v6, v5
	v_fmac_f32_e32 v6, v7, v4
	v_fma_f32 v2, -v2, v6, v5
	v_div_fmas_f32 v2, v2, v4, v6
	v_div_fixup_f32 v2, v2, v3, v34
	v_cvt_f16_f32_e32 v2, v2
.LBB743_761:
	s_or_b32 exec_lo, exec_lo, s1
	v_readlane_b32 s0, v81, 9
	global_store_short v[0:1], v2, off offset:448
	s_and_b32 exec_lo, exec_lo, s0
	s_cbranch_execz .LBB743_834
; %bb.762:
	v_mov_b32_e32 v2, 0x7e00
	s_and_saveexec_b32 s1, s4
	s_cbranch_execz .LBB743_764
; %bb.763:
	v_div_scale_f32 v2, null, v3, v3, v33
	v_rcp_f32_e32 v4, v2
	v_fma_f32 v5, -v2, v4, 1.0
	v_fmac_f32_e32 v4, v5, v4
	v_div_scale_f32 v5, vcc_lo, v33, v3, v33
	v_mul_f32_e32 v6, v5, v4
	v_fma_f32 v7, -v2, v6, v5
	v_fmac_f32_e32 v6, v7, v4
	v_fma_f32 v2, -v2, v6, v5
	v_div_fmas_f32 v2, v2, v4, v6
	v_div_fixup_f32 v2, v2, v3, v33
	v_cvt_f16_f32_e32 v2, v2
.LBB743_764:
	s_or_b32 exec_lo, exec_lo, s1
	v_readlane_b32 s0, v81, 10
	global_store_short v[0:1], v2, off offset:512
	s_and_b32 exec_lo, exec_lo, s0
	s_cbranch_execz .LBB743_834
; %bb.765:
	v_mov_b32_e32 v2, 0x7e00
	s_and_saveexec_b32 s1, s4
	s_cbranch_execz .LBB743_767
; %bb.766:
	v_div_scale_f32 v2, null, v3, v3, v32
	v_rcp_f32_e32 v4, v2
	v_fma_f32 v5, -v2, v4, 1.0
	v_fmac_f32_e32 v4, v5, v4
	v_div_scale_f32 v5, vcc_lo, v32, v3, v32
	v_mul_f32_e32 v6, v5, v4
	v_fma_f32 v7, -v2, v6, v5
	v_fmac_f32_e32 v6, v7, v4
	v_fma_f32 v2, -v2, v6, v5
	v_div_fmas_f32 v2, v2, v4, v6
	v_div_fixup_f32 v2, v2, v3, v32
	v_cvt_f16_f32_e32 v2, v2
.LBB743_767:
	s_or_b32 exec_lo, exec_lo, s1
	v_readlane_b32 s0, v81, 11
	global_store_short v[0:1], v2, off offset:576
	s_and_b32 exec_lo, exec_lo, s0
	s_cbranch_execz .LBB743_834
; %bb.768:
	v_mov_b32_e32 v2, 0x7e00
	s_and_saveexec_b32 s1, s4
	s_cbranch_execz .LBB743_770
; %bb.769:
	v_div_scale_f32 v2, null, v3, v3, v31
	v_rcp_f32_e32 v4, v2
	v_fma_f32 v5, -v2, v4, 1.0
	v_fmac_f32_e32 v4, v5, v4
	v_div_scale_f32 v5, vcc_lo, v31, v3, v31
	v_mul_f32_e32 v6, v5, v4
	v_fma_f32 v7, -v2, v6, v5
	v_fmac_f32_e32 v6, v7, v4
	v_fma_f32 v2, -v2, v6, v5
	v_div_fmas_f32 v2, v2, v4, v6
	v_div_fixup_f32 v2, v2, v3, v31
	v_cvt_f16_f32_e32 v2, v2
.LBB743_770:
	s_or_b32 exec_lo, exec_lo, s1
	v_readlane_b32 s0, v81, 12
	global_store_short v[0:1], v2, off offset:640
	s_and_b32 exec_lo, exec_lo, s0
	s_cbranch_execz .LBB743_834
; %bb.771:
	v_mov_b32_e32 v2, 0x7e00
	s_and_saveexec_b32 s1, s4
	s_cbranch_execz .LBB743_773
; %bb.772:
	v_div_scale_f32 v2, null, v3, v3, v30
	v_rcp_f32_e32 v4, v2
	v_fma_f32 v5, -v2, v4, 1.0
	v_fmac_f32_e32 v4, v5, v4
	v_div_scale_f32 v5, vcc_lo, v30, v3, v30
	v_mul_f32_e32 v6, v5, v4
	v_fma_f32 v7, -v2, v6, v5
	v_fmac_f32_e32 v6, v7, v4
	v_fma_f32 v2, -v2, v6, v5
	v_div_fmas_f32 v2, v2, v4, v6
	v_div_fixup_f32 v2, v2, v3, v30
	v_cvt_f16_f32_e32 v2, v2
.LBB743_773:
	s_or_b32 exec_lo, exec_lo, s1
	v_readlane_b32 s0, v81, 13
	global_store_short v[0:1], v2, off offset:704
	s_and_b32 exec_lo, exec_lo, s0
	s_cbranch_execz .LBB743_834
; %bb.774:
	v_mov_b32_e32 v2, 0x7e00
	s_and_saveexec_b32 s1, s4
	s_cbranch_execz .LBB743_776
; %bb.775:
	v_div_scale_f32 v2, null, v3, v3, v29
	v_rcp_f32_e32 v4, v2
	v_fma_f32 v5, -v2, v4, 1.0
	v_fmac_f32_e32 v4, v5, v4
	v_div_scale_f32 v5, vcc_lo, v29, v3, v29
	v_mul_f32_e32 v6, v5, v4
	v_fma_f32 v7, -v2, v6, v5
	v_fmac_f32_e32 v6, v7, v4
	v_fma_f32 v2, -v2, v6, v5
	v_div_fmas_f32 v2, v2, v4, v6
	v_div_fixup_f32 v2, v2, v3, v29
	v_cvt_f16_f32_e32 v2, v2
.LBB743_776:
	s_or_b32 exec_lo, exec_lo, s1
	v_readlane_b32 s0, v81, 14
	global_store_short v[0:1], v2, off offset:768
	s_and_b32 exec_lo, exec_lo, s0
	s_cbranch_execz .LBB743_834
; %bb.777:
	v_mov_b32_e32 v2, 0x7e00
	s_and_saveexec_b32 s1, s4
	s_cbranch_execz .LBB743_779
; %bb.778:
	v_div_scale_f32 v2, null, v3, v3, v28
	v_rcp_f32_e32 v4, v2
	v_fma_f32 v5, -v2, v4, 1.0
	v_fmac_f32_e32 v4, v5, v4
	v_div_scale_f32 v5, vcc_lo, v28, v3, v28
	v_mul_f32_e32 v6, v5, v4
	v_fma_f32 v7, -v2, v6, v5
	v_fmac_f32_e32 v6, v7, v4
	v_fma_f32 v2, -v2, v6, v5
	v_div_fmas_f32 v2, v2, v4, v6
	v_div_fixup_f32 v2, v2, v3, v28
	v_cvt_f16_f32_e32 v2, v2
.LBB743_779:
	s_or_b32 exec_lo, exec_lo, s1
	v_readlane_b32 s0, v81, 15
	global_store_short v[0:1], v2, off offset:832
	s_and_b32 exec_lo, exec_lo, s0
	s_cbranch_execz .LBB743_834
; %bb.780:
	v_mov_b32_e32 v2, 0x7e00
	s_and_saveexec_b32 s1, s4
	s_cbranch_execz .LBB743_782
; %bb.781:
	v_div_scale_f32 v2, null, v3, v3, v27
	v_rcp_f32_e32 v4, v2
	v_fma_f32 v5, -v2, v4, 1.0
	v_fmac_f32_e32 v4, v5, v4
	v_div_scale_f32 v5, vcc_lo, v27, v3, v27
	v_mul_f32_e32 v6, v5, v4
	v_fma_f32 v7, -v2, v6, v5
	v_fmac_f32_e32 v6, v7, v4
	v_fma_f32 v2, -v2, v6, v5
	v_div_fmas_f32 v2, v2, v4, v6
	v_div_fixup_f32 v2, v2, v3, v27
	v_cvt_f16_f32_e32 v2, v2
.LBB743_782:
	s_or_b32 exec_lo, exec_lo, s1
	v_readlane_b32 s0, v81, 16
	global_store_short v[0:1], v2, off offset:896
	s_and_b32 exec_lo, exec_lo, s0
	s_cbranch_execz .LBB743_834
; %bb.783:
	v_mov_b32_e32 v2, 0x7e00
	s_and_saveexec_b32 s1, s4
	s_cbranch_execz .LBB743_785
; %bb.784:
	v_div_scale_f32 v2, null, v3, v3, v26
	v_rcp_f32_e32 v4, v2
	v_fma_f32 v5, -v2, v4, 1.0
	v_fmac_f32_e32 v4, v5, v4
	v_div_scale_f32 v5, vcc_lo, v26, v3, v26
	v_mul_f32_e32 v6, v5, v4
	v_fma_f32 v7, -v2, v6, v5
	v_fmac_f32_e32 v6, v7, v4
	v_fma_f32 v2, -v2, v6, v5
	v_div_fmas_f32 v2, v2, v4, v6
	v_div_fixup_f32 v2, v2, v3, v26
	v_cvt_f16_f32_e32 v2, v2
.LBB743_785:
	s_or_b32 exec_lo, exec_lo, s1
	v_readlane_b32 s0, v81, 17
	global_store_short v[0:1], v2, off offset:960
	s_and_b32 exec_lo, exec_lo, s0
	s_cbranch_execz .LBB743_834
; %bb.786:
	v_mov_b32_e32 v2, 0x7e00
	s_and_saveexec_b32 s1, s4
	s_cbranch_execz .LBB743_788
; %bb.787:
	v_div_scale_f32 v2, null, v3, v3, v25
	v_rcp_f32_e32 v4, v2
	v_fma_f32 v5, -v2, v4, 1.0
	v_fmac_f32_e32 v4, v5, v4
	v_div_scale_f32 v5, vcc_lo, v25, v3, v25
	v_mul_f32_e32 v6, v5, v4
	v_fma_f32 v7, -v2, v6, v5
	v_fmac_f32_e32 v6, v7, v4
	v_fma_f32 v2, -v2, v6, v5
	v_div_fmas_f32 v2, v2, v4, v6
	v_div_fixup_f32 v2, v2, v3, v25
	v_cvt_f16_f32_e32 v2, v2
.LBB743_788:
	s_or_b32 exec_lo, exec_lo, s1
	v_readlane_b32 s0, v81, 18
	global_store_short v[0:1], v2, off offset:1024
	s_and_b32 exec_lo, exec_lo, s0
	s_cbranch_execz .LBB743_834
; %bb.789:
	v_mov_b32_e32 v2, 0x7e00
	s_and_saveexec_b32 s1, s4
	s_cbranch_execz .LBB743_791
; %bb.790:
	v_div_scale_f32 v2, null, v3, v3, v24
	v_rcp_f32_e32 v4, v2
	v_fma_f32 v5, -v2, v4, 1.0
	v_fmac_f32_e32 v4, v5, v4
	v_div_scale_f32 v5, vcc_lo, v24, v3, v24
	v_mul_f32_e32 v6, v5, v4
	v_fma_f32 v7, -v2, v6, v5
	v_fmac_f32_e32 v6, v7, v4
	v_fma_f32 v2, -v2, v6, v5
	v_div_fmas_f32 v2, v2, v4, v6
	v_div_fixup_f32 v2, v2, v3, v24
	v_cvt_f16_f32_e32 v2, v2
.LBB743_791:
	s_or_b32 exec_lo, exec_lo, s1
	v_readlane_b32 s0, v81, 19
	global_store_short v[0:1], v2, off offset:1088
	s_and_b32 exec_lo, exec_lo, s0
	s_cbranch_execz .LBB743_834
; %bb.792:
	v_mov_b32_e32 v2, 0x7e00
	s_and_saveexec_b32 s1, s4
	s_cbranch_execz .LBB743_794
; %bb.793:
	v_div_scale_f32 v2, null, v3, v3, v23
	v_rcp_f32_e32 v4, v2
	v_fma_f32 v5, -v2, v4, 1.0
	v_fmac_f32_e32 v4, v5, v4
	v_div_scale_f32 v5, vcc_lo, v23, v3, v23
	v_mul_f32_e32 v6, v5, v4
	v_fma_f32 v7, -v2, v6, v5
	v_fmac_f32_e32 v6, v7, v4
	v_fma_f32 v2, -v2, v6, v5
	v_div_fmas_f32 v2, v2, v4, v6
	v_div_fixup_f32 v2, v2, v3, v23
	v_cvt_f16_f32_e32 v2, v2
.LBB743_794:
	s_or_b32 exec_lo, exec_lo, s1
	v_readlane_b32 s0, v81, 20
	global_store_short v[0:1], v2, off offset:1152
	s_and_b32 exec_lo, exec_lo, s0
	s_cbranch_execz .LBB743_834
; %bb.795:
	v_mov_b32_e32 v2, 0x7e00
	s_and_saveexec_b32 s1, s4
	s_cbranch_execz .LBB743_797
; %bb.796:
	v_div_scale_f32 v2, null, v3, v3, v22
	v_rcp_f32_e32 v4, v2
	v_fma_f32 v5, -v2, v4, 1.0
	v_fmac_f32_e32 v4, v5, v4
	v_div_scale_f32 v5, vcc_lo, v22, v3, v22
	v_mul_f32_e32 v6, v5, v4
	v_fma_f32 v7, -v2, v6, v5
	v_fmac_f32_e32 v6, v7, v4
	v_fma_f32 v2, -v2, v6, v5
	v_div_fmas_f32 v2, v2, v4, v6
	v_div_fixup_f32 v2, v2, v3, v22
	v_cvt_f16_f32_e32 v2, v2
.LBB743_797:
	s_or_b32 exec_lo, exec_lo, s1
	v_readlane_b32 s0, v81, 21
	global_store_short v[0:1], v2, off offset:1216
	s_and_b32 exec_lo, exec_lo, s0
	s_cbranch_execz .LBB743_834
; %bb.798:
	v_mov_b32_e32 v2, 0x7e00
	s_and_saveexec_b32 s1, s4
	s_cbranch_execz .LBB743_800
; %bb.799:
	v_div_scale_f32 v2, null, v3, v3, v21
	v_rcp_f32_e32 v4, v2
	v_fma_f32 v5, -v2, v4, 1.0
	v_fmac_f32_e32 v4, v5, v4
	v_div_scale_f32 v5, vcc_lo, v21, v3, v21
	v_mul_f32_e32 v6, v5, v4
	v_fma_f32 v7, -v2, v6, v5
	v_fmac_f32_e32 v6, v7, v4
	v_fma_f32 v2, -v2, v6, v5
	v_div_fmas_f32 v2, v2, v4, v6
	v_div_fixup_f32 v2, v2, v3, v21
	v_cvt_f16_f32_e32 v2, v2
.LBB743_800:
	s_or_b32 exec_lo, exec_lo, s1
	v_readlane_b32 s0, v81, 22
	global_store_short v[0:1], v2, off offset:1280
	s_and_b32 exec_lo, exec_lo, s0
	s_cbranch_execz .LBB743_834
; %bb.801:
	v_mov_b32_e32 v2, 0x7e00
	s_and_saveexec_b32 s1, s4
	s_cbranch_execz .LBB743_803
; %bb.802:
	v_div_scale_f32 v2, null, v3, v3, v20
	v_rcp_f32_e32 v4, v2
	v_fma_f32 v5, -v2, v4, 1.0
	v_fmac_f32_e32 v4, v5, v4
	v_div_scale_f32 v5, vcc_lo, v20, v3, v20
	v_mul_f32_e32 v6, v5, v4
	v_fma_f32 v7, -v2, v6, v5
	v_fmac_f32_e32 v6, v7, v4
	v_fma_f32 v2, -v2, v6, v5
	v_div_fmas_f32 v2, v2, v4, v6
	v_div_fixup_f32 v2, v2, v3, v20
	v_cvt_f16_f32_e32 v2, v2
.LBB743_803:
	s_or_b32 exec_lo, exec_lo, s1
	v_readlane_b32 s0, v81, 23
	global_store_short v[0:1], v2, off offset:1344
	s_and_b32 exec_lo, exec_lo, s0
	s_cbranch_execz .LBB743_834
; %bb.804:
	v_mov_b32_e32 v2, 0x7e00
	s_and_saveexec_b32 s1, s4
	s_cbranch_execz .LBB743_806
; %bb.805:
	v_div_scale_f32 v2, null, v3, v3, v19
	v_rcp_f32_e32 v4, v2
	v_fma_f32 v5, -v2, v4, 1.0
	v_fmac_f32_e32 v4, v5, v4
	v_div_scale_f32 v5, vcc_lo, v19, v3, v19
	v_mul_f32_e32 v6, v5, v4
	v_fma_f32 v7, -v2, v6, v5
	v_fmac_f32_e32 v6, v7, v4
	v_fma_f32 v2, -v2, v6, v5
	v_div_fmas_f32 v2, v2, v4, v6
	v_div_fixup_f32 v2, v2, v3, v19
	v_cvt_f16_f32_e32 v2, v2
.LBB743_806:
	s_or_b32 exec_lo, exec_lo, s1
	v_readlane_b32 s0, v81, 24
	global_store_short v[0:1], v2, off offset:1408
	s_and_b32 exec_lo, exec_lo, s0
	s_cbranch_execz .LBB743_834
; %bb.807:
	v_mov_b32_e32 v2, 0x7e00
	s_and_saveexec_b32 s1, s4
	s_cbranch_execz .LBB743_809
; %bb.808:
	v_div_scale_f32 v2, null, v3, v3, v18
	v_rcp_f32_e32 v4, v2
	v_fma_f32 v5, -v2, v4, 1.0
	v_fmac_f32_e32 v4, v5, v4
	v_div_scale_f32 v5, vcc_lo, v18, v3, v18
	v_mul_f32_e32 v6, v5, v4
	v_fma_f32 v7, -v2, v6, v5
	v_fmac_f32_e32 v6, v7, v4
	v_fma_f32 v2, -v2, v6, v5
	v_div_fmas_f32 v2, v2, v4, v6
	v_div_fixup_f32 v2, v2, v3, v18
	v_cvt_f16_f32_e32 v2, v2
.LBB743_809:
	s_or_b32 exec_lo, exec_lo, s1
	v_readlane_b32 s0, v81, 25
	global_store_short v[0:1], v2, off offset:1472
	s_and_b32 exec_lo, exec_lo, s0
	s_cbranch_execz .LBB743_834
; %bb.810:
	v_mov_b32_e32 v2, 0x7e00
	s_and_saveexec_b32 s1, s4
	s_cbranch_execz .LBB743_812
; %bb.811:
	v_div_scale_f32 v2, null, v3, v3, v17
	v_rcp_f32_e32 v4, v2
	v_fma_f32 v5, -v2, v4, 1.0
	v_fmac_f32_e32 v4, v5, v4
	v_div_scale_f32 v5, vcc_lo, v17, v3, v17
	v_mul_f32_e32 v6, v5, v4
	v_fma_f32 v7, -v2, v6, v5
	v_fmac_f32_e32 v6, v7, v4
	v_fma_f32 v2, -v2, v6, v5
	v_div_fmas_f32 v2, v2, v4, v6
	v_div_fixup_f32 v2, v2, v3, v17
	v_cvt_f16_f32_e32 v2, v2
.LBB743_812:
	s_or_b32 exec_lo, exec_lo, s1
	v_readlane_b32 s0, v81, 26
	global_store_short v[0:1], v2, off offset:1536
	s_and_b32 exec_lo, exec_lo, s0
	s_cbranch_execz .LBB743_834
; %bb.813:
	v_mov_b32_e32 v2, 0x7e00
	s_and_saveexec_b32 s1, s4
	s_cbranch_execz .LBB743_815
; %bb.814:
	v_div_scale_f32 v2, null, v3, v3, v16
	v_rcp_f32_e32 v4, v2
	v_fma_f32 v5, -v2, v4, 1.0
	v_fmac_f32_e32 v4, v5, v4
	v_div_scale_f32 v5, vcc_lo, v16, v3, v16
	v_mul_f32_e32 v6, v5, v4
	v_fma_f32 v7, -v2, v6, v5
	v_fmac_f32_e32 v6, v7, v4
	v_fma_f32 v2, -v2, v6, v5
	v_div_fmas_f32 v2, v2, v4, v6
	v_div_fixup_f32 v2, v2, v3, v16
	v_cvt_f16_f32_e32 v2, v2
.LBB743_815:
	s_or_b32 exec_lo, exec_lo, s1
	v_readlane_b32 s0, v81, 27
	global_store_short v[0:1], v2, off offset:1600
	s_and_b32 exec_lo, exec_lo, s0
	s_cbranch_execz .LBB743_834
; %bb.816:
	v_mov_b32_e32 v2, 0x7e00
	s_and_saveexec_b32 s1, s4
	s_cbranch_execz .LBB743_818
; %bb.817:
	v_div_scale_f32 v2, null, v3, v3, v15
	v_rcp_f32_e32 v4, v2
	v_fma_f32 v5, -v2, v4, 1.0
	v_fmac_f32_e32 v4, v5, v4
	v_div_scale_f32 v5, vcc_lo, v15, v3, v15
	v_mul_f32_e32 v6, v5, v4
	v_fma_f32 v7, -v2, v6, v5
	v_fmac_f32_e32 v6, v7, v4
	v_fma_f32 v2, -v2, v6, v5
	v_div_fmas_f32 v2, v2, v4, v6
	v_div_fixup_f32 v2, v2, v3, v15
	v_cvt_f16_f32_e32 v2, v2
.LBB743_818:
	s_or_b32 exec_lo, exec_lo, s1
	v_readlane_b32 s0, v81, 28
	global_store_short v[0:1], v2, off offset:1664
	s_and_b32 exec_lo, exec_lo, s0
	s_cbranch_execz .LBB743_834
; %bb.819:
	v_mov_b32_e32 v2, 0x7e00
	s_and_saveexec_b32 s1, s4
	s_cbranch_execz .LBB743_821
; %bb.820:
	v_div_scale_f32 v2, null, v3, v3, v14
	v_rcp_f32_e32 v4, v2
	v_fma_f32 v5, -v2, v4, 1.0
	v_fmac_f32_e32 v4, v5, v4
	v_div_scale_f32 v5, vcc_lo, v14, v3, v14
	v_mul_f32_e32 v6, v5, v4
	v_fma_f32 v7, -v2, v6, v5
	v_fmac_f32_e32 v6, v7, v4
	v_fma_f32 v2, -v2, v6, v5
	v_div_fmas_f32 v2, v2, v4, v6
	v_div_fixup_f32 v2, v2, v3, v14
	v_cvt_f16_f32_e32 v2, v2
.LBB743_821:
	s_or_b32 exec_lo, exec_lo, s1
	v_readlane_b32 s0, v81, 29
	global_store_short v[0:1], v2, off offset:1728
	s_and_b32 exec_lo, exec_lo, s0
	s_cbranch_execz .LBB743_834
; %bb.822:
	v_mov_b32_e32 v2, 0x7e00
	s_and_saveexec_b32 s1, s4
	s_cbranch_execz .LBB743_824
; %bb.823:
	v_div_scale_f32 v2, null, v3, v3, v13
	v_rcp_f32_e32 v4, v2
	v_fma_f32 v5, -v2, v4, 1.0
	v_fmac_f32_e32 v4, v5, v4
	v_div_scale_f32 v5, vcc_lo, v13, v3, v13
	v_mul_f32_e32 v6, v5, v4
	v_fma_f32 v7, -v2, v6, v5
	v_fmac_f32_e32 v6, v7, v4
	v_fma_f32 v2, -v2, v6, v5
	v_div_fmas_f32 v2, v2, v4, v6
	v_div_fixup_f32 v2, v2, v3, v13
	v_cvt_f16_f32_e32 v2, v2
.LBB743_824:
	s_or_b32 exec_lo, exec_lo, s1
	v_readlane_b32 s0, v81, 30
	global_store_short v[0:1], v2, off offset:1792
	s_and_b32 exec_lo, exec_lo, s0
	s_cbranch_execz .LBB743_834
; %bb.825:
	v_mov_b32_e32 v2, 0x7e00
	s_and_saveexec_b32 s1, s4
	s_cbranch_execz .LBB743_827
; %bb.826:
	v_div_scale_f32 v2, null, v3, v3, v12
	v_rcp_f32_e32 v4, v2
	v_fma_f32 v5, -v2, v4, 1.0
	v_fmac_f32_e32 v4, v5, v4
	v_div_scale_f32 v5, vcc_lo, v12, v3, v12
	v_mul_f32_e32 v6, v5, v4
	v_fma_f32 v7, -v2, v6, v5
	v_fmac_f32_e32 v6, v7, v4
	v_fma_f32 v2, -v2, v6, v5
	v_div_fmas_f32 v2, v2, v4, v6
	v_div_fixup_f32 v2, v2, v3, v12
	v_cvt_f16_f32_e32 v2, v2
.LBB743_827:
	s_or_b32 exec_lo, exec_lo, s1
	v_readlane_b32 s0, v81, 31
	global_store_short v[0:1], v2, off offset:1856
	s_and_b32 exec_lo, exec_lo, s0
	s_cbranch_execz .LBB743_834
; %bb.828:
	v_mov_b32_e32 v2, 0x7e00
	s_and_saveexec_b32 s1, s4
	s_cbranch_execz .LBB743_830
; %bb.829:
	v_div_scale_f32 v2, null, v3, v3, v11
	v_rcp_f32_e32 v4, v2
	v_fma_f32 v5, -v2, v4, 1.0
	v_fmac_f32_e32 v4, v5, v4
	v_div_scale_f32 v5, vcc_lo, v11, v3, v11
	v_mul_f32_e32 v6, v5, v4
	v_fma_f32 v7, -v2, v6, v5
	v_fmac_f32_e32 v6, v7, v4
	v_fma_f32 v2, -v2, v6, v5
	v_div_fmas_f32 v2, v2, v4, v6
	v_div_fixup_f32 v2, v2, v3, v11
	v_cvt_f16_f32_e32 v2, v2
.LBB743_830:
	s_or_b32 exec_lo, exec_lo, s1
	v_readlane_b32 s0, v80, 0
	global_store_short v[0:1], v2, off offset:1920
	s_and_b32 exec_lo, exec_lo, s0
	s_cbranch_execz .LBB743_834
; %bb.831:
	v_mov_b32_e32 v2, 0x7e00
	s_and_saveexec_b32 s0, s4
	s_cbranch_execz .LBB743_833
; %bb.832:
	v_div_scale_f32 v2, null, v3, v3, v10
	v_rcp_f32_e32 v4, v2
	v_fma_f32 v5, -v2, v4, 1.0
	v_fmac_f32_e32 v4, v5, v4
	v_div_scale_f32 v5, vcc_lo, v10, v3, v10
	v_mul_f32_e32 v6, v5, v4
	v_fma_f32 v7, -v2, v6, v5
	v_fmac_f32_e32 v6, v7, v4
	v_fma_f32 v2, -v2, v6, v5
	v_div_fmas_f32 v2, v2, v4, v6
	v_div_fixup_f32 v2, v2, v3, v10
	v_cvt_f16_f32_e32 v2, v2
.LBB743_833:
	s_or_b32 exec_lo, exec_lo, s0
	global_store_short v[0:1], v2, off offset:1984
.LBB743_834:
	s_endpgm
	.section	.rodata,"a",@progbits
	.p2align	6, 0x0
	.amdhsa_kernel _ZN12_GLOBAL__N_120softmax_warp_forwardIN3c104HalfES2_fLi11ELb0ELb1ELi32EEEvPT0_PKT_iiiPKbib
		.amdhsa_group_segment_fixed_size 0
		.amdhsa_private_segment_fixed_size 0
		.amdhsa_kernarg_size 304
		.amdhsa_user_sgpr_count 6
		.amdhsa_user_sgpr_private_segment_buffer 1
		.amdhsa_user_sgpr_dispatch_ptr 0
		.amdhsa_user_sgpr_queue_ptr 0
		.amdhsa_user_sgpr_kernarg_segment_ptr 1
		.amdhsa_user_sgpr_dispatch_id 0
		.amdhsa_user_sgpr_flat_scratch_init 0
		.amdhsa_user_sgpr_private_segment_size 0
		.amdhsa_wavefront_size32 1
		.amdhsa_uses_dynamic_stack 0
		.amdhsa_system_sgpr_private_segment_wavefront_offset 0
		.amdhsa_system_sgpr_workgroup_id_x 1
		.amdhsa_system_sgpr_workgroup_id_y 0
		.amdhsa_system_sgpr_workgroup_id_z 0
		.amdhsa_system_sgpr_workgroup_info 0
		.amdhsa_system_vgpr_workitem_id 1
		.amdhsa_next_free_vgpr 82
		.amdhsa_next_free_sgpr 105
		.amdhsa_reserve_vcc 1
		.amdhsa_reserve_flat_scratch 0
		.amdhsa_float_round_mode_32 0
		.amdhsa_float_round_mode_16_64 0
		.amdhsa_float_denorm_mode_32 3
		.amdhsa_float_denorm_mode_16_64 3
		.amdhsa_dx10_clamp 1
		.amdhsa_ieee_mode 1
		.amdhsa_fp16_overflow 0
		.amdhsa_workgroup_processor_mode 1
		.amdhsa_memory_ordered 1
		.amdhsa_forward_progress 1
		.amdhsa_shared_vgpr_count 0
		.amdhsa_exception_fp_ieee_invalid_op 0
		.amdhsa_exception_fp_denorm_src 0
		.amdhsa_exception_fp_ieee_div_zero 0
		.amdhsa_exception_fp_ieee_overflow 0
		.amdhsa_exception_fp_ieee_underflow 0
		.amdhsa_exception_fp_ieee_inexact 0
		.amdhsa_exception_int_div_zero 0
	.end_amdhsa_kernel
	.section	.text._ZN12_GLOBAL__N_120softmax_warp_forwardIN3c104HalfES2_fLi11ELb0ELb1ELi32EEEvPT0_PKT_iiiPKbib,"axG",@progbits,_ZN12_GLOBAL__N_120softmax_warp_forwardIN3c104HalfES2_fLi11ELb0ELb1ELi32EEEvPT0_PKT_iiiPKbib,comdat
.Lfunc_end743:
	.size	_ZN12_GLOBAL__N_120softmax_warp_forwardIN3c104HalfES2_fLi11ELb0ELb1ELi32EEEvPT0_PKT_iiiPKbib, .Lfunc_end743-_ZN12_GLOBAL__N_120softmax_warp_forwardIN3c104HalfES2_fLi11ELb0ELb1ELi32EEEvPT0_PKT_iiiPKbib
                                        ; -- End function
	.set _ZN12_GLOBAL__N_120softmax_warp_forwardIN3c104HalfES2_fLi11ELb0ELb1ELi32EEEvPT0_PKT_iiiPKbib.num_vgpr, 82
	.set _ZN12_GLOBAL__N_120softmax_warp_forwardIN3c104HalfES2_fLi11ELb0ELb1ELi32EEEvPT0_PKT_iiiPKbib.num_agpr, 0
	.set _ZN12_GLOBAL__N_120softmax_warp_forwardIN3c104HalfES2_fLi11ELb0ELb1ELi32EEEvPT0_PKT_iiiPKbib.numbered_sgpr, 105
	.set _ZN12_GLOBAL__N_120softmax_warp_forwardIN3c104HalfES2_fLi11ELb0ELb1ELi32EEEvPT0_PKT_iiiPKbib.num_named_barrier, 0
	.set _ZN12_GLOBAL__N_120softmax_warp_forwardIN3c104HalfES2_fLi11ELb0ELb1ELi32EEEvPT0_PKT_iiiPKbib.private_seg_size, 0
	.set _ZN12_GLOBAL__N_120softmax_warp_forwardIN3c104HalfES2_fLi11ELb0ELb1ELi32EEEvPT0_PKT_iiiPKbib.uses_vcc, 1
	.set _ZN12_GLOBAL__N_120softmax_warp_forwardIN3c104HalfES2_fLi11ELb0ELb1ELi32EEEvPT0_PKT_iiiPKbib.uses_flat_scratch, 0
	.set _ZN12_GLOBAL__N_120softmax_warp_forwardIN3c104HalfES2_fLi11ELb0ELb1ELi32EEEvPT0_PKT_iiiPKbib.has_dyn_sized_stack, 0
	.set _ZN12_GLOBAL__N_120softmax_warp_forwardIN3c104HalfES2_fLi11ELb0ELb1ELi32EEEvPT0_PKT_iiiPKbib.has_recursion, 0
	.set _ZN12_GLOBAL__N_120softmax_warp_forwardIN3c104HalfES2_fLi11ELb0ELb1ELi32EEEvPT0_PKT_iiiPKbib.has_indirect_call, 0
	.section	.AMDGPU.csdata,"",@progbits
; Kernel info:
; codeLenInByte = 29732
; TotalNumSgprs: 107
; NumVgprs: 82
; ScratchSize: 0
; MemoryBound: 0
; FloatMode: 240
; IeeeMode: 1
; LDSByteSize: 0 bytes/workgroup (compile time only)
; SGPRBlocks: 0
; VGPRBlocks: 10
; NumSGPRsForWavesPerEU: 107
; NumVGPRsForWavesPerEU: 82
; Occupancy: 10
; WaveLimiterHint : 0
; COMPUTE_PGM_RSRC2:SCRATCH_EN: 0
; COMPUTE_PGM_RSRC2:USER_SGPR: 6
; COMPUTE_PGM_RSRC2:TRAP_HANDLER: 0
; COMPUTE_PGM_RSRC2:TGID_X_EN: 1
; COMPUTE_PGM_RSRC2:TGID_Y_EN: 0
; COMPUTE_PGM_RSRC2:TGID_Z_EN: 0
; COMPUTE_PGM_RSRC2:TIDIG_COMP_CNT: 1
	.section	.text._ZN12_GLOBAL__N_120softmax_warp_forwardIN3c108BFloat16ES2_fLi0ELb0ELb1ELi64EEEvPT0_PKT_iiiPKbib,"axG",@progbits,_ZN12_GLOBAL__N_120softmax_warp_forwardIN3c108BFloat16ES2_fLi0ELb0ELb1ELi64EEEvPT0_PKT_iiiPKbib,comdat
	.globl	_ZN12_GLOBAL__N_120softmax_warp_forwardIN3c108BFloat16ES2_fLi0ELb0ELb1ELi64EEEvPT0_PKT_iiiPKbib ; -- Begin function _ZN12_GLOBAL__N_120softmax_warp_forwardIN3c108BFloat16ES2_fLi0ELb0ELb1ELi64EEEvPT0_PKT_iiiPKbib
	.p2align	8
	.type	_ZN12_GLOBAL__N_120softmax_warp_forwardIN3c108BFloat16ES2_fLi0ELb0ELb1ELi64EEEvPT0_PKT_iiiPKbib,@function
_ZN12_GLOBAL__N_120softmax_warp_forwardIN3c108BFloat16ES2_fLi0ELb0ELb1ELi64EEEvPT0_PKT_iiiPKbib: ; @_ZN12_GLOBAL__N_120softmax_warp_forwardIN3c108BFloat16ES2_fLi0ELb0ELb1ELi64EEEvPT0_PKT_iiiPKbib
; %bb.0:
	s_clause 0x2
	s_load_dwordx2 s[8:9], s[4:5], 0x28
	s_load_dword s10, s[4:5], 0x3c
	s_load_dwordx4 s[0:3], s[4:5], 0x10
	s_waitcnt lgkmcnt(0)
	s_bitcmp1_b32 s9, 0
	s_cselect_b32 s7, -1, 0
	s_lshr_b32 s3, s10, 16
	s_and_b32 s3, s3, 0xffff
	s_bitcmp0_b32 s9, 0
	s_mul_i32 s6, s6, s3
	v_add_lshl_u32 v5, s6, v1, 1
	v_mul_lo_u32 v6, v5, s1
	v_add_nc_u32_e32 v1, v6, v0
	v_ashrrev_i32_e32 v2, 31, v1
	v_mov_b32_e32 v4, v2
	v_mov_b32_e32 v3, v1
	s_cbranch_scc1 .LBB744_2
; %bb.1:
	s_abs_i32 s3, s8
	v_sub_nc_u32_e32 v7, 0, v6
	v_cvt_f32_u32_e32 v3, s3
	s_sub_i32 s6, 0, s3
	v_max_i32_e32 v7, v6, v7
	v_rcp_iflag_f32_e32 v3, v3
	v_xor_b32_e32 v6, s8, v6
	v_ashrrev_i32_e32 v6, 31, v6
	v_mul_f32_e32 v3, 0x4f7ffffe, v3
	v_cvt_u32_f32_e32 v3, v3
	v_mul_lo_u32 v4, s6, v3
	v_mul_hi_u32 v4, v3, v4
	v_add_nc_u32_e32 v3, v3, v4
	v_mul_hi_u32 v3, v7, v3
	v_mul_lo_u32 v4, v3, s3
	v_sub_nc_u32_e32 v4, v7, v4
	v_add_nc_u32_e32 v7, 1, v3
	v_subrev_nc_u32_e32 v8, s3, v4
	v_cmp_le_u32_e32 vcc_lo, s3, v4
	v_cndmask_b32_e32 v3, v3, v7, vcc_lo
	v_cndmask_b32_e32 v4, v4, v8, vcc_lo
	v_add_nc_u32_e32 v7, 1, v3
	v_cmp_le_u32_e32 vcc_lo, s3, v4
	v_cndmask_b32_e32 v3, v3, v7, vcc_lo
	v_xor_b32_e32 v3, v3, v6
	v_sub_nc_u32_e32 v3, v3, v6
	v_mad_u64_u32 v[3:4], null, v3, s1, v[0:1]
	v_ashrrev_i32_e32 v4, 31, v3
.LBB744_2:
	s_load_dwordx4 s[8:11], s[4:5], 0x0
	v_lshlrev_b64 v[1:2], 1, v[1:2]
	v_sub_nc_u32_e32 v11, s0, v5
	v_cmp_gt_i32_e64 s0, s2, v0
	v_mov_b32_e32 v8, 0xff800000
	v_mov_b32_e32 v7, 0xff800000
	v_cmp_lt_i32_e32 vcc_lo, 0, v11
	s_waitcnt lgkmcnt(0)
	v_add_co_u32 v5, s1, s10, v1
	v_add_co_ci_u32_e64 v6, null, s11, v2, s1
	s_and_b32 s10, s0, vcc_lo
	s_and_saveexec_b32 s1, s10
	s_cbranch_execz .LBB744_4
; %bb.3:
	global_load_ushort v0, v[5:6], off
	s_waitcnt vmcnt(0)
	v_lshlrev_b32_e32 v7, 16, v0
.LBB744_4:
	s_or_b32 exec_lo, exec_lo, s1
	v_cmp_lt_i32_e64 s1, 1, v11
	s_and_b32 s6, s0, s1
	s_and_saveexec_b32 s11, s6
	s_cbranch_execz .LBB744_6
; %bb.5:
	s_mov_b32 s3, 0
	s_lshl_b64 s[12:13], s[2:3], 1
	v_add_co_u32 v5, s1, v5, s12
	v_add_co_ci_u32_e64 v6, null, s13, v6, s1
	global_load_ushort v0, v[5:6], off
	s_waitcnt vmcnt(0)
	v_lshlrev_b32_e32 v8, 16, v0
.LBB744_6:
	s_or_b32 exec_lo, exec_lo, s11
	s_load_dwordx2 s[4:5], s[4:5], 0x20
	v_mov_b32_e32 v12, 0xff800000
	s_waitcnt lgkmcnt(0)
	v_add_co_u32 v5, s1, s4, v3
	v_add_co_ci_u32_e64 v6, null, s5, v4, s1
	s_and_saveexec_b32 s3, s10
	s_cbranch_execz .LBB744_8
; %bb.7:
	global_load_ubyte v0, v[5:6], off
	s_waitcnt vmcnt(0)
	v_and_b32_e32 v0, 1, v0
	v_cmp_eq_u32_e64 s1, 1, v0
	v_cndmask_b32_e64 v12, v7, 0xff800000, s1
.LBB744_8:
	s_or_b32 exec_lo, exec_lo, s3
	s_xor_b32 s3, s10, -1
	s_mov_b32 s1, 0
	s_and_saveexec_b32 s4, s6
	s_cbranch_execz .LBB744_12
; %bb.9:
	s_and_b32 s1, s7, exec_lo
	s_cselect_b32 s1, 0, s2
	s_cselect_b32 s5, 0, 0
	v_add_co_u32 v3, s1, v5, s1
	v_add_co_ci_u32_e64 v4, null, s5, v6, s1
	s_mov_b32 s5, 0
	global_load_ubyte v0, v[3:4], off
	s_waitcnt vmcnt(0)
	v_and_b32_e32 v0, 1, v0
	v_cmp_eq_u32_e64 s1, 1, v0
	s_xor_b32 s10, s1, -1
	s_and_saveexec_b32 s1, s10
; %bb.10:
	s_mov_b32 s5, exec_lo
; %bb.11:
	s_or_b32 exec_lo, exec_lo, s1
	s_and_b32 s1, s5, exec_lo
.LBB744_12:
	s_or_b32 exec_lo, exec_lo, s4
	v_cndmask_b32_e64 v0, 0xff800000, v8, s1
                                        ; implicit-def: $vgpr9_vgpr10
	s_and_saveexec_b32 s1, s3
	s_xor_b32 s1, exec_lo, s1
; %bb.13:
	v_mov_b32_e32 v7, 0
	v_mov_b32_e32 v10, v8
                                        ; implicit-def: $vgpr12
	v_mov_b32_e32 v9, v7
                                        ; implicit-def: $vgpr8
                                        ; implicit-def: $vgpr7
; %bb.14:
	s_or_saveexec_b32 s3, s1
	v_mov_b32_e32 v3, 0
	s_xor_b32 s4, s6, -1
	v_mov_b32_e32 v4, v3
	s_xor_b32 exec_lo, exec_lo, s3
	s_cbranch_execz .LBB744_20
; %bb.15:
	global_load_ubyte v4, v[5:6], off
	s_waitcnt vmcnt(0)
	v_and_b32_e32 v9, 1, v4
	v_mov_b32_e32 v4, v8
	v_cmp_eq_u32_e64 s1, 1, v9
	v_mov_b32_e32 v10, v4
	v_mov_b32_e32 v9, v3
	s_xor_b32 s1, s1, -1
	s_and_saveexec_b32 s5, s1
	s_xor_b32 s5, exec_lo, s5
	s_cbranch_execz .LBB744_17
; %bb.16:
	v_sub_f32_e32 v4, v7, v12
	v_mov_b32_e32 v13, v3
	v_mul_f32_e32 v7, 0x3fb8aa3b, v4
	v_cmp_ngt_f32_e64 s1, 0xc2ce8ed0, v4
	v_fma_f32 v9, 0x3fb8aa3b, v4, -v7
	v_rndne_f32_e32 v10, v7
	v_fmamk_f32 v9, v4, 0x32a5705f, v9
	v_sub_f32_e32 v7, v7, v10
	v_add_f32_e32 v7, v7, v9
	v_cvt_i32_f32_e32 v9, v10
	v_exp_f32_e32 v7, v7
	v_ldexp_f32 v7, v7, v9
	v_cndmask_b32_e64 v7, 0, v7, s1
	v_cmp_nlt_f32_e64 s1, 0x42b17218, v4
	v_cndmask_b32_e64 v7, 0x7f800000, v7, s1
	v_mov_b32_e32 v10, v8
	v_mov_b32_e32 v12, v7
	v_mov_b32_e32 v9, v7
	v_mov_b32_e32 v3, v12
	v_mov_b32_e32 v4, v13
.LBB744_17:
	s_andn2_saveexec_b32 s1, s5
; %bb.18:
	v_mov_b32_e32 v3, 0
	v_mov_b32_e32 v4, v3
; %bb.19:
	s_or_b32 exec_lo, exec_lo, s1
.LBB744_20:
	s_or_b32 exec_lo, exec_lo, s3
                                        ; implicit-def: $vgpr7_vgpr8
	s_and_saveexec_b32 s1, s4
	s_xor_b32 s1, exec_lo, s1
	s_cbranch_execz .LBB744_23
; %bb.21:
	v_mov_b32_e32 v10, 0
	v_mov_b32_e32 v7, v9
                                        ; implicit-def: $vgpr5
                                        ; implicit-def: $vgpr0
	v_mov_b32_e32 v8, v10
                                        ; implicit-def: $vgpr9_vgpr10
	s_andn2_saveexec_b32 s3, s1
	s_cbranch_execnz .LBB744_24
.LBB744_22:
	s_or_b32 exec_lo, exec_lo, s3
	s_and_saveexec_b32 s1, vcc_lo
	s_cbranch_execnz .LBB744_27
	s_branch .LBB744_35
.LBB744_23:
	s_andn2_saveexec_b32 s3, s1
	s_cbranch_execz .LBB744_22
.LBB744_24:
	s_and_b32 s1, s7, exec_lo
	s_cselect_b32 s1, 0, s2
	s_cselect_b32 s4, 0, 0
	v_add_co_u32 v5, s1, v5, s1
	v_add_co_ci_u32_e64 v6, null, s4, v6, s1
	v_mov_b32_e32 v8, 0
	v_mov_b32_e32 v7, v9
	global_load_ubyte v5, v[5:6], off
	s_waitcnt vmcnt(0)
	v_and_b32_e32 v5, 1, v5
	v_cmp_eq_u32_e64 s1, 1, v5
	s_xor_b32 s1, s1, -1
	s_and_saveexec_b32 s4, s1
	s_xor_b32 s4, exec_lo, s4
	s_cbranch_execz .LBB744_26
; %bb.25:
	v_sub_f32_e32 v0, v10, v0
	v_mul_f32_e32 v5, 0x3fb8aa3b, v0
	v_cmp_ngt_f32_e64 s1, 0xc2ce8ed0, v0
	v_fma_f32 v6, 0x3fb8aa3b, v0, -v5
	v_rndne_f32_e32 v7, v5
	v_fmamk_f32 v6, v0, 0x32a5705f, v6
	v_sub_f32_e32 v5, v5, v7
	v_add_f32_e32 v5, v5, v6
	v_cvt_i32_f32_e32 v6, v7
	v_exp_f32_e32 v5, v5
	v_ldexp_f32 v5, v5, v6
	v_cndmask_b32_e64 v5, 0, v5, s1
	v_cmp_nlt_f32_e64 s1, 0x42b17218, v0
	v_cndmask_b32_e64 v10, 0x7f800000, v5, s1
	v_mov_b32_e32 v7, v9
	v_add_f32_e32 v4, v4, v10
	v_mov_b32_e32 v8, v10
.LBB744_26:
	s_andn2_saveexec_b32 s1, s4
	s_or_b32 exec_lo, exec_lo, s1
	s_or_b32 exec_lo, exec_lo, s3
	s_and_saveexec_b32 s1, vcc_lo
	s_cbranch_execz .LBB744_35
.LBB744_27:
	v_add_co_u32 v0, vcc_lo, s8, v1
	v_add_co_ci_u32_e64 v1, null, s9, v2, vcc_lo
	s_and_saveexec_b32 s1, s0
	s_cbranch_execz .LBB744_31
; %bb.28:
	v_mov_b32_e32 v2, 0x7fc0
	s_mov_b32 s3, exec_lo
	v_cmpx_neq_f32_e32 0, v3
	s_cbranch_execz .LBB744_30
; %bb.29:
	v_div_scale_f32 v2, null, v3, v3, v7
	v_div_scale_f32 v9, vcc_lo, v7, v3, v7
	v_rcp_f32_e32 v5, v2
	v_fma_f32 v6, -v2, v5, 1.0
	v_fmac_f32_e32 v5, v6, v5
	v_mul_f32_e32 v6, v9, v5
	v_fma_f32 v10, -v2, v6, v9
	v_fmac_f32_e32 v6, v10, v5
	v_fma_f32 v2, -v2, v6, v9
	v_div_fmas_f32 v2, v2, v5, v6
	v_div_fixup_f32 v2, v2, v3, v7
	v_bfe_u32 v3, v2, 16, 1
	v_cmp_o_f32_e32 vcc_lo, v2, v2
	v_add3_u32 v2, v2, v3, 0x7fff
	v_mov_b32_e32 v3, 0x7fc0
	v_cndmask_b32_sdwa v2, v3, v2, vcc_lo dst_sel:DWORD dst_unused:UNUSED_PAD src0_sel:DWORD src1_sel:WORD_1
.LBB744_30:
	s_or_b32 exec_lo, exec_lo, s3
	global_store_short v[0:1], v2, off
.LBB744_31:
	s_or_b32 exec_lo, exec_lo, s1
	v_cmp_ne_u32_e32 vcc_lo, 1, v11
	s_and_b32 s0, vcc_lo, s0
	s_and_b32 exec_lo, exec_lo, s0
	s_cbranch_execz .LBB744_35
; %bb.32:
	v_mov_b32_e32 v2, 0x7fc0
	s_mov_b32 s3, 0
	s_mov_b32 s0, exec_lo
	v_cmpx_neq_f32_e32 0, v4
	s_cbranch_execz .LBB744_34
; %bb.33:
	v_div_scale_f32 v2, null, v4, v4, v8
	v_div_scale_f32 v6, vcc_lo, v8, v4, v8
	v_rcp_f32_e32 v3, v2
	v_fma_f32 v5, -v2, v3, 1.0
	v_fmac_f32_e32 v3, v5, v3
	v_mul_f32_e32 v5, v6, v3
	v_fma_f32 v7, -v2, v5, v6
	v_fmac_f32_e32 v5, v7, v3
	v_fma_f32 v2, -v2, v5, v6
	v_div_fmas_f32 v2, v2, v3, v5
	v_div_fixup_f32 v2, v2, v4, v8
	v_bfe_u32 v3, v2, 16, 1
	v_cmp_o_f32_e32 vcc_lo, v2, v2
	v_add3_u32 v2, v2, v3, 0x7fff
	v_mov_b32_e32 v3, 0x7fc0
	v_cndmask_b32_sdwa v2, v3, v2, vcc_lo dst_sel:DWORD dst_unused:UNUSED_PAD src0_sel:DWORD src1_sel:WORD_1
.LBB744_34:
	s_or_b32 exec_lo, exec_lo, s0
	s_lshl_b64 s[0:1], s[2:3], 1
	v_add_co_u32 v0, vcc_lo, v0, s0
	v_add_co_ci_u32_e64 v1, null, s1, v1, vcc_lo
	global_store_short v[0:1], v2, off
	s_endpgm
.LBB744_35:
	s_endpgm
	.section	.rodata,"a",@progbits
	.p2align	6, 0x0
	.amdhsa_kernel _ZN12_GLOBAL__N_120softmax_warp_forwardIN3c108BFloat16ES2_fLi0ELb0ELb1ELi64EEEvPT0_PKT_iiiPKbib
		.amdhsa_group_segment_fixed_size 0
		.amdhsa_private_segment_fixed_size 0
		.amdhsa_kernarg_size 304
		.amdhsa_user_sgpr_count 6
		.amdhsa_user_sgpr_private_segment_buffer 1
		.amdhsa_user_sgpr_dispatch_ptr 0
		.amdhsa_user_sgpr_queue_ptr 0
		.amdhsa_user_sgpr_kernarg_segment_ptr 1
		.amdhsa_user_sgpr_dispatch_id 0
		.amdhsa_user_sgpr_flat_scratch_init 0
		.amdhsa_user_sgpr_private_segment_size 0
		.amdhsa_wavefront_size32 1
		.amdhsa_uses_dynamic_stack 0
		.amdhsa_system_sgpr_private_segment_wavefront_offset 0
		.amdhsa_system_sgpr_workgroup_id_x 1
		.amdhsa_system_sgpr_workgroup_id_y 0
		.amdhsa_system_sgpr_workgroup_id_z 0
		.amdhsa_system_sgpr_workgroup_info 0
		.amdhsa_system_vgpr_workitem_id 1
		.amdhsa_next_free_vgpr 14
		.amdhsa_next_free_sgpr 14
		.amdhsa_reserve_vcc 1
		.amdhsa_reserve_flat_scratch 0
		.amdhsa_float_round_mode_32 0
		.amdhsa_float_round_mode_16_64 0
		.amdhsa_float_denorm_mode_32 3
		.amdhsa_float_denorm_mode_16_64 3
		.amdhsa_dx10_clamp 1
		.amdhsa_ieee_mode 1
		.amdhsa_fp16_overflow 0
		.amdhsa_workgroup_processor_mode 1
		.amdhsa_memory_ordered 1
		.amdhsa_forward_progress 1
		.amdhsa_shared_vgpr_count 0
		.amdhsa_exception_fp_ieee_invalid_op 0
		.amdhsa_exception_fp_denorm_src 0
		.amdhsa_exception_fp_ieee_div_zero 0
		.amdhsa_exception_fp_ieee_overflow 0
		.amdhsa_exception_fp_ieee_underflow 0
		.amdhsa_exception_fp_ieee_inexact 0
		.amdhsa_exception_int_div_zero 0
	.end_amdhsa_kernel
	.section	.text._ZN12_GLOBAL__N_120softmax_warp_forwardIN3c108BFloat16ES2_fLi0ELb0ELb1ELi64EEEvPT0_PKT_iiiPKbib,"axG",@progbits,_ZN12_GLOBAL__N_120softmax_warp_forwardIN3c108BFloat16ES2_fLi0ELb0ELb1ELi64EEEvPT0_PKT_iiiPKbib,comdat
.Lfunc_end744:
	.size	_ZN12_GLOBAL__N_120softmax_warp_forwardIN3c108BFloat16ES2_fLi0ELb0ELb1ELi64EEEvPT0_PKT_iiiPKbib, .Lfunc_end744-_ZN12_GLOBAL__N_120softmax_warp_forwardIN3c108BFloat16ES2_fLi0ELb0ELb1ELi64EEEvPT0_PKT_iiiPKbib
                                        ; -- End function
	.set _ZN12_GLOBAL__N_120softmax_warp_forwardIN3c108BFloat16ES2_fLi0ELb0ELb1ELi64EEEvPT0_PKT_iiiPKbib.num_vgpr, 14
	.set _ZN12_GLOBAL__N_120softmax_warp_forwardIN3c108BFloat16ES2_fLi0ELb0ELb1ELi64EEEvPT0_PKT_iiiPKbib.num_agpr, 0
	.set _ZN12_GLOBAL__N_120softmax_warp_forwardIN3c108BFloat16ES2_fLi0ELb0ELb1ELi64EEEvPT0_PKT_iiiPKbib.numbered_sgpr, 14
	.set _ZN12_GLOBAL__N_120softmax_warp_forwardIN3c108BFloat16ES2_fLi0ELb0ELb1ELi64EEEvPT0_PKT_iiiPKbib.num_named_barrier, 0
	.set _ZN12_GLOBAL__N_120softmax_warp_forwardIN3c108BFloat16ES2_fLi0ELb0ELb1ELi64EEEvPT0_PKT_iiiPKbib.private_seg_size, 0
	.set _ZN12_GLOBAL__N_120softmax_warp_forwardIN3c108BFloat16ES2_fLi0ELb0ELb1ELi64EEEvPT0_PKT_iiiPKbib.uses_vcc, 1
	.set _ZN12_GLOBAL__N_120softmax_warp_forwardIN3c108BFloat16ES2_fLi0ELb0ELb1ELi64EEEvPT0_PKT_iiiPKbib.uses_flat_scratch, 0
	.set _ZN12_GLOBAL__N_120softmax_warp_forwardIN3c108BFloat16ES2_fLi0ELb0ELb1ELi64EEEvPT0_PKT_iiiPKbib.has_dyn_sized_stack, 0
	.set _ZN12_GLOBAL__N_120softmax_warp_forwardIN3c108BFloat16ES2_fLi0ELb0ELb1ELi64EEEvPT0_PKT_iiiPKbib.has_recursion, 0
	.set _ZN12_GLOBAL__N_120softmax_warp_forwardIN3c108BFloat16ES2_fLi0ELb0ELb1ELi64EEEvPT0_PKT_iiiPKbib.has_indirect_call, 0
	.section	.AMDGPU.csdata,"",@progbits
; Kernel info:
; codeLenInByte = 1464
; TotalNumSgprs: 16
; NumVgprs: 14
; ScratchSize: 0
; MemoryBound: 0
; FloatMode: 240
; IeeeMode: 1
; LDSByteSize: 0 bytes/workgroup (compile time only)
; SGPRBlocks: 0
; VGPRBlocks: 1
; NumSGPRsForWavesPerEU: 16
; NumVGPRsForWavesPerEU: 14
; Occupancy: 16
; WaveLimiterHint : 0
; COMPUTE_PGM_RSRC2:SCRATCH_EN: 0
; COMPUTE_PGM_RSRC2:USER_SGPR: 6
; COMPUTE_PGM_RSRC2:TRAP_HANDLER: 0
; COMPUTE_PGM_RSRC2:TGID_X_EN: 1
; COMPUTE_PGM_RSRC2:TGID_Y_EN: 0
; COMPUTE_PGM_RSRC2:TGID_Z_EN: 0
; COMPUTE_PGM_RSRC2:TIDIG_COMP_CNT: 1
	.section	.text._ZN12_GLOBAL__N_120softmax_warp_forwardIN3c108BFloat16ES2_fLi0ELb0ELb1ELi32EEEvPT0_PKT_iiiPKbib,"axG",@progbits,_ZN12_GLOBAL__N_120softmax_warp_forwardIN3c108BFloat16ES2_fLi0ELb0ELb1ELi32EEEvPT0_PKT_iiiPKbib,comdat
	.globl	_ZN12_GLOBAL__N_120softmax_warp_forwardIN3c108BFloat16ES2_fLi0ELb0ELb1ELi32EEEvPT0_PKT_iiiPKbib ; -- Begin function _ZN12_GLOBAL__N_120softmax_warp_forwardIN3c108BFloat16ES2_fLi0ELb0ELb1ELi32EEEvPT0_PKT_iiiPKbib
	.p2align	8
	.type	_ZN12_GLOBAL__N_120softmax_warp_forwardIN3c108BFloat16ES2_fLi0ELb0ELb1ELi32EEEvPT0_PKT_iiiPKbib,@function
_ZN12_GLOBAL__N_120softmax_warp_forwardIN3c108BFloat16ES2_fLi0ELb0ELb1ELi32EEEvPT0_PKT_iiiPKbib: ; @_ZN12_GLOBAL__N_120softmax_warp_forwardIN3c108BFloat16ES2_fLi0ELb0ELb1ELi32EEEvPT0_PKT_iiiPKbib
; %bb.0:
	s_clause 0x2
	s_load_dwordx2 s[8:9], s[4:5], 0x28
	s_load_dword s10, s[4:5], 0x3c
	s_load_dwordx4 s[0:3], s[4:5], 0x10
	s_waitcnt lgkmcnt(0)
	s_bitcmp1_b32 s9, 0
	s_cselect_b32 s7, -1, 0
	s_lshr_b32 s3, s10, 16
	s_and_b32 s3, s3, 0xffff
	s_bitcmp0_b32 s9, 0
	s_mul_i32 s6, s6, s3
	v_add_lshl_u32 v5, s6, v1, 1
	v_mul_lo_u32 v6, v5, s1
	v_add_nc_u32_e32 v1, v6, v0
	v_ashrrev_i32_e32 v2, 31, v1
	v_mov_b32_e32 v4, v2
	v_mov_b32_e32 v3, v1
	s_cbranch_scc1 .LBB745_2
; %bb.1:
	s_abs_i32 s3, s8
	v_sub_nc_u32_e32 v7, 0, v6
	v_cvt_f32_u32_e32 v3, s3
	s_sub_i32 s6, 0, s3
	v_max_i32_e32 v7, v6, v7
	v_rcp_iflag_f32_e32 v3, v3
	v_xor_b32_e32 v6, s8, v6
	v_ashrrev_i32_e32 v6, 31, v6
	v_mul_f32_e32 v3, 0x4f7ffffe, v3
	v_cvt_u32_f32_e32 v3, v3
	v_mul_lo_u32 v4, s6, v3
	v_mul_hi_u32 v4, v3, v4
	v_add_nc_u32_e32 v3, v3, v4
	v_mul_hi_u32 v3, v7, v3
	v_mul_lo_u32 v4, v3, s3
	v_sub_nc_u32_e32 v4, v7, v4
	v_add_nc_u32_e32 v7, 1, v3
	v_subrev_nc_u32_e32 v8, s3, v4
	v_cmp_le_u32_e32 vcc_lo, s3, v4
	v_cndmask_b32_e32 v3, v3, v7, vcc_lo
	v_cndmask_b32_e32 v4, v4, v8, vcc_lo
	v_add_nc_u32_e32 v7, 1, v3
	v_cmp_le_u32_e32 vcc_lo, s3, v4
	v_cndmask_b32_e32 v3, v3, v7, vcc_lo
	v_xor_b32_e32 v3, v3, v6
	v_sub_nc_u32_e32 v3, v3, v6
	v_mad_u64_u32 v[3:4], null, v3, s1, v[0:1]
	v_ashrrev_i32_e32 v4, 31, v3
.LBB745_2:
	s_load_dwordx4 s[8:11], s[4:5], 0x0
	v_lshlrev_b64 v[1:2], 1, v[1:2]
	v_sub_nc_u32_e32 v11, s0, v5
	v_cmp_gt_i32_e64 s0, s2, v0
	v_mov_b32_e32 v8, 0xff800000
	v_mov_b32_e32 v7, 0xff800000
	v_cmp_lt_i32_e32 vcc_lo, 0, v11
	s_waitcnt lgkmcnt(0)
	v_add_co_u32 v5, s1, s10, v1
	v_add_co_ci_u32_e64 v6, null, s11, v2, s1
	s_and_b32 s10, s0, vcc_lo
	s_and_saveexec_b32 s1, s10
	s_cbranch_execz .LBB745_4
; %bb.3:
	global_load_ushort v0, v[5:6], off
	s_waitcnt vmcnt(0)
	v_lshlrev_b32_e32 v7, 16, v0
.LBB745_4:
	s_or_b32 exec_lo, exec_lo, s1
	v_cmp_lt_i32_e64 s1, 1, v11
	s_and_b32 s6, s0, s1
	s_and_saveexec_b32 s11, s6
	s_cbranch_execz .LBB745_6
; %bb.5:
	s_mov_b32 s3, 0
	s_lshl_b64 s[12:13], s[2:3], 1
	v_add_co_u32 v5, s1, v5, s12
	v_add_co_ci_u32_e64 v6, null, s13, v6, s1
	global_load_ushort v0, v[5:6], off
	s_waitcnt vmcnt(0)
	v_lshlrev_b32_e32 v8, 16, v0
.LBB745_6:
	s_or_b32 exec_lo, exec_lo, s11
	s_load_dwordx2 s[4:5], s[4:5], 0x20
	v_mov_b32_e32 v12, 0xff800000
	s_waitcnt lgkmcnt(0)
	v_add_co_u32 v5, s1, s4, v3
	v_add_co_ci_u32_e64 v6, null, s5, v4, s1
	s_and_saveexec_b32 s3, s10
	s_cbranch_execz .LBB745_8
; %bb.7:
	global_load_ubyte v0, v[5:6], off
	s_waitcnt vmcnt(0)
	v_and_b32_e32 v0, 1, v0
	v_cmp_eq_u32_e64 s1, 1, v0
	v_cndmask_b32_e64 v12, v7, 0xff800000, s1
.LBB745_8:
	s_or_b32 exec_lo, exec_lo, s3
	s_xor_b32 s3, s10, -1
	s_mov_b32 s1, 0
	s_and_saveexec_b32 s4, s6
	s_cbranch_execz .LBB745_12
; %bb.9:
	s_and_b32 s1, s7, exec_lo
	s_cselect_b32 s1, 0, s2
	s_cselect_b32 s5, 0, 0
	v_add_co_u32 v3, s1, v5, s1
	v_add_co_ci_u32_e64 v4, null, s5, v6, s1
	s_mov_b32 s5, 0
	global_load_ubyte v0, v[3:4], off
	s_waitcnt vmcnt(0)
	v_and_b32_e32 v0, 1, v0
	v_cmp_eq_u32_e64 s1, 1, v0
	s_xor_b32 s10, s1, -1
	s_and_saveexec_b32 s1, s10
; %bb.10:
	s_mov_b32 s5, exec_lo
; %bb.11:
	s_or_b32 exec_lo, exec_lo, s1
	s_and_b32 s1, s5, exec_lo
.LBB745_12:
	s_or_b32 exec_lo, exec_lo, s4
	v_cndmask_b32_e64 v0, 0xff800000, v8, s1
                                        ; implicit-def: $vgpr9_vgpr10
	s_and_saveexec_b32 s1, s3
	s_xor_b32 s1, exec_lo, s1
; %bb.13:
	v_mov_b32_e32 v7, 0
	v_mov_b32_e32 v10, v8
                                        ; implicit-def: $vgpr12
	v_mov_b32_e32 v9, v7
                                        ; implicit-def: $vgpr8
                                        ; implicit-def: $vgpr7
; %bb.14:
	s_or_saveexec_b32 s3, s1
	v_mov_b32_e32 v3, 0
	s_xor_b32 s4, s6, -1
	v_mov_b32_e32 v4, v3
	s_xor_b32 exec_lo, exec_lo, s3
	s_cbranch_execz .LBB745_20
; %bb.15:
	global_load_ubyte v4, v[5:6], off
	s_waitcnt vmcnt(0)
	v_and_b32_e32 v9, 1, v4
	v_mov_b32_e32 v4, v8
	v_cmp_eq_u32_e64 s1, 1, v9
	v_mov_b32_e32 v10, v4
	v_mov_b32_e32 v9, v3
	s_xor_b32 s1, s1, -1
	s_and_saveexec_b32 s5, s1
	s_xor_b32 s5, exec_lo, s5
	s_cbranch_execz .LBB745_17
; %bb.16:
	v_sub_f32_e32 v4, v7, v12
	v_mov_b32_e32 v13, v3
	v_mul_f32_e32 v7, 0x3fb8aa3b, v4
	v_cmp_ngt_f32_e64 s1, 0xc2ce8ed0, v4
	v_fma_f32 v9, 0x3fb8aa3b, v4, -v7
	v_rndne_f32_e32 v10, v7
	v_fmamk_f32 v9, v4, 0x32a5705f, v9
	v_sub_f32_e32 v7, v7, v10
	v_add_f32_e32 v7, v7, v9
	v_cvt_i32_f32_e32 v9, v10
	v_exp_f32_e32 v7, v7
	v_ldexp_f32 v7, v7, v9
	v_cndmask_b32_e64 v7, 0, v7, s1
	v_cmp_nlt_f32_e64 s1, 0x42b17218, v4
	v_cndmask_b32_e64 v7, 0x7f800000, v7, s1
	v_mov_b32_e32 v10, v8
	v_mov_b32_e32 v12, v7
	;; [unrolled: 1-line block ×5, first 2 shown]
.LBB745_17:
	s_andn2_saveexec_b32 s1, s5
; %bb.18:
	v_mov_b32_e32 v3, 0
	v_mov_b32_e32 v4, v3
; %bb.19:
	s_or_b32 exec_lo, exec_lo, s1
.LBB745_20:
	s_or_b32 exec_lo, exec_lo, s3
                                        ; implicit-def: $vgpr7_vgpr8
	s_and_saveexec_b32 s1, s4
	s_xor_b32 s1, exec_lo, s1
	s_cbranch_execz .LBB745_23
; %bb.21:
	v_mov_b32_e32 v10, 0
	v_mov_b32_e32 v7, v9
                                        ; implicit-def: $vgpr5
                                        ; implicit-def: $vgpr0
	v_mov_b32_e32 v8, v10
                                        ; implicit-def: $vgpr9_vgpr10
	s_andn2_saveexec_b32 s3, s1
	s_cbranch_execnz .LBB745_24
.LBB745_22:
	s_or_b32 exec_lo, exec_lo, s3
	s_and_saveexec_b32 s1, vcc_lo
	s_cbranch_execnz .LBB745_27
	s_branch .LBB745_35
.LBB745_23:
	s_andn2_saveexec_b32 s3, s1
	s_cbranch_execz .LBB745_22
.LBB745_24:
	s_and_b32 s1, s7, exec_lo
	s_cselect_b32 s1, 0, s2
	s_cselect_b32 s4, 0, 0
	v_add_co_u32 v5, s1, v5, s1
	v_add_co_ci_u32_e64 v6, null, s4, v6, s1
	v_mov_b32_e32 v8, 0
	v_mov_b32_e32 v7, v9
	global_load_ubyte v5, v[5:6], off
	s_waitcnt vmcnt(0)
	v_and_b32_e32 v5, 1, v5
	v_cmp_eq_u32_e64 s1, 1, v5
	s_xor_b32 s1, s1, -1
	s_and_saveexec_b32 s4, s1
	s_xor_b32 s4, exec_lo, s4
	s_cbranch_execz .LBB745_26
; %bb.25:
	v_sub_f32_e32 v0, v10, v0
	v_mul_f32_e32 v5, 0x3fb8aa3b, v0
	v_cmp_ngt_f32_e64 s1, 0xc2ce8ed0, v0
	v_fma_f32 v6, 0x3fb8aa3b, v0, -v5
	v_rndne_f32_e32 v7, v5
	v_fmamk_f32 v6, v0, 0x32a5705f, v6
	v_sub_f32_e32 v5, v5, v7
	v_add_f32_e32 v5, v5, v6
	v_cvt_i32_f32_e32 v6, v7
	v_exp_f32_e32 v5, v5
	v_ldexp_f32 v5, v5, v6
	v_cndmask_b32_e64 v5, 0, v5, s1
	v_cmp_nlt_f32_e64 s1, 0x42b17218, v0
	v_cndmask_b32_e64 v10, 0x7f800000, v5, s1
	v_mov_b32_e32 v7, v9
	v_add_f32_e32 v4, v4, v10
	v_mov_b32_e32 v8, v10
.LBB745_26:
	s_andn2_saveexec_b32 s1, s4
	s_or_b32 exec_lo, exec_lo, s1
	s_or_b32 exec_lo, exec_lo, s3
	s_and_saveexec_b32 s1, vcc_lo
	s_cbranch_execz .LBB745_35
.LBB745_27:
	v_add_co_u32 v0, vcc_lo, s8, v1
	v_add_co_ci_u32_e64 v1, null, s9, v2, vcc_lo
	s_and_saveexec_b32 s1, s0
	s_cbranch_execz .LBB745_31
; %bb.28:
	v_mov_b32_e32 v2, 0x7fc0
	s_mov_b32 s3, exec_lo
	v_cmpx_neq_f32_e32 0, v3
	s_cbranch_execz .LBB745_30
; %bb.29:
	v_div_scale_f32 v2, null, v3, v3, v7
	v_div_scale_f32 v9, vcc_lo, v7, v3, v7
	v_rcp_f32_e32 v5, v2
	v_fma_f32 v6, -v2, v5, 1.0
	v_fmac_f32_e32 v5, v6, v5
	v_mul_f32_e32 v6, v9, v5
	v_fma_f32 v10, -v2, v6, v9
	v_fmac_f32_e32 v6, v10, v5
	v_fma_f32 v2, -v2, v6, v9
	v_div_fmas_f32 v2, v2, v5, v6
	v_div_fixup_f32 v2, v2, v3, v7
	v_bfe_u32 v3, v2, 16, 1
	v_cmp_o_f32_e32 vcc_lo, v2, v2
	v_add3_u32 v2, v2, v3, 0x7fff
	v_mov_b32_e32 v3, 0x7fc0
	v_cndmask_b32_sdwa v2, v3, v2, vcc_lo dst_sel:DWORD dst_unused:UNUSED_PAD src0_sel:DWORD src1_sel:WORD_1
.LBB745_30:
	s_or_b32 exec_lo, exec_lo, s3
	global_store_short v[0:1], v2, off
.LBB745_31:
	s_or_b32 exec_lo, exec_lo, s1
	v_cmp_ne_u32_e32 vcc_lo, 1, v11
	s_and_b32 s0, vcc_lo, s0
	s_and_b32 exec_lo, exec_lo, s0
	s_cbranch_execz .LBB745_35
; %bb.32:
	v_mov_b32_e32 v2, 0x7fc0
	s_mov_b32 s3, 0
	s_mov_b32 s0, exec_lo
	v_cmpx_neq_f32_e32 0, v4
	s_cbranch_execz .LBB745_34
; %bb.33:
	v_div_scale_f32 v2, null, v4, v4, v8
	v_div_scale_f32 v6, vcc_lo, v8, v4, v8
	v_rcp_f32_e32 v3, v2
	v_fma_f32 v5, -v2, v3, 1.0
	v_fmac_f32_e32 v3, v5, v3
	v_mul_f32_e32 v5, v6, v3
	v_fma_f32 v7, -v2, v5, v6
	v_fmac_f32_e32 v5, v7, v3
	v_fma_f32 v2, -v2, v5, v6
	v_div_fmas_f32 v2, v2, v3, v5
	v_div_fixup_f32 v2, v2, v4, v8
	v_bfe_u32 v3, v2, 16, 1
	v_cmp_o_f32_e32 vcc_lo, v2, v2
	v_add3_u32 v2, v2, v3, 0x7fff
	v_mov_b32_e32 v3, 0x7fc0
	v_cndmask_b32_sdwa v2, v3, v2, vcc_lo dst_sel:DWORD dst_unused:UNUSED_PAD src0_sel:DWORD src1_sel:WORD_1
.LBB745_34:
	s_or_b32 exec_lo, exec_lo, s0
	s_lshl_b64 s[0:1], s[2:3], 1
	v_add_co_u32 v0, vcc_lo, v0, s0
	v_add_co_ci_u32_e64 v1, null, s1, v1, vcc_lo
	global_store_short v[0:1], v2, off
	s_endpgm
.LBB745_35:
	s_endpgm
	.section	.rodata,"a",@progbits
	.p2align	6, 0x0
	.amdhsa_kernel _ZN12_GLOBAL__N_120softmax_warp_forwardIN3c108BFloat16ES2_fLi0ELb0ELb1ELi32EEEvPT0_PKT_iiiPKbib
		.amdhsa_group_segment_fixed_size 0
		.amdhsa_private_segment_fixed_size 0
		.amdhsa_kernarg_size 304
		.amdhsa_user_sgpr_count 6
		.amdhsa_user_sgpr_private_segment_buffer 1
		.amdhsa_user_sgpr_dispatch_ptr 0
		.amdhsa_user_sgpr_queue_ptr 0
		.amdhsa_user_sgpr_kernarg_segment_ptr 1
		.amdhsa_user_sgpr_dispatch_id 0
		.amdhsa_user_sgpr_flat_scratch_init 0
		.amdhsa_user_sgpr_private_segment_size 0
		.amdhsa_wavefront_size32 1
		.amdhsa_uses_dynamic_stack 0
		.amdhsa_system_sgpr_private_segment_wavefront_offset 0
		.amdhsa_system_sgpr_workgroup_id_x 1
		.amdhsa_system_sgpr_workgroup_id_y 0
		.amdhsa_system_sgpr_workgroup_id_z 0
		.amdhsa_system_sgpr_workgroup_info 0
		.amdhsa_system_vgpr_workitem_id 1
		.amdhsa_next_free_vgpr 14
		.amdhsa_next_free_sgpr 14
		.amdhsa_reserve_vcc 1
		.amdhsa_reserve_flat_scratch 0
		.amdhsa_float_round_mode_32 0
		.amdhsa_float_round_mode_16_64 0
		.amdhsa_float_denorm_mode_32 3
		.amdhsa_float_denorm_mode_16_64 3
		.amdhsa_dx10_clamp 1
		.amdhsa_ieee_mode 1
		.amdhsa_fp16_overflow 0
		.amdhsa_workgroup_processor_mode 1
		.amdhsa_memory_ordered 1
		.amdhsa_forward_progress 1
		.amdhsa_shared_vgpr_count 0
		.amdhsa_exception_fp_ieee_invalid_op 0
		.amdhsa_exception_fp_denorm_src 0
		.amdhsa_exception_fp_ieee_div_zero 0
		.amdhsa_exception_fp_ieee_overflow 0
		.amdhsa_exception_fp_ieee_underflow 0
		.amdhsa_exception_fp_ieee_inexact 0
		.amdhsa_exception_int_div_zero 0
	.end_amdhsa_kernel
	.section	.text._ZN12_GLOBAL__N_120softmax_warp_forwardIN3c108BFloat16ES2_fLi0ELb0ELb1ELi32EEEvPT0_PKT_iiiPKbib,"axG",@progbits,_ZN12_GLOBAL__N_120softmax_warp_forwardIN3c108BFloat16ES2_fLi0ELb0ELb1ELi32EEEvPT0_PKT_iiiPKbib,comdat
.Lfunc_end745:
	.size	_ZN12_GLOBAL__N_120softmax_warp_forwardIN3c108BFloat16ES2_fLi0ELb0ELb1ELi32EEEvPT0_PKT_iiiPKbib, .Lfunc_end745-_ZN12_GLOBAL__N_120softmax_warp_forwardIN3c108BFloat16ES2_fLi0ELb0ELb1ELi32EEEvPT0_PKT_iiiPKbib
                                        ; -- End function
	.set _ZN12_GLOBAL__N_120softmax_warp_forwardIN3c108BFloat16ES2_fLi0ELb0ELb1ELi32EEEvPT0_PKT_iiiPKbib.num_vgpr, 14
	.set _ZN12_GLOBAL__N_120softmax_warp_forwardIN3c108BFloat16ES2_fLi0ELb0ELb1ELi32EEEvPT0_PKT_iiiPKbib.num_agpr, 0
	.set _ZN12_GLOBAL__N_120softmax_warp_forwardIN3c108BFloat16ES2_fLi0ELb0ELb1ELi32EEEvPT0_PKT_iiiPKbib.numbered_sgpr, 14
	.set _ZN12_GLOBAL__N_120softmax_warp_forwardIN3c108BFloat16ES2_fLi0ELb0ELb1ELi32EEEvPT0_PKT_iiiPKbib.num_named_barrier, 0
	.set _ZN12_GLOBAL__N_120softmax_warp_forwardIN3c108BFloat16ES2_fLi0ELb0ELb1ELi32EEEvPT0_PKT_iiiPKbib.private_seg_size, 0
	.set _ZN12_GLOBAL__N_120softmax_warp_forwardIN3c108BFloat16ES2_fLi0ELb0ELb1ELi32EEEvPT0_PKT_iiiPKbib.uses_vcc, 1
	.set _ZN12_GLOBAL__N_120softmax_warp_forwardIN3c108BFloat16ES2_fLi0ELb0ELb1ELi32EEEvPT0_PKT_iiiPKbib.uses_flat_scratch, 0
	.set _ZN12_GLOBAL__N_120softmax_warp_forwardIN3c108BFloat16ES2_fLi0ELb0ELb1ELi32EEEvPT0_PKT_iiiPKbib.has_dyn_sized_stack, 0
	.set _ZN12_GLOBAL__N_120softmax_warp_forwardIN3c108BFloat16ES2_fLi0ELb0ELb1ELi32EEEvPT0_PKT_iiiPKbib.has_recursion, 0
	.set _ZN12_GLOBAL__N_120softmax_warp_forwardIN3c108BFloat16ES2_fLi0ELb0ELb1ELi32EEEvPT0_PKT_iiiPKbib.has_indirect_call, 0
	.section	.AMDGPU.csdata,"",@progbits
; Kernel info:
; codeLenInByte = 1464
; TotalNumSgprs: 16
; NumVgprs: 14
; ScratchSize: 0
; MemoryBound: 0
; FloatMode: 240
; IeeeMode: 1
; LDSByteSize: 0 bytes/workgroup (compile time only)
; SGPRBlocks: 0
; VGPRBlocks: 1
; NumSGPRsForWavesPerEU: 16
; NumVGPRsForWavesPerEU: 14
; Occupancy: 16
; WaveLimiterHint : 0
; COMPUTE_PGM_RSRC2:SCRATCH_EN: 0
; COMPUTE_PGM_RSRC2:USER_SGPR: 6
; COMPUTE_PGM_RSRC2:TRAP_HANDLER: 0
; COMPUTE_PGM_RSRC2:TGID_X_EN: 1
; COMPUTE_PGM_RSRC2:TGID_Y_EN: 0
; COMPUTE_PGM_RSRC2:TGID_Z_EN: 0
; COMPUTE_PGM_RSRC2:TIDIG_COMP_CNT: 1
	.section	.text._ZN12_GLOBAL__N_120softmax_warp_forwardIN3c108BFloat16ES2_fLi1ELb0ELb1ELi64EEEvPT0_PKT_iiiPKbib,"axG",@progbits,_ZN12_GLOBAL__N_120softmax_warp_forwardIN3c108BFloat16ES2_fLi1ELb0ELb1ELi64EEEvPT0_PKT_iiiPKbib,comdat
	.globl	_ZN12_GLOBAL__N_120softmax_warp_forwardIN3c108BFloat16ES2_fLi1ELb0ELb1ELi64EEEvPT0_PKT_iiiPKbib ; -- Begin function _ZN12_GLOBAL__N_120softmax_warp_forwardIN3c108BFloat16ES2_fLi1ELb0ELb1ELi64EEEvPT0_PKT_iiiPKbib
	.p2align	8
	.type	_ZN12_GLOBAL__N_120softmax_warp_forwardIN3c108BFloat16ES2_fLi1ELb0ELb1ELi64EEEvPT0_PKT_iiiPKbib,@function
_ZN12_GLOBAL__N_120softmax_warp_forwardIN3c108BFloat16ES2_fLi1ELb0ELb1ELi64EEEvPT0_PKT_iiiPKbib: ; @_ZN12_GLOBAL__N_120softmax_warp_forwardIN3c108BFloat16ES2_fLi1ELb0ELb1ELi64EEEvPT0_PKT_iiiPKbib
; %bb.0:
	s_clause 0x2
	s_load_dwordx2 s[8:9], s[4:5], 0x28
	s_load_dword s10, s[4:5], 0x3c
	s_load_dwordx4 s[0:3], s[4:5], 0x10
	s_waitcnt lgkmcnt(0)
	s_bitcmp1_b32 s9, 0
	s_cselect_b32 s7, -1, 0
	s_lshr_b32 s3, s10, 16
	s_and_b32 s3, s3, 0xffff
	s_bitcmp0_b32 s9, 0
	s_mul_i32 s6, s6, s3
	v_add_lshl_u32 v5, s6, v1, 1
	v_mul_lo_u32 v6, v5, s1
	v_add_nc_u32_e32 v1, v6, v0
	v_ashrrev_i32_e32 v2, 31, v1
	v_mov_b32_e32 v4, v2
	v_mov_b32_e32 v3, v1
	s_cbranch_scc1 .LBB746_2
; %bb.1:
	s_abs_i32 s3, s8
	v_sub_nc_u32_e32 v7, 0, v6
	v_cvt_f32_u32_e32 v3, s3
	s_sub_i32 s6, 0, s3
	v_max_i32_e32 v7, v6, v7
	v_rcp_iflag_f32_e32 v3, v3
	v_xor_b32_e32 v6, s8, v6
	v_ashrrev_i32_e32 v6, 31, v6
	v_mul_f32_e32 v3, 0x4f7ffffe, v3
	v_cvt_u32_f32_e32 v3, v3
	v_mul_lo_u32 v4, s6, v3
	v_mul_hi_u32 v4, v3, v4
	v_add_nc_u32_e32 v3, v3, v4
	v_mul_hi_u32 v3, v7, v3
	v_mul_lo_u32 v4, v3, s3
	v_sub_nc_u32_e32 v4, v7, v4
	v_add_nc_u32_e32 v7, 1, v3
	v_subrev_nc_u32_e32 v8, s3, v4
	v_cmp_le_u32_e32 vcc_lo, s3, v4
	v_cndmask_b32_e32 v3, v3, v7, vcc_lo
	v_cndmask_b32_e32 v4, v4, v8, vcc_lo
	v_add_nc_u32_e32 v7, 1, v3
	v_cmp_le_u32_e32 vcc_lo, s3, v4
	v_cndmask_b32_e32 v3, v3, v7, vcc_lo
	v_xor_b32_e32 v3, v3, v6
	v_sub_nc_u32_e32 v3, v3, v6
	v_mad_u64_u32 v[3:4], null, v3, s1, v[0:1]
	v_ashrrev_i32_e32 v4, 31, v3
.LBB746_2:
	s_load_dwordx4 s[8:11], s[4:5], 0x0
	v_lshlrev_b64 v[1:2], 1, v[1:2]
	v_sub_nc_u32_e32 v11, s0, v5
	v_cmp_gt_i32_e64 s0, s2, v0
	v_mov_b32_e32 v8, 0xff800000
	v_mov_b32_e32 v7, 0xff800000
	v_cmp_lt_i32_e32 vcc_lo, 0, v11
	s_waitcnt lgkmcnt(0)
	v_add_co_u32 v5, s1, s10, v1
	v_add_co_ci_u32_e64 v6, null, s11, v2, s1
	s_and_b32 s10, s0, vcc_lo
	s_and_saveexec_b32 s1, s10
	s_cbranch_execz .LBB746_4
; %bb.3:
	global_load_ushort v0, v[5:6], off
	s_waitcnt vmcnt(0)
	v_lshlrev_b32_e32 v7, 16, v0
.LBB746_4:
	s_or_b32 exec_lo, exec_lo, s1
	v_cmp_lt_i32_e64 s1, 1, v11
	s_and_b32 s6, s0, s1
	s_and_saveexec_b32 s11, s6
	s_cbranch_execz .LBB746_6
; %bb.5:
	s_mov_b32 s3, 0
	s_lshl_b64 s[12:13], s[2:3], 1
	v_add_co_u32 v5, s1, v5, s12
	v_add_co_ci_u32_e64 v6, null, s13, v6, s1
	global_load_ushort v0, v[5:6], off
	s_waitcnt vmcnt(0)
	v_lshlrev_b32_e32 v8, 16, v0
.LBB746_6:
	s_or_b32 exec_lo, exec_lo, s11
	s_load_dwordx2 s[4:5], s[4:5], 0x20
	v_mov_b32_e32 v14, 0xff800000
	s_waitcnt lgkmcnt(0)
	v_add_co_u32 v5, s1, s4, v3
	v_add_co_ci_u32_e64 v6, null, s5, v4, s1
	s_and_saveexec_b32 s3, s10
	s_cbranch_execz .LBB746_8
; %bb.7:
	global_load_ubyte v0, v[5:6], off
	s_waitcnt vmcnt(0)
	v_and_b32_e32 v0, 1, v0
	v_cmp_eq_u32_e64 s1, 1, v0
	v_cndmask_b32_e64 v14, v7, 0xff800000, s1
.LBB746_8:
	s_or_b32 exec_lo, exec_lo, s3
	s_xor_b32 s3, s10, -1
	s_mov_b32 s5, 0
	s_and_saveexec_b32 s4, s6
	s_cbranch_execz .LBB746_12
; %bb.9:
	s_and_b32 s1, s7, exec_lo
	s_cselect_b32 s1, 0, s2
	s_cselect_b32 s5, 0, 0
	v_add_co_u32 v3, s1, v5, s1
	v_add_co_ci_u32_e64 v4, null, s5, v6, s1
	s_mov_b32 s5, 0
	global_load_ubyte v0, v[3:4], off
	s_waitcnt vmcnt(0)
	v_and_b32_e32 v0, 1, v0
	v_cmp_eq_u32_e64 s1, 1, v0
	s_xor_b32 s10, s1, -1
	s_and_saveexec_b32 s1, s10
; %bb.10:
	s_mov_b32 s5, exec_lo
; %bb.11:
	s_or_b32 exec_lo, exec_lo, s1
	s_and_b32 s5, s5, exec_lo
.LBB746_12:
	s_or_b32 exec_lo, exec_lo, s4
	v_mbcnt_lo_u32_b32 v0, -1, 0
	v_cndmask_b32_e64 v12, 0xff800000, v8, s5
                                        ; implicit-def: $vgpr9_vgpr10
	v_and_b32_e32 v3, 30, v0
	v_xor_b32_e32 v4, 1, v0
	v_add_nc_u32_e32 v3, 2, v3
	v_cmp_lt_i32_e64 s1, v4, v3
	v_cndmask_b32_e64 v0, v0, v4, s1
	v_lshlrev_b32_e32 v0, 2, v0
	ds_bpermute_b32 v15, v0, v14
	ds_bpermute_b32 v13, v0, v12
	s_and_saveexec_b32 s1, s3
	s_xor_b32 s1, exec_lo, s1
; %bb.13:
	v_mov_b32_e32 v7, 0
	v_mov_b32_e32 v10, v8
                                        ; implicit-def: $vgpr14
                                        ; implicit-def: $vgpr15
	v_mov_b32_e32 v9, v7
                                        ; implicit-def: $vgpr8
                                        ; implicit-def: $vgpr7
; %bb.14:
	s_or_saveexec_b32 s3, s1
	v_mov_b32_e32 v3, 0
	s_xor_b32 s4, s6, -1
	v_mov_b32_e32 v4, v3
	s_xor_b32 exec_lo, exec_lo, s3
	s_cbranch_execz .LBB746_20
; %bb.15:
	global_load_ubyte v4, v[5:6], off
	s_waitcnt vmcnt(0)
	v_and_b32_e32 v9, 1, v4
	v_mov_b32_e32 v4, v8
	v_cmp_eq_u32_e64 s1, 1, v9
	v_mov_b32_e32 v10, v4
	v_mov_b32_e32 v9, v3
	s_xor_b32 s1, s1, -1
	s_and_saveexec_b32 s5, s1
	s_xor_b32 s5, exec_lo, s5
	s_cbranch_execz .LBB746_17
; %bb.16:
	s_waitcnt lgkmcnt(1)
	v_cmp_lt_f32_e64 s1, v14, v15
	v_cndmask_b32_e64 v4, v14, v15, s1
	v_mov_b32_e32 v15, v3
	v_sub_f32_e32 v4, v7, v4
	v_mul_f32_e32 v7, 0x3fb8aa3b, v4
	v_cmp_ngt_f32_e64 s1, 0xc2ce8ed0, v4
	v_fma_f32 v9, 0x3fb8aa3b, v4, -v7
	v_rndne_f32_e32 v10, v7
	v_fmamk_f32 v9, v4, 0x32a5705f, v9
	v_sub_f32_e32 v7, v7, v10
	v_add_f32_e32 v7, v7, v9
	v_cvt_i32_f32_e32 v9, v10
	v_exp_f32_e32 v7, v7
	v_ldexp_f32 v7, v7, v9
	v_cndmask_b32_e64 v7, 0, v7, s1
	v_cmp_nlt_f32_e64 s1, 0x42b17218, v4
	v_cndmask_b32_e64 v7, 0x7f800000, v7, s1
	v_mov_b32_e32 v10, v8
	v_mov_b32_e32 v14, v7
	;; [unrolled: 1-line block ×5, first 2 shown]
.LBB746_17:
	s_andn2_saveexec_b32 s1, s5
; %bb.18:
	v_mov_b32_e32 v3, 0
	v_mov_b32_e32 v4, v3
; %bb.19:
	s_or_b32 exec_lo, exec_lo, s1
.LBB746_20:
	s_or_b32 exec_lo, exec_lo, s3
                                        ; implicit-def: $vgpr7_vgpr8
	s_and_saveexec_b32 s1, s4
	s_xor_b32 s1, exec_lo, s1
	s_cbranch_execz .LBB746_22
; %bb.21:
	v_mov_b32_e32 v10, 0
	v_mov_b32_e32 v7, v9
                                        ; implicit-def: $vgpr5
                                        ; implicit-def: $vgpr12
                                        ; implicit-def: $vgpr13
	v_mov_b32_e32 v8, v10
                                        ; implicit-def: $vgpr9_vgpr10
	s_andn2_saveexec_b32 s3, s1
	s_cbranch_execz .LBB746_26
	s_branch .LBB746_23
.LBB746_22:
	s_andn2_saveexec_b32 s3, s1
	s_cbranch_execz .LBB746_26
.LBB746_23:
	s_and_b32 s1, s7, exec_lo
	s_cselect_b32 s1, 0, s2
	s_cselect_b32 s4, 0, 0
	v_add_co_u32 v5, s1, v5, s1
	v_add_co_ci_u32_e64 v6, null, s4, v6, s1
	v_mov_b32_e32 v8, 0
	v_mov_b32_e32 v7, v9
	global_load_ubyte v5, v[5:6], off
	s_waitcnt vmcnt(0)
	v_and_b32_e32 v5, 1, v5
	v_cmp_eq_u32_e64 s1, 1, v5
	s_xor_b32 s1, s1, -1
	s_and_saveexec_b32 s4, s1
	s_xor_b32 s4, exec_lo, s4
	s_cbranch_execz .LBB746_25
; %bb.24:
	s_waitcnt lgkmcnt(0)
	v_cmp_lt_f32_e64 s1, v12, v13
	v_cndmask_b32_e64 v5, v12, v13, s1
	v_sub_f32_e32 v5, v10, v5
	v_mul_f32_e32 v6, 0x3fb8aa3b, v5
	v_cmp_ngt_f32_e64 s1, 0xc2ce8ed0, v5
	v_fma_f32 v7, 0x3fb8aa3b, v5, -v6
	v_rndne_f32_e32 v8, v6
	v_fmamk_f32 v7, v5, 0x32a5705f, v7
	v_sub_f32_e32 v6, v6, v8
	v_add_f32_e32 v6, v6, v7
	v_cvt_i32_f32_e32 v7, v8
	v_exp_f32_e32 v6, v6
	v_ldexp_f32 v6, v6, v7
	v_cndmask_b32_e64 v6, 0, v6, s1
	v_cmp_nlt_f32_e64 s1, 0x42b17218, v5
	v_cndmask_b32_e64 v10, 0x7f800000, v6, s1
	v_mov_b32_e32 v7, v9
	v_add_f32_e32 v4, v4, v10
	v_mov_b32_e32 v8, v10
.LBB746_25:
	s_andn2_saveexec_b32 s1, s4
	s_or_b32 exec_lo, exec_lo, s1
.LBB746_26:
	s_or_b32 exec_lo, exec_lo, s3
	ds_bpermute_b32 v6, v0, v3
	ds_bpermute_b32 v5, v0, v4
	s_and_saveexec_b32 s1, vcc_lo
	s_cbranch_execz .LBB746_35
; %bb.27:
	v_add_co_u32 v0, vcc_lo, s8, v1
	v_add_co_ci_u32_e64 v1, null, s9, v2, vcc_lo
	s_and_saveexec_b32 s1, s0
	s_cbranch_execz .LBB746_31
; %bb.28:
	s_waitcnt lgkmcnt(1)
	v_add_f32_e32 v2, v3, v6
	v_mov_b32_e32 v3, 0x7fc0
	s_mov_b32 s3, exec_lo
	v_cmpx_neq_f32_e32 0, v2
	s_cbranch_execz .LBB746_30
; %bb.29:
	v_div_scale_f32 v3, null, v2, v2, v7
	v_div_scale_f32 v10, vcc_lo, v7, v2, v7
	v_rcp_f32_e32 v6, v3
	v_fma_f32 v9, -v3, v6, 1.0
	v_fmac_f32_e32 v6, v9, v6
	v_mul_f32_e32 v9, v10, v6
	v_fma_f32 v12, -v3, v9, v10
	v_fmac_f32_e32 v9, v12, v6
	v_fma_f32 v3, -v3, v9, v10
	v_div_fmas_f32 v3, v3, v6, v9
	v_div_fixup_f32 v2, v3, v2, v7
	v_bfe_u32 v3, v2, 16, 1
	v_cmp_o_f32_e32 vcc_lo, v2, v2
	v_add3_u32 v2, v2, v3, 0x7fff
	v_mov_b32_e32 v3, 0x7fc0
	v_cndmask_b32_sdwa v3, v3, v2, vcc_lo dst_sel:DWORD dst_unused:UNUSED_PAD src0_sel:DWORD src1_sel:WORD_1
.LBB746_30:
	s_or_b32 exec_lo, exec_lo, s3
	global_store_short v[0:1], v3, off
.LBB746_31:
	s_or_b32 exec_lo, exec_lo, s1
	v_cmp_ne_u32_e32 vcc_lo, 1, v11
	s_and_b32 s0, vcc_lo, s0
	s_and_b32 exec_lo, exec_lo, s0
	s_cbranch_execz .LBB746_35
; %bb.32:
	s_waitcnt lgkmcnt(0)
	v_add_f32_e32 v2, v4, v5
	v_mov_b32_e32 v3, 0x7fc0
	s_mov_b32 s3, 0
	s_mov_b32 s0, exec_lo
	v_cmpx_neq_f32_e32 0, v2
	s_cbranch_execz .LBB746_34
; %bb.33:
	v_div_scale_f32 v3, null, v2, v2, v8
	v_div_scale_f32 v6, vcc_lo, v8, v2, v8
	v_rcp_f32_e32 v4, v3
	v_fma_f32 v5, -v3, v4, 1.0
	v_fmac_f32_e32 v4, v5, v4
	v_mul_f32_e32 v5, v6, v4
	v_fma_f32 v7, -v3, v5, v6
	v_fmac_f32_e32 v5, v7, v4
	v_fma_f32 v3, -v3, v5, v6
	v_div_fmas_f32 v3, v3, v4, v5
	v_div_fixup_f32 v2, v3, v2, v8
	v_bfe_u32 v3, v2, 16, 1
	v_cmp_o_f32_e32 vcc_lo, v2, v2
	v_add3_u32 v2, v2, v3, 0x7fff
	v_mov_b32_e32 v3, 0x7fc0
	v_cndmask_b32_sdwa v3, v3, v2, vcc_lo dst_sel:DWORD dst_unused:UNUSED_PAD src0_sel:DWORD src1_sel:WORD_1
.LBB746_34:
	s_or_b32 exec_lo, exec_lo, s0
	s_lshl_b64 s[0:1], s[2:3], 1
	v_add_co_u32 v0, vcc_lo, v0, s0
	v_add_co_ci_u32_e64 v1, null, s1, v1, vcc_lo
	global_store_short v[0:1], v3, off
.LBB746_35:
	s_endpgm
	.section	.rodata,"a",@progbits
	.p2align	6, 0x0
	.amdhsa_kernel _ZN12_GLOBAL__N_120softmax_warp_forwardIN3c108BFloat16ES2_fLi1ELb0ELb1ELi64EEEvPT0_PKT_iiiPKbib
		.amdhsa_group_segment_fixed_size 0
		.amdhsa_private_segment_fixed_size 0
		.amdhsa_kernarg_size 304
		.amdhsa_user_sgpr_count 6
		.amdhsa_user_sgpr_private_segment_buffer 1
		.amdhsa_user_sgpr_dispatch_ptr 0
		.amdhsa_user_sgpr_queue_ptr 0
		.amdhsa_user_sgpr_kernarg_segment_ptr 1
		.amdhsa_user_sgpr_dispatch_id 0
		.amdhsa_user_sgpr_flat_scratch_init 0
		.amdhsa_user_sgpr_private_segment_size 0
		.amdhsa_wavefront_size32 1
		.amdhsa_uses_dynamic_stack 0
		.amdhsa_system_sgpr_private_segment_wavefront_offset 0
		.amdhsa_system_sgpr_workgroup_id_x 1
		.amdhsa_system_sgpr_workgroup_id_y 0
		.amdhsa_system_sgpr_workgroup_id_z 0
		.amdhsa_system_sgpr_workgroup_info 0
		.amdhsa_system_vgpr_workitem_id 1
		.amdhsa_next_free_vgpr 16
		.amdhsa_next_free_sgpr 14
		.amdhsa_reserve_vcc 1
		.amdhsa_reserve_flat_scratch 0
		.amdhsa_float_round_mode_32 0
		.amdhsa_float_round_mode_16_64 0
		.amdhsa_float_denorm_mode_32 3
		.amdhsa_float_denorm_mode_16_64 3
		.amdhsa_dx10_clamp 1
		.amdhsa_ieee_mode 1
		.amdhsa_fp16_overflow 0
		.amdhsa_workgroup_processor_mode 1
		.amdhsa_memory_ordered 1
		.amdhsa_forward_progress 1
		.amdhsa_shared_vgpr_count 0
		.amdhsa_exception_fp_ieee_invalid_op 0
		.amdhsa_exception_fp_denorm_src 0
		.amdhsa_exception_fp_ieee_div_zero 0
		.amdhsa_exception_fp_ieee_overflow 0
		.amdhsa_exception_fp_ieee_underflow 0
		.amdhsa_exception_fp_ieee_inexact 0
		.amdhsa_exception_int_div_zero 0
	.end_amdhsa_kernel
	.section	.text._ZN12_GLOBAL__N_120softmax_warp_forwardIN3c108BFloat16ES2_fLi1ELb0ELb1ELi64EEEvPT0_PKT_iiiPKbib,"axG",@progbits,_ZN12_GLOBAL__N_120softmax_warp_forwardIN3c108BFloat16ES2_fLi1ELb0ELb1ELi64EEEvPT0_PKT_iiiPKbib,comdat
.Lfunc_end746:
	.size	_ZN12_GLOBAL__N_120softmax_warp_forwardIN3c108BFloat16ES2_fLi1ELb0ELb1ELi64EEEvPT0_PKT_iiiPKbib, .Lfunc_end746-_ZN12_GLOBAL__N_120softmax_warp_forwardIN3c108BFloat16ES2_fLi1ELb0ELb1ELi64EEEvPT0_PKT_iiiPKbib
                                        ; -- End function
	.set _ZN12_GLOBAL__N_120softmax_warp_forwardIN3c108BFloat16ES2_fLi1ELb0ELb1ELi64EEEvPT0_PKT_iiiPKbib.num_vgpr, 16
	.set _ZN12_GLOBAL__N_120softmax_warp_forwardIN3c108BFloat16ES2_fLi1ELb0ELb1ELi64EEEvPT0_PKT_iiiPKbib.num_agpr, 0
	.set _ZN12_GLOBAL__N_120softmax_warp_forwardIN3c108BFloat16ES2_fLi1ELb0ELb1ELi64EEEvPT0_PKT_iiiPKbib.numbered_sgpr, 14
	.set _ZN12_GLOBAL__N_120softmax_warp_forwardIN3c108BFloat16ES2_fLi1ELb0ELb1ELi64EEEvPT0_PKT_iiiPKbib.num_named_barrier, 0
	.set _ZN12_GLOBAL__N_120softmax_warp_forwardIN3c108BFloat16ES2_fLi1ELb0ELb1ELi64EEEvPT0_PKT_iiiPKbib.private_seg_size, 0
	.set _ZN12_GLOBAL__N_120softmax_warp_forwardIN3c108BFloat16ES2_fLi1ELb0ELb1ELi64EEEvPT0_PKT_iiiPKbib.uses_vcc, 1
	.set _ZN12_GLOBAL__N_120softmax_warp_forwardIN3c108BFloat16ES2_fLi1ELb0ELb1ELi64EEEvPT0_PKT_iiiPKbib.uses_flat_scratch, 0
	.set _ZN12_GLOBAL__N_120softmax_warp_forwardIN3c108BFloat16ES2_fLi1ELb0ELb1ELi64EEEvPT0_PKT_iiiPKbib.has_dyn_sized_stack, 0
	.set _ZN12_GLOBAL__N_120softmax_warp_forwardIN3c108BFloat16ES2_fLi1ELb0ELb1ELi64EEEvPT0_PKT_iiiPKbib.has_recursion, 0
	.set _ZN12_GLOBAL__N_120softmax_warp_forwardIN3c108BFloat16ES2_fLi1ELb0ELb1ELi64EEEvPT0_PKT_iiiPKbib.has_indirect_call, 0
	.section	.AMDGPU.csdata,"",@progbits
; Kernel info:
; codeLenInByte = 1576
; TotalNumSgprs: 16
; NumVgprs: 16
; ScratchSize: 0
; MemoryBound: 0
; FloatMode: 240
; IeeeMode: 1
; LDSByteSize: 0 bytes/workgroup (compile time only)
; SGPRBlocks: 0
; VGPRBlocks: 1
; NumSGPRsForWavesPerEU: 16
; NumVGPRsForWavesPerEU: 16
; Occupancy: 16
; WaveLimiterHint : 0
; COMPUTE_PGM_RSRC2:SCRATCH_EN: 0
; COMPUTE_PGM_RSRC2:USER_SGPR: 6
; COMPUTE_PGM_RSRC2:TRAP_HANDLER: 0
; COMPUTE_PGM_RSRC2:TGID_X_EN: 1
; COMPUTE_PGM_RSRC2:TGID_Y_EN: 0
; COMPUTE_PGM_RSRC2:TGID_Z_EN: 0
; COMPUTE_PGM_RSRC2:TIDIG_COMP_CNT: 1
	.section	.text._ZN12_GLOBAL__N_120softmax_warp_forwardIN3c108BFloat16ES2_fLi1ELb0ELb1ELi32EEEvPT0_PKT_iiiPKbib,"axG",@progbits,_ZN12_GLOBAL__N_120softmax_warp_forwardIN3c108BFloat16ES2_fLi1ELb0ELb1ELi32EEEvPT0_PKT_iiiPKbib,comdat
	.globl	_ZN12_GLOBAL__N_120softmax_warp_forwardIN3c108BFloat16ES2_fLi1ELb0ELb1ELi32EEEvPT0_PKT_iiiPKbib ; -- Begin function _ZN12_GLOBAL__N_120softmax_warp_forwardIN3c108BFloat16ES2_fLi1ELb0ELb1ELi32EEEvPT0_PKT_iiiPKbib
	.p2align	8
	.type	_ZN12_GLOBAL__N_120softmax_warp_forwardIN3c108BFloat16ES2_fLi1ELb0ELb1ELi32EEEvPT0_PKT_iiiPKbib,@function
_ZN12_GLOBAL__N_120softmax_warp_forwardIN3c108BFloat16ES2_fLi1ELb0ELb1ELi32EEEvPT0_PKT_iiiPKbib: ; @_ZN12_GLOBAL__N_120softmax_warp_forwardIN3c108BFloat16ES2_fLi1ELb0ELb1ELi32EEEvPT0_PKT_iiiPKbib
; %bb.0:
	s_clause 0x2
	s_load_dwordx2 s[8:9], s[4:5], 0x28
	s_load_dword s10, s[4:5], 0x3c
	s_load_dwordx4 s[0:3], s[4:5], 0x10
	s_waitcnt lgkmcnt(0)
	s_bitcmp1_b32 s9, 0
	s_cselect_b32 s7, -1, 0
	s_lshr_b32 s3, s10, 16
	s_and_b32 s3, s3, 0xffff
	s_bitcmp0_b32 s9, 0
	s_mul_i32 s6, s6, s3
	v_add_lshl_u32 v5, s6, v1, 1
	v_mul_lo_u32 v6, v5, s1
	v_add_nc_u32_e32 v1, v6, v0
	v_ashrrev_i32_e32 v2, 31, v1
	v_mov_b32_e32 v4, v2
	v_mov_b32_e32 v3, v1
	s_cbranch_scc1 .LBB747_2
; %bb.1:
	s_abs_i32 s3, s8
	v_sub_nc_u32_e32 v7, 0, v6
	v_cvt_f32_u32_e32 v3, s3
	s_sub_i32 s6, 0, s3
	v_max_i32_e32 v7, v6, v7
	v_rcp_iflag_f32_e32 v3, v3
	v_xor_b32_e32 v6, s8, v6
	v_ashrrev_i32_e32 v6, 31, v6
	v_mul_f32_e32 v3, 0x4f7ffffe, v3
	v_cvt_u32_f32_e32 v3, v3
	v_mul_lo_u32 v4, s6, v3
	v_mul_hi_u32 v4, v3, v4
	v_add_nc_u32_e32 v3, v3, v4
	v_mul_hi_u32 v3, v7, v3
	v_mul_lo_u32 v4, v3, s3
	v_sub_nc_u32_e32 v4, v7, v4
	v_add_nc_u32_e32 v7, 1, v3
	v_subrev_nc_u32_e32 v8, s3, v4
	v_cmp_le_u32_e32 vcc_lo, s3, v4
	v_cndmask_b32_e32 v3, v3, v7, vcc_lo
	v_cndmask_b32_e32 v4, v4, v8, vcc_lo
	v_add_nc_u32_e32 v7, 1, v3
	v_cmp_le_u32_e32 vcc_lo, s3, v4
	v_cndmask_b32_e32 v3, v3, v7, vcc_lo
	v_xor_b32_e32 v3, v3, v6
	v_sub_nc_u32_e32 v3, v3, v6
	v_mad_u64_u32 v[3:4], null, v3, s1, v[0:1]
	v_ashrrev_i32_e32 v4, 31, v3
.LBB747_2:
	s_load_dwordx4 s[8:11], s[4:5], 0x0
	v_lshlrev_b64 v[1:2], 1, v[1:2]
	v_sub_nc_u32_e32 v11, s0, v5
	v_cmp_gt_i32_e64 s0, s2, v0
	v_mov_b32_e32 v8, 0xff800000
	v_mov_b32_e32 v7, 0xff800000
	v_cmp_lt_i32_e32 vcc_lo, 0, v11
	s_waitcnt lgkmcnt(0)
	v_add_co_u32 v5, s1, s10, v1
	v_add_co_ci_u32_e64 v6, null, s11, v2, s1
	s_and_b32 s10, s0, vcc_lo
	s_and_saveexec_b32 s1, s10
	s_cbranch_execz .LBB747_4
; %bb.3:
	global_load_ushort v0, v[5:6], off
	s_waitcnt vmcnt(0)
	v_lshlrev_b32_e32 v7, 16, v0
.LBB747_4:
	s_or_b32 exec_lo, exec_lo, s1
	v_cmp_lt_i32_e64 s1, 1, v11
	s_and_b32 s6, s0, s1
	s_and_saveexec_b32 s11, s6
	s_cbranch_execz .LBB747_6
; %bb.5:
	s_mov_b32 s3, 0
	s_lshl_b64 s[12:13], s[2:3], 1
	v_add_co_u32 v5, s1, v5, s12
	v_add_co_ci_u32_e64 v6, null, s13, v6, s1
	global_load_ushort v0, v[5:6], off
	s_waitcnt vmcnt(0)
	v_lshlrev_b32_e32 v8, 16, v0
.LBB747_6:
	s_or_b32 exec_lo, exec_lo, s11
	s_load_dwordx2 s[4:5], s[4:5], 0x20
	v_mov_b32_e32 v14, 0xff800000
	s_waitcnt lgkmcnt(0)
	v_add_co_u32 v5, s1, s4, v3
	v_add_co_ci_u32_e64 v6, null, s5, v4, s1
	s_and_saveexec_b32 s3, s10
	s_cbranch_execz .LBB747_8
; %bb.7:
	global_load_ubyte v0, v[5:6], off
	s_waitcnt vmcnt(0)
	v_and_b32_e32 v0, 1, v0
	v_cmp_eq_u32_e64 s1, 1, v0
	v_cndmask_b32_e64 v14, v7, 0xff800000, s1
.LBB747_8:
	s_or_b32 exec_lo, exec_lo, s3
	s_xor_b32 s3, s10, -1
	s_mov_b32 s5, 0
	s_and_saveexec_b32 s4, s6
	s_cbranch_execz .LBB747_12
; %bb.9:
	s_and_b32 s1, s7, exec_lo
	s_cselect_b32 s1, 0, s2
	s_cselect_b32 s5, 0, 0
	v_add_co_u32 v3, s1, v5, s1
	v_add_co_ci_u32_e64 v4, null, s5, v6, s1
	s_mov_b32 s5, 0
	global_load_ubyte v0, v[3:4], off
	s_waitcnt vmcnt(0)
	v_and_b32_e32 v0, 1, v0
	v_cmp_eq_u32_e64 s1, 1, v0
	s_xor_b32 s10, s1, -1
	s_and_saveexec_b32 s1, s10
; %bb.10:
	s_mov_b32 s5, exec_lo
; %bb.11:
	s_or_b32 exec_lo, exec_lo, s1
	s_and_b32 s5, s5, exec_lo
.LBB747_12:
	s_or_b32 exec_lo, exec_lo, s4
	v_mbcnt_lo_u32_b32 v0, -1, 0
	v_cndmask_b32_e64 v12, 0xff800000, v8, s5
                                        ; implicit-def: $vgpr9_vgpr10
	v_and_b32_e32 v3, 30, v0
	v_xor_b32_e32 v4, 1, v0
	v_add_nc_u32_e32 v3, 2, v3
	v_cmp_lt_i32_e64 s1, v4, v3
	v_cndmask_b32_e64 v0, v0, v4, s1
	v_lshlrev_b32_e32 v0, 2, v0
	ds_bpermute_b32 v15, v0, v14
	ds_bpermute_b32 v13, v0, v12
	s_and_saveexec_b32 s1, s3
	s_xor_b32 s1, exec_lo, s1
; %bb.13:
	v_mov_b32_e32 v7, 0
	v_mov_b32_e32 v10, v8
                                        ; implicit-def: $vgpr14
                                        ; implicit-def: $vgpr15
	v_mov_b32_e32 v9, v7
                                        ; implicit-def: $vgpr8
                                        ; implicit-def: $vgpr7
; %bb.14:
	s_or_saveexec_b32 s3, s1
	v_mov_b32_e32 v3, 0
	s_xor_b32 s4, s6, -1
	v_mov_b32_e32 v4, v3
	s_xor_b32 exec_lo, exec_lo, s3
	s_cbranch_execz .LBB747_20
; %bb.15:
	global_load_ubyte v4, v[5:6], off
	s_waitcnt vmcnt(0)
	v_and_b32_e32 v9, 1, v4
	v_mov_b32_e32 v4, v8
	v_cmp_eq_u32_e64 s1, 1, v9
	v_mov_b32_e32 v10, v4
	v_mov_b32_e32 v9, v3
	s_xor_b32 s1, s1, -1
	s_and_saveexec_b32 s5, s1
	s_xor_b32 s5, exec_lo, s5
	s_cbranch_execz .LBB747_17
; %bb.16:
	s_waitcnt lgkmcnt(1)
	v_cmp_lt_f32_e64 s1, v14, v15
	v_cndmask_b32_e64 v4, v14, v15, s1
	v_mov_b32_e32 v15, v3
	v_sub_f32_e32 v4, v7, v4
	v_mul_f32_e32 v7, 0x3fb8aa3b, v4
	v_cmp_ngt_f32_e64 s1, 0xc2ce8ed0, v4
	v_fma_f32 v9, 0x3fb8aa3b, v4, -v7
	v_rndne_f32_e32 v10, v7
	v_fmamk_f32 v9, v4, 0x32a5705f, v9
	v_sub_f32_e32 v7, v7, v10
	v_add_f32_e32 v7, v7, v9
	v_cvt_i32_f32_e32 v9, v10
	v_exp_f32_e32 v7, v7
	v_ldexp_f32 v7, v7, v9
	v_cndmask_b32_e64 v7, 0, v7, s1
	v_cmp_nlt_f32_e64 s1, 0x42b17218, v4
	v_cndmask_b32_e64 v7, 0x7f800000, v7, s1
	v_mov_b32_e32 v10, v8
	v_mov_b32_e32 v14, v7
	;; [unrolled: 1-line block ×5, first 2 shown]
.LBB747_17:
	s_andn2_saveexec_b32 s1, s5
; %bb.18:
	v_mov_b32_e32 v3, 0
	v_mov_b32_e32 v4, v3
; %bb.19:
	s_or_b32 exec_lo, exec_lo, s1
.LBB747_20:
	s_or_b32 exec_lo, exec_lo, s3
                                        ; implicit-def: $vgpr7_vgpr8
	s_and_saveexec_b32 s1, s4
	s_xor_b32 s1, exec_lo, s1
	s_cbranch_execz .LBB747_22
; %bb.21:
	v_mov_b32_e32 v10, 0
	v_mov_b32_e32 v7, v9
                                        ; implicit-def: $vgpr5
                                        ; implicit-def: $vgpr12
                                        ; implicit-def: $vgpr13
	v_mov_b32_e32 v8, v10
                                        ; implicit-def: $vgpr9_vgpr10
	s_andn2_saveexec_b32 s3, s1
	s_cbranch_execz .LBB747_26
	s_branch .LBB747_23
.LBB747_22:
	s_andn2_saveexec_b32 s3, s1
	s_cbranch_execz .LBB747_26
.LBB747_23:
	s_and_b32 s1, s7, exec_lo
	s_cselect_b32 s1, 0, s2
	s_cselect_b32 s4, 0, 0
	v_add_co_u32 v5, s1, v5, s1
	v_add_co_ci_u32_e64 v6, null, s4, v6, s1
	v_mov_b32_e32 v8, 0
	v_mov_b32_e32 v7, v9
	global_load_ubyte v5, v[5:6], off
	s_waitcnt vmcnt(0)
	v_and_b32_e32 v5, 1, v5
	v_cmp_eq_u32_e64 s1, 1, v5
	s_xor_b32 s1, s1, -1
	s_and_saveexec_b32 s4, s1
	s_xor_b32 s4, exec_lo, s4
	s_cbranch_execz .LBB747_25
; %bb.24:
	s_waitcnt lgkmcnt(0)
	v_cmp_lt_f32_e64 s1, v12, v13
	v_cndmask_b32_e64 v5, v12, v13, s1
	v_sub_f32_e32 v5, v10, v5
	v_mul_f32_e32 v6, 0x3fb8aa3b, v5
	v_cmp_ngt_f32_e64 s1, 0xc2ce8ed0, v5
	v_fma_f32 v7, 0x3fb8aa3b, v5, -v6
	v_rndne_f32_e32 v8, v6
	v_fmamk_f32 v7, v5, 0x32a5705f, v7
	v_sub_f32_e32 v6, v6, v8
	v_add_f32_e32 v6, v6, v7
	v_cvt_i32_f32_e32 v7, v8
	v_exp_f32_e32 v6, v6
	v_ldexp_f32 v6, v6, v7
	v_cndmask_b32_e64 v6, 0, v6, s1
	v_cmp_nlt_f32_e64 s1, 0x42b17218, v5
	v_cndmask_b32_e64 v10, 0x7f800000, v6, s1
	v_mov_b32_e32 v7, v9
	v_add_f32_e32 v4, v4, v10
	v_mov_b32_e32 v8, v10
.LBB747_25:
	s_andn2_saveexec_b32 s1, s4
	s_or_b32 exec_lo, exec_lo, s1
.LBB747_26:
	s_or_b32 exec_lo, exec_lo, s3
	ds_bpermute_b32 v6, v0, v3
	ds_bpermute_b32 v5, v0, v4
	s_and_saveexec_b32 s1, vcc_lo
	s_cbranch_execz .LBB747_35
; %bb.27:
	v_add_co_u32 v0, vcc_lo, s8, v1
	v_add_co_ci_u32_e64 v1, null, s9, v2, vcc_lo
	s_and_saveexec_b32 s1, s0
	s_cbranch_execz .LBB747_31
; %bb.28:
	s_waitcnt lgkmcnt(1)
	v_add_f32_e32 v2, v3, v6
	v_mov_b32_e32 v3, 0x7fc0
	s_mov_b32 s3, exec_lo
	v_cmpx_neq_f32_e32 0, v2
	s_cbranch_execz .LBB747_30
; %bb.29:
	v_div_scale_f32 v3, null, v2, v2, v7
	v_div_scale_f32 v10, vcc_lo, v7, v2, v7
	v_rcp_f32_e32 v6, v3
	v_fma_f32 v9, -v3, v6, 1.0
	v_fmac_f32_e32 v6, v9, v6
	v_mul_f32_e32 v9, v10, v6
	v_fma_f32 v12, -v3, v9, v10
	v_fmac_f32_e32 v9, v12, v6
	v_fma_f32 v3, -v3, v9, v10
	v_div_fmas_f32 v3, v3, v6, v9
	v_div_fixup_f32 v2, v3, v2, v7
	v_bfe_u32 v3, v2, 16, 1
	v_cmp_o_f32_e32 vcc_lo, v2, v2
	v_add3_u32 v2, v2, v3, 0x7fff
	v_mov_b32_e32 v3, 0x7fc0
	v_cndmask_b32_sdwa v3, v3, v2, vcc_lo dst_sel:DWORD dst_unused:UNUSED_PAD src0_sel:DWORD src1_sel:WORD_1
.LBB747_30:
	s_or_b32 exec_lo, exec_lo, s3
	global_store_short v[0:1], v3, off
.LBB747_31:
	s_or_b32 exec_lo, exec_lo, s1
	v_cmp_ne_u32_e32 vcc_lo, 1, v11
	s_and_b32 s0, vcc_lo, s0
	s_and_b32 exec_lo, exec_lo, s0
	s_cbranch_execz .LBB747_35
; %bb.32:
	s_waitcnt lgkmcnt(0)
	v_add_f32_e32 v2, v4, v5
	v_mov_b32_e32 v3, 0x7fc0
	s_mov_b32 s3, 0
	s_mov_b32 s0, exec_lo
	v_cmpx_neq_f32_e32 0, v2
	s_cbranch_execz .LBB747_34
; %bb.33:
	v_div_scale_f32 v3, null, v2, v2, v8
	v_div_scale_f32 v6, vcc_lo, v8, v2, v8
	v_rcp_f32_e32 v4, v3
	v_fma_f32 v5, -v3, v4, 1.0
	v_fmac_f32_e32 v4, v5, v4
	v_mul_f32_e32 v5, v6, v4
	v_fma_f32 v7, -v3, v5, v6
	v_fmac_f32_e32 v5, v7, v4
	v_fma_f32 v3, -v3, v5, v6
	v_div_fmas_f32 v3, v3, v4, v5
	v_div_fixup_f32 v2, v3, v2, v8
	v_bfe_u32 v3, v2, 16, 1
	v_cmp_o_f32_e32 vcc_lo, v2, v2
	v_add3_u32 v2, v2, v3, 0x7fff
	v_mov_b32_e32 v3, 0x7fc0
	v_cndmask_b32_sdwa v3, v3, v2, vcc_lo dst_sel:DWORD dst_unused:UNUSED_PAD src0_sel:DWORD src1_sel:WORD_1
.LBB747_34:
	s_or_b32 exec_lo, exec_lo, s0
	s_lshl_b64 s[0:1], s[2:3], 1
	v_add_co_u32 v0, vcc_lo, v0, s0
	v_add_co_ci_u32_e64 v1, null, s1, v1, vcc_lo
	global_store_short v[0:1], v3, off
.LBB747_35:
	s_endpgm
	.section	.rodata,"a",@progbits
	.p2align	6, 0x0
	.amdhsa_kernel _ZN12_GLOBAL__N_120softmax_warp_forwardIN3c108BFloat16ES2_fLi1ELb0ELb1ELi32EEEvPT0_PKT_iiiPKbib
		.amdhsa_group_segment_fixed_size 0
		.amdhsa_private_segment_fixed_size 0
		.amdhsa_kernarg_size 304
		.amdhsa_user_sgpr_count 6
		.amdhsa_user_sgpr_private_segment_buffer 1
		.amdhsa_user_sgpr_dispatch_ptr 0
		.amdhsa_user_sgpr_queue_ptr 0
		.amdhsa_user_sgpr_kernarg_segment_ptr 1
		.amdhsa_user_sgpr_dispatch_id 0
		.amdhsa_user_sgpr_flat_scratch_init 0
		.amdhsa_user_sgpr_private_segment_size 0
		.amdhsa_wavefront_size32 1
		.amdhsa_uses_dynamic_stack 0
		.amdhsa_system_sgpr_private_segment_wavefront_offset 0
		.amdhsa_system_sgpr_workgroup_id_x 1
		.amdhsa_system_sgpr_workgroup_id_y 0
		.amdhsa_system_sgpr_workgroup_id_z 0
		.amdhsa_system_sgpr_workgroup_info 0
		.amdhsa_system_vgpr_workitem_id 1
		.amdhsa_next_free_vgpr 16
		.amdhsa_next_free_sgpr 14
		.amdhsa_reserve_vcc 1
		.amdhsa_reserve_flat_scratch 0
		.amdhsa_float_round_mode_32 0
		.amdhsa_float_round_mode_16_64 0
		.amdhsa_float_denorm_mode_32 3
		.amdhsa_float_denorm_mode_16_64 3
		.amdhsa_dx10_clamp 1
		.amdhsa_ieee_mode 1
		.amdhsa_fp16_overflow 0
		.amdhsa_workgroup_processor_mode 1
		.amdhsa_memory_ordered 1
		.amdhsa_forward_progress 1
		.amdhsa_shared_vgpr_count 0
		.amdhsa_exception_fp_ieee_invalid_op 0
		.amdhsa_exception_fp_denorm_src 0
		.amdhsa_exception_fp_ieee_div_zero 0
		.amdhsa_exception_fp_ieee_overflow 0
		.amdhsa_exception_fp_ieee_underflow 0
		.amdhsa_exception_fp_ieee_inexact 0
		.amdhsa_exception_int_div_zero 0
	.end_amdhsa_kernel
	.section	.text._ZN12_GLOBAL__N_120softmax_warp_forwardIN3c108BFloat16ES2_fLi1ELb0ELb1ELi32EEEvPT0_PKT_iiiPKbib,"axG",@progbits,_ZN12_GLOBAL__N_120softmax_warp_forwardIN3c108BFloat16ES2_fLi1ELb0ELb1ELi32EEEvPT0_PKT_iiiPKbib,comdat
.Lfunc_end747:
	.size	_ZN12_GLOBAL__N_120softmax_warp_forwardIN3c108BFloat16ES2_fLi1ELb0ELb1ELi32EEEvPT0_PKT_iiiPKbib, .Lfunc_end747-_ZN12_GLOBAL__N_120softmax_warp_forwardIN3c108BFloat16ES2_fLi1ELb0ELb1ELi32EEEvPT0_PKT_iiiPKbib
                                        ; -- End function
	.set _ZN12_GLOBAL__N_120softmax_warp_forwardIN3c108BFloat16ES2_fLi1ELb0ELb1ELi32EEEvPT0_PKT_iiiPKbib.num_vgpr, 16
	.set _ZN12_GLOBAL__N_120softmax_warp_forwardIN3c108BFloat16ES2_fLi1ELb0ELb1ELi32EEEvPT0_PKT_iiiPKbib.num_agpr, 0
	.set _ZN12_GLOBAL__N_120softmax_warp_forwardIN3c108BFloat16ES2_fLi1ELb0ELb1ELi32EEEvPT0_PKT_iiiPKbib.numbered_sgpr, 14
	.set _ZN12_GLOBAL__N_120softmax_warp_forwardIN3c108BFloat16ES2_fLi1ELb0ELb1ELi32EEEvPT0_PKT_iiiPKbib.num_named_barrier, 0
	.set _ZN12_GLOBAL__N_120softmax_warp_forwardIN3c108BFloat16ES2_fLi1ELb0ELb1ELi32EEEvPT0_PKT_iiiPKbib.private_seg_size, 0
	.set _ZN12_GLOBAL__N_120softmax_warp_forwardIN3c108BFloat16ES2_fLi1ELb0ELb1ELi32EEEvPT0_PKT_iiiPKbib.uses_vcc, 1
	.set _ZN12_GLOBAL__N_120softmax_warp_forwardIN3c108BFloat16ES2_fLi1ELb0ELb1ELi32EEEvPT0_PKT_iiiPKbib.uses_flat_scratch, 0
	.set _ZN12_GLOBAL__N_120softmax_warp_forwardIN3c108BFloat16ES2_fLi1ELb0ELb1ELi32EEEvPT0_PKT_iiiPKbib.has_dyn_sized_stack, 0
	.set _ZN12_GLOBAL__N_120softmax_warp_forwardIN3c108BFloat16ES2_fLi1ELb0ELb1ELi32EEEvPT0_PKT_iiiPKbib.has_recursion, 0
	.set _ZN12_GLOBAL__N_120softmax_warp_forwardIN3c108BFloat16ES2_fLi1ELb0ELb1ELi32EEEvPT0_PKT_iiiPKbib.has_indirect_call, 0
	.section	.AMDGPU.csdata,"",@progbits
; Kernel info:
; codeLenInByte = 1576
; TotalNumSgprs: 16
; NumVgprs: 16
; ScratchSize: 0
; MemoryBound: 0
; FloatMode: 240
; IeeeMode: 1
; LDSByteSize: 0 bytes/workgroup (compile time only)
; SGPRBlocks: 0
; VGPRBlocks: 1
; NumSGPRsForWavesPerEU: 16
; NumVGPRsForWavesPerEU: 16
; Occupancy: 16
; WaveLimiterHint : 0
; COMPUTE_PGM_RSRC2:SCRATCH_EN: 0
; COMPUTE_PGM_RSRC2:USER_SGPR: 6
; COMPUTE_PGM_RSRC2:TRAP_HANDLER: 0
; COMPUTE_PGM_RSRC2:TGID_X_EN: 1
; COMPUTE_PGM_RSRC2:TGID_Y_EN: 0
; COMPUTE_PGM_RSRC2:TGID_Z_EN: 0
; COMPUTE_PGM_RSRC2:TIDIG_COMP_CNT: 1
	.section	.text._ZN12_GLOBAL__N_120softmax_warp_forwardIN3c108BFloat16ES2_fLi2ELb0ELb1ELi64EEEvPT0_PKT_iiiPKbib,"axG",@progbits,_ZN12_GLOBAL__N_120softmax_warp_forwardIN3c108BFloat16ES2_fLi2ELb0ELb1ELi64EEEvPT0_PKT_iiiPKbib,comdat
	.globl	_ZN12_GLOBAL__N_120softmax_warp_forwardIN3c108BFloat16ES2_fLi2ELb0ELb1ELi64EEEvPT0_PKT_iiiPKbib ; -- Begin function _ZN12_GLOBAL__N_120softmax_warp_forwardIN3c108BFloat16ES2_fLi2ELb0ELb1ELi64EEEvPT0_PKT_iiiPKbib
	.p2align	8
	.type	_ZN12_GLOBAL__N_120softmax_warp_forwardIN3c108BFloat16ES2_fLi2ELb0ELb1ELi64EEEvPT0_PKT_iiiPKbib,@function
_ZN12_GLOBAL__N_120softmax_warp_forwardIN3c108BFloat16ES2_fLi2ELb0ELb1ELi64EEEvPT0_PKT_iiiPKbib: ; @_ZN12_GLOBAL__N_120softmax_warp_forwardIN3c108BFloat16ES2_fLi2ELb0ELb1ELi64EEEvPT0_PKT_iiiPKbib
; %bb.0:
	s_clause 0x2
	s_load_dwordx2 s[8:9], s[4:5], 0x28
	s_load_dword s10, s[4:5], 0x3c
	s_load_dwordx4 s[0:3], s[4:5], 0x10
	s_waitcnt lgkmcnt(0)
	s_bitcmp1_b32 s9, 0
	s_cselect_b32 s7, -1, 0
	s_lshr_b32 s3, s10, 16
	s_and_b32 s3, s3, 0xffff
	s_bitcmp0_b32 s9, 0
	s_mul_i32 s6, s6, s3
	v_add_lshl_u32 v5, s6, v1, 1
	v_mul_lo_u32 v6, v5, s1
	v_add_nc_u32_e32 v1, v6, v0
	v_ashrrev_i32_e32 v2, 31, v1
	v_mov_b32_e32 v4, v2
	v_mov_b32_e32 v3, v1
	s_cbranch_scc1 .LBB748_2
; %bb.1:
	s_abs_i32 s3, s8
	v_sub_nc_u32_e32 v7, 0, v6
	v_cvt_f32_u32_e32 v3, s3
	s_sub_i32 s6, 0, s3
	v_max_i32_e32 v7, v6, v7
	v_rcp_iflag_f32_e32 v3, v3
	v_xor_b32_e32 v6, s8, v6
	v_ashrrev_i32_e32 v6, 31, v6
	v_mul_f32_e32 v3, 0x4f7ffffe, v3
	v_cvt_u32_f32_e32 v3, v3
	v_mul_lo_u32 v4, s6, v3
	v_mul_hi_u32 v4, v3, v4
	v_add_nc_u32_e32 v3, v3, v4
	v_mul_hi_u32 v3, v7, v3
	v_mul_lo_u32 v4, v3, s3
	v_sub_nc_u32_e32 v4, v7, v4
	v_add_nc_u32_e32 v7, 1, v3
	v_subrev_nc_u32_e32 v8, s3, v4
	v_cmp_le_u32_e32 vcc_lo, s3, v4
	v_cndmask_b32_e32 v3, v3, v7, vcc_lo
	v_cndmask_b32_e32 v4, v4, v8, vcc_lo
	v_add_nc_u32_e32 v7, 1, v3
	v_cmp_le_u32_e32 vcc_lo, s3, v4
	v_cndmask_b32_e32 v3, v3, v7, vcc_lo
	v_xor_b32_e32 v3, v3, v6
	v_sub_nc_u32_e32 v3, v3, v6
	v_mad_u64_u32 v[3:4], null, v3, s1, v[0:1]
	v_ashrrev_i32_e32 v4, 31, v3
.LBB748_2:
	s_load_dwordx4 s[8:11], s[4:5], 0x0
	v_lshlrev_b64 v[1:2], 1, v[1:2]
	v_sub_nc_u32_e32 v11, s0, v5
	v_cmp_gt_i32_e64 s0, s2, v0
	v_mov_b32_e32 v6, 0xff800000
	v_mov_b32_e32 v5, 0xff800000
	v_cmp_lt_i32_e32 vcc_lo, 0, v11
	s_waitcnt lgkmcnt(0)
	v_add_co_u32 v7, s1, s10, v1
	v_add_co_ci_u32_e64 v8, null, s11, v2, s1
	s_and_b32 s10, s0, vcc_lo
	s_and_saveexec_b32 s1, s10
	s_cbranch_execz .LBB748_4
; %bb.3:
	global_load_ushort v0, v[7:8], off
	s_waitcnt vmcnt(0)
	v_lshlrev_b32_e32 v5, 16, v0
.LBB748_4:
	s_or_b32 exec_lo, exec_lo, s1
	v_cmp_lt_i32_e64 s1, 1, v11
	s_and_b32 s6, s0, s1
	s_and_saveexec_b32 s11, s6
	s_cbranch_execz .LBB748_6
; %bb.5:
	s_mov_b32 s3, 0
	s_lshl_b64 s[12:13], s[2:3], 1
	v_add_co_u32 v6, s1, v7, s12
	v_add_co_ci_u32_e64 v7, null, s13, v8, s1
	global_load_ushort v0, v[6:7], off
	s_waitcnt vmcnt(0)
	v_lshlrev_b32_e32 v6, 16, v0
.LBB748_6:
	s_or_b32 exec_lo, exec_lo, s11
	s_load_dwordx2 s[4:5], s[4:5], 0x20
	v_mov_b32_e32 v7, 0xff800000
	s_waitcnt lgkmcnt(0)
	v_add_co_u32 v3, s1, s4, v3
	v_add_co_ci_u32_e64 v4, null, s5, v4, s1
	s_and_saveexec_b32 s3, s10
	s_cbranch_execz .LBB748_8
; %bb.7:
	global_load_ubyte v0, v[3:4], off
	s_waitcnt vmcnt(0)
	v_and_b32_e32 v0, 1, v0
	v_cmp_eq_u32_e64 s1, 1, v0
	v_cndmask_b32_e64 v7, v5, 0xff800000, s1
.LBB748_8:
	s_or_b32 exec_lo, exec_lo, s3
	s_xor_b32 s3, s10, -1
	s_mov_b32 s5, 0
	s_and_saveexec_b32 s4, s6
	s_cbranch_execz .LBB748_12
; %bb.9:
	s_and_b32 s1, s7, exec_lo
	s_cselect_b32 s1, 0, s2
	s_cselect_b32 s5, 0, 0
	v_add_co_u32 v8, s1, v3, s1
	v_add_co_ci_u32_e64 v9, null, s5, v4, s1
	s_mov_b32 s5, 0
	global_load_ubyte v0, v[8:9], off
	s_waitcnt vmcnt(0)
	v_and_b32_e32 v0, 1, v0
	v_cmp_eq_u32_e64 s1, 1, v0
	s_xor_b32 s10, s1, -1
	s_and_saveexec_b32 s1, s10
; %bb.10:
	s_mov_b32 s5, exec_lo
; %bb.11:
	s_or_b32 exec_lo, exec_lo, s1
	s_and_b32 s5, s5, exec_lo
.LBB748_12:
	s_or_b32 exec_lo, exec_lo, s4
	v_mbcnt_lo_u32_b32 v8, -1, 0
	v_and_b32_e32 v0, 28, v8
	v_xor_b32_e32 v9, 2, v8
	v_xor_b32_e32 v12, 1, v8
	v_add_nc_u32_e32 v10, 4, v0
	v_cmp_lt_i32_e64 s1, v9, v10
	v_cndmask_b32_e64 v0, v8, v9, s1
	v_cndmask_b32_e64 v9, 0xff800000, v6, s5
	v_cmp_lt_i32_e64 s1, v12, v10
	v_lshlrev_b32_e32 v0, 2, v0
	v_cndmask_b32_e64 v8, v8, v12, s1
	ds_bpermute_b32 v13, v0, v7
	ds_bpermute_b32 v14, v0, v9
	v_lshlrev_b32_e32 v12, 2, v8
	s_waitcnt lgkmcnt(1)
	v_cmp_lt_f32_e64 s1, v7, v13
	v_cndmask_b32_e64 v15, v7, v13, s1
	s_waitcnt lgkmcnt(0)
	v_cmp_lt_f32_e64 s1, v9, v14
	ds_bpermute_b32 v16, v12, v15
	v_cndmask_b32_e64 v13, v9, v14, s1
                                        ; implicit-def: $vgpr9_vgpr10
	ds_bpermute_b32 v14, v12, v13
	s_and_saveexec_b32 s1, s3
	s_xor_b32 s1, exec_lo, s1
; %bb.13:
	v_mov_b32_e32 v5, 0
	v_mov_b32_e32 v10, v6
                                        ; implicit-def: $vgpr15
                                        ; implicit-def: $vgpr16
	v_mov_b32_e32 v9, v5
                                        ; implicit-def: $vgpr6
                                        ; implicit-def: $vgpr5
; %bb.14:
	s_or_saveexec_b32 s3, s1
	v_mov_b32_e32 v7, 0
	s_xor_b32 s4, s6, -1
	v_mov_b32_e32 v8, v7
	s_xor_b32 exec_lo, exec_lo, s3
	s_cbranch_execz .LBB748_20
; %bb.15:
	global_load_ubyte v8, v[3:4], off
	s_waitcnt vmcnt(0)
	v_and_b32_e32 v9, 1, v8
	v_mov_b32_e32 v8, v6
	v_cmp_eq_u32_e64 s1, 1, v9
	v_mov_b32_e32 v10, v8
	v_mov_b32_e32 v9, v7
	s_xor_b32 s1, s1, -1
	s_and_saveexec_b32 s5, s1
	s_xor_b32 s5, exec_lo, s5
	s_cbranch_execz .LBB748_17
; %bb.16:
	s_waitcnt lgkmcnt(1)
	v_cmp_lt_f32_e64 s1, v15, v16
	v_cndmask_b32_e64 v8, v15, v16, s1
	v_mov_b32_e32 v16, v7
	v_sub_f32_e32 v5, v5, v8
	v_mul_f32_e32 v8, 0x3fb8aa3b, v5
	v_cmp_ngt_f32_e64 s1, 0xc2ce8ed0, v5
	v_fma_f32 v9, 0x3fb8aa3b, v5, -v8
	v_rndne_f32_e32 v10, v8
	v_fmamk_f32 v9, v5, 0x32a5705f, v9
	v_sub_f32_e32 v8, v8, v10
	v_add_f32_e32 v8, v8, v9
	v_cvt_i32_f32_e32 v9, v10
	v_exp_f32_e32 v8, v8
	v_ldexp_f32 v8, v8, v9
	v_cndmask_b32_e64 v8, 0, v8, s1
	v_cmp_nlt_f32_e64 s1, 0x42b17218, v5
	v_cndmask_b32_e64 v5, 0x7f800000, v8, s1
	v_mov_b32_e32 v10, v6
	v_mov_b32_e32 v15, v5
	v_mov_b32_e32 v9, v5
	v_mov_b32_e32 v7, v15
	v_mov_b32_e32 v8, v16
.LBB748_17:
	s_andn2_saveexec_b32 s1, s5
; %bb.18:
	v_mov_b32_e32 v7, 0
	v_mov_b32_e32 v8, v7
; %bb.19:
	s_or_b32 exec_lo, exec_lo, s1
.LBB748_20:
	s_or_b32 exec_lo, exec_lo, s3
                                        ; implicit-def: $vgpr5_vgpr6
	s_and_saveexec_b32 s1, s4
	s_xor_b32 s1, exec_lo, s1
	s_cbranch_execz .LBB748_22
; %bb.21:
	v_mov_b32_e32 v10, 0
	v_mov_b32_e32 v5, v9
                                        ; implicit-def: $vgpr3
                                        ; implicit-def: $vgpr13
                                        ; implicit-def: $vgpr14
	v_mov_b32_e32 v6, v10
                                        ; implicit-def: $vgpr9_vgpr10
	s_andn2_saveexec_b32 s3, s1
	s_cbranch_execz .LBB748_26
	s_branch .LBB748_23
.LBB748_22:
	s_andn2_saveexec_b32 s3, s1
	s_cbranch_execz .LBB748_26
.LBB748_23:
	s_and_b32 s1, s7, exec_lo
	s_cselect_b32 s1, 0, s2
	s_cselect_b32 s4, 0, 0
	v_add_co_u32 v3, s1, v3, s1
	v_add_co_ci_u32_e64 v4, null, s4, v4, s1
	v_mov_b32_e32 v6, 0
	v_mov_b32_e32 v5, v9
	global_load_ubyte v3, v[3:4], off
	s_waitcnt vmcnt(0)
	v_and_b32_e32 v3, 1, v3
	v_cmp_eq_u32_e64 s1, 1, v3
	s_xor_b32 s1, s1, -1
	s_and_saveexec_b32 s4, s1
	s_xor_b32 s4, exec_lo, s4
	s_cbranch_execz .LBB748_25
; %bb.24:
	s_waitcnt lgkmcnt(0)
	v_cmp_lt_f32_e64 s1, v13, v14
	v_cndmask_b32_e64 v3, v13, v14, s1
	v_sub_f32_e32 v3, v10, v3
	v_mul_f32_e32 v4, 0x3fb8aa3b, v3
	v_cmp_ngt_f32_e64 s1, 0xc2ce8ed0, v3
	v_fma_f32 v5, 0x3fb8aa3b, v3, -v4
	v_rndne_f32_e32 v6, v4
	v_fmamk_f32 v5, v3, 0x32a5705f, v5
	v_sub_f32_e32 v4, v4, v6
	v_add_f32_e32 v4, v4, v5
	v_cvt_i32_f32_e32 v5, v6
	v_exp_f32_e32 v4, v4
	v_ldexp_f32 v4, v4, v5
	v_cndmask_b32_e64 v4, 0, v4, s1
	v_cmp_nlt_f32_e64 s1, 0x42b17218, v3
	v_cndmask_b32_e64 v10, 0x7f800000, v4, s1
	v_mov_b32_e32 v5, v9
	v_add_f32_e32 v8, v8, v10
	v_mov_b32_e32 v6, v10
.LBB748_25:
	s_andn2_saveexec_b32 s1, s4
	s_or_b32 exec_lo, exec_lo, s1
.LBB748_26:
	s_or_b32 exec_lo, exec_lo, s3
	ds_bpermute_b32 v3, v0, v7
	ds_bpermute_b32 v0, v0, v8
	s_waitcnt lgkmcnt(1)
	v_add_f32_e32 v7, v7, v3
	s_waitcnt lgkmcnt(0)
	v_add_f32_e32 v3, v8, v0
	ds_bpermute_b32 v8, v12, v7
	ds_bpermute_b32 v4, v12, v3
	s_and_saveexec_b32 s1, vcc_lo
	s_cbranch_execz .LBB748_35
; %bb.27:
	v_add_co_u32 v0, vcc_lo, s8, v1
	v_add_co_ci_u32_e64 v1, null, s9, v2, vcc_lo
	s_and_saveexec_b32 s1, s0
	s_cbranch_execz .LBB748_31
; %bb.28:
	s_waitcnt lgkmcnt(1)
	v_add_f32_e32 v2, v7, v8
	v_mov_b32_e32 v7, 0x7fc0
	s_mov_b32 s3, exec_lo
	v_cmpx_neq_f32_e32 0, v2
	s_cbranch_execz .LBB748_30
; %bb.29:
	v_div_scale_f32 v7, null, v2, v2, v5
	v_div_scale_f32 v10, vcc_lo, v5, v2, v5
	v_rcp_f32_e32 v8, v7
	v_fma_f32 v9, -v7, v8, 1.0
	v_fmac_f32_e32 v8, v9, v8
	v_mul_f32_e32 v9, v10, v8
	v_fma_f32 v12, -v7, v9, v10
	v_fmac_f32_e32 v9, v12, v8
	v_fma_f32 v7, -v7, v9, v10
	v_div_fmas_f32 v7, v7, v8, v9
	v_div_fixup_f32 v2, v7, v2, v5
	v_bfe_u32 v5, v2, 16, 1
	v_cmp_o_f32_e32 vcc_lo, v2, v2
	v_add3_u32 v2, v2, v5, 0x7fff
	v_mov_b32_e32 v5, 0x7fc0
	v_cndmask_b32_sdwa v7, v5, v2, vcc_lo dst_sel:DWORD dst_unused:UNUSED_PAD src0_sel:DWORD src1_sel:WORD_1
.LBB748_30:
	s_or_b32 exec_lo, exec_lo, s3
	global_store_short v[0:1], v7, off
.LBB748_31:
	s_or_b32 exec_lo, exec_lo, s1
	v_cmp_ne_u32_e32 vcc_lo, 1, v11
	s_and_b32 s0, vcc_lo, s0
	s_and_b32 exec_lo, exec_lo, s0
	s_cbranch_execz .LBB748_35
; %bb.32:
	s_waitcnt lgkmcnt(0)
	v_add_f32_e32 v2, v3, v4
	v_mov_b32_e32 v3, 0x7fc0
	s_mov_b32 s3, 0
	s_mov_b32 s0, exec_lo
	v_cmpx_neq_f32_e32 0, v2
	s_cbranch_execz .LBB748_34
; %bb.33:
	v_div_scale_f32 v3, null, v2, v2, v6
	v_div_scale_f32 v7, vcc_lo, v6, v2, v6
	v_rcp_f32_e32 v4, v3
	v_fma_f32 v5, -v3, v4, 1.0
	v_fmac_f32_e32 v4, v5, v4
	v_mul_f32_e32 v5, v7, v4
	v_fma_f32 v8, -v3, v5, v7
	v_fmac_f32_e32 v5, v8, v4
	v_fma_f32 v3, -v3, v5, v7
	v_div_fmas_f32 v3, v3, v4, v5
	v_div_fixup_f32 v2, v3, v2, v6
	v_bfe_u32 v3, v2, 16, 1
	v_cmp_o_f32_e32 vcc_lo, v2, v2
	v_add3_u32 v2, v2, v3, 0x7fff
	v_mov_b32_e32 v3, 0x7fc0
	v_cndmask_b32_sdwa v3, v3, v2, vcc_lo dst_sel:DWORD dst_unused:UNUSED_PAD src0_sel:DWORD src1_sel:WORD_1
.LBB748_34:
	s_or_b32 exec_lo, exec_lo, s0
	s_lshl_b64 s[0:1], s[2:3], 1
	v_add_co_u32 v0, vcc_lo, v0, s0
	v_add_co_ci_u32_e64 v1, null, s1, v1, vcc_lo
	global_store_short v[0:1], v3, off
.LBB748_35:
	s_endpgm
	.section	.rodata,"a",@progbits
	.p2align	6, 0x0
	.amdhsa_kernel _ZN12_GLOBAL__N_120softmax_warp_forwardIN3c108BFloat16ES2_fLi2ELb0ELb1ELi64EEEvPT0_PKT_iiiPKbib
		.amdhsa_group_segment_fixed_size 0
		.amdhsa_private_segment_fixed_size 0
		.amdhsa_kernarg_size 304
		.amdhsa_user_sgpr_count 6
		.amdhsa_user_sgpr_private_segment_buffer 1
		.amdhsa_user_sgpr_dispatch_ptr 0
		.amdhsa_user_sgpr_queue_ptr 0
		.amdhsa_user_sgpr_kernarg_segment_ptr 1
		.amdhsa_user_sgpr_dispatch_id 0
		.amdhsa_user_sgpr_flat_scratch_init 0
		.amdhsa_user_sgpr_private_segment_size 0
		.amdhsa_wavefront_size32 1
		.amdhsa_uses_dynamic_stack 0
		.amdhsa_system_sgpr_private_segment_wavefront_offset 0
		.amdhsa_system_sgpr_workgroup_id_x 1
		.amdhsa_system_sgpr_workgroup_id_y 0
		.amdhsa_system_sgpr_workgroup_id_z 0
		.amdhsa_system_sgpr_workgroup_info 0
		.amdhsa_system_vgpr_workitem_id 1
		.amdhsa_next_free_vgpr 17
		.amdhsa_next_free_sgpr 14
		.amdhsa_reserve_vcc 1
		.amdhsa_reserve_flat_scratch 0
		.amdhsa_float_round_mode_32 0
		.amdhsa_float_round_mode_16_64 0
		.amdhsa_float_denorm_mode_32 3
		.amdhsa_float_denorm_mode_16_64 3
		.amdhsa_dx10_clamp 1
		.amdhsa_ieee_mode 1
		.amdhsa_fp16_overflow 0
		.amdhsa_workgroup_processor_mode 1
		.amdhsa_memory_ordered 1
		.amdhsa_forward_progress 1
		.amdhsa_shared_vgpr_count 0
		.amdhsa_exception_fp_ieee_invalid_op 0
		.amdhsa_exception_fp_denorm_src 0
		.amdhsa_exception_fp_ieee_div_zero 0
		.amdhsa_exception_fp_ieee_overflow 0
		.amdhsa_exception_fp_ieee_underflow 0
		.amdhsa_exception_fp_ieee_inexact 0
		.amdhsa_exception_int_div_zero 0
	.end_amdhsa_kernel
	.section	.text._ZN12_GLOBAL__N_120softmax_warp_forwardIN3c108BFloat16ES2_fLi2ELb0ELb1ELi64EEEvPT0_PKT_iiiPKbib,"axG",@progbits,_ZN12_GLOBAL__N_120softmax_warp_forwardIN3c108BFloat16ES2_fLi2ELb0ELb1ELi64EEEvPT0_PKT_iiiPKbib,comdat
.Lfunc_end748:
	.size	_ZN12_GLOBAL__N_120softmax_warp_forwardIN3c108BFloat16ES2_fLi2ELb0ELb1ELi64EEEvPT0_PKT_iiiPKbib, .Lfunc_end748-_ZN12_GLOBAL__N_120softmax_warp_forwardIN3c108BFloat16ES2_fLi2ELb0ELb1ELi64EEEvPT0_PKT_iiiPKbib
                                        ; -- End function
	.set _ZN12_GLOBAL__N_120softmax_warp_forwardIN3c108BFloat16ES2_fLi2ELb0ELb1ELi64EEEvPT0_PKT_iiiPKbib.num_vgpr, 17
	.set _ZN12_GLOBAL__N_120softmax_warp_forwardIN3c108BFloat16ES2_fLi2ELb0ELb1ELi64EEEvPT0_PKT_iiiPKbib.num_agpr, 0
	.set _ZN12_GLOBAL__N_120softmax_warp_forwardIN3c108BFloat16ES2_fLi2ELb0ELb1ELi64EEEvPT0_PKT_iiiPKbib.numbered_sgpr, 14
	.set _ZN12_GLOBAL__N_120softmax_warp_forwardIN3c108BFloat16ES2_fLi2ELb0ELb1ELi64EEEvPT0_PKT_iiiPKbib.num_named_barrier, 0
	.set _ZN12_GLOBAL__N_120softmax_warp_forwardIN3c108BFloat16ES2_fLi2ELb0ELb1ELi64EEEvPT0_PKT_iiiPKbib.private_seg_size, 0
	.set _ZN12_GLOBAL__N_120softmax_warp_forwardIN3c108BFloat16ES2_fLi2ELb0ELb1ELi64EEEvPT0_PKT_iiiPKbib.uses_vcc, 1
	.set _ZN12_GLOBAL__N_120softmax_warp_forwardIN3c108BFloat16ES2_fLi2ELb0ELb1ELi64EEEvPT0_PKT_iiiPKbib.uses_flat_scratch, 0
	.set _ZN12_GLOBAL__N_120softmax_warp_forwardIN3c108BFloat16ES2_fLi2ELb0ELb1ELi64EEEvPT0_PKT_iiiPKbib.has_dyn_sized_stack, 0
	.set _ZN12_GLOBAL__N_120softmax_warp_forwardIN3c108BFloat16ES2_fLi2ELb0ELb1ELi64EEEvPT0_PKT_iiiPKbib.has_recursion, 0
	.set _ZN12_GLOBAL__N_120softmax_warp_forwardIN3c108BFloat16ES2_fLi2ELb0ELb1ELi64EEEvPT0_PKT_iiiPKbib.has_indirect_call, 0
	.section	.AMDGPU.csdata,"",@progbits
; Kernel info:
; codeLenInByte = 1688
; TotalNumSgprs: 16
; NumVgprs: 17
; ScratchSize: 0
; MemoryBound: 0
; FloatMode: 240
; IeeeMode: 1
; LDSByteSize: 0 bytes/workgroup (compile time only)
; SGPRBlocks: 0
; VGPRBlocks: 2
; NumSGPRsForWavesPerEU: 16
; NumVGPRsForWavesPerEU: 17
; Occupancy: 16
; WaveLimiterHint : 0
; COMPUTE_PGM_RSRC2:SCRATCH_EN: 0
; COMPUTE_PGM_RSRC2:USER_SGPR: 6
; COMPUTE_PGM_RSRC2:TRAP_HANDLER: 0
; COMPUTE_PGM_RSRC2:TGID_X_EN: 1
; COMPUTE_PGM_RSRC2:TGID_Y_EN: 0
; COMPUTE_PGM_RSRC2:TGID_Z_EN: 0
; COMPUTE_PGM_RSRC2:TIDIG_COMP_CNT: 1
	.section	.text._ZN12_GLOBAL__N_120softmax_warp_forwardIN3c108BFloat16ES2_fLi2ELb0ELb1ELi32EEEvPT0_PKT_iiiPKbib,"axG",@progbits,_ZN12_GLOBAL__N_120softmax_warp_forwardIN3c108BFloat16ES2_fLi2ELb0ELb1ELi32EEEvPT0_PKT_iiiPKbib,comdat
	.globl	_ZN12_GLOBAL__N_120softmax_warp_forwardIN3c108BFloat16ES2_fLi2ELb0ELb1ELi32EEEvPT0_PKT_iiiPKbib ; -- Begin function _ZN12_GLOBAL__N_120softmax_warp_forwardIN3c108BFloat16ES2_fLi2ELb0ELb1ELi32EEEvPT0_PKT_iiiPKbib
	.p2align	8
	.type	_ZN12_GLOBAL__N_120softmax_warp_forwardIN3c108BFloat16ES2_fLi2ELb0ELb1ELi32EEEvPT0_PKT_iiiPKbib,@function
_ZN12_GLOBAL__N_120softmax_warp_forwardIN3c108BFloat16ES2_fLi2ELb0ELb1ELi32EEEvPT0_PKT_iiiPKbib: ; @_ZN12_GLOBAL__N_120softmax_warp_forwardIN3c108BFloat16ES2_fLi2ELb0ELb1ELi32EEEvPT0_PKT_iiiPKbib
; %bb.0:
	s_clause 0x2
	s_load_dwordx2 s[8:9], s[4:5], 0x28
	s_load_dword s10, s[4:5], 0x3c
	s_load_dwordx4 s[0:3], s[4:5], 0x10
	s_waitcnt lgkmcnt(0)
	s_bitcmp1_b32 s9, 0
	s_cselect_b32 s7, -1, 0
	s_lshr_b32 s3, s10, 16
	s_and_b32 s3, s3, 0xffff
	s_bitcmp0_b32 s9, 0
	s_mul_i32 s6, s6, s3
	v_add_lshl_u32 v5, s6, v1, 1
	v_mul_lo_u32 v6, v5, s1
	v_add_nc_u32_e32 v1, v6, v0
	v_ashrrev_i32_e32 v2, 31, v1
	v_mov_b32_e32 v4, v2
	v_mov_b32_e32 v3, v1
	s_cbranch_scc1 .LBB749_2
; %bb.1:
	s_abs_i32 s3, s8
	v_sub_nc_u32_e32 v7, 0, v6
	v_cvt_f32_u32_e32 v3, s3
	s_sub_i32 s6, 0, s3
	v_max_i32_e32 v7, v6, v7
	v_rcp_iflag_f32_e32 v3, v3
	v_xor_b32_e32 v6, s8, v6
	v_ashrrev_i32_e32 v6, 31, v6
	v_mul_f32_e32 v3, 0x4f7ffffe, v3
	v_cvt_u32_f32_e32 v3, v3
	v_mul_lo_u32 v4, s6, v3
	v_mul_hi_u32 v4, v3, v4
	v_add_nc_u32_e32 v3, v3, v4
	v_mul_hi_u32 v3, v7, v3
	v_mul_lo_u32 v4, v3, s3
	v_sub_nc_u32_e32 v4, v7, v4
	v_add_nc_u32_e32 v7, 1, v3
	v_subrev_nc_u32_e32 v8, s3, v4
	v_cmp_le_u32_e32 vcc_lo, s3, v4
	v_cndmask_b32_e32 v3, v3, v7, vcc_lo
	v_cndmask_b32_e32 v4, v4, v8, vcc_lo
	v_add_nc_u32_e32 v7, 1, v3
	v_cmp_le_u32_e32 vcc_lo, s3, v4
	v_cndmask_b32_e32 v3, v3, v7, vcc_lo
	v_xor_b32_e32 v3, v3, v6
	v_sub_nc_u32_e32 v3, v3, v6
	v_mad_u64_u32 v[3:4], null, v3, s1, v[0:1]
	v_ashrrev_i32_e32 v4, 31, v3
.LBB749_2:
	s_load_dwordx4 s[8:11], s[4:5], 0x0
	v_lshlrev_b64 v[1:2], 1, v[1:2]
	v_sub_nc_u32_e32 v11, s0, v5
	v_cmp_gt_i32_e64 s0, s2, v0
	v_mov_b32_e32 v6, 0xff800000
	v_mov_b32_e32 v5, 0xff800000
	v_cmp_lt_i32_e32 vcc_lo, 0, v11
	s_waitcnt lgkmcnt(0)
	v_add_co_u32 v7, s1, s10, v1
	v_add_co_ci_u32_e64 v8, null, s11, v2, s1
	s_and_b32 s10, s0, vcc_lo
	s_and_saveexec_b32 s1, s10
	s_cbranch_execz .LBB749_4
; %bb.3:
	global_load_ushort v0, v[7:8], off
	s_waitcnt vmcnt(0)
	v_lshlrev_b32_e32 v5, 16, v0
.LBB749_4:
	s_or_b32 exec_lo, exec_lo, s1
	v_cmp_lt_i32_e64 s1, 1, v11
	s_and_b32 s6, s0, s1
	s_and_saveexec_b32 s11, s6
	s_cbranch_execz .LBB749_6
; %bb.5:
	s_mov_b32 s3, 0
	s_lshl_b64 s[12:13], s[2:3], 1
	v_add_co_u32 v6, s1, v7, s12
	v_add_co_ci_u32_e64 v7, null, s13, v8, s1
	global_load_ushort v0, v[6:7], off
	s_waitcnt vmcnt(0)
	v_lshlrev_b32_e32 v6, 16, v0
.LBB749_6:
	s_or_b32 exec_lo, exec_lo, s11
	s_load_dwordx2 s[4:5], s[4:5], 0x20
	v_mov_b32_e32 v7, 0xff800000
	s_waitcnt lgkmcnt(0)
	v_add_co_u32 v3, s1, s4, v3
	v_add_co_ci_u32_e64 v4, null, s5, v4, s1
	s_and_saveexec_b32 s3, s10
	s_cbranch_execz .LBB749_8
; %bb.7:
	global_load_ubyte v0, v[3:4], off
	s_waitcnt vmcnt(0)
	v_and_b32_e32 v0, 1, v0
	v_cmp_eq_u32_e64 s1, 1, v0
	v_cndmask_b32_e64 v7, v5, 0xff800000, s1
.LBB749_8:
	s_or_b32 exec_lo, exec_lo, s3
	s_xor_b32 s3, s10, -1
	s_mov_b32 s5, 0
	s_and_saveexec_b32 s4, s6
	s_cbranch_execz .LBB749_12
; %bb.9:
	s_and_b32 s1, s7, exec_lo
	s_cselect_b32 s1, 0, s2
	s_cselect_b32 s5, 0, 0
	v_add_co_u32 v8, s1, v3, s1
	v_add_co_ci_u32_e64 v9, null, s5, v4, s1
	s_mov_b32 s5, 0
	global_load_ubyte v0, v[8:9], off
	s_waitcnt vmcnt(0)
	v_and_b32_e32 v0, 1, v0
	v_cmp_eq_u32_e64 s1, 1, v0
	s_xor_b32 s10, s1, -1
	s_and_saveexec_b32 s1, s10
; %bb.10:
	s_mov_b32 s5, exec_lo
; %bb.11:
	s_or_b32 exec_lo, exec_lo, s1
	s_and_b32 s5, s5, exec_lo
.LBB749_12:
	s_or_b32 exec_lo, exec_lo, s4
	v_mbcnt_lo_u32_b32 v8, -1, 0
	v_and_b32_e32 v0, 28, v8
	v_xor_b32_e32 v9, 2, v8
	v_xor_b32_e32 v12, 1, v8
	v_add_nc_u32_e32 v10, 4, v0
	v_cmp_lt_i32_e64 s1, v9, v10
	v_cndmask_b32_e64 v0, v8, v9, s1
	v_cndmask_b32_e64 v9, 0xff800000, v6, s5
	v_cmp_lt_i32_e64 s1, v12, v10
	v_lshlrev_b32_e32 v0, 2, v0
	v_cndmask_b32_e64 v8, v8, v12, s1
	ds_bpermute_b32 v13, v0, v7
	ds_bpermute_b32 v14, v0, v9
	v_lshlrev_b32_e32 v12, 2, v8
	s_waitcnt lgkmcnt(1)
	v_cmp_lt_f32_e64 s1, v7, v13
	v_cndmask_b32_e64 v15, v7, v13, s1
	s_waitcnt lgkmcnt(0)
	v_cmp_lt_f32_e64 s1, v9, v14
	ds_bpermute_b32 v16, v12, v15
	v_cndmask_b32_e64 v13, v9, v14, s1
                                        ; implicit-def: $vgpr9_vgpr10
	ds_bpermute_b32 v14, v12, v13
	s_and_saveexec_b32 s1, s3
	s_xor_b32 s1, exec_lo, s1
; %bb.13:
	v_mov_b32_e32 v5, 0
	v_mov_b32_e32 v10, v6
                                        ; implicit-def: $vgpr15
                                        ; implicit-def: $vgpr16
	v_mov_b32_e32 v9, v5
                                        ; implicit-def: $vgpr6
                                        ; implicit-def: $vgpr5
; %bb.14:
	s_or_saveexec_b32 s3, s1
	v_mov_b32_e32 v7, 0
	s_xor_b32 s4, s6, -1
	v_mov_b32_e32 v8, v7
	s_xor_b32 exec_lo, exec_lo, s3
	s_cbranch_execz .LBB749_20
; %bb.15:
	global_load_ubyte v8, v[3:4], off
	s_waitcnt vmcnt(0)
	v_and_b32_e32 v9, 1, v8
	v_mov_b32_e32 v8, v6
	v_cmp_eq_u32_e64 s1, 1, v9
	v_mov_b32_e32 v10, v8
	v_mov_b32_e32 v9, v7
	s_xor_b32 s1, s1, -1
	s_and_saveexec_b32 s5, s1
	s_xor_b32 s5, exec_lo, s5
	s_cbranch_execz .LBB749_17
; %bb.16:
	s_waitcnt lgkmcnt(1)
	v_cmp_lt_f32_e64 s1, v15, v16
	v_cndmask_b32_e64 v8, v15, v16, s1
	v_mov_b32_e32 v16, v7
	v_sub_f32_e32 v5, v5, v8
	v_mul_f32_e32 v8, 0x3fb8aa3b, v5
	v_cmp_ngt_f32_e64 s1, 0xc2ce8ed0, v5
	v_fma_f32 v9, 0x3fb8aa3b, v5, -v8
	v_rndne_f32_e32 v10, v8
	v_fmamk_f32 v9, v5, 0x32a5705f, v9
	v_sub_f32_e32 v8, v8, v10
	v_add_f32_e32 v8, v8, v9
	v_cvt_i32_f32_e32 v9, v10
	v_exp_f32_e32 v8, v8
	v_ldexp_f32 v8, v8, v9
	v_cndmask_b32_e64 v8, 0, v8, s1
	v_cmp_nlt_f32_e64 s1, 0x42b17218, v5
	v_cndmask_b32_e64 v5, 0x7f800000, v8, s1
	v_mov_b32_e32 v10, v6
	v_mov_b32_e32 v15, v5
	;; [unrolled: 1-line block ×5, first 2 shown]
.LBB749_17:
	s_andn2_saveexec_b32 s1, s5
; %bb.18:
	v_mov_b32_e32 v7, 0
	v_mov_b32_e32 v8, v7
; %bb.19:
	s_or_b32 exec_lo, exec_lo, s1
.LBB749_20:
	s_or_b32 exec_lo, exec_lo, s3
                                        ; implicit-def: $vgpr5_vgpr6
	s_and_saveexec_b32 s1, s4
	s_xor_b32 s1, exec_lo, s1
	s_cbranch_execz .LBB749_22
; %bb.21:
	v_mov_b32_e32 v10, 0
	v_mov_b32_e32 v5, v9
                                        ; implicit-def: $vgpr3
                                        ; implicit-def: $vgpr13
                                        ; implicit-def: $vgpr14
	v_mov_b32_e32 v6, v10
                                        ; implicit-def: $vgpr9_vgpr10
	s_andn2_saveexec_b32 s3, s1
	s_cbranch_execz .LBB749_26
	s_branch .LBB749_23
.LBB749_22:
	s_andn2_saveexec_b32 s3, s1
	s_cbranch_execz .LBB749_26
.LBB749_23:
	s_and_b32 s1, s7, exec_lo
	s_cselect_b32 s1, 0, s2
	s_cselect_b32 s4, 0, 0
	v_add_co_u32 v3, s1, v3, s1
	v_add_co_ci_u32_e64 v4, null, s4, v4, s1
	v_mov_b32_e32 v6, 0
	v_mov_b32_e32 v5, v9
	global_load_ubyte v3, v[3:4], off
	s_waitcnt vmcnt(0)
	v_and_b32_e32 v3, 1, v3
	v_cmp_eq_u32_e64 s1, 1, v3
	s_xor_b32 s1, s1, -1
	s_and_saveexec_b32 s4, s1
	s_xor_b32 s4, exec_lo, s4
	s_cbranch_execz .LBB749_25
; %bb.24:
	s_waitcnt lgkmcnt(0)
	v_cmp_lt_f32_e64 s1, v13, v14
	v_cndmask_b32_e64 v3, v13, v14, s1
	v_sub_f32_e32 v3, v10, v3
	v_mul_f32_e32 v4, 0x3fb8aa3b, v3
	v_cmp_ngt_f32_e64 s1, 0xc2ce8ed0, v3
	v_fma_f32 v5, 0x3fb8aa3b, v3, -v4
	v_rndne_f32_e32 v6, v4
	v_fmamk_f32 v5, v3, 0x32a5705f, v5
	v_sub_f32_e32 v4, v4, v6
	v_add_f32_e32 v4, v4, v5
	v_cvt_i32_f32_e32 v5, v6
	v_exp_f32_e32 v4, v4
	v_ldexp_f32 v4, v4, v5
	v_cndmask_b32_e64 v4, 0, v4, s1
	v_cmp_nlt_f32_e64 s1, 0x42b17218, v3
	v_cndmask_b32_e64 v10, 0x7f800000, v4, s1
	v_mov_b32_e32 v5, v9
	v_add_f32_e32 v8, v8, v10
	v_mov_b32_e32 v6, v10
.LBB749_25:
	s_andn2_saveexec_b32 s1, s4
	s_or_b32 exec_lo, exec_lo, s1
.LBB749_26:
	s_or_b32 exec_lo, exec_lo, s3
	ds_bpermute_b32 v3, v0, v7
	ds_bpermute_b32 v0, v0, v8
	s_waitcnt lgkmcnt(1)
	v_add_f32_e32 v7, v7, v3
	s_waitcnt lgkmcnt(0)
	v_add_f32_e32 v3, v8, v0
	ds_bpermute_b32 v8, v12, v7
	ds_bpermute_b32 v4, v12, v3
	s_and_saveexec_b32 s1, vcc_lo
	s_cbranch_execz .LBB749_35
; %bb.27:
	v_add_co_u32 v0, vcc_lo, s8, v1
	v_add_co_ci_u32_e64 v1, null, s9, v2, vcc_lo
	s_and_saveexec_b32 s1, s0
	s_cbranch_execz .LBB749_31
; %bb.28:
	s_waitcnt lgkmcnt(1)
	v_add_f32_e32 v2, v7, v8
	v_mov_b32_e32 v7, 0x7fc0
	s_mov_b32 s3, exec_lo
	v_cmpx_neq_f32_e32 0, v2
	s_cbranch_execz .LBB749_30
; %bb.29:
	v_div_scale_f32 v7, null, v2, v2, v5
	v_div_scale_f32 v10, vcc_lo, v5, v2, v5
	v_rcp_f32_e32 v8, v7
	v_fma_f32 v9, -v7, v8, 1.0
	v_fmac_f32_e32 v8, v9, v8
	v_mul_f32_e32 v9, v10, v8
	v_fma_f32 v12, -v7, v9, v10
	v_fmac_f32_e32 v9, v12, v8
	v_fma_f32 v7, -v7, v9, v10
	v_div_fmas_f32 v7, v7, v8, v9
	v_div_fixup_f32 v2, v7, v2, v5
	v_bfe_u32 v5, v2, 16, 1
	v_cmp_o_f32_e32 vcc_lo, v2, v2
	v_add3_u32 v2, v2, v5, 0x7fff
	v_mov_b32_e32 v5, 0x7fc0
	v_cndmask_b32_sdwa v7, v5, v2, vcc_lo dst_sel:DWORD dst_unused:UNUSED_PAD src0_sel:DWORD src1_sel:WORD_1
.LBB749_30:
	s_or_b32 exec_lo, exec_lo, s3
	global_store_short v[0:1], v7, off
.LBB749_31:
	s_or_b32 exec_lo, exec_lo, s1
	v_cmp_ne_u32_e32 vcc_lo, 1, v11
	s_and_b32 s0, vcc_lo, s0
	s_and_b32 exec_lo, exec_lo, s0
	s_cbranch_execz .LBB749_35
; %bb.32:
	s_waitcnt lgkmcnt(0)
	v_add_f32_e32 v2, v3, v4
	v_mov_b32_e32 v3, 0x7fc0
	s_mov_b32 s3, 0
	s_mov_b32 s0, exec_lo
	v_cmpx_neq_f32_e32 0, v2
	s_cbranch_execz .LBB749_34
; %bb.33:
	v_div_scale_f32 v3, null, v2, v2, v6
	v_div_scale_f32 v7, vcc_lo, v6, v2, v6
	v_rcp_f32_e32 v4, v3
	v_fma_f32 v5, -v3, v4, 1.0
	v_fmac_f32_e32 v4, v5, v4
	v_mul_f32_e32 v5, v7, v4
	v_fma_f32 v8, -v3, v5, v7
	v_fmac_f32_e32 v5, v8, v4
	v_fma_f32 v3, -v3, v5, v7
	v_div_fmas_f32 v3, v3, v4, v5
	v_div_fixup_f32 v2, v3, v2, v6
	v_bfe_u32 v3, v2, 16, 1
	v_cmp_o_f32_e32 vcc_lo, v2, v2
	v_add3_u32 v2, v2, v3, 0x7fff
	v_mov_b32_e32 v3, 0x7fc0
	v_cndmask_b32_sdwa v3, v3, v2, vcc_lo dst_sel:DWORD dst_unused:UNUSED_PAD src0_sel:DWORD src1_sel:WORD_1
.LBB749_34:
	s_or_b32 exec_lo, exec_lo, s0
	s_lshl_b64 s[0:1], s[2:3], 1
	v_add_co_u32 v0, vcc_lo, v0, s0
	v_add_co_ci_u32_e64 v1, null, s1, v1, vcc_lo
	global_store_short v[0:1], v3, off
.LBB749_35:
	s_endpgm
	.section	.rodata,"a",@progbits
	.p2align	6, 0x0
	.amdhsa_kernel _ZN12_GLOBAL__N_120softmax_warp_forwardIN3c108BFloat16ES2_fLi2ELb0ELb1ELi32EEEvPT0_PKT_iiiPKbib
		.amdhsa_group_segment_fixed_size 0
		.amdhsa_private_segment_fixed_size 0
		.amdhsa_kernarg_size 304
		.amdhsa_user_sgpr_count 6
		.amdhsa_user_sgpr_private_segment_buffer 1
		.amdhsa_user_sgpr_dispatch_ptr 0
		.amdhsa_user_sgpr_queue_ptr 0
		.amdhsa_user_sgpr_kernarg_segment_ptr 1
		.amdhsa_user_sgpr_dispatch_id 0
		.amdhsa_user_sgpr_flat_scratch_init 0
		.amdhsa_user_sgpr_private_segment_size 0
		.amdhsa_wavefront_size32 1
		.amdhsa_uses_dynamic_stack 0
		.amdhsa_system_sgpr_private_segment_wavefront_offset 0
		.amdhsa_system_sgpr_workgroup_id_x 1
		.amdhsa_system_sgpr_workgroup_id_y 0
		.amdhsa_system_sgpr_workgroup_id_z 0
		.amdhsa_system_sgpr_workgroup_info 0
		.amdhsa_system_vgpr_workitem_id 1
		.amdhsa_next_free_vgpr 17
		.amdhsa_next_free_sgpr 14
		.amdhsa_reserve_vcc 1
		.amdhsa_reserve_flat_scratch 0
		.amdhsa_float_round_mode_32 0
		.amdhsa_float_round_mode_16_64 0
		.amdhsa_float_denorm_mode_32 3
		.amdhsa_float_denorm_mode_16_64 3
		.amdhsa_dx10_clamp 1
		.amdhsa_ieee_mode 1
		.amdhsa_fp16_overflow 0
		.amdhsa_workgroup_processor_mode 1
		.amdhsa_memory_ordered 1
		.amdhsa_forward_progress 1
		.amdhsa_shared_vgpr_count 0
		.amdhsa_exception_fp_ieee_invalid_op 0
		.amdhsa_exception_fp_denorm_src 0
		.amdhsa_exception_fp_ieee_div_zero 0
		.amdhsa_exception_fp_ieee_overflow 0
		.amdhsa_exception_fp_ieee_underflow 0
		.amdhsa_exception_fp_ieee_inexact 0
		.amdhsa_exception_int_div_zero 0
	.end_amdhsa_kernel
	.section	.text._ZN12_GLOBAL__N_120softmax_warp_forwardIN3c108BFloat16ES2_fLi2ELb0ELb1ELi32EEEvPT0_PKT_iiiPKbib,"axG",@progbits,_ZN12_GLOBAL__N_120softmax_warp_forwardIN3c108BFloat16ES2_fLi2ELb0ELb1ELi32EEEvPT0_PKT_iiiPKbib,comdat
.Lfunc_end749:
	.size	_ZN12_GLOBAL__N_120softmax_warp_forwardIN3c108BFloat16ES2_fLi2ELb0ELb1ELi32EEEvPT0_PKT_iiiPKbib, .Lfunc_end749-_ZN12_GLOBAL__N_120softmax_warp_forwardIN3c108BFloat16ES2_fLi2ELb0ELb1ELi32EEEvPT0_PKT_iiiPKbib
                                        ; -- End function
	.set _ZN12_GLOBAL__N_120softmax_warp_forwardIN3c108BFloat16ES2_fLi2ELb0ELb1ELi32EEEvPT0_PKT_iiiPKbib.num_vgpr, 17
	.set _ZN12_GLOBAL__N_120softmax_warp_forwardIN3c108BFloat16ES2_fLi2ELb0ELb1ELi32EEEvPT0_PKT_iiiPKbib.num_agpr, 0
	.set _ZN12_GLOBAL__N_120softmax_warp_forwardIN3c108BFloat16ES2_fLi2ELb0ELb1ELi32EEEvPT0_PKT_iiiPKbib.numbered_sgpr, 14
	.set _ZN12_GLOBAL__N_120softmax_warp_forwardIN3c108BFloat16ES2_fLi2ELb0ELb1ELi32EEEvPT0_PKT_iiiPKbib.num_named_barrier, 0
	.set _ZN12_GLOBAL__N_120softmax_warp_forwardIN3c108BFloat16ES2_fLi2ELb0ELb1ELi32EEEvPT0_PKT_iiiPKbib.private_seg_size, 0
	.set _ZN12_GLOBAL__N_120softmax_warp_forwardIN3c108BFloat16ES2_fLi2ELb0ELb1ELi32EEEvPT0_PKT_iiiPKbib.uses_vcc, 1
	.set _ZN12_GLOBAL__N_120softmax_warp_forwardIN3c108BFloat16ES2_fLi2ELb0ELb1ELi32EEEvPT0_PKT_iiiPKbib.uses_flat_scratch, 0
	.set _ZN12_GLOBAL__N_120softmax_warp_forwardIN3c108BFloat16ES2_fLi2ELb0ELb1ELi32EEEvPT0_PKT_iiiPKbib.has_dyn_sized_stack, 0
	.set _ZN12_GLOBAL__N_120softmax_warp_forwardIN3c108BFloat16ES2_fLi2ELb0ELb1ELi32EEEvPT0_PKT_iiiPKbib.has_recursion, 0
	.set _ZN12_GLOBAL__N_120softmax_warp_forwardIN3c108BFloat16ES2_fLi2ELb0ELb1ELi32EEEvPT0_PKT_iiiPKbib.has_indirect_call, 0
	.section	.AMDGPU.csdata,"",@progbits
; Kernel info:
; codeLenInByte = 1688
; TotalNumSgprs: 16
; NumVgprs: 17
; ScratchSize: 0
; MemoryBound: 0
; FloatMode: 240
; IeeeMode: 1
; LDSByteSize: 0 bytes/workgroup (compile time only)
; SGPRBlocks: 0
; VGPRBlocks: 2
; NumSGPRsForWavesPerEU: 16
; NumVGPRsForWavesPerEU: 17
; Occupancy: 16
; WaveLimiterHint : 0
; COMPUTE_PGM_RSRC2:SCRATCH_EN: 0
; COMPUTE_PGM_RSRC2:USER_SGPR: 6
; COMPUTE_PGM_RSRC2:TRAP_HANDLER: 0
; COMPUTE_PGM_RSRC2:TGID_X_EN: 1
; COMPUTE_PGM_RSRC2:TGID_Y_EN: 0
; COMPUTE_PGM_RSRC2:TGID_Z_EN: 0
; COMPUTE_PGM_RSRC2:TIDIG_COMP_CNT: 1
	.section	.text._ZN12_GLOBAL__N_120softmax_warp_forwardIN3c108BFloat16ES2_fLi3ELb0ELb1ELi64EEEvPT0_PKT_iiiPKbib,"axG",@progbits,_ZN12_GLOBAL__N_120softmax_warp_forwardIN3c108BFloat16ES2_fLi3ELb0ELb1ELi64EEEvPT0_PKT_iiiPKbib,comdat
	.globl	_ZN12_GLOBAL__N_120softmax_warp_forwardIN3c108BFloat16ES2_fLi3ELb0ELb1ELi64EEEvPT0_PKT_iiiPKbib ; -- Begin function _ZN12_GLOBAL__N_120softmax_warp_forwardIN3c108BFloat16ES2_fLi3ELb0ELb1ELi64EEEvPT0_PKT_iiiPKbib
	.p2align	8
	.type	_ZN12_GLOBAL__N_120softmax_warp_forwardIN3c108BFloat16ES2_fLi3ELb0ELb1ELi64EEEvPT0_PKT_iiiPKbib,@function
_ZN12_GLOBAL__N_120softmax_warp_forwardIN3c108BFloat16ES2_fLi3ELb0ELb1ELi64EEEvPT0_PKT_iiiPKbib: ; @_ZN12_GLOBAL__N_120softmax_warp_forwardIN3c108BFloat16ES2_fLi3ELb0ELb1ELi64EEEvPT0_PKT_iiiPKbib
; %bb.0:
	s_clause 0x2
	s_load_dwordx2 s[8:9], s[4:5], 0x28
	s_load_dword s10, s[4:5], 0x3c
	s_load_dwordx4 s[0:3], s[4:5], 0x10
	s_waitcnt lgkmcnt(0)
	s_bitcmp1_b32 s9, 0
	s_cselect_b32 s7, -1, 0
	s_lshr_b32 s3, s10, 16
	s_and_b32 s3, s3, 0xffff
	s_bitcmp0_b32 s9, 0
	s_mul_i32 s6, s6, s3
	v_add_lshl_u32 v5, s6, v1, 1
	v_mul_lo_u32 v6, v5, s1
	v_add_nc_u32_e32 v1, v6, v0
	v_ashrrev_i32_e32 v2, 31, v1
	v_mov_b32_e32 v4, v2
	v_mov_b32_e32 v3, v1
	s_cbranch_scc1 .LBB750_2
; %bb.1:
	s_abs_i32 s3, s8
	v_sub_nc_u32_e32 v7, 0, v6
	v_cvt_f32_u32_e32 v3, s3
	s_sub_i32 s6, 0, s3
	v_max_i32_e32 v7, v6, v7
	v_rcp_iflag_f32_e32 v3, v3
	v_xor_b32_e32 v6, s8, v6
	v_ashrrev_i32_e32 v6, 31, v6
	v_mul_f32_e32 v3, 0x4f7ffffe, v3
	v_cvt_u32_f32_e32 v3, v3
	v_mul_lo_u32 v4, s6, v3
	v_mul_hi_u32 v4, v3, v4
	v_add_nc_u32_e32 v3, v3, v4
	v_mul_hi_u32 v3, v7, v3
	v_mul_lo_u32 v4, v3, s3
	v_sub_nc_u32_e32 v4, v7, v4
	v_add_nc_u32_e32 v7, 1, v3
	v_subrev_nc_u32_e32 v8, s3, v4
	v_cmp_le_u32_e32 vcc_lo, s3, v4
	v_cndmask_b32_e32 v3, v3, v7, vcc_lo
	v_cndmask_b32_e32 v4, v4, v8, vcc_lo
	v_add_nc_u32_e32 v7, 1, v3
	v_cmp_le_u32_e32 vcc_lo, s3, v4
	v_cndmask_b32_e32 v3, v3, v7, vcc_lo
	v_xor_b32_e32 v3, v3, v6
	v_sub_nc_u32_e32 v3, v3, v6
	v_mad_u64_u32 v[3:4], null, v3, s1, v[0:1]
	v_ashrrev_i32_e32 v4, 31, v3
.LBB750_2:
	s_load_dwordx4 s[8:11], s[4:5], 0x0
	v_lshlrev_b64 v[1:2], 1, v[1:2]
	v_sub_nc_u32_e32 v11, s0, v5
	v_cmp_gt_i32_e64 s0, s2, v0
	v_mov_b32_e32 v6, 0xff800000
	v_mov_b32_e32 v5, 0xff800000
	v_cmp_lt_i32_e32 vcc_lo, 0, v11
	s_waitcnt lgkmcnt(0)
	v_add_co_u32 v7, s1, s10, v1
	v_add_co_ci_u32_e64 v8, null, s11, v2, s1
	s_and_b32 s10, s0, vcc_lo
	s_and_saveexec_b32 s1, s10
	s_cbranch_execz .LBB750_4
; %bb.3:
	global_load_ushort v0, v[7:8], off
	s_waitcnt vmcnt(0)
	v_lshlrev_b32_e32 v5, 16, v0
.LBB750_4:
	s_or_b32 exec_lo, exec_lo, s1
	v_cmp_lt_i32_e64 s1, 1, v11
	s_and_b32 s6, s0, s1
	s_and_saveexec_b32 s11, s6
	s_cbranch_execz .LBB750_6
; %bb.5:
	s_mov_b32 s3, 0
	s_lshl_b64 s[12:13], s[2:3], 1
	v_add_co_u32 v6, s1, v7, s12
	v_add_co_ci_u32_e64 v7, null, s13, v8, s1
	global_load_ushort v0, v[6:7], off
	s_waitcnt vmcnt(0)
	v_lshlrev_b32_e32 v6, 16, v0
.LBB750_6:
	s_or_b32 exec_lo, exec_lo, s11
	s_load_dwordx2 s[4:5], s[4:5], 0x20
	v_mov_b32_e32 v7, 0xff800000
	s_waitcnt lgkmcnt(0)
	v_add_co_u32 v3, s1, s4, v3
	v_add_co_ci_u32_e64 v4, null, s5, v4, s1
	s_and_saveexec_b32 s3, s10
	s_cbranch_execz .LBB750_8
; %bb.7:
	global_load_ubyte v0, v[3:4], off
	s_waitcnt vmcnt(0)
	v_and_b32_e32 v0, 1, v0
	v_cmp_eq_u32_e64 s1, 1, v0
	v_cndmask_b32_e64 v7, v5, 0xff800000, s1
.LBB750_8:
	s_or_b32 exec_lo, exec_lo, s3
	s_xor_b32 s3, s10, -1
	s_mov_b32 s5, 0
	s_and_saveexec_b32 s4, s6
	s_cbranch_execz .LBB750_12
; %bb.9:
	s_and_b32 s1, s7, exec_lo
	s_cselect_b32 s1, 0, s2
	s_cselect_b32 s5, 0, 0
	v_add_co_u32 v8, s1, v3, s1
	v_add_co_ci_u32_e64 v9, null, s5, v4, s1
	s_mov_b32 s5, 0
	global_load_ubyte v0, v[8:9], off
	s_waitcnt vmcnt(0)
	v_and_b32_e32 v0, 1, v0
	v_cmp_eq_u32_e64 s1, 1, v0
	s_xor_b32 s10, s1, -1
	s_and_saveexec_b32 s1, s10
; %bb.10:
	s_mov_b32 s5, exec_lo
; %bb.11:
	s_or_b32 exec_lo, exec_lo, s1
	s_and_b32 s5, s5, exec_lo
.LBB750_12:
	s_or_b32 exec_lo, exec_lo, s4
	v_mbcnt_lo_u32_b32 v8, -1, 0
	v_and_b32_e32 v0, 24, v8
	v_xor_b32_e32 v9, 4, v8
	v_xor_b32_e32 v12, 2, v8
	v_add_nc_u32_e32 v10, 8, v0
	v_cmp_lt_i32_e64 s1, v9, v10
	v_cndmask_b32_e64 v0, v8, v9, s1
	v_cndmask_b32_e64 v9, 0xff800000, v6, s5
	v_cmp_lt_i32_e64 s1, v12, v10
	v_lshlrev_b32_e32 v0, 2, v0
	v_cndmask_b32_e64 v12, v8, v12, s1
	ds_bpermute_b32 v13, v0, v7
	ds_bpermute_b32 v14, v0, v9
	v_lshlrev_b32_e32 v12, 2, v12
	s_waitcnt lgkmcnt(1)
	v_cmp_lt_f32_e64 s1, v7, v13
	v_cndmask_b32_e64 v7, v7, v13, s1
	s_waitcnt lgkmcnt(0)
	v_cmp_lt_f32_e64 s1, v9, v14
	v_xor_b32_e32 v13, 1, v8
	v_cndmask_b32_e64 v9, v9, v14, s1
	ds_bpermute_b32 v14, v12, v7
	v_cmp_lt_i32_e64 s1, v13, v10
	ds_bpermute_b32 v15, v12, v9
	v_cndmask_b32_e64 v8, v8, v13, s1
	v_lshlrev_b32_e32 v13, 2, v8
	s_waitcnt lgkmcnt(1)
	v_cmp_lt_f32_e64 s1, v7, v14
	v_cndmask_b32_e64 v16, v7, v14, s1
	s_waitcnt lgkmcnt(0)
	v_cmp_lt_f32_e64 s1, v9, v15
	ds_bpermute_b32 v17, v13, v16
	v_cndmask_b32_e64 v14, v9, v15, s1
                                        ; implicit-def: $vgpr9_vgpr10
	ds_bpermute_b32 v15, v13, v14
	s_and_saveexec_b32 s1, s3
	s_xor_b32 s1, exec_lo, s1
; %bb.13:
	v_mov_b32_e32 v5, 0
	v_mov_b32_e32 v10, v6
                                        ; implicit-def: $vgpr16
                                        ; implicit-def: $vgpr17
	v_mov_b32_e32 v9, v5
                                        ; implicit-def: $vgpr6
                                        ; implicit-def: $vgpr5
; %bb.14:
	s_or_saveexec_b32 s3, s1
	v_mov_b32_e32 v7, 0
	s_xor_b32 s4, s6, -1
	v_mov_b32_e32 v8, v7
	s_xor_b32 exec_lo, exec_lo, s3
	s_cbranch_execz .LBB750_20
; %bb.15:
	global_load_ubyte v8, v[3:4], off
	s_waitcnt vmcnt(0)
	v_and_b32_e32 v9, 1, v8
	v_mov_b32_e32 v8, v6
	v_cmp_eq_u32_e64 s1, 1, v9
	v_mov_b32_e32 v10, v8
	v_mov_b32_e32 v9, v7
	s_xor_b32 s1, s1, -1
	s_and_saveexec_b32 s5, s1
	s_xor_b32 s5, exec_lo, s5
	s_cbranch_execz .LBB750_17
; %bb.16:
	s_waitcnt lgkmcnt(1)
	v_cmp_lt_f32_e64 s1, v16, v17
	v_cndmask_b32_e64 v8, v16, v17, s1
	v_mov_b32_e32 v17, v7
	v_sub_f32_e32 v5, v5, v8
	v_mul_f32_e32 v8, 0x3fb8aa3b, v5
	v_cmp_ngt_f32_e64 s1, 0xc2ce8ed0, v5
	v_fma_f32 v9, 0x3fb8aa3b, v5, -v8
	v_rndne_f32_e32 v10, v8
	v_fmamk_f32 v9, v5, 0x32a5705f, v9
	v_sub_f32_e32 v8, v8, v10
	v_add_f32_e32 v8, v8, v9
	v_cvt_i32_f32_e32 v9, v10
	v_exp_f32_e32 v8, v8
	v_ldexp_f32 v8, v8, v9
	v_cndmask_b32_e64 v8, 0, v8, s1
	v_cmp_nlt_f32_e64 s1, 0x42b17218, v5
	v_cndmask_b32_e64 v5, 0x7f800000, v8, s1
	v_mov_b32_e32 v10, v6
	v_mov_b32_e32 v16, v5
	;; [unrolled: 1-line block ×5, first 2 shown]
.LBB750_17:
	s_andn2_saveexec_b32 s1, s5
; %bb.18:
	v_mov_b32_e32 v7, 0
	v_mov_b32_e32 v8, v7
; %bb.19:
	s_or_b32 exec_lo, exec_lo, s1
.LBB750_20:
	s_or_b32 exec_lo, exec_lo, s3
                                        ; implicit-def: $vgpr5_vgpr6
	s_and_saveexec_b32 s1, s4
	s_xor_b32 s1, exec_lo, s1
	s_cbranch_execz .LBB750_22
; %bb.21:
	v_mov_b32_e32 v10, 0
	v_mov_b32_e32 v5, v9
                                        ; implicit-def: $vgpr3
                                        ; implicit-def: $vgpr14
                                        ; implicit-def: $vgpr15
	v_mov_b32_e32 v6, v10
                                        ; implicit-def: $vgpr9_vgpr10
	s_andn2_saveexec_b32 s3, s1
	s_cbranch_execz .LBB750_26
	s_branch .LBB750_23
.LBB750_22:
	s_andn2_saveexec_b32 s3, s1
	s_cbranch_execz .LBB750_26
.LBB750_23:
	s_and_b32 s1, s7, exec_lo
	s_cselect_b32 s1, 0, s2
	s_cselect_b32 s4, 0, 0
	v_add_co_u32 v3, s1, v3, s1
	v_add_co_ci_u32_e64 v4, null, s4, v4, s1
	v_mov_b32_e32 v6, 0
	v_mov_b32_e32 v5, v9
	global_load_ubyte v3, v[3:4], off
	s_waitcnt vmcnt(0)
	v_and_b32_e32 v3, 1, v3
	v_cmp_eq_u32_e64 s1, 1, v3
	s_xor_b32 s1, s1, -1
	s_and_saveexec_b32 s4, s1
	s_xor_b32 s4, exec_lo, s4
	s_cbranch_execz .LBB750_25
; %bb.24:
	s_waitcnt lgkmcnt(0)
	v_cmp_lt_f32_e64 s1, v14, v15
	v_cndmask_b32_e64 v3, v14, v15, s1
	v_sub_f32_e32 v3, v10, v3
	v_mul_f32_e32 v4, 0x3fb8aa3b, v3
	v_cmp_ngt_f32_e64 s1, 0xc2ce8ed0, v3
	v_fma_f32 v5, 0x3fb8aa3b, v3, -v4
	v_rndne_f32_e32 v6, v4
	v_fmamk_f32 v5, v3, 0x32a5705f, v5
	v_sub_f32_e32 v4, v4, v6
	v_add_f32_e32 v4, v4, v5
	v_cvt_i32_f32_e32 v5, v6
	v_exp_f32_e32 v4, v4
	v_ldexp_f32 v4, v4, v5
	v_cndmask_b32_e64 v4, 0, v4, s1
	v_cmp_nlt_f32_e64 s1, 0x42b17218, v3
	v_cndmask_b32_e64 v10, 0x7f800000, v4, s1
	v_mov_b32_e32 v5, v9
	v_add_f32_e32 v8, v8, v10
	v_mov_b32_e32 v6, v10
.LBB750_25:
	s_andn2_saveexec_b32 s1, s4
	s_or_b32 exec_lo, exec_lo, s1
.LBB750_26:
	s_or_b32 exec_lo, exec_lo, s3
	ds_bpermute_b32 v3, v0, v7
	ds_bpermute_b32 v0, v0, v8
	s_waitcnt lgkmcnt(1)
	v_add_f32_e32 v3, v7, v3
	s_waitcnt lgkmcnt(0)
	v_add_f32_e32 v0, v8, v0
	ds_bpermute_b32 v4, v12, v3
	ds_bpermute_b32 v8, v12, v0
	s_waitcnt lgkmcnt(1)
	v_add_f32_e32 v7, v3, v4
	s_waitcnt lgkmcnt(0)
	v_add_f32_e32 v3, v0, v8
	ds_bpermute_b32 v8, v13, v7
	ds_bpermute_b32 v4, v13, v3
	s_and_saveexec_b32 s1, vcc_lo
	s_cbranch_execz .LBB750_35
; %bb.27:
	v_add_co_u32 v0, vcc_lo, s8, v1
	v_add_co_ci_u32_e64 v1, null, s9, v2, vcc_lo
	s_and_saveexec_b32 s1, s0
	s_cbranch_execz .LBB750_31
; %bb.28:
	s_waitcnt lgkmcnt(1)
	v_add_f32_e32 v2, v7, v8
	v_mov_b32_e32 v7, 0x7fc0
	s_mov_b32 s3, exec_lo
	v_cmpx_neq_f32_e32 0, v2
	s_cbranch_execz .LBB750_30
; %bb.29:
	v_div_scale_f32 v7, null, v2, v2, v5
	v_div_scale_f32 v10, vcc_lo, v5, v2, v5
	v_rcp_f32_e32 v8, v7
	v_fma_f32 v9, -v7, v8, 1.0
	v_fmac_f32_e32 v8, v9, v8
	v_mul_f32_e32 v9, v10, v8
	v_fma_f32 v12, -v7, v9, v10
	v_fmac_f32_e32 v9, v12, v8
	v_fma_f32 v7, -v7, v9, v10
	v_div_fmas_f32 v7, v7, v8, v9
	v_div_fixup_f32 v2, v7, v2, v5
	v_bfe_u32 v5, v2, 16, 1
	v_cmp_o_f32_e32 vcc_lo, v2, v2
	v_add3_u32 v2, v2, v5, 0x7fff
	v_mov_b32_e32 v5, 0x7fc0
	v_cndmask_b32_sdwa v7, v5, v2, vcc_lo dst_sel:DWORD dst_unused:UNUSED_PAD src0_sel:DWORD src1_sel:WORD_1
.LBB750_30:
	s_or_b32 exec_lo, exec_lo, s3
	global_store_short v[0:1], v7, off
.LBB750_31:
	s_or_b32 exec_lo, exec_lo, s1
	v_cmp_ne_u32_e32 vcc_lo, 1, v11
	s_and_b32 s0, vcc_lo, s0
	s_and_b32 exec_lo, exec_lo, s0
	s_cbranch_execz .LBB750_35
; %bb.32:
	s_waitcnt lgkmcnt(0)
	v_add_f32_e32 v2, v3, v4
	v_mov_b32_e32 v3, 0x7fc0
	s_mov_b32 s3, 0
	s_mov_b32 s0, exec_lo
	v_cmpx_neq_f32_e32 0, v2
	s_cbranch_execz .LBB750_34
; %bb.33:
	v_div_scale_f32 v3, null, v2, v2, v6
	v_div_scale_f32 v7, vcc_lo, v6, v2, v6
	v_rcp_f32_e32 v4, v3
	v_fma_f32 v5, -v3, v4, 1.0
	v_fmac_f32_e32 v4, v5, v4
	v_mul_f32_e32 v5, v7, v4
	v_fma_f32 v8, -v3, v5, v7
	v_fmac_f32_e32 v5, v8, v4
	v_fma_f32 v3, -v3, v5, v7
	v_div_fmas_f32 v3, v3, v4, v5
	v_div_fixup_f32 v2, v3, v2, v6
	v_bfe_u32 v3, v2, 16, 1
	v_cmp_o_f32_e32 vcc_lo, v2, v2
	v_add3_u32 v2, v2, v3, 0x7fff
	v_mov_b32_e32 v3, 0x7fc0
	v_cndmask_b32_sdwa v3, v3, v2, vcc_lo dst_sel:DWORD dst_unused:UNUSED_PAD src0_sel:DWORD src1_sel:WORD_1
.LBB750_34:
	s_or_b32 exec_lo, exec_lo, s0
	s_lshl_b64 s[0:1], s[2:3], 1
	v_add_co_u32 v0, vcc_lo, v0, s0
	v_add_co_ci_u32_e64 v1, null, s1, v1, vcc_lo
	global_store_short v[0:1], v3, off
.LBB750_35:
	s_endpgm
	.section	.rodata,"a",@progbits
	.p2align	6, 0x0
	.amdhsa_kernel _ZN12_GLOBAL__N_120softmax_warp_forwardIN3c108BFloat16ES2_fLi3ELb0ELb1ELi64EEEvPT0_PKT_iiiPKbib
		.amdhsa_group_segment_fixed_size 0
		.amdhsa_private_segment_fixed_size 0
		.amdhsa_kernarg_size 304
		.amdhsa_user_sgpr_count 6
		.amdhsa_user_sgpr_private_segment_buffer 1
		.amdhsa_user_sgpr_dispatch_ptr 0
		.amdhsa_user_sgpr_queue_ptr 0
		.amdhsa_user_sgpr_kernarg_segment_ptr 1
		.amdhsa_user_sgpr_dispatch_id 0
		.amdhsa_user_sgpr_flat_scratch_init 0
		.amdhsa_user_sgpr_private_segment_size 0
		.amdhsa_wavefront_size32 1
		.amdhsa_uses_dynamic_stack 0
		.amdhsa_system_sgpr_private_segment_wavefront_offset 0
		.amdhsa_system_sgpr_workgroup_id_x 1
		.amdhsa_system_sgpr_workgroup_id_y 0
		.amdhsa_system_sgpr_workgroup_id_z 0
		.amdhsa_system_sgpr_workgroup_info 0
		.amdhsa_system_vgpr_workitem_id 1
		.amdhsa_next_free_vgpr 18
		.amdhsa_next_free_sgpr 14
		.amdhsa_reserve_vcc 1
		.amdhsa_reserve_flat_scratch 0
		.amdhsa_float_round_mode_32 0
		.amdhsa_float_round_mode_16_64 0
		.amdhsa_float_denorm_mode_32 3
		.amdhsa_float_denorm_mode_16_64 3
		.amdhsa_dx10_clamp 1
		.amdhsa_ieee_mode 1
		.amdhsa_fp16_overflow 0
		.amdhsa_workgroup_processor_mode 1
		.amdhsa_memory_ordered 1
		.amdhsa_forward_progress 1
		.amdhsa_shared_vgpr_count 0
		.amdhsa_exception_fp_ieee_invalid_op 0
		.amdhsa_exception_fp_denorm_src 0
		.amdhsa_exception_fp_ieee_div_zero 0
		.amdhsa_exception_fp_ieee_overflow 0
		.amdhsa_exception_fp_ieee_underflow 0
		.amdhsa_exception_fp_ieee_inexact 0
		.amdhsa_exception_int_div_zero 0
	.end_amdhsa_kernel
	.section	.text._ZN12_GLOBAL__N_120softmax_warp_forwardIN3c108BFloat16ES2_fLi3ELb0ELb1ELi64EEEvPT0_PKT_iiiPKbib,"axG",@progbits,_ZN12_GLOBAL__N_120softmax_warp_forwardIN3c108BFloat16ES2_fLi3ELb0ELb1ELi64EEEvPT0_PKT_iiiPKbib,comdat
.Lfunc_end750:
	.size	_ZN12_GLOBAL__N_120softmax_warp_forwardIN3c108BFloat16ES2_fLi3ELb0ELb1ELi64EEEvPT0_PKT_iiiPKbib, .Lfunc_end750-_ZN12_GLOBAL__N_120softmax_warp_forwardIN3c108BFloat16ES2_fLi3ELb0ELb1ELi64EEEvPT0_PKT_iiiPKbib
                                        ; -- End function
	.set _ZN12_GLOBAL__N_120softmax_warp_forwardIN3c108BFloat16ES2_fLi3ELb0ELb1ELi64EEEvPT0_PKT_iiiPKbib.num_vgpr, 18
	.set _ZN12_GLOBAL__N_120softmax_warp_forwardIN3c108BFloat16ES2_fLi3ELb0ELb1ELi64EEEvPT0_PKT_iiiPKbib.num_agpr, 0
	.set _ZN12_GLOBAL__N_120softmax_warp_forwardIN3c108BFloat16ES2_fLi3ELb0ELb1ELi64EEEvPT0_PKT_iiiPKbib.numbered_sgpr, 14
	.set _ZN12_GLOBAL__N_120softmax_warp_forwardIN3c108BFloat16ES2_fLi3ELb0ELb1ELi64EEEvPT0_PKT_iiiPKbib.num_named_barrier, 0
	.set _ZN12_GLOBAL__N_120softmax_warp_forwardIN3c108BFloat16ES2_fLi3ELb0ELb1ELi64EEEvPT0_PKT_iiiPKbib.private_seg_size, 0
	.set _ZN12_GLOBAL__N_120softmax_warp_forwardIN3c108BFloat16ES2_fLi3ELb0ELb1ELi64EEEvPT0_PKT_iiiPKbib.uses_vcc, 1
	.set _ZN12_GLOBAL__N_120softmax_warp_forwardIN3c108BFloat16ES2_fLi3ELb0ELb1ELi64EEEvPT0_PKT_iiiPKbib.uses_flat_scratch, 0
	.set _ZN12_GLOBAL__N_120softmax_warp_forwardIN3c108BFloat16ES2_fLi3ELb0ELb1ELi64EEEvPT0_PKT_iiiPKbib.has_dyn_sized_stack, 0
	.set _ZN12_GLOBAL__N_120softmax_warp_forwardIN3c108BFloat16ES2_fLi3ELb0ELb1ELi64EEEvPT0_PKT_iiiPKbib.has_recursion, 0
	.set _ZN12_GLOBAL__N_120softmax_warp_forwardIN3c108BFloat16ES2_fLi3ELb0ELb1ELi64EEEvPT0_PKT_iiiPKbib.has_indirect_call, 0
	.section	.AMDGPU.csdata,"",@progbits
; Kernel info:
; codeLenInByte = 1800
; TotalNumSgprs: 16
; NumVgprs: 18
; ScratchSize: 0
; MemoryBound: 0
; FloatMode: 240
; IeeeMode: 1
; LDSByteSize: 0 bytes/workgroup (compile time only)
; SGPRBlocks: 0
; VGPRBlocks: 2
; NumSGPRsForWavesPerEU: 16
; NumVGPRsForWavesPerEU: 18
; Occupancy: 16
; WaveLimiterHint : 0
; COMPUTE_PGM_RSRC2:SCRATCH_EN: 0
; COMPUTE_PGM_RSRC2:USER_SGPR: 6
; COMPUTE_PGM_RSRC2:TRAP_HANDLER: 0
; COMPUTE_PGM_RSRC2:TGID_X_EN: 1
; COMPUTE_PGM_RSRC2:TGID_Y_EN: 0
; COMPUTE_PGM_RSRC2:TGID_Z_EN: 0
; COMPUTE_PGM_RSRC2:TIDIG_COMP_CNT: 1
	.section	.text._ZN12_GLOBAL__N_120softmax_warp_forwardIN3c108BFloat16ES2_fLi3ELb0ELb1ELi32EEEvPT0_PKT_iiiPKbib,"axG",@progbits,_ZN12_GLOBAL__N_120softmax_warp_forwardIN3c108BFloat16ES2_fLi3ELb0ELb1ELi32EEEvPT0_PKT_iiiPKbib,comdat
	.globl	_ZN12_GLOBAL__N_120softmax_warp_forwardIN3c108BFloat16ES2_fLi3ELb0ELb1ELi32EEEvPT0_PKT_iiiPKbib ; -- Begin function _ZN12_GLOBAL__N_120softmax_warp_forwardIN3c108BFloat16ES2_fLi3ELb0ELb1ELi32EEEvPT0_PKT_iiiPKbib
	.p2align	8
	.type	_ZN12_GLOBAL__N_120softmax_warp_forwardIN3c108BFloat16ES2_fLi3ELb0ELb1ELi32EEEvPT0_PKT_iiiPKbib,@function
_ZN12_GLOBAL__N_120softmax_warp_forwardIN3c108BFloat16ES2_fLi3ELb0ELb1ELi32EEEvPT0_PKT_iiiPKbib: ; @_ZN12_GLOBAL__N_120softmax_warp_forwardIN3c108BFloat16ES2_fLi3ELb0ELb1ELi32EEEvPT0_PKT_iiiPKbib
; %bb.0:
	s_clause 0x2
	s_load_dwordx2 s[8:9], s[4:5], 0x28
	s_load_dword s10, s[4:5], 0x3c
	s_load_dwordx4 s[0:3], s[4:5], 0x10
	s_waitcnt lgkmcnt(0)
	s_bitcmp1_b32 s9, 0
	s_cselect_b32 s7, -1, 0
	s_lshr_b32 s3, s10, 16
	s_and_b32 s3, s3, 0xffff
	s_bitcmp0_b32 s9, 0
	s_mul_i32 s6, s6, s3
	v_add_lshl_u32 v5, s6, v1, 1
	v_mul_lo_u32 v6, v5, s1
	v_add_nc_u32_e32 v1, v6, v0
	v_ashrrev_i32_e32 v2, 31, v1
	v_mov_b32_e32 v4, v2
	v_mov_b32_e32 v3, v1
	s_cbranch_scc1 .LBB751_2
; %bb.1:
	s_abs_i32 s3, s8
	v_sub_nc_u32_e32 v7, 0, v6
	v_cvt_f32_u32_e32 v3, s3
	s_sub_i32 s6, 0, s3
	v_max_i32_e32 v7, v6, v7
	v_rcp_iflag_f32_e32 v3, v3
	v_xor_b32_e32 v6, s8, v6
	v_ashrrev_i32_e32 v6, 31, v6
	v_mul_f32_e32 v3, 0x4f7ffffe, v3
	v_cvt_u32_f32_e32 v3, v3
	v_mul_lo_u32 v4, s6, v3
	v_mul_hi_u32 v4, v3, v4
	v_add_nc_u32_e32 v3, v3, v4
	v_mul_hi_u32 v3, v7, v3
	v_mul_lo_u32 v4, v3, s3
	v_sub_nc_u32_e32 v4, v7, v4
	v_add_nc_u32_e32 v7, 1, v3
	v_subrev_nc_u32_e32 v8, s3, v4
	v_cmp_le_u32_e32 vcc_lo, s3, v4
	v_cndmask_b32_e32 v3, v3, v7, vcc_lo
	v_cndmask_b32_e32 v4, v4, v8, vcc_lo
	v_add_nc_u32_e32 v7, 1, v3
	v_cmp_le_u32_e32 vcc_lo, s3, v4
	v_cndmask_b32_e32 v3, v3, v7, vcc_lo
	v_xor_b32_e32 v3, v3, v6
	v_sub_nc_u32_e32 v3, v3, v6
	v_mad_u64_u32 v[3:4], null, v3, s1, v[0:1]
	v_ashrrev_i32_e32 v4, 31, v3
.LBB751_2:
	s_load_dwordx4 s[8:11], s[4:5], 0x0
	v_lshlrev_b64 v[1:2], 1, v[1:2]
	v_sub_nc_u32_e32 v11, s0, v5
	v_cmp_gt_i32_e64 s0, s2, v0
	v_mov_b32_e32 v6, 0xff800000
	v_mov_b32_e32 v5, 0xff800000
	v_cmp_lt_i32_e32 vcc_lo, 0, v11
	s_waitcnt lgkmcnt(0)
	v_add_co_u32 v7, s1, s10, v1
	v_add_co_ci_u32_e64 v8, null, s11, v2, s1
	s_and_b32 s10, s0, vcc_lo
	s_and_saveexec_b32 s1, s10
	s_cbranch_execz .LBB751_4
; %bb.3:
	global_load_ushort v0, v[7:8], off
	s_waitcnt vmcnt(0)
	v_lshlrev_b32_e32 v5, 16, v0
.LBB751_4:
	s_or_b32 exec_lo, exec_lo, s1
	v_cmp_lt_i32_e64 s1, 1, v11
	s_and_b32 s6, s0, s1
	s_and_saveexec_b32 s11, s6
	s_cbranch_execz .LBB751_6
; %bb.5:
	s_mov_b32 s3, 0
	s_lshl_b64 s[12:13], s[2:3], 1
	v_add_co_u32 v6, s1, v7, s12
	v_add_co_ci_u32_e64 v7, null, s13, v8, s1
	global_load_ushort v0, v[6:7], off
	s_waitcnt vmcnt(0)
	v_lshlrev_b32_e32 v6, 16, v0
.LBB751_6:
	s_or_b32 exec_lo, exec_lo, s11
	s_load_dwordx2 s[4:5], s[4:5], 0x20
	v_mov_b32_e32 v7, 0xff800000
	s_waitcnt lgkmcnt(0)
	v_add_co_u32 v3, s1, s4, v3
	v_add_co_ci_u32_e64 v4, null, s5, v4, s1
	s_and_saveexec_b32 s3, s10
	s_cbranch_execz .LBB751_8
; %bb.7:
	global_load_ubyte v0, v[3:4], off
	s_waitcnt vmcnt(0)
	v_and_b32_e32 v0, 1, v0
	v_cmp_eq_u32_e64 s1, 1, v0
	v_cndmask_b32_e64 v7, v5, 0xff800000, s1
.LBB751_8:
	s_or_b32 exec_lo, exec_lo, s3
	s_xor_b32 s3, s10, -1
	s_mov_b32 s5, 0
	s_and_saveexec_b32 s4, s6
	s_cbranch_execz .LBB751_12
; %bb.9:
	s_and_b32 s1, s7, exec_lo
	s_cselect_b32 s1, 0, s2
	s_cselect_b32 s5, 0, 0
	v_add_co_u32 v8, s1, v3, s1
	v_add_co_ci_u32_e64 v9, null, s5, v4, s1
	s_mov_b32 s5, 0
	global_load_ubyte v0, v[8:9], off
	s_waitcnt vmcnt(0)
	v_and_b32_e32 v0, 1, v0
	v_cmp_eq_u32_e64 s1, 1, v0
	s_xor_b32 s10, s1, -1
	s_and_saveexec_b32 s1, s10
; %bb.10:
	s_mov_b32 s5, exec_lo
; %bb.11:
	s_or_b32 exec_lo, exec_lo, s1
	s_and_b32 s5, s5, exec_lo
.LBB751_12:
	s_or_b32 exec_lo, exec_lo, s4
	v_mbcnt_lo_u32_b32 v8, -1, 0
	v_and_b32_e32 v0, 24, v8
	v_xor_b32_e32 v9, 4, v8
	v_xor_b32_e32 v12, 2, v8
	v_add_nc_u32_e32 v10, 8, v0
	v_cmp_lt_i32_e64 s1, v9, v10
	v_cndmask_b32_e64 v0, v8, v9, s1
	v_cndmask_b32_e64 v9, 0xff800000, v6, s5
	v_cmp_lt_i32_e64 s1, v12, v10
	v_lshlrev_b32_e32 v0, 2, v0
	v_cndmask_b32_e64 v12, v8, v12, s1
	ds_bpermute_b32 v13, v0, v7
	ds_bpermute_b32 v14, v0, v9
	v_lshlrev_b32_e32 v12, 2, v12
	s_waitcnt lgkmcnt(1)
	v_cmp_lt_f32_e64 s1, v7, v13
	v_cndmask_b32_e64 v7, v7, v13, s1
	s_waitcnt lgkmcnt(0)
	v_cmp_lt_f32_e64 s1, v9, v14
	v_xor_b32_e32 v13, 1, v8
	v_cndmask_b32_e64 v9, v9, v14, s1
	ds_bpermute_b32 v14, v12, v7
	v_cmp_lt_i32_e64 s1, v13, v10
	ds_bpermute_b32 v15, v12, v9
	v_cndmask_b32_e64 v8, v8, v13, s1
	v_lshlrev_b32_e32 v13, 2, v8
	s_waitcnt lgkmcnt(1)
	v_cmp_lt_f32_e64 s1, v7, v14
	v_cndmask_b32_e64 v16, v7, v14, s1
	s_waitcnt lgkmcnt(0)
	v_cmp_lt_f32_e64 s1, v9, v15
	ds_bpermute_b32 v17, v13, v16
	v_cndmask_b32_e64 v14, v9, v15, s1
                                        ; implicit-def: $vgpr9_vgpr10
	ds_bpermute_b32 v15, v13, v14
	s_and_saveexec_b32 s1, s3
	s_xor_b32 s1, exec_lo, s1
; %bb.13:
	v_mov_b32_e32 v5, 0
	v_mov_b32_e32 v10, v6
                                        ; implicit-def: $vgpr16
                                        ; implicit-def: $vgpr17
	v_mov_b32_e32 v9, v5
                                        ; implicit-def: $vgpr6
                                        ; implicit-def: $vgpr5
; %bb.14:
	s_or_saveexec_b32 s3, s1
	v_mov_b32_e32 v7, 0
	s_xor_b32 s4, s6, -1
	v_mov_b32_e32 v8, v7
	s_xor_b32 exec_lo, exec_lo, s3
	s_cbranch_execz .LBB751_20
; %bb.15:
	global_load_ubyte v8, v[3:4], off
	s_waitcnt vmcnt(0)
	v_and_b32_e32 v9, 1, v8
	v_mov_b32_e32 v8, v6
	v_cmp_eq_u32_e64 s1, 1, v9
	v_mov_b32_e32 v10, v8
	v_mov_b32_e32 v9, v7
	s_xor_b32 s1, s1, -1
	s_and_saveexec_b32 s5, s1
	s_xor_b32 s5, exec_lo, s5
	s_cbranch_execz .LBB751_17
; %bb.16:
	s_waitcnt lgkmcnt(1)
	v_cmp_lt_f32_e64 s1, v16, v17
	v_cndmask_b32_e64 v8, v16, v17, s1
	v_mov_b32_e32 v17, v7
	v_sub_f32_e32 v5, v5, v8
	v_mul_f32_e32 v8, 0x3fb8aa3b, v5
	v_cmp_ngt_f32_e64 s1, 0xc2ce8ed0, v5
	v_fma_f32 v9, 0x3fb8aa3b, v5, -v8
	v_rndne_f32_e32 v10, v8
	v_fmamk_f32 v9, v5, 0x32a5705f, v9
	v_sub_f32_e32 v8, v8, v10
	v_add_f32_e32 v8, v8, v9
	v_cvt_i32_f32_e32 v9, v10
	v_exp_f32_e32 v8, v8
	v_ldexp_f32 v8, v8, v9
	v_cndmask_b32_e64 v8, 0, v8, s1
	v_cmp_nlt_f32_e64 s1, 0x42b17218, v5
	v_cndmask_b32_e64 v5, 0x7f800000, v8, s1
	v_mov_b32_e32 v10, v6
	v_mov_b32_e32 v16, v5
	v_mov_b32_e32 v9, v5
	v_mov_b32_e32 v7, v16
	v_mov_b32_e32 v8, v17
.LBB751_17:
	s_andn2_saveexec_b32 s1, s5
; %bb.18:
	v_mov_b32_e32 v7, 0
	v_mov_b32_e32 v8, v7
; %bb.19:
	s_or_b32 exec_lo, exec_lo, s1
.LBB751_20:
	s_or_b32 exec_lo, exec_lo, s3
                                        ; implicit-def: $vgpr5_vgpr6
	s_and_saveexec_b32 s1, s4
	s_xor_b32 s1, exec_lo, s1
	s_cbranch_execz .LBB751_22
; %bb.21:
	v_mov_b32_e32 v10, 0
	v_mov_b32_e32 v5, v9
                                        ; implicit-def: $vgpr3
                                        ; implicit-def: $vgpr14
                                        ; implicit-def: $vgpr15
	v_mov_b32_e32 v6, v10
                                        ; implicit-def: $vgpr9_vgpr10
	s_andn2_saveexec_b32 s3, s1
	s_cbranch_execz .LBB751_26
	s_branch .LBB751_23
.LBB751_22:
	s_andn2_saveexec_b32 s3, s1
	s_cbranch_execz .LBB751_26
.LBB751_23:
	s_and_b32 s1, s7, exec_lo
	s_cselect_b32 s1, 0, s2
	s_cselect_b32 s4, 0, 0
	v_add_co_u32 v3, s1, v3, s1
	v_add_co_ci_u32_e64 v4, null, s4, v4, s1
	v_mov_b32_e32 v6, 0
	v_mov_b32_e32 v5, v9
	global_load_ubyte v3, v[3:4], off
	s_waitcnt vmcnt(0)
	v_and_b32_e32 v3, 1, v3
	v_cmp_eq_u32_e64 s1, 1, v3
	s_xor_b32 s1, s1, -1
	s_and_saveexec_b32 s4, s1
	s_xor_b32 s4, exec_lo, s4
	s_cbranch_execz .LBB751_25
; %bb.24:
	s_waitcnt lgkmcnt(0)
	v_cmp_lt_f32_e64 s1, v14, v15
	v_cndmask_b32_e64 v3, v14, v15, s1
	v_sub_f32_e32 v3, v10, v3
	v_mul_f32_e32 v4, 0x3fb8aa3b, v3
	v_cmp_ngt_f32_e64 s1, 0xc2ce8ed0, v3
	v_fma_f32 v5, 0x3fb8aa3b, v3, -v4
	v_rndne_f32_e32 v6, v4
	v_fmamk_f32 v5, v3, 0x32a5705f, v5
	v_sub_f32_e32 v4, v4, v6
	v_add_f32_e32 v4, v4, v5
	v_cvt_i32_f32_e32 v5, v6
	v_exp_f32_e32 v4, v4
	v_ldexp_f32 v4, v4, v5
	v_cndmask_b32_e64 v4, 0, v4, s1
	v_cmp_nlt_f32_e64 s1, 0x42b17218, v3
	v_cndmask_b32_e64 v10, 0x7f800000, v4, s1
	v_mov_b32_e32 v5, v9
	v_add_f32_e32 v8, v8, v10
	v_mov_b32_e32 v6, v10
.LBB751_25:
	s_andn2_saveexec_b32 s1, s4
	s_or_b32 exec_lo, exec_lo, s1
.LBB751_26:
	s_or_b32 exec_lo, exec_lo, s3
	ds_bpermute_b32 v3, v0, v7
	ds_bpermute_b32 v0, v0, v8
	s_waitcnt lgkmcnt(1)
	v_add_f32_e32 v3, v7, v3
	s_waitcnt lgkmcnt(0)
	v_add_f32_e32 v0, v8, v0
	ds_bpermute_b32 v4, v12, v3
	ds_bpermute_b32 v8, v12, v0
	s_waitcnt lgkmcnt(1)
	v_add_f32_e32 v7, v3, v4
	s_waitcnt lgkmcnt(0)
	v_add_f32_e32 v3, v0, v8
	ds_bpermute_b32 v8, v13, v7
	ds_bpermute_b32 v4, v13, v3
	s_and_saveexec_b32 s1, vcc_lo
	s_cbranch_execz .LBB751_35
; %bb.27:
	v_add_co_u32 v0, vcc_lo, s8, v1
	v_add_co_ci_u32_e64 v1, null, s9, v2, vcc_lo
	s_and_saveexec_b32 s1, s0
	s_cbranch_execz .LBB751_31
; %bb.28:
	s_waitcnt lgkmcnt(1)
	v_add_f32_e32 v2, v7, v8
	v_mov_b32_e32 v7, 0x7fc0
	s_mov_b32 s3, exec_lo
	v_cmpx_neq_f32_e32 0, v2
	s_cbranch_execz .LBB751_30
; %bb.29:
	v_div_scale_f32 v7, null, v2, v2, v5
	v_div_scale_f32 v10, vcc_lo, v5, v2, v5
	v_rcp_f32_e32 v8, v7
	v_fma_f32 v9, -v7, v8, 1.0
	v_fmac_f32_e32 v8, v9, v8
	v_mul_f32_e32 v9, v10, v8
	v_fma_f32 v12, -v7, v9, v10
	v_fmac_f32_e32 v9, v12, v8
	v_fma_f32 v7, -v7, v9, v10
	v_div_fmas_f32 v7, v7, v8, v9
	v_div_fixup_f32 v2, v7, v2, v5
	v_bfe_u32 v5, v2, 16, 1
	v_cmp_o_f32_e32 vcc_lo, v2, v2
	v_add3_u32 v2, v2, v5, 0x7fff
	v_mov_b32_e32 v5, 0x7fc0
	v_cndmask_b32_sdwa v7, v5, v2, vcc_lo dst_sel:DWORD dst_unused:UNUSED_PAD src0_sel:DWORD src1_sel:WORD_1
.LBB751_30:
	s_or_b32 exec_lo, exec_lo, s3
	global_store_short v[0:1], v7, off
.LBB751_31:
	s_or_b32 exec_lo, exec_lo, s1
	v_cmp_ne_u32_e32 vcc_lo, 1, v11
	s_and_b32 s0, vcc_lo, s0
	s_and_b32 exec_lo, exec_lo, s0
	s_cbranch_execz .LBB751_35
; %bb.32:
	s_waitcnt lgkmcnt(0)
	v_add_f32_e32 v2, v3, v4
	v_mov_b32_e32 v3, 0x7fc0
	s_mov_b32 s3, 0
	s_mov_b32 s0, exec_lo
	v_cmpx_neq_f32_e32 0, v2
	s_cbranch_execz .LBB751_34
; %bb.33:
	v_div_scale_f32 v3, null, v2, v2, v6
	v_div_scale_f32 v7, vcc_lo, v6, v2, v6
	v_rcp_f32_e32 v4, v3
	v_fma_f32 v5, -v3, v4, 1.0
	v_fmac_f32_e32 v4, v5, v4
	v_mul_f32_e32 v5, v7, v4
	v_fma_f32 v8, -v3, v5, v7
	v_fmac_f32_e32 v5, v8, v4
	v_fma_f32 v3, -v3, v5, v7
	v_div_fmas_f32 v3, v3, v4, v5
	v_div_fixup_f32 v2, v3, v2, v6
	v_bfe_u32 v3, v2, 16, 1
	v_cmp_o_f32_e32 vcc_lo, v2, v2
	v_add3_u32 v2, v2, v3, 0x7fff
	v_mov_b32_e32 v3, 0x7fc0
	v_cndmask_b32_sdwa v3, v3, v2, vcc_lo dst_sel:DWORD dst_unused:UNUSED_PAD src0_sel:DWORD src1_sel:WORD_1
.LBB751_34:
	s_or_b32 exec_lo, exec_lo, s0
	s_lshl_b64 s[0:1], s[2:3], 1
	v_add_co_u32 v0, vcc_lo, v0, s0
	v_add_co_ci_u32_e64 v1, null, s1, v1, vcc_lo
	global_store_short v[0:1], v3, off
.LBB751_35:
	s_endpgm
	.section	.rodata,"a",@progbits
	.p2align	6, 0x0
	.amdhsa_kernel _ZN12_GLOBAL__N_120softmax_warp_forwardIN3c108BFloat16ES2_fLi3ELb0ELb1ELi32EEEvPT0_PKT_iiiPKbib
		.amdhsa_group_segment_fixed_size 0
		.amdhsa_private_segment_fixed_size 0
		.amdhsa_kernarg_size 304
		.amdhsa_user_sgpr_count 6
		.amdhsa_user_sgpr_private_segment_buffer 1
		.amdhsa_user_sgpr_dispatch_ptr 0
		.amdhsa_user_sgpr_queue_ptr 0
		.amdhsa_user_sgpr_kernarg_segment_ptr 1
		.amdhsa_user_sgpr_dispatch_id 0
		.amdhsa_user_sgpr_flat_scratch_init 0
		.amdhsa_user_sgpr_private_segment_size 0
		.amdhsa_wavefront_size32 1
		.amdhsa_uses_dynamic_stack 0
		.amdhsa_system_sgpr_private_segment_wavefront_offset 0
		.amdhsa_system_sgpr_workgroup_id_x 1
		.amdhsa_system_sgpr_workgroup_id_y 0
		.amdhsa_system_sgpr_workgroup_id_z 0
		.amdhsa_system_sgpr_workgroup_info 0
		.amdhsa_system_vgpr_workitem_id 1
		.amdhsa_next_free_vgpr 18
		.amdhsa_next_free_sgpr 14
		.amdhsa_reserve_vcc 1
		.amdhsa_reserve_flat_scratch 0
		.amdhsa_float_round_mode_32 0
		.amdhsa_float_round_mode_16_64 0
		.amdhsa_float_denorm_mode_32 3
		.amdhsa_float_denorm_mode_16_64 3
		.amdhsa_dx10_clamp 1
		.amdhsa_ieee_mode 1
		.amdhsa_fp16_overflow 0
		.amdhsa_workgroup_processor_mode 1
		.amdhsa_memory_ordered 1
		.amdhsa_forward_progress 1
		.amdhsa_shared_vgpr_count 0
		.amdhsa_exception_fp_ieee_invalid_op 0
		.amdhsa_exception_fp_denorm_src 0
		.amdhsa_exception_fp_ieee_div_zero 0
		.amdhsa_exception_fp_ieee_overflow 0
		.amdhsa_exception_fp_ieee_underflow 0
		.amdhsa_exception_fp_ieee_inexact 0
		.amdhsa_exception_int_div_zero 0
	.end_amdhsa_kernel
	.section	.text._ZN12_GLOBAL__N_120softmax_warp_forwardIN3c108BFloat16ES2_fLi3ELb0ELb1ELi32EEEvPT0_PKT_iiiPKbib,"axG",@progbits,_ZN12_GLOBAL__N_120softmax_warp_forwardIN3c108BFloat16ES2_fLi3ELb0ELb1ELi32EEEvPT0_PKT_iiiPKbib,comdat
.Lfunc_end751:
	.size	_ZN12_GLOBAL__N_120softmax_warp_forwardIN3c108BFloat16ES2_fLi3ELb0ELb1ELi32EEEvPT0_PKT_iiiPKbib, .Lfunc_end751-_ZN12_GLOBAL__N_120softmax_warp_forwardIN3c108BFloat16ES2_fLi3ELb0ELb1ELi32EEEvPT0_PKT_iiiPKbib
                                        ; -- End function
	.set _ZN12_GLOBAL__N_120softmax_warp_forwardIN3c108BFloat16ES2_fLi3ELb0ELb1ELi32EEEvPT0_PKT_iiiPKbib.num_vgpr, 18
	.set _ZN12_GLOBAL__N_120softmax_warp_forwardIN3c108BFloat16ES2_fLi3ELb0ELb1ELi32EEEvPT0_PKT_iiiPKbib.num_agpr, 0
	.set _ZN12_GLOBAL__N_120softmax_warp_forwardIN3c108BFloat16ES2_fLi3ELb0ELb1ELi32EEEvPT0_PKT_iiiPKbib.numbered_sgpr, 14
	.set _ZN12_GLOBAL__N_120softmax_warp_forwardIN3c108BFloat16ES2_fLi3ELb0ELb1ELi32EEEvPT0_PKT_iiiPKbib.num_named_barrier, 0
	.set _ZN12_GLOBAL__N_120softmax_warp_forwardIN3c108BFloat16ES2_fLi3ELb0ELb1ELi32EEEvPT0_PKT_iiiPKbib.private_seg_size, 0
	.set _ZN12_GLOBAL__N_120softmax_warp_forwardIN3c108BFloat16ES2_fLi3ELb0ELb1ELi32EEEvPT0_PKT_iiiPKbib.uses_vcc, 1
	.set _ZN12_GLOBAL__N_120softmax_warp_forwardIN3c108BFloat16ES2_fLi3ELb0ELb1ELi32EEEvPT0_PKT_iiiPKbib.uses_flat_scratch, 0
	.set _ZN12_GLOBAL__N_120softmax_warp_forwardIN3c108BFloat16ES2_fLi3ELb0ELb1ELi32EEEvPT0_PKT_iiiPKbib.has_dyn_sized_stack, 0
	.set _ZN12_GLOBAL__N_120softmax_warp_forwardIN3c108BFloat16ES2_fLi3ELb0ELb1ELi32EEEvPT0_PKT_iiiPKbib.has_recursion, 0
	.set _ZN12_GLOBAL__N_120softmax_warp_forwardIN3c108BFloat16ES2_fLi3ELb0ELb1ELi32EEEvPT0_PKT_iiiPKbib.has_indirect_call, 0
	.section	.AMDGPU.csdata,"",@progbits
; Kernel info:
; codeLenInByte = 1800
; TotalNumSgprs: 16
; NumVgprs: 18
; ScratchSize: 0
; MemoryBound: 0
; FloatMode: 240
; IeeeMode: 1
; LDSByteSize: 0 bytes/workgroup (compile time only)
; SGPRBlocks: 0
; VGPRBlocks: 2
; NumSGPRsForWavesPerEU: 16
; NumVGPRsForWavesPerEU: 18
; Occupancy: 16
; WaveLimiterHint : 0
; COMPUTE_PGM_RSRC2:SCRATCH_EN: 0
; COMPUTE_PGM_RSRC2:USER_SGPR: 6
; COMPUTE_PGM_RSRC2:TRAP_HANDLER: 0
; COMPUTE_PGM_RSRC2:TGID_X_EN: 1
; COMPUTE_PGM_RSRC2:TGID_Y_EN: 0
; COMPUTE_PGM_RSRC2:TGID_Z_EN: 0
; COMPUTE_PGM_RSRC2:TIDIG_COMP_CNT: 1
	.section	.text._ZN12_GLOBAL__N_120softmax_warp_forwardIN3c108BFloat16ES2_fLi4ELb0ELb1ELi64EEEvPT0_PKT_iiiPKbib,"axG",@progbits,_ZN12_GLOBAL__N_120softmax_warp_forwardIN3c108BFloat16ES2_fLi4ELb0ELb1ELi64EEEvPT0_PKT_iiiPKbib,comdat
	.globl	_ZN12_GLOBAL__N_120softmax_warp_forwardIN3c108BFloat16ES2_fLi4ELb0ELb1ELi64EEEvPT0_PKT_iiiPKbib ; -- Begin function _ZN12_GLOBAL__N_120softmax_warp_forwardIN3c108BFloat16ES2_fLi4ELb0ELb1ELi64EEEvPT0_PKT_iiiPKbib
	.p2align	8
	.type	_ZN12_GLOBAL__N_120softmax_warp_forwardIN3c108BFloat16ES2_fLi4ELb0ELb1ELi64EEEvPT0_PKT_iiiPKbib,@function
_ZN12_GLOBAL__N_120softmax_warp_forwardIN3c108BFloat16ES2_fLi4ELb0ELb1ELi64EEEvPT0_PKT_iiiPKbib: ; @_ZN12_GLOBAL__N_120softmax_warp_forwardIN3c108BFloat16ES2_fLi4ELb0ELb1ELi64EEEvPT0_PKT_iiiPKbib
; %bb.0:
	s_clause 0x2
	s_load_dwordx2 s[8:9], s[4:5], 0x28
	s_load_dword s10, s[4:5], 0x3c
	s_load_dwordx4 s[0:3], s[4:5], 0x10
	s_waitcnt lgkmcnt(0)
	s_bitcmp1_b32 s9, 0
	s_cselect_b32 s7, -1, 0
	s_lshr_b32 s3, s10, 16
	s_and_b32 s3, s3, 0xffff
	s_bitcmp0_b32 s9, 0
	s_mul_i32 s6, s6, s3
	v_add_lshl_u32 v5, s6, v1, 1
	v_mul_lo_u32 v6, v5, s1
	v_add_nc_u32_e32 v1, v6, v0
	v_ashrrev_i32_e32 v2, 31, v1
	v_mov_b32_e32 v4, v2
	v_mov_b32_e32 v3, v1
	s_cbranch_scc1 .LBB752_2
; %bb.1:
	s_abs_i32 s3, s8
	v_sub_nc_u32_e32 v7, 0, v6
	v_cvt_f32_u32_e32 v3, s3
	s_sub_i32 s6, 0, s3
	v_max_i32_e32 v7, v6, v7
	v_rcp_iflag_f32_e32 v3, v3
	v_xor_b32_e32 v6, s8, v6
	v_ashrrev_i32_e32 v6, 31, v6
	v_mul_f32_e32 v3, 0x4f7ffffe, v3
	v_cvt_u32_f32_e32 v3, v3
	v_mul_lo_u32 v4, s6, v3
	v_mul_hi_u32 v4, v3, v4
	v_add_nc_u32_e32 v3, v3, v4
	v_mul_hi_u32 v3, v7, v3
	v_mul_lo_u32 v4, v3, s3
	v_sub_nc_u32_e32 v4, v7, v4
	v_add_nc_u32_e32 v7, 1, v3
	v_subrev_nc_u32_e32 v8, s3, v4
	v_cmp_le_u32_e32 vcc_lo, s3, v4
	v_cndmask_b32_e32 v3, v3, v7, vcc_lo
	v_cndmask_b32_e32 v4, v4, v8, vcc_lo
	v_add_nc_u32_e32 v7, 1, v3
	v_cmp_le_u32_e32 vcc_lo, s3, v4
	v_cndmask_b32_e32 v3, v3, v7, vcc_lo
	v_xor_b32_e32 v3, v3, v6
	v_sub_nc_u32_e32 v3, v3, v6
	v_mad_u64_u32 v[3:4], null, v3, s1, v[0:1]
	v_ashrrev_i32_e32 v4, 31, v3
.LBB752_2:
	s_load_dwordx4 s[8:11], s[4:5], 0x0
	v_lshlrev_b64 v[1:2], 1, v[1:2]
	v_sub_nc_u32_e32 v11, s0, v5
	v_cmp_gt_i32_e64 s0, s2, v0
	v_mov_b32_e32 v6, 0xff800000
	v_mov_b32_e32 v5, 0xff800000
	v_cmp_lt_i32_e32 vcc_lo, 0, v11
	s_waitcnt lgkmcnt(0)
	v_add_co_u32 v7, s1, s10, v1
	v_add_co_ci_u32_e64 v8, null, s11, v2, s1
	s_and_b32 s10, s0, vcc_lo
	s_and_saveexec_b32 s1, s10
	s_cbranch_execz .LBB752_4
; %bb.3:
	global_load_ushort v0, v[7:8], off
	s_waitcnt vmcnt(0)
	v_lshlrev_b32_e32 v5, 16, v0
.LBB752_4:
	s_or_b32 exec_lo, exec_lo, s1
	v_cmp_lt_i32_e64 s1, 1, v11
	s_and_b32 s6, s0, s1
	s_and_saveexec_b32 s11, s6
	s_cbranch_execz .LBB752_6
; %bb.5:
	s_mov_b32 s3, 0
	s_lshl_b64 s[12:13], s[2:3], 1
	v_add_co_u32 v6, s1, v7, s12
	v_add_co_ci_u32_e64 v7, null, s13, v8, s1
	global_load_ushort v0, v[6:7], off
	s_waitcnt vmcnt(0)
	v_lshlrev_b32_e32 v6, 16, v0
.LBB752_6:
	s_or_b32 exec_lo, exec_lo, s11
	s_load_dwordx2 s[4:5], s[4:5], 0x20
	v_mov_b32_e32 v7, 0xff800000
	s_waitcnt lgkmcnt(0)
	v_add_co_u32 v3, s1, s4, v3
	v_add_co_ci_u32_e64 v4, null, s5, v4, s1
	s_and_saveexec_b32 s3, s10
	s_cbranch_execz .LBB752_8
; %bb.7:
	global_load_ubyte v0, v[3:4], off
	s_waitcnt vmcnt(0)
	v_and_b32_e32 v0, 1, v0
	v_cmp_eq_u32_e64 s1, 1, v0
	v_cndmask_b32_e64 v7, v5, 0xff800000, s1
.LBB752_8:
	s_or_b32 exec_lo, exec_lo, s3
	s_xor_b32 s3, s10, -1
	s_mov_b32 s5, 0
	s_and_saveexec_b32 s4, s6
	s_cbranch_execz .LBB752_12
; %bb.9:
	s_and_b32 s1, s7, exec_lo
	s_cselect_b32 s1, 0, s2
	s_cselect_b32 s5, 0, 0
	v_add_co_u32 v8, s1, v3, s1
	v_add_co_ci_u32_e64 v9, null, s5, v4, s1
	s_mov_b32 s5, 0
	global_load_ubyte v0, v[8:9], off
	s_waitcnt vmcnt(0)
	v_and_b32_e32 v0, 1, v0
	v_cmp_eq_u32_e64 s1, 1, v0
	s_xor_b32 s10, s1, -1
	s_and_saveexec_b32 s1, s10
; %bb.10:
	s_mov_b32 s5, exec_lo
; %bb.11:
	s_or_b32 exec_lo, exec_lo, s1
	s_and_b32 s5, s5, exec_lo
.LBB752_12:
	s_or_b32 exec_lo, exec_lo, s4
	v_mbcnt_lo_u32_b32 v8, -1, 0
	v_and_b32_e32 v0, 16, v8
	v_xor_b32_e32 v9, 8, v8
	v_xor_b32_e32 v12, 4, v8
	v_add_nc_u32_e32 v10, 16, v0
	v_cmp_lt_i32_e64 s1, v9, v10
	v_cndmask_b32_e64 v0, v8, v9, s1
	v_cndmask_b32_e64 v9, 0xff800000, v6, s5
	v_cmp_lt_i32_e64 s1, v12, v10
	v_lshlrev_b32_e32 v0, 2, v0
	v_cndmask_b32_e64 v12, v8, v12, s1
	ds_bpermute_b32 v13, v0, v7
	ds_bpermute_b32 v14, v0, v9
	v_lshlrev_b32_e32 v12, 2, v12
	s_waitcnt lgkmcnt(1)
	v_cmp_lt_f32_e64 s1, v7, v13
	v_cndmask_b32_e64 v7, v7, v13, s1
	s_waitcnt lgkmcnt(0)
	v_cmp_lt_f32_e64 s1, v9, v14
	v_xor_b32_e32 v13, 2, v8
	v_cndmask_b32_e64 v9, v9, v14, s1
	ds_bpermute_b32 v14, v12, v7
	v_cmp_lt_i32_e64 s1, v13, v10
	ds_bpermute_b32 v15, v12, v9
	v_cndmask_b32_e64 v13, v8, v13, s1
	v_lshlrev_b32_e32 v13, 2, v13
	s_waitcnt lgkmcnt(1)
	v_cmp_lt_f32_e64 s1, v7, v14
	v_cndmask_b32_e64 v7, v7, v14, s1
	s_waitcnt lgkmcnt(0)
	v_cmp_lt_f32_e64 s1, v9, v15
	v_xor_b32_e32 v14, 1, v8
	v_cndmask_b32_e64 v9, v9, v15, s1
	ds_bpermute_b32 v15, v13, v7
	v_cmp_lt_i32_e64 s1, v14, v10
	ds_bpermute_b32 v16, v13, v9
	v_cndmask_b32_e64 v8, v8, v14, s1
	v_lshlrev_b32_e32 v14, 2, v8
	s_waitcnt lgkmcnt(1)
	v_cmp_lt_f32_e64 s1, v7, v15
	v_cndmask_b32_e64 v17, v7, v15, s1
	s_waitcnt lgkmcnt(0)
	v_cmp_lt_f32_e64 s1, v9, v16
	ds_bpermute_b32 v18, v14, v17
	v_cndmask_b32_e64 v15, v9, v16, s1
                                        ; implicit-def: $vgpr9_vgpr10
	ds_bpermute_b32 v16, v14, v15
	s_and_saveexec_b32 s1, s3
	s_xor_b32 s1, exec_lo, s1
; %bb.13:
	v_mov_b32_e32 v5, 0
	v_mov_b32_e32 v10, v6
                                        ; implicit-def: $vgpr17
                                        ; implicit-def: $vgpr18
	v_mov_b32_e32 v9, v5
                                        ; implicit-def: $vgpr6
                                        ; implicit-def: $vgpr5
; %bb.14:
	s_or_saveexec_b32 s3, s1
	v_mov_b32_e32 v7, 0
	s_xor_b32 s4, s6, -1
	v_mov_b32_e32 v8, v7
	s_xor_b32 exec_lo, exec_lo, s3
	s_cbranch_execz .LBB752_20
; %bb.15:
	global_load_ubyte v8, v[3:4], off
	s_waitcnt vmcnt(0)
	v_and_b32_e32 v9, 1, v8
	v_mov_b32_e32 v8, v6
	v_cmp_eq_u32_e64 s1, 1, v9
	v_mov_b32_e32 v10, v8
	v_mov_b32_e32 v9, v7
	s_xor_b32 s1, s1, -1
	s_and_saveexec_b32 s5, s1
	s_xor_b32 s5, exec_lo, s5
	s_cbranch_execz .LBB752_17
; %bb.16:
	s_waitcnt lgkmcnt(1)
	v_cmp_lt_f32_e64 s1, v17, v18
	v_cndmask_b32_e64 v8, v17, v18, s1
	v_mov_b32_e32 v18, v7
	v_sub_f32_e32 v5, v5, v8
	v_mul_f32_e32 v8, 0x3fb8aa3b, v5
	v_cmp_ngt_f32_e64 s1, 0xc2ce8ed0, v5
	v_fma_f32 v9, 0x3fb8aa3b, v5, -v8
	v_rndne_f32_e32 v10, v8
	v_fmamk_f32 v9, v5, 0x32a5705f, v9
	v_sub_f32_e32 v8, v8, v10
	v_add_f32_e32 v8, v8, v9
	v_cvt_i32_f32_e32 v9, v10
	v_exp_f32_e32 v8, v8
	v_ldexp_f32 v8, v8, v9
	v_cndmask_b32_e64 v8, 0, v8, s1
	v_cmp_nlt_f32_e64 s1, 0x42b17218, v5
	v_cndmask_b32_e64 v5, 0x7f800000, v8, s1
	v_mov_b32_e32 v10, v6
	v_mov_b32_e32 v17, v5
	;; [unrolled: 1-line block ×5, first 2 shown]
.LBB752_17:
	s_andn2_saveexec_b32 s1, s5
; %bb.18:
	v_mov_b32_e32 v7, 0
	v_mov_b32_e32 v8, v7
; %bb.19:
	s_or_b32 exec_lo, exec_lo, s1
.LBB752_20:
	s_or_b32 exec_lo, exec_lo, s3
                                        ; implicit-def: $vgpr5_vgpr6
	s_and_saveexec_b32 s1, s4
	s_xor_b32 s1, exec_lo, s1
	s_cbranch_execz .LBB752_22
; %bb.21:
	v_mov_b32_e32 v10, 0
	v_mov_b32_e32 v5, v9
                                        ; implicit-def: $vgpr3
                                        ; implicit-def: $vgpr15
                                        ; implicit-def: $vgpr16
	v_mov_b32_e32 v6, v10
                                        ; implicit-def: $vgpr9_vgpr10
	s_andn2_saveexec_b32 s3, s1
	s_cbranch_execz .LBB752_26
	s_branch .LBB752_23
.LBB752_22:
	s_andn2_saveexec_b32 s3, s1
	s_cbranch_execz .LBB752_26
.LBB752_23:
	s_and_b32 s1, s7, exec_lo
	s_cselect_b32 s1, 0, s2
	s_cselect_b32 s4, 0, 0
	v_add_co_u32 v3, s1, v3, s1
	v_add_co_ci_u32_e64 v4, null, s4, v4, s1
	v_mov_b32_e32 v6, 0
	v_mov_b32_e32 v5, v9
	global_load_ubyte v3, v[3:4], off
	s_waitcnt vmcnt(0)
	v_and_b32_e32 v3, 1, v3
	v_cmp_eq_u32_e64 s1, 1, v3
	s_xor_b32 s1, s1, -1
	s_and_saveexec_b32 s4, s1
	s_xor_b32 s4, exec_lo, s4
	s_cbranch_execz .LBB752_25
; %bb.24:
	s_waitcnt lgkmcnt(0)
	v_cmp_lt_f32_e64 s1, v15, v16
	v_cndmask_b32_e64 v3, v15, v16, s1
	v_sub_f32_e32 v3, v10, v3
	v_mul_f32_e32 v4, 0x3fb8aa3b, v3
	v_cmp_ngt_f32_e64 s1, 0xc2ce8ed0, v3
	v_fma_f32 v5, 0x3fb8aa3b, v3, -v4
	v_rndne_f32_e32 v6, v4
	v_fmamk_f32 v5, v3, 0x32a5705f, v5
	v_sub_f32_e32 v4, v4, v6
	v_add_f32_e32 v4, v4, v5
	v_cvt_i32_f32_e32 v5, v6
	v_exp_f32_e32 v4, v4
	v_ldexp_f32 v4, v4, v5
	v_cndmask_b32_e64 v4, 0, v4, s1
	v_cmp_nlt_f32_e64 s1, 0x42b17218, v3
	v_cndmask_b32_e64 v10, 0x7f800000, v4, s1
	v_mov_b32_e32 v5, v9
	v_add_f32_e32 v8, v8, v10
	v_mov_b32_e32 v6, v10
.LBB752_25:
	s_andn2_saveexec_b32 s1, s4
	s_or_b32 exec_lo, exec_lo, s1
.LBB752_26:
	s_or_b32 exec_lo, exec_lo, s3
	ds_bpermute_b32 v3, v0, v7
	ds_bpermute_b32 v0, v0, v8
	s_waitcnt lgkmcnt(1)
	v_add_f32_e32 v3, v7, v3
	s_waitcnt lgkmcnt(0)
	v_add_f32_e32 v0, v8, v0
	ds_bpermute_b32 v4, v12, v3
	ds_bpermute_b32 v7, v12, v0
	s_waitcnt lgkmcnt(1)
	v_add_f32_e32 v3, v3, v4
	s_waitcnt lgkmcnt(0)
	v_add_f32_e32 v0, v0, v7
	;; [unrolled: 6-line block ×3, first 2 shown]
	ds_bpermute_b32 v8, v14, v7
	ds_bpermute_b32 v4, v14, v3
	s_and_saveexec_b32 s1, vcc_lo
	s_cbranch_execz .LBB752_35
; %bb.27:
	v_add_co_u32 v0, vcc_lo, s8, v1
	v_add_co_ci_u32_e64 v1, null, s9, v2, vcc_lo
	s_and_saveexec_b32 s1, s0
	s_cbranch_execz .LBB752_31
; %bb.28:
	s_waitcnt lgkmcnt(1)
	v_add_f32_e32 v2, v7, v8
	v_mov_b32_e32 v7, 0x7fc0
	s_mov_b32 s3, exec_lo
	v_cmpx_neq_f32_e32 0, v2
	s_cbranch_execz .LBB752_30
; %bb.29:
	v_div_scale_f32 v7, null, v2, v2, v5
	v_div_scale_f32 v10, vcc_lo, v5, v2, v5
	v_rcp_f32_e32 v8, v7
	v_fma_f32 v9, -v7, v8, 1.0
	v_fmac_f32_e32 v8, v9, v8
	v_mul_f32_e32 v9, v10, v8
	v_fma_f32 v12, -v7, v9, v10
	v_fmac_f32_e32 v9, v12, v8
	v_fma_f32 v7, -v7, v9, v10
	v_div_fmas_f32 v7, v7, v8, v9
	v_div_fixup_f32 v2, v7, v2, v5
	v_bfe_u32 v5, v2, 16, 1
	v_cmp_o_f32_e32 vcc_lo, v2, v2
	v_add3_u32 v2, v2, v5, 0x7fff
	v_mov_b32_e32 v5, 0x7fc0
	v_cndmask_b32_sdwa v7, v5, v2, vcc_lo dst_sel:DWORD dst_unused:UNUSED_PAD src0_sel:DWORD src1_sel:WORD_1
.LBB752_30:
	s_or_b32 exec_lo, exec_lo, s3
	global_store_short v[0:1], v7, off
.LBB752_31:
	s_or_b32 exec_lo, exec_lo, s1
	v_cmp_ne_u32_e32 vcc_lo, 1, v11
	s_and_b32 s0, vcc_lo, s0
	s_and_b32 exec_lo, exec_lo, s0
	s_cbranch_execz .LBB752_35
; %bb.32:
	s_waitcnt lgkmcnt(0)
	v_add_f32_e32 v2, v3, v4
	v_mov_b32_e32 v3, 0x7fc0
	s_mov_b32 s3, 0
	s_mov_b32 s0, exec_lo
	v_cmpx_neq_f32_e32 0, v2
	s_cbranch_execz .LBB752_34
; %bb.33:
	v_div_scale_f32 v3, null, v2, v2, v6
	v_div_scale_f32 v7, vcc_lo, v6, v2, v6
	v_rcp_f32_e32 v4, v3
	v_fma_f32 v5, -v3, v4, 1.0
	v_fmac_f32_e32 v4, v5, v4
	v_mul_f32_e32 v5, v7, v4
	v_fma_f32 v8, -v3, v5, v7
	v_fmac_f32_e32 v5, v8, v4
	v_fma_f32 v3, -v3, v5, v7
	v_div_fmas_f32 v3, v3, v4, v5
	v_div_fixup_f32 v2, v3, v2, v6
	v_bfe_u32 v3, v2, 16, 1
	v_cmp_o_f32_e32 vcc_lo, v2, v2
	v_add3_u32 v2, v2, v3, 0x7fff
	v_mov_b32_e32 v3, 0x7fc0
	v_cndmask_b32_sdwa v3, v3, v2, vcc_lo dst_sel:DWORD dst_unused:UNUSED_PAD src0_sel:DWORD src1_sel:WORD_1
.LBB752_34:
	s_or_b32 exec_lo, exec_lo, s0
	s_lshl_b64 s[0:1], s[2:3], 1
	v_add_co_u32 v0, vcc_lo, v0, s0
	v_add_co_ci_u32_e64 v1, null, s1, v1, vcc_lo
	global_store_short v[0:1], v3, off
.LBB752_35:
	s_endpgm
	.section	.rodata,"a",@progbits
	.p2align	6, 0x0
	.amdhsa_kernel _ZN12_GLOBAL__N_120softmax_warp_forwardIN3c108BFloat16ES2_fLi4ELb0ELb1ELi64EEEvPT0_PKT_iiiPKbib
		.amdhsa_group_segment_fixed_size 0
		.amdhsa_private_segment_fixed_size 0
		.amdhsa_kernarg_size 304
		.amdhsa_user_sgpr_count 6
		.amdhsa_user_sgpr_private_segment_buffer 1
		.amdhsa_user_sgpr_dispatch_ptr 0
		.amdhsa_user_sgpr_queue_ptr 0
		.amdhsa_user_sgpr_kernarg_segment_ptr 1
		.amdhsa_user_sgpr_dispatch_id 0
		.amdhsa_user_sgpr_flat_scratch_init 0
		.amdhsa_user_sgpr_private_segment_size 0
		.amdhsa_wavefront_size32 1
		.amdhsa_uses_dynamic_stack 0
		.amdhsa_system_sgpr_private_segment_wavefront_offset 0
		.amdhsa_system_sgpr_workgroup_id_x 1
		.amdhsa_system_sgpr_workgroup_id_y 0
		.amdhsa_system_sgpr_workgroup_id_z 0
		.amdhsa_system_sgpr_workgroup_info 0
		.amdhsa_system_vgpr_workitem_id 1
		.amdhsa_next_free_vgpr 19
		.amdhsa_next_free_sgpr 14
		.amdhsa_reserve_vcc 1
		.amdhsa_reserve_flat_scratch 0
		.amdhsa_float_round_mode_32 0
		.amdhsa_float_round_mode_16_64 0
		.amdhsa_float_denorm_mode_32 3
		.amdhsa_float_denorm_mode_16_64 3
		.amdhsa_dx10_clamp 1
		.amdhsa_ieee_mode 1
		.amdhsa_fp16_overflow 0
		.amdhsa_workgroup_processor_mode 1
		.amdhsa_memory_ordered 1
		.amdhsa_forward_progress 1
		.amdhsa_shared_vgpr_count 0
		.amdhsa_exception_fp_ieee_invalid_op 0
		.amdhsa_exception_fp_denorm_src 0
		.amdhsa_exception_fp_ieee_div_zero 0
		.amdhsa_exception_fp_ieee_overflow 0
		.amdhsa_exception_fp_ieee_underflow 0
		.amdhsa_exception_fp_ieee_inexact 0
		.amdhsa_exception_int_div_zero 0
	.end_amdhsa_kernel
	.section	.text._ZN12_GLOBAL__N_120softmax_warp_forwardIN3c108BFloat16ES2_fLi4ELb0ELb1ELi64EEEvPT0_PKT_iiiPKbib,"axG",@progbits,_ZN12_GLOBAL__N_120softmax_warp_forwardIN3c108BFloat16ES2_fLi4ELb0ELb1ELi64EEEvPT0_PKT_iiiPKbib,comdat
.Lfunc_end752:
	.size	_ZN12_GLOBAL__N_120softmax_warp_forwardIN3c108BFloat16ES2_fLi4ELb0ELb1ELi64EEEvPT0_PKT_iiiPKbib, .Lfunc_end752-_ZN12_GLOBAL__N_120softmax_warp_forwardIN3c108BFloat16ES2_fLi4ELb0ELb1ELi64EEEvPT0_PKT_iiiPKbib
                                        ; -- End function
	.set _ZN12_GLOBAL__N_120softmax_warp_forwardIN3c108BFloat16ES2_fLi4ELb0ELb1ELi64EEEvPT0_PKT_iiiPKbib.num_vgpr, 19
	.set _ZN12_GLOBAL__N_120softmax_warp_forwardIN3c108BFloat16ES2_fLi4ELb0ELb1ELi64EEEvPT0_PKT_iiiPKbib.num_agpr, 0
	.set _ZN12_GLOBAL__N_120softmax_warp_forwardIN3c108BFloat16ES2_fLi4ELb0ELb1ELi64EEEvPT0_PKT_iiiPKbib.numbered_sgpr, 14
	.set _ZN12_GLOBAL__N_120softmax_warp_forwardIN3c108BFloat16ES2_fLi4ELb0ELb1ELi64EEEvPT0_PKT_iiiPKbib.num_named_barrier, 0
	.set _ZN12_GLOBAL__N_120softmax_warp_forwardIN3c108BFloat16ES2_fLi4ELb0ELb1ELi64EEEvPT0_PKT_iiiPKbib.private_seg_size, 0
	.set _ZN12_GLOBAL__N_120softmax_warp_forwardIN3c108BFloat16ES2_fLi4ELb0ELb1ELi64EEEvPT0_PKT_iiiPKbib.uses_vcc, 1
	.set _ZN12_GLOBAL__N_120softmax_warp_forwardIN3c108BFloat16ES2_fLi4ELb0ELb1ELi64EEEvPT0_PKT_iiiPKbib.uses_flat_scratch, 0
	.set _ZN12_GLOBAL__N_120softmax_warp_forwardIN3c108BFloat16ES2_fLi4ELb0ELb1ELi64EEEvPT0_PKT_iiiPKbib.has_dyn_sized_stack, 0
	.set _ZN12_GLOBAL__N_120softmax_warp_forwardIN3c108BFloat16ES2_fLi4ELb0ELb1ELi64EEEvPT0_PKT_iiiPKbib.has_recursion, 0
	.set _ZN12_GLOBAL__N_120softmax_warp_forwardIN3c108BFloat16ES2_fLi4ELb0ELb1ELi64EEEvPT0_PKT_iiiPKbib.has_indirect_call, 0
	.section	.AMDGPU.csdata,"",@progbits
; Kernel info:
; codeLenInByte = 1912
; TotalNumSgprs: 16
; NumVgprs: 19
; ScratchSize: 0
; MemoryBound: 0
; FloatMode: 240
; IeeeMode: 1
; LDSByteSize: 0 bytes/workgroup (compile time only)
; SGPRBlocks: 0
; VGPRBlocks: 2
; NumSGPRsForWavesPerEU: 16
; NumVGPRsForWavesPerEU: 19
; Occupancy: 16
; WaveLimiterHint : 0
; COMPUTE_PGM_RSRC2:SCRATCH_EN: 0
; COMPUTE_PGM_RSRC2:USER_SGPR: 6
; COMPUTE_PGM_RSRC2:TRAP_HANDLER: 0
; COMPUTE_PGM_RSRC2:TGID_X_EN: 1
; COMPUTE_PGM_RSRC2:TGID_Y_EN: 0
; COMPUTE_PGM_RSRC2:TGID_Z_EN: 0
; COMPUTE_PGM_RSRC2:TIDIG_COMP_CNT: 1
	.section	.text._ZN12_GLOBAL__N_120softmax_warp_forwardIN3c108BFloat16ES2_fLi4ELb0ELb1ELi32EEEvPT0_PKT_iiiPKbib,"axG",@progbits,_ZN12_GLOBAL__N_120softmax_warp_forwardIN3c108BFloat16ES2_fLi4ELb0ELb1ELi32EEEvPT0_PKT_iiiPKbib,comdat
	.globl	_ZN12_GLOBAL__N_120softmax_warp_forwardIN3c108BFloat16ES2_fLi4ELb0ELb1ELi32EEEvPT0_PKT_iiiPKbib ; -- Begin function _ZN12_GLOBAL__N_120softmax_warp_forwardIN3c108BFloat16ES2_fLi4ELb0ELb1ELi32EEEvPT0_PKT_iiiPKbib
	.p2align	8
	.type	_ZN12_GLOBAL__N_120softmax_warp_forwardIN3c108BFloat16ES2_fLi4ELb0ELb1ELi32EEEvPT0_PKT_iiiPKbib,@function
_ZN12_GLOBAL__N_120softmax_warp_forwardIN3c108BFloat16ES2_fLi4ELb0ELb1ELi32EEEvPT0_PKT_iiiPKbib: ; @_ZN12_GLOBAL__N_120softmax_warp_forwardIN3c108BFloat16ES2_fLi4ELb0ELb1ELi32EEEvPT0_PKT_iiiPKbib
; %bb.0:
	s_clause 0x2
	s_load_dwordx2 s[8:9], s[4:5], 0x28
	s_load_dword s10, s[4:5], 0x3c
	s_load_dwordx4 s[0:3], s[4:5], 0x10
	s_waitcnt lgkmcnt(0)
	s_bitcmp1_b32 s9, 0
	s_cselect_b32 s7, -1, 0
	s_lshr_b32 s3, s10, 16
	s_and_b32 s3, s3, 0xffff
	s_bitcmp0_b32 s9, 0
	s_mul_i32 s6, s6, s3
	v_add_lshl_u32 v5, s6, v1, 1
	v_mul_lo_u32 v6, v5, s1
	v_add_nc_u32_e32 v1, v6, v0
	v_ashrrev_i32_e32 v2, 31, v1
	v_mov_b32_e32 v4, v2
	v_mov_b32_e32 v3, v1
	s_cbranch_scc1 .LBB753_2
; %bb.1:
	s_abs_i32 s3, s8
	v_sub_nc_u32_e32 v7, 0, v6
	v_cvt_f32_u32_e32 v3, s3
	s_sub_i32 s6, 0, s3
	v_max_i32_e32 v7, v6, v7
	v_rcp_iflag_f32_e32 v3, v3
	v_xor_b32_e32 v6, s8, v6
	v_ashrrev_i32_e32 v6, 31, v6
	v_mul_f32_e32 v3, 0x4f7ffffe, v3
	v_cvt_u32_f32_e32 v3, v3
	v_mul_lo_u32 v4, s6, v3
	v_mul_hi_u32 v4, v3, v4
	v_add_nc_u32_e32 v3, v3, v4
	v_mul_hi_u32 v3, v7, v3
	v_mul_lo_u32 v4, v3, s3
	v_sub_nc_u32_e32 v4, v7, v4
	v_add_nc_u32_e32 v7, 1, v3
	v_subrev_nc_u32_e32 v8, s3, v4
	v_cmp_le_u32_e32 vcc_lo, s3, v4
	v_cndmask_b32_e32 v3, v3, v7, vcc_lo
	v_cndmask_b32_e32 v4, v4, v8, vcc_lo
	v_add_nc_u32_e32 v7, 1, v3
	v_cmp_le_u32_e32 vcc_lo, s3, v4
	v_cndmask_b32_e32 v3, v3, v7, vcc_lo
	v_xor_b32_e32 v3, v3, v6
	v_sub_nc_u32_e32 v3, v3, v6
	v_mad_u64_u32 v[3:4], null, v3, s1, v[0:1]
	v_ashrrev_i32_e32 v4, 31, v3
.LBB753_2:
	s_load_dwordx4 s[8:11], s[4:5], 0x0
	v_lshlrev_b64 v[1:2], 1, v[1:2]
	v_sub_nc_u32_e32 v11, s0, v5
	v_cmp_gt_i32_e64 s0, s2, v0
	v_mov_b32_e32 v6, 0xff800000
	v_mov_b32_e32 v5, 0xff800000
	v_cmp_lt_i32_e32 vcc_lo, 0, v11
	s_waitcnt lgkmcnt(0)
	v_add_co_u32 v7, s1, s10, v1
	v_add_co_ci_u32_e64 v8, null, s11, v2, s1
	s_and_b32 s10, s0, vcc_lo
	s_and_saveexec_b32 s1, s10
	s_cbranch_execz .LBB753_4
; %bb.3:
	global_load_ushort v0, v[7:8], off
	s_waitcnt vmcnt(0)
	v_lshlrev_b32_e32 v5, 16, v0
.LBB753_4:
	s_or_b32 exec_lo, exec_lo, s1
	v_cmp_lt_i32_e64 s1, 1, v11
	s_and_b32 s6, s0, s1
	s_and_saveexec_b32 s11, s6
	s_cbranch_execz .LBB753_6
; %bb.5:
	s_mov_b32 s3, 0
	s_lshl_b64 s[12:13], s[2:3], 1
	v_add_co_u32 v6, s1, v7, s12
	v_add_co_ci_u32_e64 v7, null, s13, v8, s1
	global_load_ushort v0, v[6:7], off
	s_waitcnt vmcnt(0)
	v_lshlrev_b32_e32 v6, 16, v0
.LBB753_6:
	s_or_b32 exec_lo, exec_lo, s11
	s_load_dwordx2 s[4:5], s[4:5], 0x20
	v_mov_b32_e32 v7, 0xff800000
	s_waitcnt lgkmcnt(0)
	v_add_co_u32 v3, s1, s4, v3
	v_add_co_ci_u32_e64 v4, null, s5, v4, s1
	s_and_saveexec_b32 s3, s10
	s_cbranch_execz .LBB753_8
; %bb.7:
	global_load_ubyte v0, v[3:4], off
	s_waitcnt vmcnt(0)
	v_and_b32_e32 v0, 1, v0
	v_cmp_eq_u32_e64 s1, 1, v0
	v_cndmask_b32_e64 v7, v5, 0xff800000, s1
.LBB753_8:
	s_or_b32 exec_lo, exec_lo, s3
	s_xor_b32 s3, s10, -1
	s_mov_b32 s5, 0
	s_and_saveexec_b32 s4, s6
	s_cbranch_execz .LBB753_12
; %bb.9:
	s_and_b32 s1, s7, exec_lo
	s_cselect_b32 s1, 0, s2
	s_cselect_b32 s5, 0, 0
	v_add_co_u32 v8, s1, v3, s1
	v_add_co_ci_u32_e64 v9, null, s5, v4, s1
	s_mov_b32 s5, 0
	global_load_ubyte v0, v[8:9], off
	s_waitcnt vmcnt(0)
	v_and_b32_e32 v0, 1, v0
	v_cmp_eq_u32_e64 s1, 1, v0
	s_xor_b32 s10, s1, -1
	s_and_saveexec_b32 s1, s10
; %bb.10:
	s_mov_b32 s5, exec_lo
; %bb.11:
	s_or_b32 exec_lo, exec_lo, s1
	s_and_b32 s5, s5, exec_lo
.LBB753_12:
	s_or_b32 exec_lo, exec_lo, s4
	v_mbcnt_lo_u32_b32 v8, -1, 0
	v_and_b32_e32 v0, 16, v8
	v_xor_b32_e32 v9, 8, v8
	v_xor_b32_e32 v12, 4, v8
	v_add_nc_u32_e32 v10, 16, v0
	v_cmp_lt_i32_e64 s1, v9, v10
	v_cndmask_b32_e64 v0, v8, v9, s1
	v_cndmask_b32_e64 v9, 0xff800000, v6, s5
	v_cmp_lt_i32_e64 s1, v12, v10
	v_lshlrev_b32_e32 v0, 2, v0
	v_cndmask_b32_e64 v12, v8, v12, s1
	ds_bpermute_b32 v13, v0, v7
	ds_bpermute_b32 v14, v0, v9
	v_lshlrev_b32_e32 v12, 2, v12
	s_waitcnt lgkmcnt(1)
	v_cmp_lt_f32_e64 s1, v7, v13
	v_cndmask_b32_e64 v7, v7, v13, s1
	s_waitcnt lgkmcnt(0)
	v_cmp_lt_f32_e64 s1, v9, v14
	v_xor_b32_e32 v13, 2, v8
	v_cndmask_b32_e64 v9, v9, v14, s1
	ds_bpermute_b32 v14, v12, v7
	v_cmp_lt_i32_e64 s1, v13, v10
	ds_bpermute_b32 v15, v12, v9
	v_cndmask_b32_e64 v13, v8, v13, s1
	v_lshlrev_b32_e32 v13, 2, v13
	s_waitcnt lgkmcnt(1)
	v_cmp_lt_f32_e64 s1, v7, v14
	v_cndmask_b32_e64 v7, v7, v14, s1
	s_waitcnt lgkmcnt(0)
	v_cmp_lt_f32_e64 s1, v9, v15
	v_xor_b32_e32 v14, 1, v8
	v_cndmask_b32_e64 v9, v9, v15, s1
	ds_bpermute_b32 v15, v13, v7
	v_cmp_lt_i32_e64 s1, v14, v10
	ds_bpermute_b32 v16, v13, v9
	v_cndmask_b32_e64 v8, v8, v14, s1
	v_lshlrev_b32_e32 v14, 2, v8
	s_waitcnt lgkmcnt(1)
	v_cmp_lt_f32_e64 s1, v7, v15
	v_cndmask_b32_e64 v17, v7, v15, s1
	s_waitcnt lgkmcnt(0)
	v_cmp_lt_f32_e64 s1, v9, v16
	ds_bpermute_b32 v18, v14, v17
	v_cndmask_b32_e64 v15, v9, v16, s1
                                        ; implicit-def: $vgpr9_vgpr10
	ds_bpermute_b32 v16, v14, v15
	s_and_saveexec_b32 s1, s3
	s_xor_b32 s1, exec_lo, s1
; %bb.13:
	v_mov_b32_e32 v5, 0
	v_mov_b32_e32 v10, v6
                                        ; implicit-def: $vgpr17
                                        ; implicit-def: $vgpr18
	v_mov_b32_e32 v9, v5
                                        ; implicit-def: $vgpr6
                                        ; implicit-def: $vgpr5
; %bb.14:
	s_or_saveexec_b32 s3, s1
	v_mov_b32_e32 v7, 0
	s_xor_b32 s4, s6, -1
	v_mov_b32_e32 v8, v7
	s_xor_b32 exec_lo, exec_lo, s3
	s_cbranch_execz .LBB753_20
; %bb.15:
	global_load_ubyte v8, v[3:4], off
	s_waitcnt vmcnt(0)
	v_and_b32_e32 v9, 1, v8
	v_mov_b32_e32 v8, v6
	v_cmp_eq_u32_e64 s1, 1, v9
	v_mov_b32_e32 v10, v8
	v_mov_b32_e32 v9, v7
	s_xor_b32 s1, s1, -1
	s_and_saveexec_b32 s5, s1
	s_xor_b32 s5, exec_lo, s5
	s_cbranch_execz .LBB753_17
; %bb.16:
	s_waitcnt lgkmcnt(1)
	v_cmp_lt_f32_e64 s1, v17, v18
	v_cndmask_b32_e64 v8, v17, v18, s1
	v_mov_b32_e32 v18, v7
	v_sub_f32_e32 v5, v5, v8
	v_mul_f32_e32 v8, 0x3fb8aa3b, v5
	v_cmp_ngt_f32_e64 s1, 0xc2ce8ed0, v5
	v_fma_f32 v9, 0x3fb8aa3b, v5, -v8
	v_rndne_f32_e32 v10, v8
	v_fmamk_f32 v9, v5, 0x32a5705f, v9
	v_sub_f32_e32 v8, v8, v10
	v_add_f32_e32 v8, v8, v9
	v_cvt_i32_f32_e32 v9, v10
	v_exp_f32_e32 v8, v8
	v_ldexp_f32 v8, v8, v9
	v_cndmask_b32_e64 v8, 0, v8, s1
	v_cmp_nlt_f32_e64 s1, 0x42b17218, v5
	v_cndmask_b32_e64 v5, 0x7f800000, v8, s1
	v_mov_b32_e32 v10, v6
	v_mov_b32_e32 v17, v5
	;; [unrolled: 1-line block ×5, first 2 shown]
.LBB753_17:
	s_andn2_saveexec_b32 s1, s5
; %bb.18:
	v_mov_b32_e32 v7, 0
	v_mov_b32_e32 v8, v7
; %bb.19:
	s_or_b32 exec_lo, exec_lo, s1
.LBB753_20:
	s_or_b32 exec_lo, exec_lo, s3
                                        ; implicit-def: $vgpr5_vgpr6
	s_and_saveexec_b32 s1, s4
	s_xor_b32 s1, exec_lo, s1
	s_cbranch_execz .LBB753_22
; %bb.21:
	v_mov_b32_e32 v10, 0
	v_mov_b32_e32 v5, v9
                                        ; implicit-def: $vgpr3
                                        ; implicit-def: $vgpr15
                                        ; implicit-def: $vgpr16
	v_mov_b32_e32 v6, v10
                                        ; implicit-def: $vgpr9_vgpr10
	s_andn2_saveexec_b32 s3, s1
	s_cbranch_execz .LBB753_26
	s_branch .LBB753_23
.LBB753_22:
	s_andn2_saveexec_b32 s3, s1
	s_cbranch_execz .LBB753_26
.LBB753_23:
	s_and_b32 s1, s7, exec_lo
	s_cselect_b32 s1, 0, s2
	s_cselect_b32 s4, 0, 0
	v_add_co_u32 v3, s1, v3, s1
	v_add_co_ci_u32_e64 v4, null, s4, v4, s1
	v_mov_b32_e32 v6, 0
	v_mov_b32_e32 v5, v9
	global_load_ubyte v3, v[3:4], off
	s_waitcnt vmcnt(0)
	v_and_b32_e32 v3, 1, v3
	v_cmp_eq_u32_e64 s1, 1, v3
	s_xor_b32 s1, s1, -1
	s_and_saveexec_b32 s4, s1
	s_xor_b32 s4, exec_lo, s4
	s_cbranch_execz .LBB753_25
; %bb.24:
	s_waitcnt lgkmcnt(0)
	v_cmp_lt_f32_e64 s1, v15, v16
	v_cndmask_b32_e64 v3, v15, v16, s1
	v_sub_f32_e32 v3, v10, v3
	v_mul_f32_e32 v4, 0x3fb8aa3b, v3
	v_cmp_ngt_f32_e64 s1, 0xc2ce8ed0, v3
	v_fma_f32 v5, 0x3fb8aa3b, v3, -v4
	v_rndne_f32_e32 v6, v4
	v_fmamk_f32 v5, v3, 0x32a5705f, v5
	v_sub_f32_e32 v4, v4, v6
	v_add_f32_e32 v4, v4, v5
	v_cvt_i32_f32_e32 v5, v6
	v_exp_f32_e32 v4, v4
	v_ldexp_f32 v4, v4, v5
	v_cndmask_b32_e64 v4, 0, v4, s1
	v_cmp_nlt_f32_e64 s1, 0x42b17218, v3
	v_cndmask_b32_e64 v10, 0x7f800000, v4, s1
	v_mov_b32_e32 v5, v9
	v_add_f32_e32 v8, v8, v10
	v_mov_b32_e32 v6, v10
.LBB753_25:
	s_andn2_saveexec_b32 s1, s4
	s_or_b32 exec_lo, exec_lo, s1
.LBB753_26:
	s_or_b32 exec_lo, exec_lo, s3
	ds_bpermute_b32 v3, v0, v7
	ds_bpermute_b32 v0, v0, v8
	s_waitcnt lgkmcnt(1)
	v_add_f32_e32 v3, v7, v3
	s_waitcnt lgkmcnt(0)
	v_add_f32_e32 v0, v8, v0
	ds_bpermute_b32 v4, v12, v3
	ds_bpermute_b32 v7, v12, v0
	s_waitcnt lgkmcnt(1)
	v_add_f32_e32 v3, v3, v4
	s_waitcnt lgkmcnt(0)
	v_add_f32_e32 v0, v0, v7
	;; [unrolled: 6-line block ×3, first 2 shown]
	ds_bpermute_b32 v8, v14, v7
	ds_bpermute_b32 v4, v14, v3
	s_and_saveexec_b32 s1, vcc_lo
	s_cbranch_execz .LBB753_35
; %bb.27:
	v_add_co_u32 v0, vcc_lo, s8, v1
	v_add_co_ci_u32_e64 v1, null, s9, v2, vcc_lo
	s_and_saveexec_b32 s1, s0
	s_cbranch_execz .LBB753_31
; %bb.28:
	s_waitcnt lgkmcnt(1)
	v_add_f32_e32 v2, v7, v8
	v_mov_b32_e32 v7, 0x7fc0
	s_mov_b32 s3, exec_lo
	v_cmpx_neq_f32_e32 0, v2
	s_cbranch_execz .LBB753_30
; %bb.29:
	v_div_scale_f32 v7, null, v2, v2, v5
	v_div_scale_f32 v10, vcc_lo, v5, v2, v5
	v_rcp_f32_e32 v8, v7
	v_fma_f32 v9, -v7, v8, 1.0
	v_fmac_f32_e32 v8, v9, v8
	v_mul_f32_e32 v9, v10, v8
	v_fma_f32 v12, -v7, v9, v10
	v_fmac_f32_e32 v9, v12, v8
	v_fma_f32 v7, -v7, v9, v10
	v_div_fmas_f32 v7, v7, v8, v9
	v_div_fixup_f32 v2, v7, v2, v5
	v_bfe_u32 v5, v2, 16, 1
	v_cmp_o_f32_e32 vcc_lo, v2, v2
	v_add3_u32 v2, v2, v5, 0x7fff
	v_mov_b32_e32 v5, 0x7fc0
	v_cndmask_b32_sdwa v7, v5, v2, vcc_lo dst_sel:DWORD dst_unused:UNUSED_PAD src0_sel:DWORD src1_sel:WORD_1
.LBB753_30:
	s_or_b32 exec_lo, exec_lo, s3
	global_store_short v[0:1], v7, off
.LBB753_31:
	s_or_b32 exec_lo, exec_lo, s1
	v_cmp_ne_u32_e32 vcc_lo, 1, v11
	s_and_b32 s0, vcc_lo, s0
	s_and_b32 exec_lo, exec_lo, s0
	s_cbranch_execz .LBB753_35
; %bb.32:
	s_waitcnt lgkmcnt(0)
	v_add_f32_e32 v2, v3, v4
	v_mov_b32_e32 v3, 0x7fc0
	s_mov_b32 s3, 0
	s_mov_b32 s0, exec_lo
	v_cmpx_neq_f32_e32 0, v2
	s_cbranch_execz .LBB753_34
; %bb.33:
	v_div_scale_f32 v3, null, v2, v2, v6
	v_div_scale_f32 v7, vcc_lo, v6, v2, v6
	v_rcp_f32_e32 v4, v3
	v_fma_f32 v5, -v3, v4, 1.0
	v_fmac_f32_e32 v4, v5, v4
	v_mul_f32_e32 v5, v7, v4
	v_fma_f32 v8, -v3, v5, v7
	v_fmac_f32_e32 v5, v8, v4
	v_fma_f32 v3, -v3, v5, v7
	v_div_fmas_f32 v3, v3, v4, v5
	v_div_fixup_f32 v2, v3, v2, v6
	v_bfe_u32 v3, v2, 16, 1
	v_cmp_o_f32_e32 vcc_lo, v2, v2
	v_add3_u32 v2, v2, v3, 0x7fff
	v_mov_b32_e32 v3, 0x7fc0
	v_cndmask_b32_sdwa v3, v3, v2, vcc_lo dst_sel:DWORD dst_unused:UNUSED_PAD src0_sel:DWORD src1_sel:WORD_1
.LBB753_34:
	s_or_b32 exec_lo, exec_lo, s0
	s_lshl_b64 s[0:1], s[2:3], 1
	v_add_co_u32 v0, vcc_lo, v0, s0
	v_add_co_ci_u32_e64 v1, null, s1, v1, vcc_lo
	global_store_short v[0:1], v3, off
.LBB753_35:
	s_endpgm
	.section	.rodata,"a",@progbits
	.p2align	6, 0x0
	.amdhsa_kernel _ZN12_GLOBAL__N_120softmax_warp_forwardIN3c108BFloat16ES2_fLi4ELb0ELb1ELi32EEEvPT0_PKT_iiiPKbib
		.amdhsa_group_segment_fixed_size 0
		.amdhsa_private_segment_fixed_size 0
		.amdhsa_kernarg_size 304
		.amdhsa_user_sgpr_count 6
		.amdhsa_user_sgpr_private_segment_buffer 1
		.amdhsa_user_sgpr_dispatch_ptr 0
		.amdhsa_user_sgpr_queue_ptr 0
		.amdhsa_user_sgpr_kernarg_segment_ptr 1
		.amdhsa_user_sgpr_dispatch_id 0
		.amdhsa_user_sgpr_flat_scratch_init 0
		.amdhsa_user_sgpr_private_segment_size 0
		.amdhsa_wavefront_size32 1
		.amdhsa_uses_dynamic_stack 0
		.amdhsa_system_sgpr_private_segment_wavefront_offset 0
		.amdhsa_system_sgpr_workgroup_id_x 1
		.amdhsa_system_sgpr_workgroup_id_y 0
		.amdhsa_system_sgpr_workgroup_id_z 0
		.amdhsa_system_sgpr_workgroup_info 0
		.amdhsa_system_vgpr_workitem_id 1
		.amdhsa_next_free_vgpr 19
		.amdhsa_next_free_sgpr 14
		.amdhsa_reserve_vcc 1
		.amdhsa_reserve_flat_scratch 0
		.amdhsa_float_round_mode_32 0
		.amdhsa_float_round_mode_16_64 0
		.amdhsa_float_denorm_mode_32 3
		.amdhsa_float_denorm_mode_16_64 3
		.amdhsa_dx10_clamp 1
		.amdhsa_ieee_mode 1
		.amdhsa_fp16_overflow 0
		.amdhsa_workgroup_processor_mode 1
		.amdhsa_memory_ordered 1
		.amdhsa_forward_progress 1
		.amdhsa_shared_vgpr_count 0
		.amdhsa_exception_fp_ieee_invalid_op 0
		.amdhsa_exception_fp_denorm_src 0
		.amdhsa_exception_fp_ieee_div_zero 0
		.amdhsa_exception_fp_ieee_overflow 0
		.amdhsa_exception_fp_ieee_underflow 0
		.amdhsa_exception_fp_ieee_inexact 0
		.amdhsa_exception_int_div_zero 0
	.end_amdhsa_kernel
	.section	.text._ZN12_GLOBAL__N_120softmax_warp_forwardIN3c108BFloat16ES2_fLi4ELb0ELb1ELi32EEEvPT0_PKT_iiiPKbib,"axG",@progbits,_ZN12_GLOBAL__N_120softmax_warp_forwardIN3c108BFloat16ES2_fLi4ELb0ELb1ELi32EEEvPT0_PKT_iiiPKbib,comdat
.Lfunc_end753:
	.size	_ZN12_GLOBAL__N_120softmax_warp_forwardIN3c108BFloat16ES2_fLi4ELb0ELb1ELi32EEEvPT0_PKT_iiiPKbib, .Lfunc_end753-_ZN12_GLOBAL__N_120softmax_warp_forwardIN3c108BFloat16ES2_fLi4ELb0ELb1ELi32EEEvPT0_PKT_iiiPKbib
                                        ; -- End function
	.set _ZN12_GLOBAL__N_120softmax_warp_forwardIN3c108BFloat16ES2_fLi4ELb0ELb1ELi32EEEvPT0_PKT_iiiPKbib.num_vgpr, 19
	.set _ZN12_GLOBAL__N_120softmax_warp_forwardIN3c108BFloat16ES2_fLi4ELb0ELb1ELi32EEEvPT0_PKT_iiiPKbib.num_agpr, 0
	.set _ZN12_GLOBAL__N_120softmax_warp_forwardIN3c108BFloat16ES2_fLi4ELb0ELb1ELi32EEEvPT0_PKT_iiiPKbib.numbered_sgpr, 14
	.set _ZN12_GLOBAL__N_120softmax_warp_forwardIN3c108BFloat16ES2_fLi4ELb0ELb1ELi32EEEvPT0_PKT_iiiPKbib.num_named_barrier, 0
	.set _ZN12_GLOBAL__N_120softmax_warp_forwardIN3c108BFloat16ES2_fLi4ELb0ELb1ELi32EEEvPT0_PKT_iiiPKbib.private_seg_size, 0
	.set _ZN12_GLOBAL__N_120softmax_warp_forwardIN3c108BFloat16ES2_fLi4ELb0ELb1ELi32EEEvPT0_PKT_iiiPKbib.uses_vcc, 1
	.set _ZN12_GLOBAL__N_120softmax_warp_forwardIN3c108BFloat16ES2_fLi4ELb0ELb1ELi32EEEvPT0_PKT_iiiPKbib.uses_flat_scratch, 0
	.set _ZN12_GLOBAL__N_120softmax_warp_forwardIN3c108BFloat16ES2_fLi4ELb0ELb1ELi32EEEvPT0_PKT_iiiPKbib.has_dyn_sized_stack, 0
	.set _ZN12_GLOBAL__N_120softmax_warp_forwardIN3c108BFloat16ES2_fLi4ELb0ELb1ELi32EEEvPT0_PKT_iiiPKbib.has_recursion, 0
	.set _ZN12_GLOBAL__N_120softmax_warp_forwardIN3c108BFloat16ES2_fLi4ELb0ELb1ELi32EEEvPT0_PKT_iiiPKbib.has_indirect_call, 0
	.section	.AMDGPU.csdata,"",@progbits
; Kernel info:
; codeLenInByte = 1912
; TotalNumSgprs: 16
; NumVgprs: 19
; ScratchSize: 0
; MemoryBound: 0
; FloatMode: 240
; IeeeMode: 1
; LDSByteSize: 0 bytes/workgroup (compile time only)
; SGPRBlocks: 0
; VGPRBlocks: 2
; NumSGPRsForWavesPerEU: 16
; NumVGPRsForWavesPerEU: 19
; Occupancy: 16
; WaveLimiterHint : 0
; COMPUTE_PGM_RSRC2:SCRATCH_EN: 0
; COMPUTE_PGM_RSRC2:USER_SGPR: 6
; COMPUTE_PGM_RSRC2:TRAP_HANDLER: 0
; COMPUTE_PGM_RSRC2:TGID_X_EN: 1
; COMPUTE_PGM_RSRC2:TGID_Y_EN: 0
; COMPUTE_PGM_RSRC2:TGID_Z_EN: 0
; COMPUTE_PGM_RSRC2:TIDIG_COMP_CNT: 1
	.section	.text._ZN12_GLOBAL__N_120softmax_warp_forwardIN3c108BFloat16ES2_fLi5ELb0ELb1ELi64EEEvPT0_PKT_iiiPKbib,"axG",@progbits,_ZN12_GLOBAL__N_120softmax_warp_forwardIN3c108BFloat16ES2_fLi5ELb0ELb1ELi64EEEvPT0_PKT_iiiPKbib,comdat
	.globl	_ZN12_GLOBAL__N_120softmax_warp_forwardIN3c108BFloat16ES2_fLi5ELb0ELb1ELi64EEEvPT0_PKT_iiiPKbib ; -- Begin function _ZN12_GLOBAL__N_120softmax_warp_forwardIN3c108BFloat16ES2_fLi5ELb0ELb1ELi64EEEvPT0_PKT_iiiPKbib
	.p2align	8
	.type	_ZN12_GLOBAL__N_120softmax_warp_forwardIN3c108BFloat16ES2_fLi5ELb0ELb1ELi64EEEvPT0_PKT_iiiPKbib,@function
_ZN12_GLOBAL__N_120softmax_warp_forwardIN3c108BFloat16ES2_fLi5ELb0ELb1ELi64EEEvPT0_PKT_iiiPKbib: ; @_ZN12_GLOBAL__N_120softmax_warp_forwardIN3c108BFloat16ES2_fLi5ELb0ELb1ELi64EEEvPT0_PKT_iiiPKbib
; %bb.0:
	s_clause 0x2
	s_load_dwordx2 s[8:9], s[4:5], 0x28
	s_load_dword s10, s[4:5], 0x3c
	s_load_dwordx4 s[0:3], s[4:5], 0x10
	s_waitcnt lgkmcnt(0)
	s_bitcmp1_b32 s9, 0
	s_cselect_b32 s7, -1, 0
	s_lshr_b32 s3, s10, 16
	s_and_b32 s3, s3, 0xffff
	s_bitcmp0_b32 s9, 0
	s_mul_i32 s6, s6, s3
	v_add_lshl_u32 v5, s6, v1, 1
	v_mul_lo_u32 v6, v5, s1
	v_add_nc_u32_e32 v1, v6, v0
	v_ashrrev_i32_e32 v2, 31, v1
	v_mov_b32_e32 v4, v2
	v_mov_b32_e32 v3, v1
	s_cbranch_scc1 .LBB754_2
; %bb.1:
	s_abs_i32 s3, s8
	v_sub_nc_u32_e32 v7, 0, v6
	v_cvt_f32_u32_e32 v3, s3
	s_sub_i32 s6, 0, s3
	v_max_i32_e32 v7, v6, v7
	v_rcp_iflag_f32_e32 v3, v3
	v_xor_b32_e32 v6, s8, v6
	v_ashrrev_i32_e32 v6, 31, v6
	v_mul_f32_e32 v3, 0x4f7ffffe, v3
	v_cvt_u32_f32_e32 v3, v3
	v_mul_lo_u32 v4, s6, v3
	v_mul_hi_u32 v4, v3, v4
	v_add_nc_u32_e32 v3, v3, v4
	v_mul_hi_u32 v3, v7, v3
	v_mul_lo_u32 v4, v3, s3
	v_sub_nc_u32_e32 v4, v7, v4
	v_add_nc_u32_e32 v7, 1, v3
	v_subrev_nc_u32_e32 v8, s3, v4
	v_cmp_le_u32_e32 vcc_lo, s3, v4
	v_cndmask_b32_e32 v3, v3, v7, vcc_lo
	v_cndmask_b32_e32 v4, v4, v8, vcc_lo
	v_add_nc_u32_e32 v7, 1, v3
	v_cmp_le_u32_e32 vcc_lo, s3, v4
	v_cndmask_b32_e32 v3, v3, v7, vcc_lo
	v_xor_b32_e32 v3, v3, v6
	v_sub_nc_u32_e32 v3, v3, v6
	v_mad_u64_u32 v[3:4], null, v3, s1, v[0:1]
	v_ashrrev_i32_e32 v4, 31, v3
.LBB754_2:
	s_load_dwordx4 s[8:11], s[4:5], 0x0
	v_lshlrev_b64 v[1:2], 1, v[1:2]
	v_sub_nc_u32_e32 v11, s0, v5
	v_cmp_gt_i32_e64 s0, s2, v0
	v_mov_b32_e32 v6, 0xff800000
	v_mov_b32_e32 v5, 0xff800000
	v_cmp_lt_i32_e32 vcc_lo, 0, v11
	s_waitcnt lgkmcnt(0)
	v_add_co_u32 v7, s1, s10, v1
	v_add_co_ci_u32_e64 v8, null, s11, v2, s1
	s_and_b32 s10, s0, vcc_lo
	s_and_saveexec_b32 s1, s10
	s_cbranch_execz .LBB754_4
; %bb.3:
	global_load_ushort v0, v[7:8], off
	s_waitcnt vmcnt(0)
	v_lshlrev_b32_e32 v5, 16, v0
.LBB754_4:
	s_or_b32 exec_lo, exec_lo, s1
	v_cmp_lt_i32_e64 s1, 1, v11
	s_and_b32 s6, s0, s1
	s_and_saveexec_b32 s11, s6
	s_cbranch_execz .LBB754_6
; %bb.5:
	s_mov_b32 s3, 0
	s_lshl_b64 s[12:13], s[2:3], 1
	v_add_co_u32 v6, s1, v7, s12
	v_add_co_ci_u32_e64 v7, null, s13, v8, s1
	global_load_ushort v0, v[6:7], off
	s_waitcnt vmcnt(0)
	v_lshlrev_b32_e32 v6, 16, v0
.LBB754_6:
	s_or_b32 exec_lo, exec_lo, s11
	s_load_dwordx2 s[4:5], s[4:5], 0x20
	v_mov_b32_e32 v7, 0xff800000
	s_waitcnt lgkmcnt(0)
	v_add_co_u32 v3, s1, s4, v3
	v_add_co_ci_u32_e64 v4, null, s5, v4, s1
	s_and_saveexec_b32 s3, s10
	s_cbranch_execz .LBB754_8
; %bb.7:
	global_load_ubyte v0, v[3:4], off
	s_waitcnt vmcnt(0)
	v_and_b32_e32 v0, 1, v0
	v_cmp_eq_u32_e64 s1, 1, v0
	v_cndmask_b32_e64 v7, v5, 0xff800000, s1
.LBB754_8:
	s_or_b32 exec_lo, exec_lo, s3
	s_xor_b32 s3, s10, -1
	s_mov_b32 s5, 0
	s_and_saveexec_b32 s4, s6
	s_cbranch_execz .LBB754_12
; %bb.9:
	s_and_b32 s1, s7, exec_lo
	s_cselect_b32 s1, 0, s2
	s_cselect_b32 s5, 0, 0
	v_add_co_u32 v8, s1, v3, s1
	v_add_co_ci_u32_e64 v9, null, s5, v4, s1
	s_mov_b32 s5, 0
	global_load_ubyte v0, v[8:9], off
	s_waitcnt vmcnt(0)
	v_and_b32_e32 v0, 1, v0
	v_cmp_eq_u32_e64 s1, 1, v0
	s_xor_b32 s10, s1, -1
	s_and_saveexec_b32 s1, s10
; %bb.10:
	s_mov_b32 s5, exec_lo
; %bb.11:
	s_or_b32 exec_lo, exec_lo, s1
	s_and_b32 s5, s5, exec_lo
.LBB754_12:
	s_or_b32 exec_lo, exec_lo, s4
	v_mbcnt_lo_u32_b32 v8, -1, 0
	v_cndmask_b32_e64 v9, 0xff800000, v6, s5
	v_xor_b32_e32 v0, 16, v8
	v_xor_b32_e32 v12, 8, v8
	v_cmp_gt_i32_e64 s1, 32, v0
	v_cndmask_b32_e64 v0, v8, v0, s1
	v_cmp_gt_i32_e64 s1, 32, v12
	v_lshlrev_b32_e32 v0, 2, v0
	v_cndmask_b32_e64 v12, v8, v12, s1
	ds_bpermute_b32 v10, v0, v7
	ds_bpermute_b32 v13, v0, v9
	v_lshlrev_b32_e32 v12, 2, v12
	s_waitcnt lgkmcnt(1)
	v_cmp_lt_f32_e64 s1, v7, v10
	v_cndmask_b32_e64 v7, v7, v10, s1
	s_waitcnt lgkmcnt(0)
	v_cmp_lt_f32_e64 s1, v9, v13
	ds_bpermute_b32 v10, v12, v7
	v_cndmask_b32_e64 v9, v9, v13, s1
	v_xor_b32_e32 v13, 4, v8
	ds_bpermute_b32 v14, v12, v9
	v_cmp_gt_i32_e64 s1, 32, v13
	v_cndmask_b32_e64 v13, v8, v13, s1
	v_lshlrev_b32_e32 v13, 2, v13
	s_waitcnt lgkmcnt(1)
	v_cmp_lt_f32_e64 s1, v7, v10
	v_cndmask_b32_e64 v7, v7, v10, s1
	s_waitcnt lgkmcnt(0)
	v_cmp_lt_f32_e64 s1, v9, v14
	ds_bpermute_b32 v10, v13, v7
	v_cndmask_b32_e64 v9, v9, v14, s1
	v_xor_b32_e32 v14, 2, v8
	ds_bpermute_b32 v15, v13, v9
	v_cmp_gt_i32_e64 s1, 32, v14
	v_cndmask_b32_e64 v14, v8, v14, s1
	;; [unrolled: 12-line block ×3, first 2 shown]
	v_lshlrev_b32_e32 v15, 2, v8
	s_waitcnt lgkmcnt(1)
	v_cmp_lt_f32_e64 s1, v7, v10
	v_cndmask_b32_e64 v18, v7, v10, s1
	s_waitcnt lgkmcnt(0)
	v_cmp_lt_f32_e64 s1, v9, v16
	ds_bpermute_b32 v19, v15, v18
	v_cndmask_b32_e64 v16, v9, v16, s1
                                        ; implicit-def: $vgpr9_vgpr10
	ds_bpermute_b32 v17, v15, v16
	s_and_saveexec_b32 s1, s3
	s_xor_b32 s1, exec_lo, s1
; %bb.13:
	v_mov_b32_e32 v5, 0
	v_mov_b32_e32 v10, v6
                                        ; implicit-def: $vgpr18
                                        ; implicit-def: $vgpr19
	v_mov_b32_e32 v9, v5
                                        ; implicit-def: $vgpr6
                                        ; implicit-def: $vgpr5
; %bb.14:
	s_or_saveexec_b32 s3, s1
	v_mov_b32_e32 v7, 0
	s_xor_b32 s4, s6, -1
	v_mov_b32_e32 v8, v7
	s_xor_b32 exec_lo, exec_lo, s3
	s_cbranch_execz .LBB754_20
; %bb.15:
	global_load_ubyte v8, v[3:4], off
	s_waitcnt vmcnt(0)
	v_and_b32_e32 v9, 1, v8
	v_mov_b32_e32 v8, v6
	v_cmp_eq_u32_e64 s1, 1, v9
	v_mov_b32_e32 v10, v8
	v_mov_b32_e32 v9, v7
	s_xor_b32 s1, s1, -1
	s_and_saveexec_b32 s5, s1
	s_xor_b32 s5, exec_lo, s5
	s_cbranch_execz .LBB754_17
; %bb.16:
	s_waitcnt lgkmcnt(1)
	v_cmp_lt_f32_e64 s1, v18, v19
	v_cndmask_b32_e64 v8, v18, v19, s1
	v_mov_b32_e32 v19, v7
	v_sub_f32_e32 v5, v5, v8
	v_mul_f32_e32 v8, 0x3fb8aa3b, v5
	v_cmp_ngt_f32_e64 s1, 0xc2ce8ed0, v5
	v_fma_f32 v9, 0x3fb8aa3b, v5, -v8
	v_rndne_f32_e32 v10, v8
	v_fmamk_f32 v9, v5, 0x32a5705f, v9
	v_sub_f32_e32 v8, v8, v10
	v_add_f32_e32 v8, v8, v9
	v_cvt_i32_f32_e32 v9, v10
	v_exp_f32_e32 v8, v8
	v_ldexp_f32 v8, v8, v9
	v_cndmask_b32_e64 v8, 0, v8, s1
	v_cmp_nlt_f32_e64 s1, 0x42b17218, v5
	v_cndmask_b32_e64 v5, 0x7f800000, v8, s1
	v_mov_b32_e32 v10, v6
	v_mov_b32_e32 v18, v5
	v_mov_b32_e32 v9, v5
	v_mov_b32_e32 v7, v18
	v_mov_b32_e32 v8, v19
.LBB754_17:
	s_andn2_saveexec_b32 s1, s5
; %bb.18:
	v_mov_b32_e32 v7, 0
	v_mov_b32_e32 v8, v7
; %bb.19:
	s_or_b32 exec_lo, exec_lo, s1
.LBB754_20:
	s_or_b32 exec_lo, exec_lo, s3
                                        ; implicit-def: $vgpr5_vgpr6
	s_and_saveexec_b32 s1, s4
	s_xor_b32 s1, exec_lo, s1
	s_cbranch_execz .LBB754_22
; %bb.21:
	v_mov_b32_e32 v10, 0
	v_mov_b32_e32 v5, v9
                                        ; implicit-def: $vgpr3
                                        ; implicit-def: $vgpr16
                                        ; implicit-def: $vgpr17
	v_mov_b32_e32 v6, v10
                                        ; implicit-def: $vgpr9_vgpr10
	s_andn2_saveexec_b32 s3, s1
	s_cbranch_execz .LBB754_26
	s_branch .LBB754_23
.LBB754_22:
	s_andn2_saveexec_b32 s3, s1
	s_cbranch_execz .LBB754_26
.LBB754_23:
	s_and_b32 s1, s7, exec_lo
	s_cselect_b32 s1, 0, s2
	s_cselect_b32 s4, 0, 0
	v_add_co_u32 v3, s1, v3, s1
	v_add_co_ci_u32_e64 v4, null, s4, v4, s1
	v_mov_b32_e32 v6, 0
	v_mov_b32_e32 v5, v9
	global_load_ubyte v3, v[3:4], off
	s_waitcnt vmcnt(0)
	v_and_b32_e32 v3, 1, v3
	v_cmp_eq_u32_e64 s1, 1, v3
	s_xor_b32 s1, s1, -1
	s_and_saveexec_b32 s4, s1
	s_xor_b32 s4, exec_lo, s4
	s_cbranch_execz .LBB754_25
; %bb.24:
	s_waitcnt lgkmcnt(0)
	v_cmp_lt_f32_e64 s1, v16, v17
	v_cndmask_b32_e64 v3, v16, v17, s1
	v_sub_f32_e32 v3, v10, v3
	v_mul_f32_e32 v4, 0x3fb8aa3b, v3
	v_cmp_ngt_f32_e64 s1, 0xc2ce8ed0, v3
	v_fma_f32 v5, 0x3fb8aa3b, v3, -v4
	v_rndne_f32_e32 v6, v4
	v_fmamk_f32 v5, v3, 0x32a5705f, v5
	v_sub_f32_e32 v4, v4, v6
	v_add_f32_e32 v4, v4, v5
	v_cvt_i32_f32_e32 v5, v6
	v_exp_f32_e32 v4, v4
	v_ldexp_f32 v4, v4, v5
	v_cndmask_b32_e64 v4, 0, v4, s1
	v_cmp_nlt_f32_e64 s1, 0x42b17218, v3
	v_cndmask_b32_e64 v10, 0x7f800000, v4, s1
	v_mov_b32_e32 v5, v9
	v_add_f32_e32 v8, v8, v10
	v_mov_b32_e32 v6, v10
.LBB754_25:
	s_andn2_saveexec_b32 s1, s4
	s_or_b32 exec_lo, exec_lo, s1
.LBB754_26:
	s_or_b32 exec_lo, exec_lo, s3
	ds_bpermute_b32 v3, v0, v7
	ds_bpermute_b32 v0, v0, v8
	s_waitcnt lgkmcnt(1)
	v_add_f32_e32 v3, v7, v3
	s_waitcnt lgkmcnt(0)
	v_add_f32_e32 v0, v8, v0
	ds_bpermute_b32 v4, v12, v3
	ds_bpermute_b32 v7, v12, v0
	s_waitcnt lgkmcnt(1)
	v_add_f32_e32 v3, v3, v4
	s_waitcnt lgkmcnt(0)
	v_add_f32_e32 v0, v0, v7
	;; [unrolled: 6-line block ×4, first 2 shown]
	ds_bpermute_b32 v8, v15, v7
	ds_bpermute_b32 v4, v15, v3
	s_and_saveexec_b32 s1, vcc_lo
	s_cbranch_execz .LBB754_35
; %bb.27:
	v_add_co_u32 v0, vcc_lo, s8, v1
	v_add_co_ci_u32_e64 v1, null, s9, v2, vcc_lo
	s_and_saveexec_b32 s1, s0
	s_cbranch_execz .LBB754_31
; %bb.28:
	s_waitcnt lgkmcnt(1)
	v_add_f32_e32 v2, v7, v8
	v_mov_b32_e32 v7, 0x7fc0
	s_mov_b32 s3, exec_lo
	v_cmpx_neq_f32_e32 0, v2
	s_cbranch_execz .LBB754_30
; %bb.29:
	v_div_scale_f32 v7, null, v2, v2, v5
	v_div_scale_f32 v10, vcc_lo, v5, v2, v5
	v_rcp_f32_e32 v8, v7
	v_fma_f32 v9, -v7, v8, 1.0
	v_fmac_f32_e32 v8, v9, v8
	v_mul_f32_e32 v9, v10, v8
	v_fma_f32 v12, -v7, v9, v10
	v_fmac_f32_e32 v9, v12, v8
	v_fma_f32 v7, -v7, v9, v10
	v_div_fmas_f32 v7, v7, v8, v9
	v_div_fixup_f32 v2, v7, v2, v5
	v_bfe_u32 v5, v2, 16, 1
	v_cmp_o_f32_e32 vcc_lo, v2, v2
	v_add3_u32 v2, v2, v5, 0x7fff
	v_mov_b32_e32 v5, 0x7fc0
	v_cndmask_b32_sdwa v7, v5, v2, vcc_lo dst_sel:DWORD dst_unused:UNUSED_PAD src0_sel:DWORD src1_sel:WORD_1
.LBB754_30:
	s_or_b32 exec_lo, exec_lo, s3
	global_store_short v[0:1], v7, off
.LBB754_31:
	s_or_b32 exec_lo, exec_lo, s1
	v_cmp_ne_u32_e32 vcc_lo, 1, v11
	s_and_b32 s0, vcc_lo, s0
	s_and_b32 exec_lo, exec_lo, s0
	s_cbranch_execz .LBB754_35
; %bb.32:
	s_waitcnt lgkmcnt(0)
	v_add_f32_e32 v2, v3, v4
	v_mov_b32_e32 v3, 0x7fc0
	s_mov_b32 s3, 0
	s_mov_b32 s0, exec_lo
	v_cmpx_neq_f32_e32 0, v2
	s_cbranch_execz .LBB754_34
; %bb.33:
	v_div_scale_f32 v3, null, v2, v2, v6
	v_div_scale_f32 v7, vcc_lo, v6, v2, v6
	v_rcp_f32_e32 v4, v3
	v_fma_f32 v5, -v3, v4, 1.0
	v_fmac_f32_e32 v4, v5, v4
	v_mul_f32_e32 v5, v7, v4
	v_fma_f32 v8, -v3, v5, v7
	v_fmac_f32_e32 v5, v8, v4
	v_fma_f32 v3, -v3, v5, v7
	v_div_fmas_f32 v3, v3, v4, v5
	v_div_fixup_f32 v2, v3, v2, v6
	v_bfe_u32 v3, v2, 16, 1
	v_cmp_o_f32_e32 vcc_lo, v2, v2
	v_add3_u32 v2, v2, v3, 0x7fff
	v_mov_b32_e32 v3, 0x7fc0
	v_cndmask_b32_sdwa v3, v3, v2, vcc_lo dst_sel:DWORD dst_unused:UNUSED_PAD src0_sel:DWORD src1_sel:WORD_1
.LBB754_34:
	s_or_b32 exec_lo, exec_lo, s0
	s_lshl_b64 s[0:1], s[2:3], 1
	v_add_co_u32 v0, vcc_lo, v0, s0
	v_add_co_ci_u32_e64 v1, null, s1, v1, vcc_lo
	global_store_short v[0:1], v3, off
.LBB754_35:
	s_endpgm
	.section	.rodata,"a",@progbits
	.p2align	6, 0x0
	.amdhsa_kernel _ZN12_GLOBAL__N_120softmax_warp_forwardIN3c108BFloat16ES2_fLi5ELb0ELb1ELi64EEEvPT0_PKT_iiiPKbib
		.amdhsa_group_segment_fixed_size 0
		.amdhsa_private_segment_fixed_size 0
		.amdhsa_kernarg_size 304
		.amdhsa_user_sgpr_count 6
		.amdhsa_user_sgpr_private_segment_buffer 1
		.amdhsa_user_sgpr_dispatch_ptr 0
		.amdhsa_user_sgpr_queue_ptr 0
		.amdhsa_user_sgpr_kernarg_segment_ptr 1
		.amdhsa_user_sgpr_dispatch_id 0
		.amdhsa_user_sgpr_flat_scratch_init 0
		.amdhsa_user_sgpr_private_segment_size 0
		.amdhsa_wavefront_size32 1
		.amdhsa_uses_dynamic_stack 0
		.amdhsa_system_sgpr_private_segment_wavefront_offset 0
		.amdhsa_system_sgpr_workgroup_id_x 1
		.amdhsa_system_sgpr_workgroup_id_y 0
		.amdhsa_system_sgpr_workgroup_id_z 0
		.amdhsa_system_sgpr_workgroup_info 0
		.amdhsa_system_vgpr_workitem_id 1
		.amdhsa_next_free_vgpr 20
		.amdhsa_next_free_sgpr 14
		.amdhsa_reserve_vcc 1
		.amdhsa_reserve_flat_scratch 0
		.amdhsa_float_round_mode_32 0
		.amdhsa_float_round_mode_16_64 0
		.amdhsa_float_denorm_mode_32 3
		.amdhsa_float_denorm_mode_16_64 3
		.amdhsa_dx10_clamp 1
		.amdhsa_ieee_mode 1
		.amdhsa_fp16_overflow 0
		.amdhsa_workgroup_processor_mode 1
		.amdhsa_memory_ordered 1
		.amdhsa_forward_progress 1
		.amdhsa_shared_vgpr_count 0
		.amdhsa_exception_fp_ieee_invalid_op 0
		.amdhsa_exception_fp_denorm_src 0
		.amdhsa_exception_fp_ieee_div_zero 0
		.amdhsa_exception_fp_ieee_overflow 0
		.amdhsa_exception_fp_ieee_underflow 0
		.amdhsa_exception_fp_ieee_inexact 0
		.amdhsa_exception_int_div_zero 0
	.end_amdhsa_kernel
	.section	.text._ZN12_GLOBAL__N_120softmax_warp_forwardIN3c108BFloat16ES2_fLi5ELb0ELb1ELi64EEEvPT0_PKT_iiiPKbib,"axG",@progbits,_ZN12_GLOBAL__N_120softmax_warp_forwardIN3c108BFloat16ES2_fLi5ELb0ELb1ELi64EEEvPT0_PKT_iiiPKbib,comdat
.Lfunc_end754:
	.size	_ZN12_GLOBAL__N_120softmax_warp_forwardIN3c108BFloat16ES2_fLi5ELb0ELb1ELi64EEEvPT0_PKT_iiiPKbib, .Lfunc_end754-_ZN12_GLOBAL__N_120softmax_warp_forwardIN3c108BFloat16ES2_fLi5ELb0ELb1ELi64EEEvPT0_PKT_iiiPKbib
                                        ; -- End function
	.set _ZN12_GLOBAL__N_120softmax_warp_forwardIN3c108BFloat16ES2_fLi5ELb0ELb1ELi64EEEvPT0_PKT_iiiPKbib.num_vgpr, 20
	.set _ZN12_GLOBAL__N_120softmax_warp_forwardIN3c108BFloat16ES2_fLi5ELb0ELb1ELi64EEEvPT0_PKT_iiiPKbib.num_agpr, 0
	.set _ZN12_GLOBAL__N_120softmax_warp_forwardIN3c108BFloat16ES2_fLi5ELb0ELb1ELi64EEEvPT0_PKT_iiiPKbib.numbered_sgpr, 14
	.set _ZN12_GLOBAL__N_120softmax_warp_forwardIN3c108BFloat16ES2_fLi5ELb0ELb1ELi64EEEvPT0_PKT_iiiPKbib.num_named_barrier, 0
	.set _ZN12_GLOBAL__N_120softmax_warp_forwardIN3c108BFloat16ES2_fLi5ELb0ELb1ELi64EEEvPT0_PKT_iiiPKbib.private_seg_size, 0
	.set _ZN12_GLOBAL__N_120softmax_warp_forwardIN3c108BFloat16ES2_fLi5ELb0ELb1ELi64EEEvPT0_PKT_iiiPKbib.uses_vcc, 1
	.set _ZN12_GLOBAL__N_120softmax_warp_forwardIN3c108BFloat16ES2_fLi5ELb0ELb1ELi64EEEvPT0_PKT_iiiPKbib.uses_flat_scratch, 0
	.set _ZN12_GLOBAL__N_120softmax_warp_forwardIN3c108BFloat16ES2_fLi5ELb0ELb1ELi64EEEvPT0_PKT_iiiPKbib.has_dyn_sized_stack, 0
	.set _ZN12_GLOBAL__N_120softmax_warp_forwardIN3c108BFloat16ES2_fLi5ELb0ELb1ELi64EEEvPT0_PKT_iiiPKbib.has_recursion, 0
	.set _ZN12_GLOBAL__N_120softmax_warp_forwardIN3c108BFloat16ES2_fLi5ELb0ELb1ELi64EEEvPT0_PKT_iiiPKbib.has_indirect_call, 0
	.section	.AMDGPU.csdata,"",@progbits
; Kernel info:
; codeLenInByte = 2016
; TotalNumSgprs: 16
; NumVgprs: 20
; ScratchSize: 0
; MemoryBound: 0
; FloatMode: 240
; IeeeMode: 1
; LDSByteSize: 0 bytes/workgroup (compile time only)
; SGPRBlocks: 0
; VGPRBlocks: 2
; NumSGPRsForWavesPerEU: 16
; NumVGPRsForWavesPerEU: 20
; Occupancy: 16
; WaveLimiterHint : 0
; COMPUTE_PGM_RSRC2:SCRATCH_EN: 0
; COMPUTE_PGM_RSRC2:USER_SGPR: 6
; COMPUTE_PGM_RSRC2:TRAP_HANDLER: 0
; COMPUTE_PGM_RSRC2:TGID_X_EN: 1
; COMPUTE_PGM_RSRC2:TGID_Y_EN: 0
; COMPUTE_PGM_RSRC2:TGID_Z_EN: 0
; COMPUTE_PGM_RSRC2:TIDIG_COMP_CNT: 1
	.section	.text._ZN12_GLOBAL__N_120softmax_warp_forwardIN3c108BFloat16ES2_fLi5ELb0ELb1ELi32EEEvPT0_PKT_iiiPKbib,"axG",@progbits,_ZN12_GLOBAL__N_120softmax_warp_forwardIN3c108BFloat16ES2_fLi5ELb0ELb1ELi32EEEvPT0_PKT_iiiPKbib,comdat
	.globl	_ZN12_GLOBAL__N_120softmax_warp_forwardIN3c108BFloat16ES2_fLi5ELb0ELb1ELi32EEEvPT0_PKT_iiiPKbib ; -- Begin function _ZN12_GLOBAL__N_120softmax_warp_forwardIN3c108BFloat16ES2_fLi5ELb0ELb1ELi32EEEvPT0_PKT_iiiPKbib
	.p2align	8
	.type	_ZN12_GLOBAL__N_120softmax_warp_forwardIN3c108BFloat16ES2_fLi5ELb0ELb1ELi32EEEvPT0_PKT_iiiPKbib,@function
_ZN12_GLOBAL__N_120softmax_warp_forwardIN3c108BFloat16ES2_fLi5ELb0ELb1ELi32EEEvPT0_PKT_iiiPKbib: ; @_ZN12_GLOBAL__N_120softmax_warp_forwardIN3c108BFloat16ES2_fLi5ELb0ELb1ELi32EEEvPT0_PKT_iiiPKbib
; %bb.0:
	s_clause 0x2
	s_load_dwordx2 s[8:9], s[4:5], 0x28
	s_load_dword s10, s[4:5], 0x3c
	s_load_dwordx4 s[0:3], s[4:5], 0x10
	s_waitcnt lgkmcnt(0)
	s_bitcmp1_b32 s9, 0
	s_cselect_b32 s7, -1, 0
	s_lshr_b32 s3, s10, 16
	s_and_b32 s3, s3, 0xffff
	s_bitcmp0_b32 s9, 0
	s_mul_i32 s6, s6, s3
	v_add_lshl_u32 v5, s6, v1, 1
	v_mul_lo_u32 v6, v5, s1
	v_add_nc_u32_e32 v1, v6, v0
	v_ashrrev_i32_e32 v2, 31, v1
	v_mov_b32_e32 v4, v2
	v_mov_b32_e32 v3, v1
	s_cbranch_scc1 .LBB755_2
; %bb.1:
	s_abs_i32 s3, s8
	v_sub_nc_u32_e32 v7, 0, v6
	v_cvt_f32_u32_e32 v3, s3
	s_sub_i32 s6, 0, s3
	v_max_i32_e32 v7, v6, v7
	v_rcp_iflag_f32_e32 v3, v3
	v_xor_b32_e32 v6, s8, v6
	v_ashrrev_i32_e32 v6, 31, v6
	v_mul_f32_e32 v3, 0x4f7ffffe, v3
	v_cvt_u32_f32_e32 v3, v3
	v_mul_lo_u32 v4, s6, v3
	v_mul_hi_u32 v4, v3, v4
	v_add_nc_u32_e32 v3, v3, v4
	v_mul_hi_u32 v3, v7, v3
	v_mul_lo_u32 v4, v3, s3
	v_sub_nc_u32_e32 v4, v7, v4
	v_add_nc_u32_e32 v7, 1, v3
	v_subrev_nc_u32_e32 v8, s3, v4
	v_cmp_le_u32_e32 vcc_lo, s3, v4
	v_cndmask_b32_e32 v3, v3, v7, vcc_lo
	v_cndmask_b32_e32 v4, v4, v8, vcc_lo
	v_add_nc_u32_e32 v7, 1, v3
	v_cmp_le_u32_e32 vcc_lo, s3, v4
	v_cndmask_b32_e32 v3, v3, v7, vcc_lo
	v_xor_b32_e32 v3, v3, v6
	v_sub_nc_u32_e32 v3, v3, v6
	v_mad_u64_u32 v[3:4], null, v3, s1, v[0:1]
	v_ashrrev_i32_e32 v4, 31, v3
.LBB755_2:
	s_load_dwordx4 s[8:11], s[4:5], 0x0
	v_lshlrev_b64 v[1:2], 1, v[1:2]
	v_sub_nc_u32_e32 v11, s0, v5
	v_cmp_gt_i32_e64 s0, s2, v0
	v_mov_b32_e32 v6, 0xff800000
	v_mov_b32_e32 v5, 0xff800000
	v_cmp_lt_i32_e32 vcc_lo, 0, v11
	s_waitcnt lgkmcnt(0)
	v_add_co_u32 v7, s1, s10, v1
	v_add_co_ci_u32_e64 v8, null, s11, v2, s1
	s_and_b32 s10, s0, vcc_lo
	s_and_saveexec_b32 s1, s10
	s_cbranch_execz .LBB755_4
; %bb.3:
	global_load_ushort v0, v[7:8], off
	s_waitcnt vmcnt(0)
	v_lshlrev_b32_e32 v5, 16, v0
.LBB755_4:
	s_or_b32 exec_lo, exec_lo, s1
	v_cmp_lt_i32_e64 s1, 1, v11
	s_and_b32 s6, s0, s1
	s_and_saveexec_b32 s11, s6
	s_cbranch_execz .LBB755_6
; %bb.5:
	s_mov_b32 s3, 0
	s_lshl_b64 s[12:13], s[2:3], 1
	v_add_co_u32 v6, s1, v7, s12
	v_add_co_ci_u32_e64 v7, null, s13, v8, s1
	global_load_ushort v0, v[6:7], off
	s_waitcnt vmcnt(0)
	v_lshlrev_b32_e32 v6, 16, v0
.LBB755_6:
	s_or_b32 exec_lo, exec_lo, s11
	s_load_dwordx2 s[4:5], s[4:5], 0x20
	v_mov_b32_e32 v7, 0xff800000
	s_waitcnt lgkmcnt(0)
	v_add_co_u32 v3, s1, s4, v3
	v_add_co_ci_u32_e64 v4, null, s5, v4, s1
	s_and_saveexec_b32 s3, s10
	s_cbranch_execz .LBB755_8
; %bb.7:
	global_load_ubyte v0, v[3:4], off
	s_waitcnt vmcnt(0)
	v_and_b32_e32 v0, 1, v0
	v_cmp_eq_u32_e64 s1, 1, v0
	v_cndmask_b32_e64 v7, v5, 0xff800000, s1
.LBB755_8:
	s_or_b32 exec_lo, exec_lo, s3
	s_xor_b32 s3, s10, -1
	s_mov_b32 s5, 0
	s_and_saveexec_b32 s4, s6
	s_cbranch_execz .LBB755_12
; %bb.9:
	s_and_b32 s1, s7, exec_lo
	s_cselect_b32 s1, 0, s2
	s_cselect_b32 s5, 0, 0
	v_add_co_u32 v8, s1, v3, s1
	v_add_co_ci_u32_e64 v9, null, s5, v4, s1
	s_mov_b32 s5, 0
	global_load_ubyte v0, v[8:9], off
	s_waitcnt vmcnt(0)
	v_and_b32_e32 v0, 1, v0
	v_cmp_eq_u32_e64 s1, 1, v0
	s_xor_b32 s10, s1, -1
	s_and_saveexec_b32 s1, s10
; %bb.10:
	s_mov_b32 s5, exec_lo
; %bb.11:
	s_or_b32 exec_lo, exec_lo, s1
	s_and_b32 s5, s5, exec_lo
.LBB755_12:
	s_or_b32 exec_lo, exec_lo, s4
	v_mbcnt_lo_u32_b32 v8, -1, 0
	v_cndmask_b32_e64 v9, 0xff800000, v6, s5
	v_xor_b32_e32 v0, 16, v8
	v_xor_b32_e32 v12, 8, v8
	v_cmp_gt_i32_e64 s1, 32, v0
	v_cndmask_b32_e64 v0, v8, v0, s1
	v_cmp_gt_i32_e64 s1, 32, v12
	v_lshlrev_b32_e32 v0, 2, v0
	v_cndmask_b32_e64 v12, v8, v12, s1
	ds_bpermute_b32 v10, v0, v7
	ds_bpermute_b32 v13, v0, v9
	v_lshlrev_b32_e32 v12, 2, v12
	s_waitcnt lgkmcnt(1)
	v_cmp_lt_f32_e64 s1, v7, v10
	v_cndmask_b32_e64 v7, v7, v10, s1
	s_waitcnt lgkmcnt(0)
	v_cmp_lt_f32_e64 s1, v9, v13
	ds_bpermute_b32 v10, v12, v7
	v_cndmask_b32_e64 v9, v9, v13, s1
	v_xor_b32_e32 v13, 4, v8
	ds_bpermute_b32 v14, v12, v9
	v_cmp_gt_i32_e64 s1, 32, v13
	v_cndmask_b32_e64 v13, v8, v13, s1
	v_lshlrev_b32_e32 v13, 2, v13
	s_waitcnt lgkmcnt(1)
	v_cmp_lt_f32_e64 s1, v7, v10
	v_cndmask_b32_e64 v7, v7, v10, s1
	s_waitcnt lgkmcnt(0)
	v_cmp_lt_f32_e64 s1, v9, v14
	ds_bpermute_b32 v10, v13, v7
	v_cndmask_b32_e64 v9, v9, v14, s1
	v_xor_b32_e32 v14, 2, v8
	ds_bpermute_b32 v15, v13, v9
	v_cmp_gt_i32_e64 s1, 32, v14
	v_cndmask_b32_e64 v14, v8, v14, s1
	;; [unrolled: 12-line block ×3, first 2 shown]
	v_lshlrev_b32_e32 v15, 2, v8
	s_waitcnt lgkmcnt(1)
	v_cmp_lt_f32_e64 s1, v7, v10
	v_cndmask_b32_e64 v18, v7, v10, s1
	s_waitcnt lgkmcnt(0)
	v_cmp_lt_f32_e64 s1, v9, v16
	ds_bpermute_b32 v19, v15, v18
	v_cndmask_b32_e64 v16, v9, v16, s1
                                        ; implicit-def: $vgpr9_vgpr10
	ds_bpermute_b32 v17, v15, v16
	s_and_saveexec_b32 s1, s3
	s_xor_b32 s1, exec_lo, s1
; %bb.13:
	v_mov_b32_e32 v5, 0
	v_mov_b32_e32 v10, v6
                                        ; implicit-def: $vgpr18
                                        ; implicit-def: $vgpr19
	v_mov_b32_e32 v9, v5
                                        ; implicit-def: $vgpr6
                                        ; implicit-def: $vgpr5
; %bb.14:
	s_or_saveexec_b32 s3, s1
	v_mov_b32_e32 v7, 0
	s_xor_b32 s4, s6, -1
	v_mov_b32_e32 v8, v7
	s_xor_b32 exec_lo, exec_lo, s3
	s_cbranch_execz .LBB755_20
; %bb.15:
	global_load_ubyte v8, v[3:4], off
	s_waitcnt vmcnt(0)
	v_and_b32_e32 v9, 1, v8
	v_mov_b32_e32 v8, v6
	v_cmp_eq_u32_e64 s1, 1, v9
	v_mov_b32_e32 v10, v8
	v_mov_b32_e32 v9, v7
	s_xor_b32 s1, s1, -1
	s_and_saveexec_b32 s5, s1
	s_xor_b32 s5, exec_lo, s5
	s_cbranch_execz .LBB755_17
; %bb.16:
	s_waitcnt lgkmcnt(1)
	v_cmp_lt_f32_e64 s1, v18, v19
	v_cndmask_b32_e64 v8, v18, v19, s1
	v_mov_b32_e32 v19, v7
	v_sub_f32_e32 v5, v5, v8
	v_mul_f32_e32 v8, 0x3fb8aa3b, v5
	v_cmp_ngt_f32_e64 s1, 0xc2ce8ed0, v5
	v_fma_f32 v9, 0x3fb8aa3b, v5, -v8
	v_rndne_f32_e32 v10, v8
	v_fmamk_f32 v9, v5, 0x32a5705f, v9
	v_sub_f32_e32 v8, v8, v10
	v_add_f32_e32 v8, v8, v9
	v_cvt_i32_f32_e32 v9, v10
	v_exp_f32_e32 v8, v8
	v_ldexp_f32 v8, v8, v9
	v_cndmask_b32_e64 v8, 0, v8, s1
	v_cmp_nlt_f32_e64 s1, 0x42b17218, v5
	v_cndmask_b32_e64 v5, 0x7f800000, v8, s1
	v_mov_b32_e32 v10, v6
	v_mov_b32_e32 v18, v5
	;; [unrolled: 1-line block ×5, first 2 shown]
.LBB755_17:
	s_andn2_saveexec_b32 s1, s5
; %bb.18:
	v_mov_b32_e32 v7, 0
	v_mov_b32_e32 v8, v7
; %bb.19:
	s_or_b32 exec_lo, exec_lo, s1
.LBB755_20:
	s_or_b32 exec_lo, exec_lo, s3
                                        ; implicit-def: $vgpr5_vgpr6
	s_and_saveexec_b32 s1, s4
	s_xor_b32 s1, exec_lo, s1
	s_cbranch_execz .LBB755_22
; %bb.21:
	v_mov_b32_e32 v10, 0
	v_mov_b32_e32 v5, v9
                                        ; implicit-def: $vgpr3
                                        ; implicit-def: $vgpr16
                                        ; implicit-def: $vgpr17
	v_mov_b32_e32 v6, v10
                                        ; implicit-def: $vgpr9_vgpr10
	s_andn2_saveexec_b32 s3, s1
	s_cbranch_execz .LBB755_26
	s_branch .LBB755_23
.LBB755_22:
	s_andn2_saveexec_b32 s3, s1
	s_cbranch_execz .LBB755_26
.LBB755_23:
	s_and_b32 s1, s7, exec_lo
	s_cselect_b32 s1, 0, s2
	s_cselect_b32 s4, 0, 0
	v_add_co_u32 v3, s1, v3, s1
	v_add_co_ci_u32_e64 v4, null, s4, v4, s1
	v_mov_b32_e32 v6, 0
	v_mov_b32_e32 v5, v9
	global_load_ubyte v3, v[3:4], off
	s_waitcnt vmcnt(0)
	v_and_b32_e32 v3, 1, v3
	v_cmp_eq_u32_e64 s1, 1, v3
	s_xor_b32 s1, s1, -1
	s_and_saveexec_b32 s4, s1
	s_xor_b32 s4, exec_lo, s4
	s_cbranch_execz .LBB755_25
; %bb.24:
	s_waitcnt lgkmcnt(0)
	v_cmp_lt_f32_e64 s1, v16, v17
	v_cndmask_b32_e64 v3, v16, v17, s1
	v_sub_f32_e32 v3, v10, v3
	v_mul_f32_e32 v4, 0x3fb8aa3b, v3
	v_cmp_ngt_f32_e64 s1, 0xc2ce8ed0, v3
	v_fma_f32 v5, 0x3fb8aa3b, v3, -v4
	v_rndne_f32_e32 v6, v4
	v_fmamk_f32 v5, v3, 0x32a5705f, v5
	v_sub_f32_e32 v4, v4, v6
	v_add_f32_e32 v4, v4, v5
	v_cvt_i32_f32_e32 v5, v6
	v_exp_f32_e32 v4, v4
	v_ldexp_f32 v4, v4, v5
	v_cndmask_b32_e64 v4, 0, v4, s1
	v_cmp_nlt_f32_e64 s1, 0x42b17218, v3
	v_cndmask_b32_e64 v10, 0x7f800000, v4, s1
	v_mov_b32_e32 v5, v9
	v_add_f32_e32 v8, v8, v10
	v_mov_b32_e32 v6, v10
.LBB755_25:
	s_andn2_saveexec_b32 s1, s4
	s_or_b32 exec_lo, exec_lo, s1
.LBB755_26:
	s_or_b32 exec_lo, exec_lo, s3
	ds_bpermute_b32 v3, v0, v7
	ds_bpermute_b32 v0, v0, v8
	s_waitcnt lgkmcnt(1)
	v_add_f32_e32 v3, v7, v3
	s_waitcnt lgkmcnt(0)
	v_add_f32_e32 v0, v8, v0
	ds_bpermute_b32 v4, v12, v3
	ds_bpermute_b32 v7, v12, v0
	s_waitcnt lgkmcnt(1)
	v_add_f32_e32 v3, v3, v4
	s_waitcnt lgkmcnt(0)
	v_add_f32_e32 v0, v0, v7
	;; [unrolled: 6-line block ×4, first 2 shown]
	ds_bpermute_b32 v8, v15, v7
	ds_bpermute_b32 v4, v15, v3
	s_and_saveexec_b32 s1, vcc_lo
	s_cbranch_execz .LBB755_35
; %bb.27:
	v_add_co_u32 v0, vcc_lo, s8, v1
	v_add_co_ci_u32_e64 v1, null, s9, v2, vcc_lo
	s_and_saveexec_b32 s1, s0
	s_cbranch_execz .LBB755_31
; %bb.28:
	s_waitcnt lgkmcnt(1)
	v_add_f32_e32 v2, v7, v8
	v_mov_b32_e32 v7, 0x7fc0
	s_mov_b32 s3, exec_lo
	v_cmpx_neq_f32_e32 0, v2
	s_cbranch_execz .LBB755_30
; %bb.29:
	v_div_scale_f32 v7, null, v2, v2, v5
	v_div_scale_f32 v10, vcc_lo, v5, v2, v5
	v_rcp_f32_e32 v8, v7
	v_fma_f32 v9, -v7, v8, 1.0
	v_fmac_f32_e32 v8, v9, v8
	v_mul_f32_e32 v9, v10, v8
	v_fma_f32 v12, -v7, v9, v10
	v_fmac_f32_e32 v9, v12, v8
	v_fma_f32 v7, -v7, v9, v10
	v_div_fmas_f32 v7, v7, v8, v9
	v_div_fixup_f32 v2, v7, v2, v5
	v_bfe_u32 v5, v2, 16, 1
	v_cmp_o_f32_e32 vcc_lo, v2, v2
	v_add3_u32 v2, v2, v5, 0x7fff
	v_mov_b32_e32 v5, 0x7fc0
	v_cndmask_b32_sdwa v7, v5, v2, vcc_lo dst_sel:DWORD dst_unused:UNUSED_PAD src0_sel:DWORD src1_sel:WORD_1
.LBB755_30:
	s_or_b32 exec_lo, exec_lo, s3
	global_store_short v[0:1], v7, off
.LBB755_31:
	s_or_b32 exec_lo, exec_lo, s1
	v_cmp_ne_u32_e32 vcc_lo, 1, v11
	s_and_b32 s0, vcc_lo, s0
	s_and_b32 exec_lo, exec_lo, s0
	s_cbranch_execz .LBB755_35
; %bb.32:
	s_waitcnt lgkmcnt(0)
	v_add_f32_e32 v2, v3, v4
	v_mov_b32_e32 v3, 0x7fc0
	s_mov_b32 s3, 0
	s_mov_b32 s0, exec_lo
	v_cmpx_neq_f32_e32 0, v2
	s_cbranch_execz .LBB755_34
; %bb.33:
	v_div_scale_f32 v3, null, v2, v2, v6
	v_div_scale_f32 v7, vcc_lo, v6, v2, v6
	v_rcp_f32_e32 v4, v3
	v_fma_f32 v5, -v3, v4, 1.0
	v_fmac_f32_e32 v4, v5, v4
	v_mul_f32_e32 v5, v7, v4
	v_fma_f32 v8, -v3, v5, v7
	v_fmac_f32_e32 v5, v8, v4
	v_fma_f32 v3, -v3, v5, v7
	v_div_fmas_f32 v3, v3, v4, v5
	v_div_fixup_f32 v2, v3, v2, v6
	v_bfe_u32 v3, v2, 16, 1
	v_cmp_o_f32_e32 vcc_lo, v2, v2
	v_add3_u32 v2, v2, v3, 0x7fff
	v_mov_b32_e32 v3, 0x7fc0
	v_cndmask_b32_sdwa v3, v3, v2, vcc_lo dst_sel:DWORD dst_unused:UNUSED_PAD src0_sel:DWORD src1_sel:WORD_1
.LBB755_34:
	s_or_b32 exec_lo, exec_lo, s0
	s_lshl_b64 s[0:1], s[2:3], 1
	v_add_co_u32 v0, vcc_lo, v0, s0
	v_add_co_ci_u32_e64 v1, null, s1, v1, vcc_lo
	global_store_short v[0:1], v3, off
.LBB755_35:
	s_endpgm
	.section	.rodata,"a",@progbits
	.p2align	6, 0x0
	.amdhsa_kernel _ZN12_GLOBAL__N_120softmax_warp_forwardIN3c108BFloat16ES2_fLi5ELb0ELb1ELi32EEEvPT0_PKT_iiiPKbib
		.amdhsa_group_segment_fixed_size 0
		.amdhsa_private_segment_fixed_size 0
		.amdhsa_kernarg_size 304
		.amdhsa_user_sgpr_count 6
		.amdhsa_user_sgpr_private_segment_buffer 1
		.amdhsa_user_sgpr_dispatch_ptr 0
		.amdhsa_user_sgpr_queue_ptr 0
		.amdhsa_user_sgpr_kernarg_segment_ptr 1
		.amdhsa_user_sgpr_dispatch_id 0
		.amdhsa_user_sgpr_flat_scratch_init 0
		.amdhsa_user_sgpr_private_segment_size 0
		.amdhsa_wavefront_size32 1
		.amdhsa_uses_dynamic_stack 0
		.amdhsa_system_sgpr_private_segment_wavefront_offset 0
		.amdhsa_system_sgpr_workgroup_id_x 1
		.amdhsa_system_sgpr_workgroup_id_y 0
		.amdhsa_system_sgpr_workgroup_id_z 0
		.amdhsa_system_sgpr_workgroup_info 0
		.amdhsa_system_vgpr_workitem_id 1
		.amdhsa_next_free_vgpr 20
		.amdhsa_next_free_sgpr 14
		.amdhsa_reserve_vcc 1
		.amdhsa_reserve_flat_scratch 0
		.amdhsa_float_round_mode_32 0
		.amdhsa_float_round_mode_16_64 0
		.amdhsa_float_denorm_mode_32 3
		.amdhsa_float_denorm_mode_16_64 3
		.amdhsa_dx10_clamp 1
		.amdhsa_ieee_mode 1
		.amdhsa_fp16_overflow 0
		.amdhsa_workgroup_processor_mode 1
		.amdhsa_memory_ordered 1
		.amdhsa_forward_progress 1
		.amdhsa_shared_vgpr_count 0
		.amdhsa_exception_fp_ieee_invalid_op 0
		.amdhsa_exception_fp_denorm_src 0
		.amdhsa_exception_fp_ieee_div_zero 0
		.amdhsa_exception_fp_ieee_overflow 0
		.amdhsa_exception_fp_ieee_underflow 0
		.amdhsa_exception_fp_ieee_inexact 0
		.amdhsa_exception_int_div_zero 0
	.end_amdhsa_kernel
	.section	.text._ZN12_GLOBAL__N_120softmax_warp_forwardIN3c108BFloat16ES2_fLi5ELb0ELb1ELi32EEEvPT0_PKT_iiiPKbib,"axG",@progbits,_ZN12_GLOBAL__N_120softmax_warp_forwardIN3c108BFloat16ES2_fLi5ELb0ELb1ELi32EEEvPT0_PKT_iiiPKbib,comdat
.Lfunc_end755:
	.size	_ZN12_GLOBAL__N_120softmax_warp_forwardIN3c108BFloat16ES2_fLi5ELb0ELb1ELi32EEEvPT0_PKT_iiiPKbib, .Lfunc_end755-_ZN12_GLOBAL__N_120softmax_warp_forwardIN3c108BFloat16ES2_fLi5ELb0ELb1ELi32EEEvPT0_PKT_iiiPKbib
                                        ; -- End function
	.set _ZN12_GLOBAL__N_120softmax_warp_forwardIN3c108BFloat16ES2_fLi5ELb0ELb1ELi32EEEvPT0_PKT_iiiPKbib.num_vgpr, 20
	.set _ZN12_GLOBAL__N_120softmax_warp_forwardIN3c108BFloat16ES2_fLi5ELb0ELb1ELi32EEEvPT0_PKT_iiiPKbib.num_agpr, 0
	.set _ZN12_GLOBAL__N_120softmax_warp_forwardIN3c108BFloat16ES2_fLi5ELb0ELb1ELi32EEEvPT0_PKT_iiiPKbib.numbered_sgpr, 14
	.set _ZN12_GLOBAL__N_120softmax_warp_forwardIN3c108BFloat16ES2_fLi5ELb0ELb1ELi32EEEvPT0_PKT_iiiPKbib.num_named_barrier, 0
	.set _ZN12_GLOBAL__N_120softmax_warp_forwardIN3c108BFloat16ES2_fLi5ELb0ELb1ELi32EEEvPT0_PKT_iiiPKbib.private_seg_size, 0
	.set _ZN12_GLOBAL__N_120softmax_warp_forwardIN3c108BFloat16ES2_fLi5ELb0ELb1ELi32EEEvPT0_PKT_iiiPKbib.uses_vcc, 1
	.set _ZN12_GLOBAL__N_120softmax_warp_forwardIN3c108BFloat16ES2_fLi5ELb0ELb1ELi32EEEvPT0_PKT_iiiPKbib.uses_flat_scratch, 0
	.set _ZN12_GLOBAL__N_120softmax_warp_forwardIN3c108BFloat16ES2_fLi5ELb0ELb1ELi32EEEvPT0_PKT_iiiPKbib.has_dyn_sized_stack, 0
	.set _ZN12_GLOBAL__N_120softmax_warp_forwardIN3c108BFloat16ES2_fLi5ELb0ELb1ELi32EEEvPT0_PKT_iiiPKbib.has_recursion, 0
	.set _ZN12_GLOBAL__N_120softmax_warp_forwardIN3c108BFloat16ES2_fLi5ELb0ELb1ELi32EEEvPT0_PKT_iiiPKbib.has_indirect_call, 0
	.section	.AMDGPU.csdata,"",@progbits
; Kernel info:
; codeLenInByte = 2016
; TotalNumSgprs: 16
; NumVgprs: 20
; ScratchSize: 0
; MemoryBound: 0
; FloatMode: 240
; IeeeMode: 1
; LDSByteSize: 0 bytes/workgroup (compile time only)
; SGPRBlocks: 0
; VGPRBlocks: 2
; NumSGPRsForWavesPerEU: 16
; NumVGPRsForWavesPerEU: 20
; Occupancy: 16
; WaveLimiterHint : 0
; COMPUTE_PGM_RSRC2:SCRATCH_EN: 0
; COMPUTE_PGM_RSRC2:USER_SGPR: 6
; COMPUTE_PGM_RSRC2:TRAP_HANDLER: 0
; COMPUTE_PGM_RSRC2:TGID_X_EN: 1
; COMPUTE_PGM_RSRC2:TGID_Y_EN: 0
; COMPUTE_PGM_RSRC2:TGID_Z_EN: 0
; COMPUTE_PGM_RSRC2:TIDIG_COMP_CNT: 1
	.section	.text._ZN12_GLOBAL__N_120softmax_warp_forwardIN3c108BFloat16ES2_fLi6ELb0ELb1ELi64EEEvPT0_PKT_iiiPKbib,"axG",@progbits,_ZN12_GLOBAL__N_120softmax_warp_forwardIN3c108BFloat16ES2_fLi6ELb0ELb1ELi64EEEvPT0_PKT_iiiPKbib,comdat
	.globl	_ZN12_GLOBAL__N_120softmax_warp_forwardIN3c108BFloat16ES2_fLi6ELb0ELb1ELi64EEEvPT0_PKT_iiiPKbib ; -- Begin function _ZN12_GLOBAL__N_120softmax_warp_forwardIN3c108BFloat16ES2_fLi6ELb0ELb1ELi64EEEvPT0_PKT_iiiPKbib
	.p2align	8
	.type	_ZN12_GLOBAL__N_120softmax_warp_forwardIN3c108BFloat16ES2_fLi6ELb0ELb1ELi64EEEvPT0_PKT_iiiPKbib,@function
_ZN12_GLOBAL__N_120softmax_warp_forwardIN3c108BFloat16ES2_fLi6ELb0ELb1ELi64EEEvPT0_PKT_iiiPKbib: ; @_ZN12_GLOBAL__N_120softmax_warp_forwardIN3c108BFloat16ES2_fLi6ELb0ELb1ELi64EEEvPT0_PKT_iiiPKbib
; %bb.0:
	s_clause 0x2
	s_load_dwordx2 s[8:9], s[4:5], 0x28
	s_load_dword s10, s[4:5], 0x3c
	s_load_dwordx4 s[0:3], s[4:5], 0x10
	s_waitcnt lgkmcnt(0)
	s_bitcmp1_b32 s9, 0
	s_cselect_b32 s7, -1, 0
	s_lshr_b32 s3, s10, 16
	s_and_b32 s3, s3, 0xffff
	s_bitcmp0_b32 s9, 0
	s_mul_i32 s6, s6, s3
	v_add_lshl_u32 v5, s6, v1, 1
	v_mul_lo_u32 v6, v5, s1
	v_add_nc_u32_e32 v1, v6, v0
	v_ashrrev_i32_e32 v2, 31, v1
	v_mov_b32_e32 v4, v2
	v_mov_b32_e32 v3, v1
	s_cbranch_scc1 .LBB756_2
; %bb.1:
	s_abs_i32 s3, s8
	v_sub_nc_u32_e32 v7, 0, v6
	v_cvt_f32_u32_e32 v3, s3
	s_sub_i32 s6, 0, s3
	v_max_i32_e32 v7, v6, v7
	v_rcp_iflag_f32_e32 v3, v3
	v_xor_b32_e32 v6, s8, v6
	v_ashrrev_i32_e32 v6, 31, v6
	v_mul_f32_e32 v3, 0x4f7ffffe, v3
	v_cvt_u32_f32_e32 v3, v3
	v_mul_lo_u32 v4, s6, v3
	v_mul_hi_u32 v4, v3, v4
	v_add_nc_u32_e32 v3, v3, v4
	v_mul_hi_u32 v3, v7, v3
	v_mul_lo_u32 v4, v3, s3
	v_sub_nc_u32_e32 v4, v7, v4
	v_add_nc_u32_e32 v7, 1, v3
	v_subrev_nc_u32_e32 v8, s3, v4
	v_cmp_le_u32_e32 vcc_lo, s3, v4
	v_cndmask_b32_e32 v3, v3, v7, vcc_lo
	v_cndmask_b32_e32 v4, v4, v8, vcc_lo
	v_add_nc_u32_e32 v7, 1, v3
	v_cmp_le_u32_e32 vcc_lo, s3, v4
	v_cndmask_b32_e32 v3, v3, v7, vcc_lo
	v_xor_b32_e32 v3, v3, v6
	v_sub_nc_u32_e32 v3, v3, v6
	v_mad_u64_u32 v[3:4], null, v3, s1, v[0:1]
	v_ashrrev_i32_e32 v4, 31, v3
.LBB756_2:
	s_load_dwordx4 s[8:11], s[4:5], 0x0
	v_lshlrev_b64 v[1:2], 1, v[1:2]
	v_sub_nc_u32_e32 v11, s0, v5
	v_cmp_gt_i32_e64 s0, s2, v0
	v_mov_b32_e32 v6, 0xff800000
	v_mov_b32_e32 v5, 0xff800000
	v_cmp_lt_i32_e32 vcc_lo, 0, v11
	s_waitcnt lgkmcnt(0)
	v_add_co_u32 v7, s1, s10, v1
	v_add_co_ci_u32_e64 v8, null, s11, v2, s1
	s_and_b32 s10, s0, vcc_lo
	s_and_saveexec_b32 s1, s10
	s_cbranch_execz .LBB756_4
; %bb.3:
	global_load_ushort v0, v[7:8], off
	s_waitcnt vmcnt(0)
	v_lshlrev_b32_e32 v5, 16, v0
.LBB756_4:
	s_or_b32 exec_lo, exec_lo, s1
	v_cmp_lt_i32_e64 s1, 1, v11
	s_and_b32 s6, s0, s1
	s_and_saveexec_b32 s11, s6
	s_cbranch_execz .LBB756_6
; %bb.5:
	s_mov_b32 s3, 0
	s_lshl_b64 s[12:13], s[2:3], 1
	v_add_co_u32 v6, s1, v7, s12
	v_add_co_ci_u32_e64 v7, null, s13, v8, s1
	global_load_ushort v0, v[6:7], off
	s_waitcnt vmcnt(0)
	v_lshlrev_b32_e32 v6, 16, v0
.LBB756_6:
	s_or_b32 exec_lo, exec_lo, s11
	s_load_dwordx2 s[4:5], s[4:5], 0x20
	v_mov_b32_e32 v7, 0xff800000
	s_waitcnt lgkmcnt(0)
	v_add_co_u32 v3, s1, s4, v3
	v_add_co_ci_u32_e64 v4, null, s5, v4, s1
	s_and_saveexec_b32 s3, s10
	s_cbranch_execz .LBB756_8
; %bb.7:
	global_load_ubyte v0, v[3:4], off
	s_waitcnt vmcnt(0)
	v_and_b32_e32 v0, 1, v0
	v_cmp_eq_u32_e64 s1, 1, v0
	v_cndmask_b32_e64 v7, v5, 0xff800000, s1
.LBB756_8:
	s_or_b32 exec_lo, exec_lo, s3
	s_xor_b32 s3, s10, -1
	s_mov_b32 s5, 0
	s_and_saveexec_b32 s4, s6
	s_cbranch_execz .LBB756_12
; %bb.9:
	s_and_b32 s1, s7, exec_lo
	s_cselect_b32 s1, 0, s2
	s_cselect_b32 s5, 0, 0
	v_add_co_u32 v8, s1, v3, s1
	v_add_co_ci_u32_e64 v9, null, s5, v4, s1
	s_mov_b32 s5, 0
	global_load_ubyte v0, v[8:9], off
	s_waitcnt vmcnt(0)
	v_and_b32_e32 v0, 1, v0
	v_cmp_eq_u32_e64 s1, 1, v0
	s_xor_b32 s10, s1, -1
	s_and_saveexec_b32 s1, s10
; %bb.10:
	s_mov_b32 s5, exec_lo
; %bb.11:
	s_or_b32 exec_lo, exec_lo, s1
	s_and_b32 s5, s5, exec_lo
.LBB756_12:
	s_or_b32 exec_lo, exec_lo, s4
	v_mbcnt_lo_u32_b32 v8, -1, 0
	v_cndmask_b32_e64 v9, 0xff800000, v6, s5
	v_or_b32_e32 v0, 32, v8
	v_xor_b32_e32 v12, 16, v8
	v_cmp_gt_i32_e64 s1, 64, v0
	v_cndmask_b32_e64 v0, v8, v0, s1
	v_cmp_gt_i32_e64 s1, 64, v12
	v_lshlrev_b32_e32 v0, 2, v0
	v_cndmask_b32_e64 v12, v8, v12, s1
	ds_bpermute_b32 v10, v0, v7
	ds_bpermute_b32 v13, v0, v9
	v_lshlrev_b32_e32 v12, 2, v12
	s_waitcnt lgkmcnt(1)
	v_cmp_lt_f32_e64 s1, v7, v10
	v_cndmask_b32_e64 v7, v7, v10, s1
	s_waitcnt lgkmcnt(0)
	v_cmp_lt_f32_e64 s1, v9, v13
	ds_bpermute_b32 v10, v12, v7
	v_cndmask_b32_e64 v9, v9, v13, s1
	v_xor_b32_e32 v13, 8, v8
	ds_bpermute_b32 v14, v12, v9
	v_cmp_gt_i32_e64 s1, 64, v13
	v_cndmask_b32_e64 v13, v8, v13, s1
	v_lshlrev_b32_e32 v13, 2, v13
	s_waitcnt lgkmcnt(1)
	v_cmp_lt_f32_e64 s1, v7, v10
	v_cndmask_b32_e64 v7, v7, v10, s1
	s_waitcnt lgkmcnt(0)
	v_cmp_lt_f32_e64 s1, v9, v14
	ds_bpermute_b32 v10, v13, v7
	v_cndmask_b32_e64 v9, v9, v14, s1
	v_xor_b32_e32 v14, 4, v8
	ds_bpermute_b32 v15, v13, v9
	v_cmp_gt_i32_e64 s1, 64, v14
	v_cndmask_b32_e64 v14, v8, v14, s1
	;; [unrolled: 12-line block ×4, first 2 shown]
	v_lshlrev_b32_e32 v16, 2, v8
	s_waitcnt lgkmcnt(1)
	v_cmp_lt_f32_e64 s1, v7, v10
	v_cndmask_b32_e64 v19, v7, v10, s1
	s_waitcnt lgkmcnt(0)
	v_cmp_lt_f32_e64 s1, v9, v17
	ds_bpermute_b32 v20, v16, v19
	v_cndmask_b32_e64 v17, v9, v17, s1
                                        ; implicit-def: $vgpr9_vgpr10
	ds_bpermute_b32 v18, v16, v17
	s_and_saveexec_b32 s1, s3
	s_xor_b32 s1, exec_lo, s1
; %bb.13:
	v_mov_b32_e32 v5, 0
	v_mov_b32_e32 v10, v6
                                        ; implicit-def: $vgpr19
                                        ; implicit-def: $vgpr20
	v_mov_b32_e32 v9, v5
                                        ; implicit-def: $vgpr6
                                        ; implicit-def: $vgpr5
; %bb.14:
	s_or_saveexec_b32 s3, s1
	v_mov_b32_e32 v7, 0
	s_xor_b32 s4, s6, -1
	v_mov_b32_e32 v8, v7
	s_xor_b32 exec_lo, exec_lo, s3
	s_cbranch_execz .LBB756_20
; %bb.15:
	global_load_ubyte v8, v[3:4], off
	s_waitcnt vmcnt(0)
	v_and_b32_e32 v9, 1, v8
	v_mov_b32_e32 v8, v6
	v_cmp_eq_u32_e64 s1, 1, v9
	v_mov_b32_e32 v10, v8
	v_mov_b32_e32 v9, v7
	s_xor_b32 s1, s1, -1
	s_and_saveexec_b32 s5, s1
	s_xor_b32 s5, exec_lo, s5
	s_cbranch_execz .LBB756_17
; %bb.16:
	s_waitcnt lgkmcnt(1)
	v_cmp_lt_f32_e64 s1, v19, v20
	v_cndmask_b32_e64 v8, v19, v20, s1
	v_mov_b32_e32 v20, v7
	v_sub_f32_e32 v5, v5, v8
	v_mul_f32_e32 v8, 0x3fb8aa3b, v5
	v_cmp_ngt_f32_e64 s1, 0xc2ce8ed0, v5
	v_fma_f32 v9, 0x3fb8aa3b, v5, -v8
	v_rndne_f32_e32 v10, v8
	v_fmamk_f32 v9, v5, 0x32a5705f, v9
	v_sub_f32_e32 v8, v8, v10
	v_add_f32_e32 v8, v8, v9
	v_cvt_i32_f32_e32 v9, v10
	v_exp_f32_e32 v8, v8
	v_ldexp_f32 v8, v8, v9
	v_cndmask_b32_e64 v8, 0, v8, s1
	v_cmp_nlt_f32_e64 s1, 0x42b17218, v5
	v_cndmask_b32_e64 v5, 0x7f800000, v8, s1
	v_mov_b32_e32 v10, v6
	v_mov_b32_e32 v19, v5
	;; [unrolled: 1-line block ×5, first 2 shown]
.LBB756_17:
	s_andn2_saveexec_b32 s1, s5
; %bb.18:
	v_mov_b32_e32 v7, 0
	v_mov_b32_e32 v8, v7
; %bb.19:
	s_or_b32 exec_lo, exec_lo, s1
.LBB756_20:
	s_or_b32 exec_lo, exec_lo, s3
                                        ; implicit-def: $vgpr5_vgpr6
	s_and_saveexec_b32 s1, s4
	s_xor_b32 s1, exec_lo, s1
	s_cbranch_execz .LBB756_22
; %bb.21:
	v_mov_b32_e32 v10, 0
	v_mov_b32_e32 v5, v9
                                        ; implicit-def: $vgpr3
                                        ; implicit-def: $vgpr17
                                        ; implicit-def: $vgpr18
	v_mov_b32_e32 v6, v10
                                        ; implicit-def: $vgpr9_vgpr10
	s_andn2_saveexec_b32 s3, s1
	s_cbranch_execz .LBB756_26
	s_branch .LBB756_23
.LBB756_22:
	s_andn2_saveexec_b32 s3, s1
	s_cbranch_execz .LBB756_26
.LBB756_23:
	s_and_b32 s1, s7, exec_lo
	s_cselect_b32 s1, 0, s2
	s_cselect_b32 s4, 0, 0
	v_add_co_u32 v3, s1, v3, s1
	v_add_co_ci_u32_e64 v4, null, s4, v4, s1
	v_mov_b32_e32 v6, 0
	v_mov_b32_e32 v5, v9
	global_load_ubyte v3, v[3:4], off
	s_waitcnt vmcnt(0)
	v_and_b32_e32 v3, 1, v3
	v_cmp_eq_u32_e64 s1, 1, v3
	s_xor_b32 s1, s1, -1
	s_and_saveexec_b32 s4, s1
	s_xor_b32 s4, exec_lo, s4
	s_cbranch_execz .LBB756_25
; %bb.24:
	s_waitcnt lgkmcnt(0)
	v_cmp_lt_f32_e64 s1, v17, v18
	v_cndmask_b32_e64 v3, v17, v18, s1
	v_sub_f32_e32 v3, v10, v3
	v_mul_f32_e32 v4, 0x3fb8aa3b, v3
	v_cmp_ngt_f32_e64 s1, 0xc2ce8ed0, v3
	v_fma_f32 v5, 0x3fb8aa3b, v3, -v4
	v_rndne_f32_e32 v6, v4
	v_fmamk_f32 v5, v3, 0x32a5705f, v5
	v_sub_f32_e32 v4, v4, v6
	v_add_f32_e32 v4, v4, v5
	v_cvt_i32_f32_e32 v5, v6
	v_exp_f32_e32 v4, v4
	v_ldexp_f32 v4, v4, v5
	v_cndmask_b32_e64 v4, 0, v4, s1
	v_cmp_nlt_f32_e64 s1, 0x42b17218, v3
	v_cndmask_b32_e64 v10, 0x7f800000, v4, s1
	v_mov_b32_e32 v5, v9
	v_add_f32_e32 v8, v8, v10
	v_mov_b32_e32 v6, v10
.LBB756_25:
	s_andn2_saveexec_b32 s1, s4
	s_or_b32 exec_lo, exec_lo, s1
.LBB756_26:
	s_or_b32 exec_lo, exec_lo, s3
	ds_bpermute_b32 v3, v0, v7
	ds_bpermute_b32 v0, v0, v8
	s_waitcnt lgkmcnt(1)
	v_add_f32_e32 v3, v7, v3
	s_waitcnt lgkmcnt(0)
	v_add_f32_e32 v0, v8, v0
	ds_bpermute_b32 v4, v12, v3
	ds_bpermute_b32 v7, v12, v0
	s_waitcnt lgkmcnt(1)
	v_add_f32_e32 v3, v3, v4
	s_waitcnt lgkmcnt(0)
	v_add_f32_e32 v0, v0, v7
	;; [unrolled: 6-line block ×5, first 2 shown]
	ds_bpermute_b32 v8, v16, v7
	ds_bpermute_b32 v4, v16, v3
	s_and_saveexec_b32 s1, vcc_lo
	s_cbranch_execz .LBB756_35
; %bb.27:
	v_add_co_u32 v0, vcc_lo, s8, v1
	v_add_co_ci_u32_e64 v1, null, s9, v2, vcc_lo
	s_and_saveexec_b32 s1, s0
	s_cbranch_execz .LBB756_31
; %bb.28:
	s_waitcnt lgkmcnt(1)
	v_add_f32_e32 v2, v7, v8
	v_mov_b32_e32 v7, 0x7fc0
	s_mov_b32 s3, exec_lo
	v_cmpx_neq_f32_e32 0, v2
	s_cbranch_execz .LBB756_30
; %bb.29:
	v_div_scale_f32 v7, null, v2, v2, v5
	v_div_scale_f32 v10, vcc_lo, v5, v2, v5
	v_rcp_f32_e32 v8, v7
	v_fma_f32 v9, -v7, v8, 1.0
	v_fmac_f32_e32 v8, v9, v8
	v_mul_f32_e32 v9, v10, v8
	v_fma_f32 v12, -v7, v9, v10
	v_fmac_f32_e32 v9, v12, v8
	v_fma_f32 v7, -v7, v9, v10
	v_div_fmas_f32 v7, v7, v8, v9
	v_div_fixup_f32 v2, v7, v2, v5
	v_bfe_u32 v5, v2, 16, 1
	v_cmp_o_f32_e32 vcc_lo, v2, v2
	v_add3_u32 v2, v2, v5, 0x7fff
	v_mov_b32_e32 v5, 0x7fc0
	v_cndmask_b32_sdwa v7, v5, v2, vcc_lo dst_sel:DWORD dst_unused:UNUSED_PAD src0_sel:DWORD src1_sel:WORD_1
.LBB756_30:
	s_or_b32 exec_lo, exec_lo, s3
	global_store_short v[0:1], v7, off
.LBB756_31:
	s_or_b32 exec_lo, exec_lo, s1
	v_cmp_ne_u32_e32 vcc_lo, 1, v11
	s_and_b32 s0, vcc_lo, s0
	s_and_b32 exec_lo, exec_lo, s0
	s_cbranch_execz .LBB756_35
; %bb.32:
	s_waitcnt lgkmcnt(0)
	v_add_f32_e32 v2, v3, v4
	v_mov_b32_e32 v3, 0x7fc0
	s_mov_b32 s3, 0
	s_mov_b32 s0, exec_lo
	v_cmpx_neq_f32_e32 0, v2
	s_cbranch_execz .LBB756_34
; %bb.33:
	v_div_scale_f32 v3, null, v2, v2, v6
	v_div_scale_f32 v7, vcc_lo, v6, v2, v6
	v_rcp_f32_e32 v4, v3
	v_fma_f32 v5, -v3, v4, 1.0
	v_fmac_f32_e32 v4, v5, v4
	v_mul_f32_e32 v5, v7, v4
	v_fma_f32 v8, -v3, v5, v7
	v_fmac_f32_e32 v5, v8, v4
	v_fma_f32 v3, -v3, v5, v7
	v_div_fmas_f32 v3, v3, v4, v5
	v_div_fixup_f32 v2, v3, v2, v6
	v_bfe_u32 v3, v2, 16, 1
	v_cmp_o_f32_e32 vcc_lo, v2, v2
	v_add3_u32 v2, v2, v3, 0x7fff
	v_mov_b32_e32 v3, 0x7fc0
	v_cndmask_b32_sdwa v3, v3, v2, vcc_lo dst_sel:DWORD dst_unused:UNUSED_PAD src0_sel:DWORD src1_sel:WORD_1
.LBB756_34:
	s_or_b32 exec_lo, exec_lo, s0
	s_lshl_b64 s[0:1], s[2:3], 1
	v_add_co_u32 v0, vcc_lo, v0, s0
	v_add_co_ci_u32_e64 v1, null, s1, v1, vcc_lo
	global_store_short v[0:1], v3, off
.LBB756_35:
	s_endpgm
	.section	.rodata,"a",@progbits
	.p2align	6, 0x0
	.amdhsa_kernel _ZN12_GLOBAL__N_120softmax_warp_forwardIN3c108BFloat16ES2_fLi6ELb0ELb1ELi64EEEvPT0_PKT_iiiPKbib
		.amdhsa_group_segment_fixed_size 0
		.amdhsa_private_segment_fixed_size 0
		.amdhsa_kernarg_size 304
		.amdhsa_user_sgpr_count 6
		.amdhsa_user_sgpr_private_segment_buffer 1
		.amdhsa_user_sgpr_dispatch_ptr 0
		.amdhsa_user_sgpr_queue_ptr 0
		.amdhsa_user_sgpr_kernarg_segment_ptr 1
		.amdhsa_user_sgpr_dispatch_id 0
		.amdhsa_user_sgpr_flat_scratch_init 0
		.amdhsa_user_sgpr_private_segment_size 0
		.amdhsa_wavefront_size32 1
		.amdhsa_uses_dynamic_stack 0
		.amdhsa_system_sgpr_private_segment_wavefront_offset 0
		.amdhsa_system_sgpr_workgroup_id_x 1
		.amdhsa_system_sgpr_workgroup_id_y 0
		.amdhsa_system_sgpr_workgroup_id_z 0
		.amdhsa_system_sgpr_workgroup_info 0
		.amdhsa_system_vgpr_workitem_id 1
		.amdhsa_next_free_vgpr 21
		.amdhsa_next_free_sgpr 14
		.amdhsa_reserve_vcc 1
		.amdhsa_reserve_flat_scratch 0
		.amdhsa_float_round_mode_32 0
		.amdhsa_float_round_mode_16_64 0
		.amdhsa_float_denorm_mode_32 3
		.amdhsa_float_denorm_mode_16_64 3
		.amdhsa_dx10_clamp 1
		.amdhsa_ieee_mode 1
		.amdhsa_fp16_overflow 0
		.amdhsa_workgroup_processor_mode 1
		.amdhsa_memory_ordered 1
		.amdhsa_forward_progress 1
		.amdhsa_shared_vgpr_count 0
		.amdhsa_exception_fp_ieee_invalid_op 0
		.amdhsa_exception_fp_denorm_src 0
		.amdhsa_exception_fp_ieee_div_zero 0
		.amdhsa_exception_fp_ieee_overflow 0
		.amdhsa_exception_fp_ieee_underflow 0
		.amdhsa_exception_fp_ieee_inexact 0
		.amdhsa_exception_int_div_zero 0
	.end_amdhsa_kernel
	.section	.text._ZN12_GLOBAL__N_120softmax_warp_forwardIN3c108BFloat16ES2_fLi6ELb0ELb1ELi64EEEvPT0_PKT_iiiPKbib,"axG",@progbits,_ZN12_GLOBAL__N_120softmax_warp_forwardIN3c108BFloat16ES2_fLi6ELb0ELb1ELi64EEEvPT0_PKT_iiiPKbib,comdat
.Lfunc_end756:
	.size	_ZN12_GLOBAL__N_120softmax_warp_forwardIN3c108BFloat16ES2_fLi6ELb0ELb1ELi64EEEvPT0_PKT_iiiPKbib, .Lfunc_end756-_ZN12_GLOBAL__N_120softmax_warp_forwardIN3c108BFloat16ES2_fLi6ELb0ELb1ELi64EEEvPT0_PKT_iiiPKbib
                                        ; -- End function
	.set _ZN12_GLOBAL__N_120softmax_warp_forwardIN3c108BFloat16ES2_fLi6ELb0ELb1ELi64EEEvPT0_PKT_iiiPKbib.num_vgpr, 21
	.set _ZN12_GLOBAL__N_120softmax_warp_forwardIN3c108BFloat16ES2_fLi6ELb0ELb1ELi64EEEvPT0_PKT_iiiPKbib.num_agpr, 0
	.set _ZN12_GLOBAL__N_120softmax_warp_forwardIN3c108BFloat16ES2_fLi6ELb0ELb1ELi64EEEvPT0_PKT_iiiPKbib.numbered_sgpr, 14
	.set _ZN12_GLOBAL__N_120softmax_warp_forwardIN3c108BFloat16ES2_fLi6ELb0ELb1ELi64EEEvPT0_PKT_iiiPKbib.num_named_barrier, 0
	.set _ZN12_GLOBAL__N_120softmax_warp_forwardIN3c108BFloat16ES2_fLi6ELb0ELb1ELi64EEEvPT0_PKT_iiiPKbib.private_seg_size, 0
	.set _ZN12_GLOBAL__N_120softmax_warp_forwardIN3c108BFloat16ES2_fLi6ELb0ELb1ELi64EEEvPT0_PKT_iiiPKbib.uses_vcc, 1
	.set _ZN12_GLOBAL__N_120softmax_warp_forwardIN3c108BFloat16ES2_fLi6ELb0ELb1ELi64EEEvPT0_PKT_iiiPKbib.uses_flat_scratch, 0
	.set _ZN12_GLOBAL__N_120softmax_warp_forwardIN3c108BFloat16ES2_fLi6ELb0ELb1ELi64EEEvPT0_PKT_iiiPKbib.has_dyn_sized_stack, 0
	.set _ZN12_GLOBAL__N_120softmax_warp_forwardIN3c108BFloat16ES2_fLi6ELb0ELb1ELi64EEEvPT0_PKT_iiiPKbib.has_recursion, 0
	.set _ZN12_GLOBAL__N_120softmax_warp_forwardIN3c108BFloat16ES2_fLi6ELb0ELb1ELi64EEEvPT0_PKT_iiiPKbib.has_indirect_call, 0
	.section	.AMDGPU.csdata,"",@progbits
; Kernel info:
; codeLenInByte = 2128
; TotalNumSgprs: 16
; NumVgprs: 21
; ScratchSize: 0
; MemoryBound: 0
; FloatMode: 240
; IeeeMode: 1
; LDSByteSize: 0 bytes/workgroup (compile time only)
; SGPRBlocks: 0
; VGPRBlocks: 2
; NumSGPRsForWavesPerEU: 16
; NumVGPRsForWavesPerEU: 21
; Occupancy: 16
; WaveLimiterHint : 0
; COMPUTE_PGM_RSRC2:SCRATCH_EN: 0
; COMPUTE_PGM_RSRC2:USER_SGPR: 6
; COMPUTE_PGM_RSRC2:TRAP_HANDLER: 0
; COMPUTE_PGM_RSRC2:TGID_X_EN: 1
; COMPUTE_PGM_RSRC2:TGID_Y_EN: 0
; COMPUTE_PGM_RSRC2:TGID_Z_EN: 0
; COMPUTE_PGM_RSRC2:TIDIG_COMP_CNT: 1
	.section	.text._ZN12_GLOBAL__N_120softmax_warp_forwardIN3c108BFloat16ES2_fLi6ELb0ELb1ELi32EEEvPT0_PKT_iiiPKbib,"axG",@progbits,_ZN12_GLOBAL__N_120softmax_warp_forwardIN3c108BFloat16ES2_fLi6ELb0ELb1ELi32EEEvPT0_PKT_iiiPKbib,comdat
	.globl	_ZN12_GLOBAL__N_120softmax_warp_forwardIN3c108BFloat16ES2_fLi6ELb0ELb1ELi32EEEvPT0_PKT_iiiPKbib ; -- Begin function _ZN12_GLOBAL__N_120softmax_warp_forwardIN3c108BFloat16ES2_fLi6ELb0ELb1ELi32EEEvPT0_PKT_iiiPKbib
	.p2align	8
	.type	_ZN12_GLOBAL__N_120softmax_warp_forwardIN3c108BFloat16ES2_fLi6ELb0ELb1ELi32EEEvPT0_PKT_iiiPKbib,@function
_ZN12_GLOBAL__N_120softmax_warp_forwardIN3c108BFloat16ES2_fLi6ELb0ELb1ELi32EEEvPT0_PKT_iiiPKbib: ; @_ZN12_GLOBAL__N_120softmax_warp_forwardIN3c108BFloat16ES2_fLi6ELb0ELb1ELi32EEEvPT0_PKT_iiiPKbib
; %bb.0:
	s_clause 0x2
	s_load_dwordx2 s[0:1], s[4:5], 0x28
	s_load_dword s2, s[4:5], 0x3c
	s_load_dwordx4 s[8:11], s[4:5], 0x10
	s_waitcnt lgkmcnt(0)
	s_bitcmp1_b32 s1, 0
	s_cselect_b32 s16, -1, 0
	s_lshr_b32 s2, s2, 16
	s_and_b32 s2, s2, 0xffff
	s_bitcmp0_b32 s1, 0
	s_mul_i32 s6, s6, s2
	v_add_lshl_u32 v5, s6, v1, 1
	v_mul_lo_u32 v6, v5, s9
	v_add_nc_u32_e32 v1, v6, v0
	v_ashrrev_i32_e32 v2, 31, v1
	v_mov_b32_e32 v4, v2
	v_mov_b32_e32 v3, v1
	s_cbranch_scc1 .LBB757_2
; %bb.1:
	s_abs_i32 s1, s0
	v_sub_nc_u32_e32 v7, 0, v6
	v_cvt_f32_u32_e32 v3, s1
	s_sub_i32 s2, 0, s1
	v_max_i32_e32 v7, v6, v7
	v_rcp_iflag_f32_e32 v3, v3
	v_xor_b32_e32 v6, s0, v6
	v_ashrrev_i32_e32 v6, 31, v6
	v_mul_f32_e32 v3, 0x4f7ffffe, v3
	v_cvt_u32_f32_e32 v3, v3
	v_mul_lo_u32 v4, s2, v3
	v_mul_hi_u32 v4, v3, v4
	v_add_nc_u32_e32 v3, v3, v4
	v_mul_hi_u32 v3, v7, v3
	v_mul_lo_u32 v4, v3, s1
	v_sub_nc_u32_e32 v4, v7, v4
	v_add_nc_u32_e32 v7, 1, v3
	v_subrev_nc_u32_e32 v8, s1, v4
	v_cmp_le_u32_e32 vcc_lo, s1, v4
	v_cndmask_b32_e32 v3, v3, v7, vcc_lo
	v_cndmask_b32_e32 v4, v4, v8, vcc_lo
	v_add_nc_u32_e32 v7, 1, v3
	v_cmp_le_u32_e32 vcc_lo, s1, v4
	v_cndmask_b32_e32 v3, v3, v7, vcc_lo
	v_xor_b32_e32 v3, v3, v6
	v_sub_nc_u32_e32 v3, v3, v6
	v_mad_u64_u32 v[3:4], null, v3, s9, v[0:1]
	v_ashrrev_i32_e32 v4, 31, v3
.LBB757_2:
	s_load_dwordx4 s[12:15], s[4:5], 0x0
	v_lshlrev_b64 v[1:2], 1, v[1:2]
	v_sub_nc_u32_e32 v12, s8, v5
	v_cmp_gt_i32_e64 s1, s10, v0
	v_mov_b32_e32 v13, 0xff800000
	v_mov_b32_e32 v9, 0xff800000
	v_cmp_lt_i32_e32 vcc_lo, 0, v12
	s_and_b32 s8, vcc_lo, s1
	s_waitcnt lgkmcnt(0)
	v_add_co_u32 v7, s0, s14, v1
	v_add_co_ci_u32_e64 v8, null, s15, v2, s0
	s_and_saveexec_b32 s0, s8
	s_cbranch_execz .LBB757_4
; %bb.3:
	global_load_ushort v5, v[7:8], off
	s_waitcnt vmcnt(0)
	v_lshlrev_b32_e32 v9, 16, v5
.LBB757_4:
	s_or_b32 exec_lo, exec_lo, s0
	v_add_nc_u32_e32 v0, 32, v0
	v_cmp_gt_i32_e64 s0, s10, v0
	s_and_b32 s7, vcc_lo, s0
	s_and_saveexec_b32 s2, s7
	s_cbranch_execz .LBB757_6
; %bb.5:
	global_load_ushort v0, v[7:8], off offset:64
	s_waitcnt vmcnt(0)
	v_lshlrev_b32_e32 v13, 16, v0
.LBB757_6:
	s_or_b32 exec_lo, exec_lo, s2
	v_cmp_lt_i32_e64 s2, 1, v12
	v_mov_b32_e32 v0, 0xff800000
	v_mov_b32_e32 v6, 0xff800000
	s_and_b32 s6, s2, s1
	s_and_saveexec_b32 s9, s6
	s_cbranch_execz .LBB757_8
; %bb.7:
	s_mov_b32 s11, 0
	s_lshl_b64 s[14:15], s[10:11], 1
	v_add_co_u32 v5, s3, v7, s14
	v_add_co_ci_u32_e64 v6, null, s15, v8, s3
	global_load_ushort v5, v[5:6], off
	s_waitcnt vmcnt(0)
	v_lshlrev_b32_e32 v6, 16, v5
.LBB757_8:
	s_or_b32 exec_lo, exec_lo, s9
	s_and_b32 s3, s2, s0
	s_and_saveexec_b32 s9, s3
	s_cbranch_execz .LBB757_10
; %bb.9:
	s_mov_b32 s11, 0
	s_lshl_b64 s[14:15], s[10:11], 1
	v_add_co_u32 v7, s2, v7, s14
	v_add_co_ci_u32_e64 v8, null, s15, v8, s2
	global_load_ushort v0, v[7:8], off offset:64
	s_waitcnt vmcnt(0)
	v_lshlrev_b32_e32 v0, 16, v0
.LBB757_10:
	s_or_b32 exec_lo, exec_lo, s9
	s_load_dwordx2 s[4:5], s[4:5], 0x20
	v_mov_b32_e32 v7, v9
	v_mov_b32_e32 v8, v10
	s_waitcnt lgkmcnt(0)
	v_add_co_u32 v3, s2, s4, v3
	v_add_co_ci_u32_e64 v4, null, s5, v4, s2
	s_mov_b32 s4, 0
	s_and_saveexec_b32 s5, s8
	s_cbranch_execz .LBB757_14
; %bb.11:
	global_load_ubyte v5, v[3:4], off
	v_mov_b32_e32 v7, v9
	v_mov_b32_e32 v8, v10
	s_waitcnt vmcnt(0)
	v_and_b32_e32 v5, 1, v5
	v_cmp_eq_u32_e64 s2, 1, v5
	s_xor_b32 s9, s2, -1
	s_and_saveexec_b32 s2, s9
; %bb.12:
	v_mov_b32_e32 v7, v9
	s_mov_b32 s4, exec_lo
	v_mov_b32_e32 v8, v10
; %bb.13:
	s_or_b32 exec_lo, exec_lo, s2
	s_and_b32 s4, s4, exec_lo
.LBB757_14:
	s_or_b32 exec_lo, exec_lo, s5
	s_and_saveexec_b32 s5, s7
	s_cbranch_execz .LBB757_18
; %bb.15:
	global_load_ubyte v5, v[3:4], off offset:32
	s_waitcnt vmcnt(0)
	v_and_b32_e32 v5, 1, v5
	v_cmp_eq_u32_e64 s2, 1, v5
	s_xor_b32 s11, s2, -1
	s_mov_b32 s2, s4
	s_and_saveexec_b32 s9, s11
; %bb.16:
	v_cmp_gt_f32_e64 s2, v7, v13
	s_and_b32 s2, s4, s2
	v_cndmask_b32_e64 v7, v13, v7, s2
	s_or_b32 s2, s4, exec_lo
; %bb.17:
	s_or_b32 exec_lo, exec_lo, s9
	s_andn2_b32 s4, s4, exec_lo
	s_and_b32 s2, s2, exec_lo
	s_or_b32 s4, s4, s2
.LBB757_18:
	s_or_b32 exec_lo, exec_lo, s5
	v_cndmask_b32_e64 v5, 0xff800000, v7, s4
	v_mov_b32_e32 v8, v6
	s_and_b32 s2, s16, exec_lo
	s_mov_b32 s5, 0
	s_cselect_b32 s4, 0, s10
	v_mov_b32_e32 v7, v5
	s_and_saveexec_b32 s9, s6
	s_cbranch_execz .LBB757_22
; %bb.19:
	s_ashr_i32 s5, s4, 31
	v_add_co_u32 v7, s2, v3, s4
	v_add_co_ci_u32_e64 v8, null, s5, v4, s2
	s_mov_b32 s5, 0
	global_load_ubyte v7, v[7:8], off
	s_waitcnt vmcnt(0)
	v_and_b32_e32 v7, 1, v7
	v_cmp_eq_u32_e64 s2, 1, v7
	v_mov_b32_e32 v8, v6
	v_mov_b32_e32 v7, v5
	s_xor_b32 s11, s2, -1
	s_and_saveexec_b32 s2, s11
; %bb.20:
	v_mov_b32_e32 v8, v6
	v_mov_b32_e32 v7, v5
	s_mov_b32 s5, exec_lo
; %bb.21:
	s_or_b32 exec_lo, exec_lo, s2
	s_and_b32 s5, s5, exec_lo
.LBB757_22:
	s_or_b32 exec_lo, exec_lo, s9
	s_and_saveexec_b32 s9, s3
	s_cbranch_execz .LBB757_26
; %bb.23:
	s_ashr_i32 s11, s4, 31
	v_add_co_u32 v10, s2, v3, s4
	v_add_co_ci_u32_e64 v11, null, s11, v4, s2
	global_load_ubyte v5, v[10:11], off offset:32
	s_waitcnt vmcnt(0)
	v_and_b32_e32 v5, 1, v5
	v_cmp_eq_u32_e64 s2, 1, v5
	s_xor_b32 s14, s2, -1
	s_mov_b32 s2, s5
	s_and_saveexec_b32 s11, s14
; %bb.24:
	v_cmp_gt_f32_e64 s2, v8, v0
	s_and_b32 s2, s5, s2
	v_cndmask_b32_e64 v8, v0, v8, s2
	s_or_b32 s2, s5, exec_lo
; %bb.25:
	s_or_b32 exec_lo, exec_lo, s11
	s_andn2_b32 s5, s5, exec_lo
	s_and_b32 s2, s2, exec_lo
	s_or_b32 s5, s5, s2
.LBB757_26:
	s_or_b32 exec_lo, exec_lo, s9
	v_mbcnt_lo_u32_b32 v10, -1, 0
	v_cndmask_b32_e64 v8, 0xff800000, v8, s5
	v_xor_b32_e32 v5, 16, v10
	v_xor_b32_e32 v14, 8, v10
	v_cmp_gt_i32_e64 s2, 32, v5
	v_cndmask_b32_e64 v5, v10, v5, s2
	v_cmp_gt_i32_e64 s2, 32, v14
	v_lshlrev_b32_e32 v5, 2, v5
	v_cndmask_b32_e64 v14, v10, v14, s2
	ds_bpermute_b32 v11, v5, v7
	ds_bpermute_b32 v15, v5, v8
	v_lshlrev_b32_e32 v14, 2, v14
	s_waitcnt lgkmcnt(1)
	v_cmp_lt_f32_e64 s2, v7, v11
	v_cndmask_b32_e64 v7, v7, v11, s2
	s_waitcnt lgkmcnt(0)
	v_cmp_lt_f32_e64 s2, v8, v15
	ds_bpermute_b32 v11, v14, v7
	v_cndmask_b32_e64 v8, v8, v15, s2
	v_xor_b32_e32 v15, 4, v10
	ds_bpermute_b32 v16, v14, v8
	v_cmp_gt_i32_e64 s2, 32, v15
	v_cndmask_b32_e64 v15, v10, v15, s2
	v_lshlrev_b32_e32 v15, 2, v15
	s_waitcnt lgkmcnt(1)
	v_cmp_lt_f32_e64 s2, v7, v11
	v_cndmask_b32_e64 v7, v7, v11, s2
	s_waitcnt lgkmcnt(0)
	v_cmp_lt_f32_e64 s2, v8, v16
	ds_bpermute_b32 v11, v15, v7
	v_cndmask_b32_e64 v8, v8, v16, s2
	v_xor_b32_e32 v16, 2, v10
	ds_bpermute_b32 v17, v15, v8
	v_cmp_gt_i32_e64 s2, 32, v16
	v_cndmask_b32_e64 v16, v10, v16, s2
	;; [unrolled: 12-line block ×3, first 2 shown]
	v_lshlrev_b32_e32 v17, 2, v10
	s_waitcnt lgkmcnt(1)
	v_cmp_lt_f32_e64 s2, v7, v11
	v_cndmask_b32_e64 v10, v7, v11, s2
	s_waitcnt lgkmcnt(0)
	v_cmp_lt_f32_e64 s2, v8, v18
	v_mov_b32_e32 v7, 0
	ds_bpermute_b32 v11, v17, v10
	v_cndmask_b32_e64 v19, v8, v18, s2
	v_mov_b32_e32 v8, v7
	v_mov_b32_e32 v18, 0
	ds_bpermute_b32 v20, v17, v19
	s_waitcnt lgkmcnt(1)
	v_cmp_lt_f32_e64 s2, v10, v11
	v_cndmask_b32_e64 v21, v10, v11, s2
	v_mov_b32_e32 v11, v8
	v_mov_b32_e32 v10, v7
	s_and_saveexec_b32 s5, s8
	s_cbranch_execz .LBB757_30
; %bb.27:
	global_load_ubyte v8, v[3:4], off
	v_mov_b32_e32 v10, 0
	v_mov_b32_e32 v11, v10
	;; [unrolled: 1-line block ×3, first 2 shown]
	s_waitcnt vmcnt(0)
	v_and_b32_e32 v8, 1, v8
	v_cmp_eq_u32_e64 s2, 1, v8
	s_xor_b32 s2, s2, -1
	s_and_saveexec_b32 s8, s2
	s_cbranch_execz .LBB757_29
; %bb.28:
	v_sub_f32_e32 v8, v9, v21
	v_mul_f32_e32 v9, 0x3fb8aa3b, v8
	v_cmp_ngt_f32_e64 s2, 0xc2ce8ed0, v8
	v_fma_f32 v10, 0x3fb8aa3b, v8, -v9
	v_rndne_f32_e32 v11, v9
	v_fmamk_f32 v10, v8, 0x32a5705f, v10
	v_sub_f32_e32 v9, v9, v11
	v_add_f32_e32 v9, v9, v10
	v_cvt_i32_f32_e32 v10, v11
	v_mov_b32_e32 v11, 0
	v_exp_f32_e32 v9, v9
	v_ldexp_f32 v9, v9, v10
	v_cndmask_b32_e64 v9, 0, v9, s2
	v_cmp_nlt_f32_e64 s2, 0x42b17218, v8
	v_cndmask_b32_e64 v10, 0x7f800000, v9, s2
	v_mov_b32_e32 v18, v10
.LBB757_29:
	s_or_b32 exec_lo, exec_lo, s8
.LBB757_30:
	s_or_b32 exec_lo, exec_lo, s5
	v_mov_b32_e32 v8, 0
	s_and_saveexec_b32 s5, s7
	s_cbranch_execz .LBB757_34
; %bb.31:
	global_load_ubyte v8, v[3:4], off offset:32
	s_waitcnt vmcnt(0)
	v_and_b32_e32 v8, 1, v8
	v_cmp_eq_u32_e64 s2, 1, v8
	v_mov_b32_e32 v8, 0
	s_xor_b32 s2, s2, -1
	s_and_saveexec_b32 s7, s2
	s_cbranch_execz .LBB757_33
; %bb.32:
	v_sub_f32_e32 v8, v13, v21
	v_mul_f32_e32 v9, 0x3fb8aa3b, v8
	v_cmp_ngt_f32_e64 s2, 0xc2ce8ed0, v8
	v_fma_f32 v13, 0x3fb8aa3b, v8, -v9
	v_rndne_f32_e32 v21, v9
	v_fmamk_f32 v13, v8, 0x32a5705f, v13
	v_sub_f32_e32 v9, v9, v21
	v_add_f32_e32 v9, v9, v13
	v_cvt_i32_f32_e32 v13, v21
	v_exp_f32_e32 v9, v9
	v_ldexp_f32 v9, v9, v13
	v_cndmask_b32_e64 v9, 0, v9, s2
	v_cmp_nlt_f32_e64 s2, 0x42b17218, v8
	v_cndmask_b32_e64 v8, 0x7f800000, v9, s2
	v_add_f32_e32 v10, v10, v8
.LBB757_33:
	s_or_b32 exec_lo, exec_lo, s7
.LBB757_34:
	s_or_b32 exec_lo, exec_lo, s5
	s_waitcnt lgkmcnt(0)
	v_cmp_lt_f32_e64 s2, v19, v20
	v_cndmask_b32_e64 v9, v19, v20, s2
	s_and_saveexec_b32 s5, s6
	s_cbranch_execz .LBB757_38
; %bb.35:
	s_ashr_i32 s6, s4, 31
	v_add_co_u32 v19, s2, v3, s4
	v_add_co_ci_u32_e64 v20, null, s6, v4, s2
	global_load_ubyte v7, v[19:20], off
	s_waitcnt vmcnt(0)
	v_and_b32_e32 v7, 1, v7
	v_cmp_eq_u32_e64 s2, 1, v7
	v_mov_b32_e32 v7, 0
	s_xor_b32 s2, s2, -1
	s_and_saveexec_b32 s6, s2
	s_cbranch_execz .LBB757_37
; %bb.36:
	v_sub_f32_e32 v6, v6, v9
	v_mul_f32_e32 v7, 0x3fb8aa3b, v6
	v_cmp_ngt_f32_e64 s2, 0xc2ce8ed0, v6
	v_fma_f32 v13, 0x3fb8aa3b, v6, -v7
	v_rndne_f32_e32 v19, v7
	v_fmamk_f32 v13, v6, 0x32a5705f, v13
	v_sub_f32_e32 v7, v7, v19
	v_add_f32_e32 v7, v7, v13
	v_cvt_i32_f32_e32 v13, v19
	v_exp_f32_e32 v7, v7
	v_ldexp_f32 v7, v7, v13
	v_cndmask_b32_e64 v7, 0, v7, s2
	v_cmp_nlt_f32_e64 s2, 0x42b17218, v6
	v_cndmask_b32_e64 v7, 0x7f800000, v7, s2
	v_add_f32_e32 v11, v11, v7
.LBB757_37:
	s_or_b32 exec_lo, exec_lo, s6
.LBB757_38:
	s_or_b32 exec_lo, exec_lo, s5
	v_mov_b32_e32 v6, 0
	s_and_saveexec_b32 s5, s3
	s_cbranch_execz .LBB757_42
; %bb.39:
	s_ashr_i32 s3, s4, 31
	v_add_co_u32 v3, s2, v3, s4
	v_add_co_ci_u32_e64 v4, null, s3, v4, s2
	v_mov_b32_e32 v6, 0
	global_load_ubyte v3, v[3:4], off offset:32
	s_waitcnt vmcnt(0)
	v_and_b32_e32 v3, 1, v3
	v_cmp_eq_u32_e64 s2, 1, v3
	s_xor_b32 s2, s2, -1
	s_and_saveexec_b32 s3, s2
	s_cbranch_execz .LBB757_41
; %bb.40:
	v_sub_f32_e32 v0, v0, v9
	v_mul_f32_e32 v3, 0x3fb8aa3b, v0
	v_cmp_ngt_f32_e64 s2, 0xc2ce8ed0, v0
	v_fma_f32 v4, 0x3fb8aa3b, v0, -v3
	v_rndne_f32_e32 v6, v3
	v_fmamk_f32 v4, v0, 0x32a5705f, v4
	v_sub_f32_e32 v3, v3, v6
	v_add_f32_e32 v3, v3, v4
	v_cvt_i32_f32_e32 v4, v6
	v_exp_f32_e32 v3, v3
	v_ldexp_f32 v3, v3, v4
	v_cndmask_b32_e64 v3, 0, v3, s2
	v_cmp_nlt_f32_e64 s2, 0x42b17218, v0
	v_cndmask_b32_e64 v6, 0x7f800000, v3, s2
	v_add_f32_e32 v11, v11, v6
.LBB757_41:
	s_or_b32 exec_lo, exec_lo, s3
.LBB757_42:
	s_or_b32 exec_lo, exec_lo, s5
	ds_bpermute_b32 v0, v5, v10
	ds_bpermute_b32 v3, v5, v11
	s_waitcnt lgkmcnt(1)
	v_add_f32_e32 v0, v10, v0
	s_waitcnt lgkmcnt(0)
	v_add_f32_e32 v3, v11, v3
	ds_bpermute_b32 v4, v14, v0
	ds_bpermute_b32 v5, v14, v3
	s_waitcnt lgkmcnt(1)
	v_add_f32_e32 v0, v0, v4
	s_waitcnt lgkmcnt(0)
	v_add_f32_e32 v3, v3, v5
	;; [unrolled: 6-line block ×4, first 2 shown]
	ds_bpermute_b32 v9, v17, v5
	ds_bpermute_b32 v4, v17, v3
	s_and_saveexec_b32 s2, vcc_lo
	s_cbranch_execz .LBB757_58
; %bb.43:
	v_add_co_u32 v0, vcc_lo, s12, v1
	v_add_co_ci_u32_e64 v1, null, s13, v2, vcc_lo
	s_and_saveexec_b32 s3, s1
	s_cbranch_execz .LBB757_50
; %bb.44:
	s_waitcnt lgkmcnt(1)
	v_add_f32_e32 v2, v5, v9
	v_mov_b32_e32 v5, 0x7fc0
	v_cmp_neq_f32_e64 s2, 0, v2
	s_and_saveexec_b32 s4, s2
	s_cbranch_execz .LBB757_46
; %bb.45:
	v_div_scale_f32 v5, null, v2, v2, v18
	v_div_scale_f32 v11, vcc_lo, v18, v2, v18
	v_rcp_f32_e32 v9, v5
	v_fma_f32 v10, -v5, v9, 1.0
	v_fmac_f32_e32 v9, v10, v9
	v_mul_f32_e32 v10, v11, v9
	v_fma_f32 v13, -v5, v10, v11
	v_fmac_f32_e32 v10, v13, v9
	v_fma_f32 v5, -v5, v10, v11
	v_div_fmas_f32 v5, v5, v9, v10
	v_div_fixup_f32 v5, v5, v2, v18
	v_bfe_u32 v9, v5, 16, 1
	v_cmp_o_f32_e32 vcc_lo, v5, v5
	v_add3_u32 v5, v5, v9, 0x7fff
	v_mov_b32_e32 v9, 0x7fc0
	v_cndmask_b32_sdwa v5, v9, v5, vcc_lo dst_sel:DWORD dst_unused:UNUSED_PAD src0_sel:DWORD src1_sel:WORD_1
.LBB757_46:
	s_or_b32 exec_lo, exec_lo, s4
	global_store_short v[0:1], v5, off
	s_and_b32 exec_lo, exec_lo, s0
	s_cbranch_execz .LBB757_50
; %bb.47:
	v_mov_b32_e32 v5, 0x7fc0
	s_and_saveexec_b32 s4, s2
	s_cbranch_execz .LBB757_49
; %bb.48:
	v_div_scale_f32 v5, null, v2, v2, v8
	v_div_scale_f32 v11, vcc_lo, v8, v2, v8
	v_rcp_f32_e32 v9, v5
	v_fma_f32 v10, -v5, v9, 1.0
	v_fmac_f32_e32 v9, v10, v9
	v_mul_f32_e32 v10, v11, v9
	v_fma_f32 v13, -v5, v10, v11
	v_fmac_f32_e32 v10, v13, v9
	v_fma_f32 v5, -v5, v10, v11
	v_div_fmas_f32 v5, v5, v9, v10
	v_div_fixup_f32 v2, v5, v2, v8
	v_bfe_u32 v5, v2, 16, 1
	v_cmp_o_f32_e32 vcc_lo, v2, v2
	v_add3_u32 v2, v2, v5, 0x7fff
	v_mov_b32_e32 v5, 0x7fc0
	v_cndmask_b32_sdwa v5, v5, v2, vcc_lo dst_sel:DWORD dst_unused:UNUSED_PAD src0_sel:DWORD src1_sel:WORD_1
.LBB757_49:
	s_or_b32 exec_lo, exec_lo, s4
	global_store_short v[0:1], v5, off offset:64
.LBB757_50:
	s_or_b32 exec_lo, exec_lo, s3
	v_cmp_ne_u32_e32 vcc_lo, 1, v12
	s_and_b32 exec_lo, exec_lo, vcc_lo
	s_cbranch_execz .LBB757_58
; %bb.51:
	s_and_b32 exec_lo, exec_lo, s1
	s_cbranch_execz .LBB757_58
; %bb.52:
	s_waitcnt lgkmcnt(0)
	v_add_f32_e32 v2, v3, v4
	v_mov_b32_e32 v3, 0x7fc0
	s_mov_b32 s11, 0
	v_cmp_neq_f32_e64 s1, 0, v2
	s_and_saveexec_b32 s2, s1
	s_cbranch_execz .LBB757_54
; %bb.53:
	v_div_scale_f32 v3, null, v2, v2, v7
	v_div_scale_f32 v8, vcc_lo, v7, v2, v7
	v_rcp_f32_e32 v4, v3
	v_fma_f32 v5, -v3, v4, 1.0
	v_fmac_f32_e32 v4, v5, v4
	v_mul_f32_e32 v5, v8, v4
	v_fma_f32 v9, -v3, v5, v8
	v_fmac_f32_e32 v5, v9, v4
	v_fma_f32 v3, -v3, v5, v8
	v_div_fmas_f32 v3, v3, v4, v5
	v_div_fixup_f32 v3, v3, v2, v7
	v_bfe_u32 v4, v3, 16, 1
	v_cmp_o_f32_e32 vcc_lo, v3, v3
	v_add3_u32 v3, v3, v4, 0x7fff
	v_mov_b32_e32 v4, 0x7fc0
	v_cndmask_b32_sdwa v3, v4, v3, vcc_lo dst_sel:DWORD dst_unused:UNUSED_PAD src0_sel:DWORD src1_sel:WORD_1
.LBB757_54:
	s_or_b32 exec_lo, exec_lo, s2
	s_lshl_b64 s[2:3], s[10:11], 1
	v_add_co_u32 v0, vcc_lo, v0, s2
	v_add_co_ci_u32_e64 v1, null, s3, v1, vcc_lo
	global_store_short v[0:1], v3, off
	s_and_b32 exec_lo, exec_lo, s0
	s_cbranch_execz .LBB757_58
; %bb.55:
	v_mov_b32_e32 v3, 0x7fc0
	s_and_saveexec_b32 s0, s1
	s_cbranch_execz .LBB757_57
; %bb.56:
	v_div_scale_f32 v3, null, v2, v2, v6
	v_div_scale_f32 v7, vcc_lo, v6, v2, v6
	v_rcp_f32_e32 v4, v3
	v_fma_f32 v5, -v3, v4, 1.0
	v_fmac_f32_e32 v4, v5, v4
	v_mul_f32_e32 v5, v7, v4
	v_fma_f32 v8, -v3, v5, v7
	v_fmac_f32_e32 v5, v8, v4
	v_fma_f32 v3, -v3, v5, v7
	v_div_fmas_f32 v3, v3, v4, v5
	v_div_fixup_f32 v2, v3, v2, v6
	v_bfe_u32 v3, v2, 16, 1
	v_cmp_o_f32_e32 vcc_lo, v2, v2
	v_add3_u32 v2, v2, v3, 0x7fff
	v_mov_b32_e32 v3, 0x7fc0
	v_cndmask_b32_sdwa v3, v3, v2, vcc_lo dst_sel:DWORD dst_unused:UNUSED_PAD src0_sel:DWORD src1_sel:WORD_1
.LBB757_57:
	s_or_b32 exec_lo, exec_lo, s0
	global_store_short v[0:1], v3, off offset:64
.LBB757_58:
	s_endpgm
	.section	.rodata,"a",@progbits
	.p2align	6, 0x0
	.amdhsa_kernel _ZN12_GLOBAL__N_120softmax_warp_forwardIN3c108BFloat16ES2_fLi6ELb0ELb1ELi32EEEvPT0_PKT_iiiPKbib
		.amdhsa_group_segment_fixed_size 0
		.amdhsa_private_segment_fixed_size 0
		.amdhsa_kernarg_size 304
		.amdhsa_user_sgpr_count 6
		.amdhsa_user_sgpr_private_segment_buffer 1
		.amdhsa_user_sgpr_dispatch_ptr 0
		.amdhsa_user_sgpr_queue_ptr 0
		.amdhsa_user_sgpr_kernarg_segment_ptr 1
		.amdhsa_user_sgpr_dispatch_id 0
		.amdhsa_user_sgpr_flat_scratch_init 0
		.amdhsa_user_sgpr_private_segment_size 0
		.amdhsa_wavefront_size32 1
		.amdhsa_uses_dynamic_stack 0
		.amdhsa_system_sgpr_private_segment_wavefront_offset 0
		.amdhsa_system_sgpr_workgroup_id_x 1
		.amdhsa_system_sgpr_workgroup_id_y 0
		.amdhsa_system_sgpr_workgroup_id_z 0
		.amdhsa_system_sgpr_workgroup_info 0
		.amdhsa_system_vgpr_workitem_id 1
		.amdhsa_next_free_vgpr 22
		.amdhsa_next_free_sgpr 17
		.amdhsa_reserve_vcc 1
		.amdhsa_reserve_flat_scratch 0
		.amdhsa_float_round_mode_32 0
		.amdhsa_float_round_mode_16_64 0
		.amdhsa_float_denorm_mode_32 3
		.amdhsa_float_denorm_mode_16_64 3
		.amdhsa_dx10_clamp 1
		.amdhsa_ieee_mode 1
		.amdhsa_fp16_overflow 0
		.amdhsa_workgroup_processor_mode 1
		.amdhsa_memory_ordered 1
		.amdhsa_forward_progress 1
		.amdhsa_shared_vgpr_count 0
		.amdhsa_exception_fp_ieee_invalid_op 0
		.amdhsa_exception_fp_denorm_src 0
		.amdhsa_exception_fp_ieee_div_zero 0
		.amdhsa_exception_fp_ieee_overflow 0
		.amdhsa_exception_fp_ieee_underflow 0
		.amdhsa_exception_fp_ieee_inexact 0
		.amdhsa_exception_int_div_zero 0
	.end_amdhsa_kernel
	.section	.text._ZN12_GLOBAL__N_120softmax_warp_forwardIN3c108BFloat16ES2_fLi6ELb0ELb1ELi32EEEvPT0_PKT_iiiPKbib,"axG",@progbits,_ZN12_GLOBAL__N_120softmax_warp_forwardIN3c108BFloat16ES2_fLi6ELb0ELb1ELi32EEEvPT0_PKT_iiiPKbib,comdat
.Lfunc_end757:
	.size	_ZN12_GLOBAL__N_120softmax_warp_forwardIN3c108BFloat16ES2_fLi6ELb0ELb1ELi32EEEvPT0_PKT_iiiPKbib, .Lfunc_end757-_ZN12_GLOBAL__N_120softmax_warp_forwardIN3c108BFloat16ES2_fLi6ELb0ELb1ELi32EEEvPT0_PKT_iiiPKbib
                                        ; -- End function
	.set _ZN12_GLOBAL__N_120softmax_warp_forwardIN3c108BFloat16ES2_fLi6ELb0ELb1ELi32EEEvPT0_PKT_iiiPKbib.num_vgpr, 22
	.set _ZN12_GLOBAL__N_120softmax_warp_forwardIN3c108BFloat16ES2_fLi6ELb0ELb1ELi32EEEvPT0_PKT_iiiPKbib.num_agpr, 0
	.set _ZN12_GLOBAL__N_120softmax_warp_forwardIN3c108BFloat16ES2_fLi6ELb0ELb1ELi32EEEvPT0_PKT_iiiPKbib.numbered_sgpr, 17
	.set _ZN12_GLOBAL__N_120softmax_warp_forwardIN3c108BFloat16ES2_fLi6ELb0ELb1ELi32EEEvPT0_PKT_iiiPKbib.num_named_barrier, 0
	.set _ZN12_GLOBAL__N_120softmax_warp_forwardIN3c108BFloat16ES2_fLi6ELb0ELb1ELi32EEEvPT0_PKT_iiiPKbib.private_seg_size, 0
	.set _ZN12_GLOBAL__N_120softmax_warp_forwardIN3c108BFloat16ES2_fLi6ELb0ELb1ELi32EEEvPT0_PKT_iiiPKbib.uses_vcc, 1
	.set _ZN12_GLOBAL__N_120softmax_warp_forwardIN3c108BFloat16ES2_fLi6ELb0ELb1ELi32EEEvPT0_PKT_iiiPKbib.uses_flat_scratch, 0
	.set _ZN12_GLOBAL__N_120softmax_warp_forwardIN3c108BFloat16ES2_fLi6ELb0ELb1ELi32EEEvPT0_PKT_iiiPKbib.has_dyn_sized_stack, 0
	.set _ZN12_GLOBAL__N_120softmax_warp_forwardIN3c108BFloat16ES2_fLi6ELb0ELb1ELi32EEEvPT0_PKT_iiiPKbib.has_recursion, 0
	.set _ZN12_GLOBAL__N_120softmax_warp_forwardIN3c108BFloat16ES2_fLi6ELb0ELb1ELi32EEEvPT0_PKT_iiiPKbib.has_indirect_call, 0
	.section	.AMDGPU.csdata,"",@progbits
; Kernel info:
; codeLenInByte = 2940
; TotalNumSgprs: 19
; NumVgprs: 22
; ScratchSize: 0
; MemoryBound: 0
; FloatMode: 240
; IeeeMode: 1
; LDSByteSize: 0 bytes/workgroup (compile time only)
; SGPRBlocks: 0
; VGPRBlocks: 2
; NumSGPRsForWavesPerEU: 19
; NumVGPRsForWavesPerEU: 22
; Occupancy: 16
; WaveLimiterHint : 0
; COMPUTE_PGM_RSRC2:SCRATCH_EN: 0
; COMPUTE_PGM_RSRC2:USER_SGPR: 6
; COMPUTE_PGM_RSRC2:TRAP_HANDLER: 0
; COMPUTE_PGM_RSRC2:TGID_X_EN: 1
; COMPUTE_PGM_RSRC2:TGID_Y_EN: 0
; COMPUTE_PGM_RSRC2:TGID_Z_EN: 0
; COMPUTE_PGM_RSRC2:TIDIG_COMP_CNT: 1
	.section	.text._ZN12_GLOBAL__N_120softmax_warp_forwardIN3c108BFloat16ES2_fLi7ELb0ELb1ELi64EEEvPT0_PKT_iiiPKbib,"axG",@progbits,_ZN12_GLOBAL__N_120softmax_warp_forwardIN3c108BFloat16ES2_fLi7ELb0ELb1ELi64EEEvPT0_PKT_iiiPKbib,comdat
	.globl	_ZN12_GLOBAL__N_120softmax_warp_forwardIN3c108BFloat16ES2_fLi7ELb0ELb1ELi64EEEvPT0_PKT_iiiPKbib ; -- Begin function _ZN12_GLOBAL__N_120softmax_warp_forwardIN3c108BFloat16ES2_fLi7ELb0ELb1ELi64EEEvPT0_PKT_iiiPKbib
	.p2align	8
	.type	_ZN12_GLOBAL__N_120softmax_warp_forwardIN3c108BFloat16ES2_fLi7ELb0ELb1ELi64EEEvPT0_PKT_iiiPKbib,@function
_ZN12_GLOBAL__N_120softmax_warp_forwardIN3c108BFloat16ES2_fLi7ELb0ELb1ELi64EEEvPT0_PKT_iiiPKbib: ; @_ZN12_GLOBAL__N_120softmax_warp_forwardIN3c108BFloat16ES2_fLi7ELb0ELb1ELi64EEEvPT0_PKT_iiiPKbib
; %bb.0:
	s_clause 0x2
	s_load_dwordx2 s[0:1], s[4:5], 0x28
	s_load_dword s2, s[4:5], 0x3c
	s_load_dwordx4 s[8:11], s[4:5], 0x10
	s_waitcnt lgkmcnt(0)
	s_bitcmp1_b32 s1, 0
	s_cselect_b32 s16, -1, 0
	s_lshr_b32 s2, s2, 16
	s_and_b32 s2, s2, 0xffff
	s_bitcmp0_b32 s1, 0
	s_mul_i32 s6, s6, s2
	v_add_lshl_u32 v5, s6, v1, 1
	v_mul_lo_u32 v6, v5, s9
	v_add_nc_u32_e32 v1, v6, v0
	v_ashrrev_i32_e32 v2, 31, v1
	v_mov_b32_e32 v4, v2
	v_mov_b32_e32 v3, v1
	s_cbranch_scc1 .LBB758_2
; %bb.1:
	s_abs_i32 s1, s0
	v_sub_nc_u32_e32 v7, 0, v6
	v_cvt_f32_u32_e32 v3, s1
	s_sub_i32 s2, 0, s1
	v_max_i32_e32 v7, v6, v7
	v_rcp_iflag_f32_e32 v3, v3
	v_xor_b32_e32 v6, s0, v6
	v_ashrrev_i32_e32 v6, 31, v6
	v_mul_f32_e32 v3, 0x4f7ffffe, v3
	v_cvt_u32_f32_e32 v3, v3
	v_mul_lo_u32 v4, s2, v3
	v_mul_hi_u32 v4, v3, v4
	v_add_nc_u32_e32 v3, v3, v4
	v_mul_hi_u32 v3, v7, v3
	v_mul_lo_u32 v4, v3, s1
	v_sub_nc_u32_e32 v4, v7, v4
	v_add_nc_u32_e32 v7, 1, v3
	v_subrev_nc_u32_e32 v8, s1, v4
	v_cmp_le_u32_e32 vcc_lo, s1, v4
	v_cndmask_b32_e32 v3, v3, v7, vcc_lo
	v_cndmask_b32_e32 v4, v4, v8, vcc_lo
	v_add_nc_u32_e32 v7, 1, v3
	v_cmp_le_u32_e32 vcc_lo, s1, v4
	v_cndmask_b32_e32 v3, v3, v7, vcc_lo
	v_xor_b32_e32 v3, v3, v6
	v_sub_nc_u32_e32 v3, v3, v6
	v_mad_u64_u32 v[3:4], null, v3, s9, v[0:1]
	v_ashrrev_i32_e32 v4, 31, v3
.LBB758_2:
	s_load_dwordx4 s[12:15], s[4:5], 0x0
	v_lshlrev_b64 v[1:2], 1, v[1:2]
	v_sub_nc_u32_e32 v11, s8, v5
	v_cmp_gt_i32_e64 s1, s10, v0
	v_mov_b32_e32 v12, 0xff800000
	v_mov_b32_e32 v7, 0xff800000
	v_cmp_lt_i32_e32 vcc_lo, 0, v11
	s_and_b32 s8, vcc_lo, s1
	s_waitcnt lgkmcnt(0)
	v_add_co_u32 v8, s0, s14, v1
	v_add_co_ci_u32_e64 v9, null, s15, v2, s0
	s_and_saveexec_b32 s0, s8
	s_cbranch_execz .LBB758_4
; %bb.3:
	global_load_ushort v5, v[8:9], off
	s_waitcnt vmcnt(0)
	v_lshlrev_b32_e32 v7, 16, v5
.LBB758_4:
	s_or_b32 exec_lo, exec_lo, s0
	v_add_nc_u32_e32 v0, 64, v0
	v_cmp_gt_i32_e64 s0, s10, v0
	s_and_b32 s7, vcc_lo, s0
	s_and_saveexec_b32 s2, s7
	s_cbranch_execz .LBB758_6
; %bb.5:
	global_load_ushort v0, v[8:9], off offset:128
	s_waitcnt vmcnt(0)
	v_lshlrev_b32_e32 v12, 16, v0
.LBB758_6:
	s_or_b32 exec_lo, exec_lo, s2
	v_cmp_lt_i32_e64 s2, 1, v11
	v_mov_b32_e32 v0, 0xff800000
	v_mov_b32_e32 v6, 0xff800000
	s_and_b32 s6, s2, s1
	s_and_saveexec_b32 s9, s6
	s_cbranch_execz .LBB758_8
; %bb.7:
	s_mov_b32 s11, 0
	s_lshl_b64 s[14:15], s[10:11], 1
	v_add_co_u32 v5, s3, v8, s14
	v_add_co_ci_u32_e64 v6, null, s15, v9, s3
	global_load_ushort v5, v[5:6], off
	s_waitcnt vmcnt(0)
	v_lshlrev_b32_e32 v6, 16, v5
.LBB758_8:
	s_or_b32 exec_lo, exec_lo, s9
	s_and_b32 s3, s2, s0
	s_and_saveexec_b32 s9, s3
	s_cbranch_execz .LBB758_10
; %bb.9:
	s_mov_b32 s11, 0
	s_lshl_b64 s[14:15], s[10:11], 1
	v_add_co_u32 v8, s2, v8, s14
	v_add_co_ci_u32_e64 v9, null, s15, v9, s2
	global_load_ushort v0, v[8:9], off offset:128
	s_waitcnt vmcnt(0)
	v_lshlrev_b32_e32 v0, 16, v0
.LBB758_10:
	s_or_b32 exec_lo, exec_lo, s9
	s_load_dwordx2 s[4:5], s[4:5], 0x20
	v_mov_b32_e32 v9, v8
	v_mov_b32_e32 v8, v7
	s_waitcnt lgkmcnt(0)
	v_add_co_u32 v3, s2, s4, v3
	v_add_co_ci_u32_e64 v4, null, s5, v4, s2
	s_mov_b32 s4, 0
	s_and_saveexec_b32 s5, s8
	s_cbranch_execz .LBB758_14
; %bb.11:
	global_load_ubyte v5, v[3:4], off
	v_mov_b32_e32 v9, v8
	v_mov_b32_e32 v8, v7
	s_waitcnt vmcnt(0)
	v_and_b32_e32 v5, 1, v5
	v_cmp_eq_u32_e64 s2, 1, v5
	s_xor_b32 s9, s2, -1
	s_and_saveexec_b32 s2, s9
; %bb.12:
	v_mov_b32_e32 v9, v8
	v_mov_b32_e32 v8, v7
	s_mov_b32 s4, exec_lo
; %bb.13:
	s_or_b32 exec_lo, exec_lo, s2
	s_and_b32 s4, s4, exec_lo
.LBB758_14:
	s_or_b32 exec_lo, exec_lo, s5
	s_and_saveexec_b32 s5, s7
	s_cbranch_execz .LBB758_18
; %bb.15:
	global_load_ubyte v5, v[3:4], off offset:64
	s_waitcnt vmcnt(0)
	v_and_b32_e32 v5, 1, v5
	v_cmp_eq_u32_e64 s2, 1, v5
	s_xor_b32 s11, s2, -1
	s_mov_b32 s2, s4
	s_and_saveexec_b32 s9, s11
; %bb.16:
	v_cmp_gt_f32_e64 s2, v8, v12
	s_and_b32 s2, s4, s2
	v_cndmask_b32_e64 v8, v12, v8, s2
	s_or_b32 s2, s4, exec_lo
; %bb.17:
	s_or_b32 exec_lo, exec_lo, s9
	s_andn2_b32 s4, s4, exec_lo
	s_and_b32 s2, s2, exec_lo
	s_or_b32 s4, s4, s2
.LBB758_18:
	s_or_b32 exec_lo, exec_lo, s5
	v_cndmask_b32_e64 v5, 0xff800000, v8, s4
	v_mov_b32_e32 v9, v6
	s_and_b32 s2, s16, exec_lo
	s_mov_b32 s5, 0
	s_cselect_b32 s4, 0, s10
	v_mov_b32_e32 v8, v5
	s_and_saveexec_b32 s9, s6
	s_cbranch_execz .LBB758_22
; %bb.19:
	s_ashr_i32 s5, s4, 31
	v_add_co_u32 v8, s2, v3, s4
	v_add_co_ci_u32_e64 v9, null, s5, v4, s2
	s_mov_b32 s5, 0
	global_load_ubyte v8, v[8:9], off
	s_waitcnt vmcnt(0)
	v_and_b32_e32 v8, 1, v8
	v_cmp_eq_u32_e64 s2, 1, v8
	v_mov_b32_e32 v9, v6
	v_mov_b32_e32 v8, v5
	s_xor_b32 s11, s2, -1
	s_and_saveexec_b32 s2, s11
; %bb.20:
	v_mov_b32_e32 v9, v6
	v_mov_b32_e32 v8, v5
	s_mov_b32 s5, exec_lo
; %bb.21:
	s_or_b32 exec_lo, exec_lo, s2
	s_and_b32 s5, s5, exec_lo
.LBB758_22:
	s_or_b32 exec_lo, exec_lo, s9
	s_and_saveexec_b32 s9, s3
	s_cbranch_execz .LBB758_26
; %bb.23:
	s_ashr_i32 s11, s4, 31
	v_add_co_u32 v13, s2, v3, s4
	v_add_co_ci_u32_e64 v14, null, s11, v4, s2
	global_load_ubyte v5, v[13:14], off offset:64
	s_waitcnt vmcnt(0)
	v_and_b32_e32 v5, 1, v5
	v_cmp_eq_u32_e64 s2, 1, v5
	s_xor_b32 s14, s2, -1
	s_mov_b32 s2, s5
	s_and_saveexec_b32 s11, s14
; %bb.24:
	v_cmp_gt_f32_e64 s2, v9, v0
	s_and_b32 s2, s5, s2
	v_cndmask_b32_e64 v9, v0, v9, s2
	s_or_b32 s2, s5, exec_lo
; %bb.25:
	s_or_b32 exec_lo, exec_lo, s11
	s_andn2_b32 s5, s5, exec_lo
	s_and_b32 s2, s2, exec_lo
	s_or_b32 s5, s5, s2
.LBB758_26:
	s_or_b32 exec_lo, exec_lo, s9
	v_mbcnt_lo_u32_b32 v10, -1, 0
	v_cndmask_b32_e64 v9, 0xff800000, v9, s5
	v_or_b32_e32 v5, 32, v10
	v_xor_b32_e32 v13, 16, v10
	v_cmp_gt_i32_e64 s2, 64, v5
	v_cndmask_b32_e64 v5, v10, v5, s2
	v_cmp_gt_i32_e64 s2, 64, v13
	v_lshlrev_b32_e32 v5, 2, v5
	v_cndmask_b32_e64 v13, v10, v13, s2
	ds_bpermute_b32 v14, v5, v8
	ds_bpermute_b32 v15, v5, v9
	v_lshlrev_b32_e32 v13, 2, v13
	s_waitcnt lgkmcnt(1)
	v_cmp_lt_f32_e64 s2, v8, v14
	v_cndmask_b32_e64 v8, v8, v14, s2
	s_waitcnt lgkmcnt(0)
	v_cmp_lt_f32_e64 s2, v9, v15
	v_xor_b32_e32 v14, 8, v10
	ds_bpermute_b32 v16, v13, v8
	v_cndmask_b32_e64 v9, v9, v15, s2
	v_cmp_gt_i32_e64 s2, 64, v14
	ds_bpermute_b32 v15, v13, v9
	v_cndmask_b32_e64 v14, v10, v14, s2
	v_lshlrev_b32_e32 v14, 2, v14
	s_waitcnt lgkmcnt(1)
	v_cmp_lt_f32_e64 s2, v8, v16
	v_cndmask_b32_e64 v8, v8, v16, s2
	s_waitcnt lgkmcnt(0)
	v_cmp_lt_f32_e64 s2, v9, v15
	ds_bpermute_b32 v16, v14, v8
	v_cndmask_b32_e64 v9, v9, v15, s2
	v_xor_b32_e32 v15, 4, v10
	ds_bpermute_b32 v17, v14, v9
	v_cmp_gt_i32_e64 s2, 64, v15
	v_cndmask_b32_e64 v15, v10, v15, s2
	v_lshlrev_b32_e32 v15, 2, v15
	s_waitcnt lgkmcnt(1)
	v_cmp_lt_f32_e64 s2, v8, v16
	v_cndmask_b32_e64 v8, v8, v16, s2
	s_waitcnt lgkmcnt(0)
	v_cmp_lt_f32_e64 s2, v9, v17
	v_xor_b32_e32 v16, 2, v10
	ds_bpermute_b32 v18, v15, v8
	v_cndmask_b32_e64 v9, v9, v17, s2
	v_cmp_gt_i32_e64 s2, 64, v16
	ds_bpermute_b32 v17, v15, v9
	v_cndmask_b32_e64 v16, v10, v16, s2
	v_lshlrev_b32_e32 v16, 2, v16
	s_waitcnt lgkmcnt(1)
	v_cmp_lt_f32_e64 s2, v8, v18
	v_cndmask_b32_e64 v8, v8, v18, s2
	s_waitcnt lgkmcnt(0)
	v_cmp_lt_f32_e64 s2, v9, v17
	ds_bpermute_b32 v18, v16, v8
	v_cndmask_b32_e64 v9, v9, v17, s2
	v_xor_b32_e32 v17, 1, v10
	ds_bpermute_b32 v19, v16, v9
	v_cmp_gt_i32_e64 s2, 64, v17
	v_cndmask_b32_e64 v10, v10, v17, s2
	v_lshlrev_b32_e32 v17, 2, v10
	s_waitcnt lgkmcnt(1)
	v_cmp_lt_f32_e64 s2, v8, v18
	v_cndmask_b32_e64 v10, v8, v18, s2
	s_waitcnt lgkmcnt(0)
	v_cmp_lt_f32_e64 s2, v9, v19
	v_mov_b32_e32 v8, 0
	v_mov_b32_e32 v18, 0
	ds_bpermute_b32 v21, v17, v10
	v_cndmask_b32_e64 v19, v9, v19, s2
	v_mov_b32_e32 v9, v8
	ds_bpermute_b32 v20, v17, v19
	s_waitcnt lgkmcnt(1)
	v_cmp_lt_f32_e64 s2, v10, v21
	v_cndmask_b32_e64 v21, v10, v21, s2
	v_mov_b32_e32 v10, v9
	v_mov_b32_e32 v9, v8
	s_and_saveexec_b32 s5, s8
	s_cbranch_execz .LBB758_30
; %bb.27:
	global_load_ubyte v9, v[3:4], off
	s_waitcnt vmcnt(0)
	v_and_b32_e32 v10, 1, v9
	v_mov_b32_e32 v9, 0
	v_cmp_eq_u32_e64 s2, 1, v10
	v_mov_b32_e32 v10, v9
	v_mov_b32_e32 v18, v9
	s_xor_b32 s2, s2, -1
	s_and_saveexec_b32 s8, s2
	s_cbranch_execz .LBB758_29
; %bb.28:
	v_sub_f32_e32 v7, v7, v21
	v_mul_f32_e32 v9, 0x3fb8aa3b, v7
	v_cmp_ngt_f32_e64 s2, 0xc2ce8ed0, v7
	v_fma_f32 v10, 0x3fb8aa3b, v7, -v9
	v_rndne_f32_e32 v18, v9
	v_fmamk_f32 v10, v7, 0x32a5705f, v10
	v_sub_f32_e32 v9, v9, v18
	v_add_f32_e32 v9, v9, v10
	v_cvt_i32_f32_e32 v10, v18
	v_exp_f32_e32 v9, v9
	v_ldexp_f32 v9, v9, v10
	v_mov_b32_e32 v10, 0
	v_cndmask_b32_e64 v9, 0, v9, s2
	v_cmp_nlt_f32_e64 s2, 0x42b17218, v7
	v_cndmask_b32_e64 v9, 0x7f800000, v9, s2
	v_mov_b32_e32 v18, v9
.LBB758_29:
	s_or_b32 exec_lo, exec_lo, s8
.LBB758_30:
	s_or_b32 exec_lo, exec_lo, s5
	v_mov_b32_e32 v7, 0
	s_and_saveexec_b32 s5, s7
	s_cbranch_execz .LBB758_34
; %bb.31:
	global_load_ubyte v7, v[3:4], off offset:64
	s_waitcnt vmcnt(0)
	v_and_b32_e32 v7, 1, v7
	v_cmp_eq_u32_e64 s2, 1, v7
	v_mov_b32_e32 v7, 0
	s_xor_b32 s2, s2, -1
	s_and_saveexec_b32 s7, s2
	s_cbranch_execz .LBB758_33
; %bb.32:
	v_sub_f32_e32 v7, v12, v21
	v_mul_f32_e32 v12, 0x3fb8aa3b, v7
	v_cmp_ngt_f32_e64 s2, 0xc2ce8ed0, v7
	v_fma_f32 v21, 0x3fb8aa3b, v7, -v12
	v_rndne_f32_e32 v22, v12
	v_fmamk_f32 v21, v7, 0x32a5705f, v21
	v_sub_f32_e32 v12, v12, v22
	v_add_f32_e32 v12, v12, v21
	v_cvt_i32_f32_e32 v21, v22
	v_exp_f32_e32 v12, v12
	v_ldexp_f32 v12, v12, v21
	v_cndmask_b32_e64 v12, 0, v12, s2
	v_cmp_nlt_f32_e64 s2, 0x42b17218, v7
	v_cndmask_b32_e64 v7, 0x7f800000, v12, s2
	v_add_f32_e32 v9, v9, v7
.LBB758_33:
	s_or_b32 exec_lo, exec_lo, s7
.LBB758_34:
	s_or_b32 exec_lo, exec_lo, s5
	s_waitcnt lgkmcnt(0)
	v_cmp_lt_f32_e64 s2, v19, v20
	v_cndmask_b32_e64 v12, v19, v20, s2
	s_and_saveexec_b32 s5, s6
	s_cbranch_execz .LBB758_38
; %bb.35:
	s_ashr_i32 s6, s4, 31
	v_add_co_u32 v19, s2, v3, s4
	v_add_co_ci_u32_e64 v20, null, s6, v4, s2
	global_load_ubyte v8, v[19:20], off
	s_waitcnt vmcnt(0)
	v_and_b32_e32 v8, 1, v8
	v_cmp_eq_u32_e64 s2, 1, v8
	v_mov_b32_e32 v8, 0
	s_xor_b32 s2, s2, -1
	s_and_saveexec_b32 s6, s2
	s_cbranch_execz .LBB758_37
; %bb.36:
	v_sub_f32_e32 v6, v6, v12
	v_mul_f32_e32 v8, 0x3fb8aa3b, v6
	v_cmp_ngt_f32_e64 s2, 0xc2ce8ed0, v6
	v_fma_f32 v19, 0x3fb8aa3b, v6, -v8
	v_rndne_f32_e32 v20, v8
	v_fmamk_f32 v19, v6, 0x32a5705f, v19
	v_sub_f32_e32 v8, v8, v20
	v_add_f32_e32 v8, v8, v19
	v_cvt_i32_f32_e32 v19, v20
	v_exp_f32_e32 v8, v8
	v_ldexp_f32 v8, v8, v19
	v_cndmask_b32_e64 v8, 0, v8, s2
	v_cmp_nlt_f32_e64 s2, 0x42b17218, v6
	v_cndmask_b32_e64 v8, 0x7f800000, v8, s2
	v_add_f32_e32 v10, v10, v8
.LBB758_37:
	s_or_b32 exec_lo, exec_lo, s6
.LBB758_38:
	s_or_b32 exec_lo, exec_lo, s5
	v_mov_b32_e32 v6, 0
	s_and_saveexec_b32 s5, s3
	s_cbranch_execz .LBB758_42
; %bb.39:
	s_ashr_i32 s3, s4, 31
	v_add_co_u32 v3, s2, v3, s4
	v_add_co_ci_u32_e64 v4, null, s3, v4, s2
	v_mov_b32_e32 v6, 0
	global_load_ubyte v3, v[3:4], off offset:64
	s_waitcnt vmcnt(0)
	v_and_b32_e32 v3, 1, v3
	v_cmp_eq_u32_e64 s2, 1, v3
	s_xor_b32 s2, s2, -1
	s_and_saveexec_b32 s3, s2
	s_cbranch_execz .LBB758_41
; %bb.40:
	v_sub_f32_e32 v0, v0, v12
	v_mul_f32_e32 v3, 0x3fb8aa3b, v0
	v_cmp_ngt_f32_e64 s2, 0xc2ce8ed0, v0
	v_fma_f32 v4, 0x3fb8aa3b, v0, -v3
	v_rndne_f32_e32 v6, v3
	v_fmamk_f32 v4, v0, 0x32a5705f, v4
	v_sub_f32_e32 v3, v3, v6
	v_add_f32_e32 v3, v3, v4
	v_cvt_i32_f32_e32 v4, v6
	v_exp_f32_e32 v3, v3
	v_ldexp_f32 v3, v3, v4
	v_cndmask_b32_e64 v3, 0, v3, s2
	v_cmp_nlt_f32_e64 s2, 0x42b17218, v0
	v_cndmask_b32_e64 v6, 0x7f800000, v3, s2
	v_add_f32_e32 v10, v10, v6
.LBB758_41:
	s_or_b32 exec_lo, exec_lo, s3
.LBB758_42:
	s_or_b32 exec_lo, exec_lo, s5
	ds_bpermute_b32 v0, v5, v9
	ds_bpermute_b32 v3, v5, v10
	s_waitcnt lgkmcnt(1)
	v_add_f32_e32 v0, v9, v0
	s_waitcnt lgkmcnt(0)
	v_add_f32_e32 v3, v10, v3
	ds_bpermute_b32 v4, v13, v0
	ds_bpermute_b32 v5, v13, v3
	s_waitcnt lgkmcnt(1)
	v_add_f32_e32 v0, v0, v4
	s_waitcnt lgkmcnt(0)
	v_add_f32_e32 v3, v3, v5
	;; [unrolled: 6-line block ×5, first 2 shown]
	ds_bpermute_b32 v9, v17, v5
	ds_bpermute_b32 v4, v17, v3
	s_and_saveexec_b32 s2, vcc_lo
	s_cbranch_execz .LBB758_58
; %bb.43:
	v_add_co_u32 v0, vcc_lo, s12, v1
	v_add_co_ci_u32_e64 v1, null, s13, v2, vcc_lo
	s_and_saveexec_b32 s3, s1
	s_cbranch_execz .LBB758_50
; %bb.44:
	s_waitcnt lgkmcnt(1)
	v_add_f32_e32 v2, v5, v9
	v_mov_b32_e32 v5, 0x7fc0
	v_cmp_neq_f32_e64 s2, 0, v2
	s_and_saveexec_b32 s4, s2
	s_cbranch_execz .LBB758_46
; %bb.45:
	v_div_scale_f32 v5, null, v2, v2, v18
	v_div_scale_f32 v12, vcc_lo, v18, v2, v18
	v_rcp_f32_e32 v9, v5
	v_fma_f32 v10, -v5, v9, 1.0
	v_fmac_f32_e32 v9, v10, v9
	v_mul_f32_e32 v10, v12, v9
	v_fma_f32 v13, -v5, v10, v12
	v_fmac_f32_e32 v10, v13, v9
	v_fma_f32 v5, -v5, v10, v12
	v_div_fmas_f32 v5, v5, v9, v10
	v_div_fixup_f32 v5, v5, v2, v18
	v_bfe_u32 v9, v5, 16, 1
	v_cmp_o_f32_e32 vcc_lo, v5, v5
	v_add3_u32 v5, v5, v9, 0x7fff
	v_mov_b32_e32 v9, 0x7fc0
	v_cndmask_b32_sdwa v5, v9, v5, vcc_lo dst_sel:DWORD dst_unused:UNUSED_PAD src0_sel:DWORD src1_sel:WORD_1
.LBB758_46:
	s_or_b32 exec_lo, exec_lo, s4
	global_store_short v[0:1], v5, off
	s_and_b32 exec_lo, exec_lo, s0
	s_cbranch_execz .LBB758_50
; %bb.47:
	v_mov_b32_e32 v5, 0x7fc0
	s_and_saveexec_b32 s4, s2
	s_cbranch_execz .LBB758_49
; %bb.48:
	v_div_scale_f32 v5, null, v2, v2, v7
	v_div_scale_f32 v12, vcc_lo, v7, v2, v7
	v_rcp_f32_e32 v9, v5
	v_fma_f32 v10, -v5, v9, 1.0
	v_fmac_f32_e32 v9, v10, v9
	v_mul_f32_e32 v10, v12, v9
	v_fma_f32 v13, -v5, v10, v12
	v_fmac_f32_e32 v10, v13, v9
	v_fma_f32 v5, -v5, v10, v12
	v_div_fmas_f32 v5, v5, v9, v10
	v_div_fixup_f32 v2, v5, v2, v7
	v_bfe_u32 v5, v2, 16, 1
	v_cmp_o_f32_e32 vcc_lo, v2, v2
	v_add3_u32 v2, v2, v5, 0x7fff
	v_mov_b32_e32 v5, 0x7fc0
	v_cndmask_b32_sdwa v5, v5, v2, vcc_lo dst_sel:DWORD dst_unused:UNUSED_PAD src0_sel:DWORD src1_sel:WORD_1
.LBB758_49:
	s_or_b32 exec_lo, exec_lo, s4
	global_store_short v[0:1], v5, off offset:128
.LBB758_50:
	s_or_b32 exec_lo, exec_lo, s3
	v_cmp_ne_u32_e32 vcc_lo, 1, v11
	s_and_b32 exec_lo, exec_lo, vcc_lo
	s_cbranch_execz .LBB758_58
; %bb.51:
	s_and_b32 exec_lo, exec_lo, s1
	s_cbranch_execz .LBB758_58
; %bb.52:
	s_waitcnt lgkmcnt(0)
	v_add_f32_e32 v2, v3, v4
	v_mov_b32_e32 v3, 0x7fc0
	s_mov_b32 s11, 0
	v_cmp_neq_f32_e64 s1, 0, v2
	s_and_saveexec_b32 s2, s1
	s_cbranch_execz .LBB758_54
; %bb.53:
	v_div_scale_f32 v3, null, v2, v2, v8
	v_div_scale_f32 v7, vcc_lo, v8, v2, v8
	v_rcp_f32_e32 v4, v3
	v_fma_f32 v5, -v3, v4, 1.0
	v_fmac_f32_e32 v4, v5, v4
	v_mul_f32_e32 v5, v7, v4
	v_fma_f32 v9, -v3, v5, v7
	v_fmac_f32_e32 v5, v9, v4
	v_fma_f32 v3, -v3, v5, v7
	v_div_fmas_f32 v3, v3, v4, v5
	v_div_fixup_f32 v3, v3, v2, v8
	v_bfe_u32 v4, v3, 16, 1
	v_cmp_o_f32_e32 vcc_lo, v3, v3
	v_add3_u32 v3, v3, v4, 0x7fff
	v_mov_b32_e32 v4, 0x7fc0
	v_cndmask_b32_sdwa v3, v4, v3, vcc_lo dst_sel:DWORD dst_unused:UNUSED_PAD src0_sel:DWORD src1_sel:WORD_1
.LBB758_54:
	s_or_b32 exec_lo, exec_lo, s2
	s_lshl_b64 s[2:3], s[10:11], 1
	v_add_co_u32 v0, vcc_lo, v0, s2
	v_add_co_ci_u32_e64 v1, null, s3, v1, vcc_lo
	global_store_short v[0:1], v3, off
	s_and_b32 exec_lo, exec_lo, s0
	s_cbranch_execz .LBB758_58
; %bb.55:
	v_mov_b32_e32 v3, 0x7fc0
	s_and_saveexec_b32 s0, s1
	s_cbranch_execz .LBB758_57
; %bb.56:
	v_div_scale_f32 v3, null, v2, v2, v6
	v_div_scale_f32 v7, vcc_lo, v6, v2, v6
	v_rcp_f32_e32 v4, v3
	v_fma_f32 v5, -v3, v4, 1.0
	v_fmac_f32_e32 v4, v5, v4
	v_mul_f32_e32 v5, v7, v4
	v_fma_f32 v8, -v3, v5, v7
	v_fmac_f32_e32 v5, v8, v4
	v_fma_f32 v3, -v3, v5, v7
	v_div_fmas_f32 v3, v3, v4, v5
	v_div_fixup_f32 v2, v3, v2, v6
	v_bfe_u32 v3, v2, 16, 1
	v_cmp_o_f32_e32 vcc_lo, v2, v2
	v_add3_u32 v2, v2, v3, 0x7fff
	v_mov_b32_e32 v3, 0x7fc0
	v_cndmask_b32_sdwa v3, v3, v2, vcc_lo dst_sel:DWORD dst_unused:UNUSED_PAD src0_sel:DWORD src1_sel:WORD_1
.LBB758_57:
	s_or_b32 exec_lo, exec_lo, s0
	global_store_short v[0:1], v3, off offset:128
.LBB758_58:
	s_endpgm
	.section	.rodata,"a",@progbits
	.p2align	6, 0x0
	.amdhsa_kernel _ZN12_GLOBAL__N_120softmax_warp_forwardIN3c108BFloat16ES2_fLi7ELb0ELb1ELi64EEEvPT0_PKT_iiiPKbib
		.amdhsa_group_segment_fixed_size 0
		.amdhsa_private_segment_fixed_size 0
		.amdhsa_kernarg_size 304
		.amdhsa_user_sgpr_count 6
		.amdhsa_user_sgpr_private_segment_buffer 1
		.amdhsa_user_sgpr_dispatch_ptr 0
		.amdhsa_user_sgpr_queue_ptr 0
		.amdhsa_user_sgpr_kernarg_segment_ptr 1
		.amdhsa_user_sgpr_dispatch_id 0
		.amdhsa_user_sgpr_flat_scratch_init 0
		.amdhsa_user_sgpr_private_segment_size 0
		.amdhsa_wavefront_size32 1
		.amdhsa_uses_dynamic_stack 0
		.amdhsa_system_sgpr_private_segment_wavefront_offset 0
		.amdhsa_system_sgpr_workgroup_id_x 1
		.amdhsa_system_sgpr_workgroup_id_y 0
		.amdhsa_system_sgpr_workgroup_id_z 0
		.amdhsa_system_sgpr_workgroup_info 0
		.amdhsa_system_vgpr_workitem_id 1
		.amdhsa_next_free_vgpr 23
		.amdhsa_next_free_sgpr 17
		.amdhsa_reserve_vcc 1
		.amdhsa_reserve_flat_scratch 0
		.amdhsa_float_round_mode_32 0
		.amdhsa_float_round_mode_16_64 0
		.amdhsa_float_denorm_mode_32 3
		.amdhsa_float_denorm_mode_16_64 3
		.amdhsa_dx10_clamp 1
		.amdhsa_ieee_mode 1
		.amdhsa_fp16_overflow 0
		.amdhsa_workgroup_processor_mode 1
		.amdhsa_memory_ordered 1
		.amdhsa_forward_progress 1
		.amdhsa_shared_vgpr_count 0
		.amdhsa_exception_fp_ieee_invalid_op 0
		.amdhsa_exception_fp_denorm_src 0
		.amdhsa_exception_fp_ieee_div_zero 0
		.amdhsa_exception_fp_ieee_overflow 0
		.amdhsa_exception_fp_ieee_underflow 0
		.amdhsa_exception_fp_ieee_inexact 0
		.amdhsa_exception_int_div_zero 0
	.end_amdhsa_kernel
	.section	.text._ZN12_GLOBAL__N_120softmax_warp_forwardIN3c108BFloat16ES2_fLi7ELb0ELb1ELi64EEEvPT0_PKT_iiiPKbib,"axG",@progbits,_ZN12_GLOBAL__N_120softmax_warp_forwardIN3c108BFloat16ES2_fLi7ELb0ELb1ELi64EEEvPT0_PKT_iiiPKbib,comdat
.Lfunc_end758:
	.size	_ZN12_GLOBAL__N_120softmax_warp_forwardIN3c108BFloat16ES2_fLi7ELb0ELb1ELi64EEEvPT0_PKT_iiiPKbib, .Lfunc_end758-_ZN12_GLOBAL__N_120softmax_warp_forwardIN3c108BFloat16ES2_fLi7ELb0ELb1ELi64EEEvPT0_PKT_iiiPKbib
                                        ; -- End function
	.set _ZN12_GLOBAL__N_120softmax_warp_forwardIN3c108BFloat16ES2_fLi7ELb0ELb1ELi64EEEvPT0_PKT_iiiPKbib.num_vgpr, 23
	.set _ZN12_GLOBAL__N_120softmax_warp_forwardIN3c108BFloat16ES2_fLi7ELb0ELb1ELi64EEEvPT0_PKT_iiiPKbib.num_agpr, 0
	.set _ZN12_GLOBAL__N_120softmax_warp_forwardIN3c108BFloat16ES2_fLi7ELb0ELb1ELi64EEEvPT0_PKT_iiiPKbib.numbered_sgpr, 17
	.set _ZN12_GLOBAL__N_120softmax_warp_forwardIN3c108BFloat16ES2_fLi7ELb0ELb1ELi64EEEvPT0_PKT_iiiPKbib.num_named_barrier, 0
	.set _ZN12_GLOBAL__N_120softmax_warp_forwardIN3c108BFloat16ES2_fLi7ELb0ELb1ELi64EEEvPT0_PKT_iiiPKbib.private_seg_size, 0
	.set _ZN12_GLOBAL__N_120softmax_warp_forwardIN3c108BFloat16ES2_fLi7ELb0ELb1ELi64EEEvPT0_PKT_iiiPKbib.uses_vcc, 1
	.set _ZN12_GLOBAL__N_120softmax_warp_forwardIN3c108BFloat16ES2_fLi7ELb0ELb1ELi64EEEvPT0_PKT_iiiPKbib.uses_flat_scratch, 0
	.set _ZN12_GLOBAL__N_120softmax_warp_forwardIN3c108BFloat16ES2_fLi7ELb0ELb1ELi64EEEvPT0_PKT_iiiPKbib.has_dyn_sized_stack, 0
	.set _ZN12_GLOBAL__N_120softmax_warp_forwardIN3c108BFloat16ES2_fLi7ELb0ELb1ELi64EEEvPT0_PKT_iiiPKbib.has_recursion, 0
	.set _ZN12_GLOBAL__N_120softmax_warp_forwardIN3c108BFloat16ES2_fLi7ELb0ELb1ELi64EEEvPT0_PKT_iiiPKbib.has_indirect_call, 0
	.section	.AMDGPU.csdata,"",@progbits
; Kernel info:
; codeLenInByte = 3052
; TotalNumSgprs: 19
; NumVgprs: 23
; ScratchSize: 0
; MemoryBound: 0
; FloatMode: 240
; IeeeMode: 1
; LDSByteSize: 0 bytes/workgroup (compile time only)
; SGPRBlocks: 0
; VGPRBlocks: 2
; NumSGPRsForWavesPerEU: 19
; NumVGPRsForWavesPerEU: 23
; Occupancy: 16
; WaveLimiterHint : 0
; COMPUTE_PGM_RSRC2:SCRATCH_EN: 0
; COMPUTE_PGM_RSRC2:USER_SGPR: 6
; COMPUTE_PGM_RSRC2:TRAP_HANDLER: 0
; COMPUTE_PGM_RSRC2:TGID_X_EN: 1
; COMPUTE_PGM_RSRC2:TGID_Y_EN: 0
; COMPUTE_PGM_RSRC2:TGID_Z_EN: 0
; COMPUTE_PGM_RSRC2:TIDIG_COMP_CNT: 1
	.section	.text._ZN12_GLOBAL__N_120softmax_warp_forwardIN3c108BFloat16ES2_fLi7ELb0ELb1ELi32EEEvPT0_PKT_iiiPKbib,"axG",@progbits,_ZN12_GLOBAL__N_120softmax_warp_forwardIN3c108BFloat16ES2_fLi7ELb0ELb1ELi32EEEvPT0_PKT_iiiPKbib,comdat
	.globl	_ZN12_GLOBAL__N_120softmax_warp_forwardIN3c108BFloat16ES2_fLi7ELb0ELb1ELi32EEEvPT0_PKT_iiiPKbib ; -- Begin function _ZN12_GLOBAL__N_120softmax_warp_forwardIN3c108BFloat16ES2_fLi7ELb0ELb1ELi32EEEvPT0_PKT_iiiPKbib
	.p2align	8
	.type	_ZN12_GLOBAL__N_120softmax_warp_forwardIN3c108BFloat16ES2_fLi7ELb0ELb1ELi32EEEvPT0_PKT_iiiPKbib,@function
_ZN12_GLOBAL__N_120softmax_warp_forwardIN3c108BFloat16ES2_fLi7ELb0ELb1ELi32EEEvPT0_PKT_iiiPKbib: ; @_ZN12_GLOBAL__N_120softmax_warp_forwardIN3c108BFloat16ES2_fLi7ELb0ELb1ELi32EEEvPT0_PKT_iiiPKbib
; %bb.0:
	s_clause 0x2
	s_load_dwordx2 s[0:1], s[4:5], 0x28
	s_load_dword s2, s[4:5], 0x3c
	s_load_dwordx4 s[8:11], s[4:5], 0x10
	s_waitcnt lgkmcnt(0)
	s_bitcmp1_b32 s1, 0
	s_cselect_b32 s19, -1, 0
	s_lshr_b32 s2, s2, 16
	s_and_b32 s2, s2, 0xffff
	s_bitcmp0_b32 s1, 0
	s_mul_i32 s6, s6, s2
	v_add_lshl_u32 v5, s6, v1, 1
	v_mul_lo_u32 v6, v5, s9
	v_add_nc_u32_e32 v1, v6, v0
	v_ashrrev_i32_e32 v2, 31, v1
	v_mov_b32_e32 v4, v2
	v_mov_b32_e32 v3, v1
	s_cbranch_scc1 .LBB759_2
; %bb.1:
	s_abs_i32 s1, s0
	v_sub_nc_u32_e32 v7, 0, v6
	v_cvt_f32_u32_e32 v3, s1
	s_sub_i32 s2, 0, s1
	v_max_i32_e32 v7, v6, v7
	v_rcp_iflag_f32_e32 v3, v3
	v_xor_b32_e32 v6, s0, v6
	v_ashrrev_i32_e32 v6, 31, v6
	v_mul_f32_e32 v3, 0x4f7ffffe, v3
	v_cvt_u32_f32_e32 v3, v3
	v_mul_lo_u32 v4, s2, v3
	v_mul_hi_u32 v4, v3, v4
	v_add_nc_u32_e32 v3, v3, v4
	v_mul_hi_u32 v3, v7, v3
	v_mul_lo_u32 v4, v3, s1
	v_sub_nc_u32_e32 v4, v7, v4
	v_add_nc_u32_e32 v7, 1, v3
	v_subrev_nc_u32_e32 v8, s1, v4
	v_cmp_le_u32_e32 vcc_lo, s1, v4
	v_cndmask_b32_e32 v3, v3, v7, vcc_lo
	v_cndmask_b32_e32 v4, v4, v8, vcc_lo
	v_add_nc_u32_e32 v7, 1, v3
	v_cmp_le_u32_e32 vcc_lo, s1, v4
	v_cndmask_b32_e32 v3, v3, v7, vcc_lo
	v_xor_b32_e32 v3, v3, v6
	v_sub_nc_u32_e32 v3, v3, v6
	v_mad_u64_u32 v[3:4], null, v3, s9, v[0:1]
	v_ashrrev_i32_e32 v4, 31, v3
.LBB759_2:
	s_load_dwordx4 s[12:15], s[4:5], 0x0
	v_lshlrev_b64 v[1:2], 1, v[1:2]
	v_sub_nc_u32_e32 v11, s8, v5
	v_cmp_gt_i32_e64 s3, s10, v0
	v_mov_b32_e32 v16, 0xff800000
	v_mov_b32_e32 v7, 0xff800000
	v_cmp_lt_i32_e32 vcc_lo, 0, v11
	s_and_b32 s18, vcc_lo, s3
	s_waitcnt lgkmcnt(0)
	v_add_co_u32 v8, s0, s14, v1
	v_add_co_ci_u32_e64 v9, null, s15, v2, s0
	s_and_saveexec_b32 s0, s18
	s_cbranch_execz .LBB759_4
; %bb.3:
	global_load_ushort v5, v[8:9], off
	s_waitcnt vmcnt(0)
	v_lshlrev_b32_e32 v7, 16, v5
.LBB759_4:
	s_or_b32 exec_lo, exec_lo, s0
	v_add_nc_u32_e32 v5, 32, v0
	v_cmp_gt_i32_e64 s2, s10, v5
	s_and_b32 s17, vcc_lo, s2
	s_and_saveexec_b32 s0, s17
	s_cbranch_execz .LBB759_6
; %bb.5:
	global_load_ushort v5, v[8:9], off offset:64
	s_waitcnt vmcnt(0)
	v_lshlrev_b32_e32 v16, 16, v5
.LBB759_6:
	s_or_b32 exec_lo, exec_lo, s0
	v_add_nc_u32_e32 v5, 64, v0
	v_mov_b32_e32 v14, 0xff800000
	v_mov_b32_e32 v15, 0xff800000
	v_cmp_gt_i32_e64 s1, s10, v5
	s_and_b32 s16, vcc_lo, s1
	s_and_saveexec_b32 s0, s16
	s_cbranch_execz .LBB759_8
; %bb.7:
	global_load_ushort v5, v[8:9], off offset:128
	s_waitcnt vmcnt(0)
	v_lshlrev_b32_e32 v15, 16, v5
.LBB759_8:
	s_or_b32 exec_lo, exec_lo, s0
	v_add_nc_u32_e32 v0, 0x60, v0
	v_cmp_gt_i32_e64 s0, s10, v0
	s_and_b32 s15, vcc_lo, s0
	s_and_saveexec_b32 s6, s15
	s_cbranch_execz .LBB759_10
; %bb.9:
	global_load_ushort v0, v[8:9], off offset:192
	s_waitcnt vmcnt(0)
	v_lshlrev_b32_e32 v14, 16, v0
.LBB759_10:
	s_or_b32 exec_lo, exec_lo, s6
	v_cmp_lt_i32_e64 s6, 1, v11
	v_mov_b32_e32 v13, 0xff800000
	v_mov_b32_e32 v6, 0xff800000
	s_and_b32 s14, s6, s3
	s_and_saveexec_b32 s8, s14
	s_cbranch_execz .LBB759_12
; %bb.11:
	s_mov_b32 s11, 0
	s_lshl_b64 s[20:21], s[10:11], 1
	v_add_co_u32 v5, s7, v8, s20
	v_add_co_ci_u32_e64 v6, null, s21, v9, s7
	global_load_ushort v0, v[5:6], off
	s_waitcnt vmcnt(0)
	v_lshlrev_b32_e32 v6, 16, v0
.LBB759_12:
	s_or_b32 exec_lo, exec_lo, s8
	s_and_b32 s9, s6, s2
	s_and_saveexec_b32 s8, s9
	s_cbranch_execz .LBB759_14
; %bb.13:
	s_mov_b32 s11, 0
	s_lshl_b64 s[20:21], s[10:11], 1
	v_add_co_u32 v12, s7, v8, s20
	v_add_co_ci_u32_e64 v13, null, s21, v9, s7
	global_load_ushort v0, v[12:13], off offset:64
	s_waitcnt vmcnt(0)
	v_lshlrev_b32_e32 v13, 16, v0
.LBB759_14:
	s_or_b32 exec_lo, exec_lo, s8
	v_mov_b32_e32 v0, 0xff800000
	v_mov_b32_e32 v12, 0xff800000
	s_and_b32 s8, s6, s1
	s_and_saveexec_b32 s20, s8
	s_cbranch_execz .LBB759_16
; %bb.15:
	s_mov_b32 s11, 0
	s_lshl_b64 s[22:23], s[10:11], 1
	v_add_co_u32 v17, s7, v8, s22
	v_add_co_ci_u32_e64 v18, null, s23, v9, s7
	global_load_ushort v5, v[17:18], off offset:128
	s_waitcnt vmcnt(0)
	v_lshlrev_b32_e32 v12, 16, v5
.LBB759_16:
	s_or_b32 exec_lo, exec_lo, s20
	s_and_b32 s7, s6, s0
	s_and_saveexec_b32 s20, s7
	s_cbranch_execz .LBB759_18
; %bb.17:
	s_mov_b32 s11, 0
	s_lshl_b64 s[22:23], s[10:11], 1
	v_add_co_u32 v8, s6, v8, s22
	v_add_co_ci_u32_e64 v9, null, s23, v9, s6
	global_load_ushort v0, v[8:9], off offset:192
	s_waitcnt vmcnt(0)
	v_lshlrev_b32_e32 v0, 16, v0
.LBB759_18:
	s_or_b32 exec_lo, exec_lo, s20
	s_load_dwordx2 s[4:5], s[4:5], 0x20
	v_mov_b32_e32 v9, v8
	v_mov_b32_e32 v8, v7
	s_waitcnt lgkmcnt(0)
	v_add_co_u32 v3, s4, s4, v3
	v_add_co_ci_u32_e64 v4, null, s5, v4, s4
	s_mov_b32 s5, 0
	s_and_saveexec_b32 s6, s18
	s_cbranch_execnz .LBB759_22
; %bb.19:
	s_or_b32 exec_lo, exec_lo, s6
	s_and_saveexec_b32 s6, s17
	s_cbranch_execnz .LBB759_25
.LBB759_20:
	s_or_b32 exec_lo, exec_lo, s6
	s_and_saveexec_b32 s6, s16
	s_cbranch_execnz .LBB759_28
.LBB759_21:
	s_or_b32 exec_lo, exec_lo, s6
	s_and_saveexec_b32 s6, s15
	s_cbranch_execnz .LBB759_31
	s_branch .LBB759_34
.LBB759_22:
	global_load_ubyte v5, v[3:4], off
	v_mov_b32_e32 v9, v8
	v_mov_b32_e32 v8, v7
	s_waitcnt vmcnt(0)
	v_and_b32_e32 v5, 1, v5
	v_cmp_eq_u32_e64 s4, 1, v5
	s_xor_b32 s11, s4, -1
	s_and_saveexec_b32 s4, s11
; %bb.23:
	v_mov_b32_e32 v9, v8
	v_mov_b32_e32 v8, v7
	s_mov_b32 s5, exec_lo
; %bb.24:
	s_or_b32 exec_lo, exec_lo, s4
	s_and_b32 s5, s5, exec_lo
	s_or_b32 exec_lo, exec_lo, s6
	s_and_saveexec_b32 s6, s17
	s_cbranch_execz .LBB759_20
.LBB759_25:
	global_load_ubyte v5, v[3:4], off offset:32
	s_waitcnt vmcnt(0)
	v_and_b32_e32 v5, 1, v5
	v_cmp_eq_u32_e64 s4, 1, v5
	s_xor_b32 s20, s4, -1
	s_mov_b32 s4, s5
	s_and_saveexec_b32 s11, s20
; %bb.26:
	v_cmp_gt_f32_e64 s4, v8, v16
	s_and_b32 s4, s5, s4
	v_cndmask_b32_e64 v8, v16, v8, s4
	s_or_b32 s4, s5, exec_lo
; %bb.27:
	s_or_b32 exec_lo, exec_lo, s11
	s_andn2_b32 s5, s5, exec_lo
	s_and_b32 s4, s4, exec_lo
	s_or_b32 s5, s5, s4
	s_or_b32 exec_lo, exec_lo, s6
	s_and_saveexec_b32 s6, s16
	s_cbranch_execz .LBB759_21
.LBB759_28:
	global_load_ubyte v5, v[3:4], off offset:64
	s_waitcnt vmcnt(0)
	v_and_b32_e32 v5, 1, v5
	v_cmp_eq_u32_e64 s4, 1, v5
	s_xor_b32 s20, s4, -1
	s_mov_b32 s4, s5
	s_and_saveexec_b32 s11, s20
; %bb.29:
	v_cmp_gt_f32_e64 s4, v8, v15
	s_and_b32 s4, s5, s4
	v_cndmask_b32_e64 v8, v15, v8, s4
	s_or_b32 s4, s5, exec_lo
; %bb.30:
	s_or_b32 exec_lo, exec_lo, s11
	s_andn2_b32 s5, s5, exec_lo
	s_and_b32 s4, s4, exec_lo
	s_or_b32 s5, s5, s4
	s_or_b32 exec_lo, exec_lo, s6
	s_and_saveexec_b32 s6, s15
	s_cbranch_execz .LBB759_34
.LBB759_31:
	global_load_ubyte v5, v[3:4], off offset:96
	s_waitcnt vmcnt(0)
	v_and_b32_e32 v5, 1, v5
	v_cmp_eq_u32_e64 s4, 1, v5
	s_xor_b32 s20, s4, -1
	s_mov_b32 s4, s5
	s_and_saveexec_b32 s11, s20
; %bb.32:
	v_cmp_gt_f32_e64 s4, v8, v14
	s_and_b32 s4, s5, s4
	v_cndmask_b32_e64 v8, v14, v8, s4
	s_or_b32 s4, s5, exec_lo
; %bb.33:
	s_or_b32 exec_lo, exec_lo, s11
	s_andn2_b32 s5, s5, exec_lo
	s_and_b32 s4, s4, exec_lo
	s_or_b32 s5, s5, s4
.LBB759_34:
	s_or_b32 exec_lo, exec_lo, s6
	v_cndmask_b32_e64 v5, 0xff800000, v8, s5
	v_mov_b32_e32 v9, v6
	s_and_b32 s4, s19, exec_lo
	s_mov_b32 s6, 0
	s_cselect_b32 s5, 0, s10
	v_mov_b32_e32 v8, v5
	s_and_saveexec_b32 s11, s14
	s_cbranch_execnz .LBB759_38
; %bb.35:
	s_or_b32 exec_lo, exec_lo, s11
	s_and_saveexec_b32 s11, s9
	s_cbranch_execnz .LBB759_41
.LBB759_36:
	s_or_b32 exec_lo, exec_lo, s11
	s_and_saveexec_b32 s11, s8
	s_cbranch_execnz .LBB759_44
.LBB759_37:
	s_or_b32 exec_lo, exec_lo, s11
	s_and_saveexec_b32 s11, s7
	s_cbranch_execnz .LBB759_47
	s_branch .LBB759_50
.LBB759_38:
	s_ashr_i32 s6, s5, 31
	v_add_co_u32 v8, s4, v3, s5
	v_add_co_ci_u32_e64 v9, null, s6, v4, s4
	s_mov_b32 s6, 0
	global_load_ubyte v8, v[8:9], off
	s_waitcnt vmcnt(0)
	v_and_b32_e32 v8, 1, v8
	v_cmp_eq_u32_e64 s4, 1, v8
	v_mov_b32_e32 v9, v6
	v_mov_b32_e32 v8, v5
	s_xor_b32 s19, s4, -1
	s_and_saveexec_b32 s4, s19
; %bb.39:
	v_mov_b32_e32 v9, v6
	v_mov_b32_e32 v8, v5
	s_mov_b32 s6, exec_lo
; %bb.40:
	s_or_b32 exec_lo, exec_lo, s4
	s_and_b32 s6, s6, exec_lo
	s_or_b32 exec_lo, exec_lo, s11
	s_and_saveexec_b32 s11, s9
	s_cbranch_execz .LBB759_36
.LBB759_41:
	s_ashr_i32 s19, s5, 31
	v_add_co_u32 v17, s4, v3, s5
	v_add_co_ci_u32_e64 v18, null, s19, v4, s4
	global_load_ubyte v5, v[17:18], off offset:32
	s_waitcnt vmcnt(0)
	v_and_b32_e32 v5, 1, v5
	v_cmp_eq_u32_e64 s4, 1, v5
	s_xor_b32 s20, s4, -1
	s_mov_b32 s4, s6
	s_and_saveexec_b32 s19, s20
; %bb.42:
	v_cmp_gt_f32_e64 s4, v9, v13
	s_and_b32 s4, s6, s4
	v_cndmask_b32_e64 v9, v13, v9, s4
	s_or_b32 s4, s6, exec_lo
; %bb.43:
	s_or_b32 exec_lo, exec_lo, s19
	s_andn2_b32 s6, s6, exec_lo
	s_and_b32 s4, s4, exec_lo
	s_or_b32 s6, s6, s4
	s_or_b32 exec_lo, exec_lo, s11
	s_and_saveexec_b32 s11, s8
	s_cbranch_execz .LBB759_37
.LBB759_44:
	s_ashr_i32 s19, s5, 31
	v_add_co_u32 v17, s4, v3, s5
	v_add_co_ci_u32_e64 v18, null, s19, v4, s4
	global_load_ubyte v5, v[17:18], off offset:64
	s_waitcnt vmcnt(0)
	v_and_b32_e32 v5, 1, v5
	v_cmp_eq_u32_e64 s4, 1, v5
	s_xor_b32 s20, s4, -1
	s_mov_b32 s4, s6
	s_and_saveexec_b32 s19, s20
; %bb.45:
	v_cmp_gt_f32_e64 s4, v9, v12
	s_and_b32 s4, s6, s4
	v_cndmask_b32_e64 v9, v12, v9, s4
	s_or_b32 s4, s6, exec_lo
; %bb.46:
	s_or_b32 exec_lo, exec_lo, s19
	s_andn2_b32 s6, s6, exec_lo
	s_and_b32 s4, s4, exec_lo
	s_or_b32 s6, s6, s4
	s_or_b32 exec_lo, exec_lo, s11
	s_and_saveexec_b32 s11, s7
	s_cbranch_execz .LBB759_50
.LBB759_47:
	s_ashr_i32 s19, s5, 31
	v_add_co_u32 v17, s4, v3, s5
	v_add_co_ci_u32_e64 v18, null, s19, v4, s4
	global_load_ubyte v5, v[17:18], off offset:96
	s_waitcnt vmcnt(0)
	v_and_b32_e32 v5, 1, v5
	v_cmp_eq_u32_e64 s4, 1, v5
	s_xor_b32 s20, s4, -1
	s_mov_b32 s4, s6
	s_and_saveexec_b32 s19, s20
; %bb.48:
	v_cmp_gt_f32_e64 s4, v9, v0
	s_and_b32 s4, s6, s4
	v_cndmask_b32_e64 v9, v0, v9, s4
	s_or_b32 s4, s6, exec_lo
; %bb.49:
	s_or_b32 exec_lo, exec_lo, s19
	s_andn2_b32 s6, s6, exec_lo
	s_and_b32 s4, s4, exec_lo
	s_or_b32 s6, s6, s4
.LBB759_50:
	s_or_b32 exec_lo, exec_lo, s11
	v_mbcnt_lo_u32_b32 v10, -1, 0
	v_cndmask_b32_e64 v9, 0xff800000, v9, s6
	v_xor_b32_e32 v5, 16, v10
	v_xor_b32_e32 v17, 8, v10
	v_cmp_gt_i32_e64 s4, 32, v5
	v_cndmask_b32_e64 v5, v10, v5, s4
	v_cmp_gt_i32_e64 s4, 32, v17
	v_lshlrev_b32_e32 v5, 2, v5
	v_cndmask_b32_e64 v17, v10, v17, s4
	ds_bpermute_b32 v18, v5, v8
	ds_bpermute_b32 v19, v5, v9
	v_lshlrev_b32_e32 v17, 2, v17
	s_waitcnt lgkmcnt(1)
	v_cmp_lt_f32_e64 s4, v8, v18
	v_cndmask_b32_e64 v8, v8, v18, s4
	s_waitcnt lgkmcnt(0)
	v_cmp_lt_f32_e64 s4, v9, v19
	v_xor_b32_e32 v18, 4, v10
	ds_bpermute_b32 v20, v17, v8
	v_cndmask_b32_e64 v9, v9, v19, s4
	v_cmp_gt_i32_e64 s4, 32, v18
	ds_bpermute_b32 v19, v17, v9
	v_cndmask_b32_e64 v18, v10, v18, s4
	v_lshlrev_b32_e32 v18, 2, v18
	s_waitcnt lgkmcnt(1)
	v_cmp_lt_f32_e64 s4, v8, v20
	v_cndmask_b32_e64 v8, v8, v20, s4
	s_waitcnt lgkmcnt(0)
	v_cmp_lt_f32_e64 s4, v9, v19
	ds_bpermute_b32 v20, v18, v8
	v_cndmask_b32_e64 v9, v9, v19, s4
	v_xor_b32_e32 v19, 2, v10
	ds_bpermute_b32 v21, v18, v9
	v_cmp_gt_i32_e64 s4, 32, v19
	v_cndmask_b32_e64 v19, v10, v19, s4
	v_lshlrev_b32_e32 v19, 2, v19
	s_waitcnt lgkmcnt(1)
	v_cmp_lt_f32_e64 s4, v8, v20
	v_cndmask_b32_e64 v8, v8, v20, s4
	s_waitcnt lgkmcnt(0)
	v_cmp_lt_f32_e64 s4, v9, v21
	v_xor_b32_e32 v20, 1, v10
	ds_bpermute_b32 v22, v19, v8
	v_cndmask_b32_e64 v9, v9, v21, s4
	v_cmp_gt_i32_e64 s4, 32, v20
	ds_bpermute_b32 v21, v19, v9
	v_cndmask_b32_e64 v10, v10, v20, s4
	v_lshlrev_b32_e32 v20, 2, v10
	s_waitcnt lgkmcnt(1)
	v_cmp_lt_f32_e64 s4, v8, v22
	v_cndmask_b32_e64 v10, v8, v22, s4
	s_waitcnt lgkmcnt(0)
	v_cmp_lt_f32_e64 s4, v9, v21
	v_mov_b32_e32 v8, 0
	ds_bpermute_b32 v22, v20, v10
	v_cndmask_b32_e64 v23, v9, v21, s4
	v_mov_b32_e32 v9, v8
	v_mov_b32_e32 v21, 0
	ds_bpermute_b32 v24, v20, v23
	s_waitcnt lgkmcnt(1)
	v_cmp_lt_f32_e64 s4, v10, v22
	v_cndmask_b32_e64 v25, v10, v22, s4
	v_mov_b32_e32 v10, v9
	v_mov_b32_e32 v9, v8
	s_and_saveexec_b32 s6, s18
	s_cbranch_execnz .LBB759_53
; %bb.51:
	s_or_b32 exec_lo, exec_lo, s6
	v_mov_b32_e32 v22, 0
	s_and_saveexec_b32 s6, s17
	s_cbranch_execnz .LBB759_56
.LBB759_52:
	s_or_b32 exec_lo, exec_lo, s6
	s_and_saveexec_b32 s6, s16
	s_cbranch_execnz .LBB759_59
	s_branch .LBB759_62
.LBB759_53:
	global_load_ubyte v9, v[3:4], off
	s_waitcnt vmcnt(0)
	v_and_b32_e32 v10, 1, v9
	v_mov_b32_e32 v9, 0
	v_cmp_eq_u32_e64 s4, 1, v10
	v_mov_b32_e32 v10, v9
	v_mov_b32_e32 v21, v9
	s_xor_b32 s4, s4, -1
	s_and_saveexec_b32 s11, s4
	s_cbranch_execz .LBB759_55
; %bb.54:
	v_sub_f32_e32 v7, v7, v25
	v_mul_f32_e32 v9, 0x3fb8aa3b, v7
	v_cmp_ngt_f32_e64 s4, 0xc2ce8ed0, v7
	v_fma_f32 v10, 0x3fb8aa3b, v7, -v9
	v_rndne_f32_e32 v21, v9
	v_fmamk_f32 v10, v7, 0x32a5705f, v10
	v_sub_f32_e32 v9, v9, v21
	v_add_f32_e32 v9, v9, v10
	v_cvt_i32_f32_e32 v10, v21
	v_exp_f32_e32 v9, v9
	v_ldexp_f32 v9, v9, v10
	v_mov_b32_e32 v10, 0
	v_cndmask_b32_e64 v9, 0, v9, s4
	v_cmp_nlt_f32_e64 s4, 0x42b17218, v7
	v_cndmask_b32_e64 v9, 0x7f800000, v9, s4
	v_mov_b32_e32 v21, v9
.LBB759_55:
	s_or_b32 exec_lo, exec_lo, s11
	s_or_b32 exec_lo, exec_lo, s6
	v_mov_b32_e32 v22, 0
	s_and_saveexec_b32 s6, s17
	s_cbranch_execz .LBB759_52
.LBB759_56:
	global_load_ubyte v7, v[3:4], off offset:32
	v_mov_b32_e32 v22, 0
	s_waitcnt vmcnt(0)
	v_and_b32_e32 v7, 1, v7
	v_cmp_eq_u32_e64 s4, 1, v7
	s_xor_b32 s4, s4, -1
	s_and_saveexec_b32 s11, s4
	s_cbranch_execz .LBB759_58
; %bb.57:
	v_sub_f32_e32 v7, v16, v25
	v_mul_f32_e32 v16, 0x3fb8aa3b, v7
	v_cmp_ngt_f32_e64 s4, 0xc2ce8ed0, v7
	v_fma_f32 v22, 0x3fb8aa3b, v7, -v16
	v_rndne_f32_e32 v26, v16
	v_fmamk_f32 v22, v7, 0x32a5705f, v22
	v_sub_f32_e32 v16, v16, v26
	v_add_f32_e32 v16, v16, v22
	v_cvt_i32_f32_e32 v22, v26
	v_exp_f32_e32 v16, v16
	v_ldexp_f32 v16, v16, v22
	v_cndmask_b32_e64 v16, 0, v16, s4
	v_cmp_nlt_f32_e64 s4, 0x42b17218, v7
	v_cndmask_b32_e64 v22, 0x7f800000, v16, s4
	v_add_f32_e32 v9, v9, v22
.LBB759_58:
	s_or_b32 exec_lo, exec_lo, s11
	s_or_b32 exec_lo, exec_lo, s6
	s_and_saveexec_b32 s6, s16
	s_cbranch_execz .LBB759_62
.LBB759_59:
	global_load_ubyte v7, v[3:4], off offset:64
	v_mov_b32_e32 v8, 0
	s_waitcnt vmcnt(0)
	v_and_b32_e32 v7, 1, v7
	v_cmp_eq_u32_e64 s4, 1, v7
	s_xor_b32 s4, s4, -1
	s_and_saveexec_b32 s11, s4
	s_cbranch_execz .LBB759_61
; %bb.60:
	v_sub_f32_e32 v7, v15, v25
	v_mul_f32_e32 v8, 0x3fb8aa3b, v7
	v_cmp_ngt_f32_e64 s4, 0xc2ce8ed0, v7
	v_fma_f32 v15, 0x3fb8aa3b, v7, -v8
	v_rndne_f32_e32 v16, v8
	v_fmamk_f32 v15, v7, 0x32a5705f, v15
	v_sub_f32_e32 v8, v8, v16
	v_add_f32_e32 v8, v8, v15
	v_cvt_i32_f32_e32 v15, v16
	v_exp_f32_e32 v8, v8
	v_ldexp_f32 v8, v8, v15
	v_cndmask_b32_e64 v8, 0, v8, s4
	v_cmp_nlt_f32_e64 s4, 0x42b17218, v7
	v_cndmask_b32_e64 v8, 0x7f800000, v8, s4
	v_add_f32_e32 v9, v9, v8
.LBB759_61:
	s_or_b32 exec_lo, exec_lo, s11
.LBB759_62:
	s_or_b32 exec_lo, exec_lo, s6
	v_mov_b32_e32 v7, 0
	v_mov_b32_e32 v15, 0
	s_and_saveexec_b32 s6, s15
	s_cbranch_execz .LBB759_66
; %bb.63:
	global_load_ubyte v15, v[3:4], off offset:96
	s_waitcnt vmcnt(0)
	v_and_b32_e32 v15, 1, v15
	v_cmp_eq_u32_e64 s4, 1, v15
	v_mov_b32_e32 v15, 0
	s_xor_b32 s4, s4, -1
	s_and_saveexec_b32 s11, s4
	s_cbranch_execz .LBB759_65
; %bb.64:
	v_sub_f32_e32 v14, v14, v25
	v_mul_f32_e32 v15, 0x3fb8aa3b, v14
	v_cmp_ngt_f32_e64 s4, 0xc2ce8ed0, v14
	v_fma_f32 v16, 0x3fb8aa3b, v14, -v15
	v_rndne_f32_e32 v25, v15
	v_fmamk_f32 v16, v14, 0x32a5705f, v16
	v_sub_f32_e32 v15, v15, v25
	v_add_f32_e32 v15, v15, v16
	v_cvt_i32_f32_e32 v16, v25
	v_exp_f32_e32 v15, v15
	v_ldexp_f32 v15, v15, v16
	v_cndmask_b32_e64 v15, 0, v15, s4
	v_cmp_nlt_f32_e64 s4, 0x42b17218, v14
	v_cndmask_b32_e64 v15, 0x7f800000, v15, s4
	v_add_f32_e32 v9, v9, v15
.LBB759_65:
	s_or_b32 exec_lo, exec_lo, s11
.LBB759_66:
	s_or_b32 exec_lo, exec_lo, s6
	s_waitcnt lgkmcnt(0)
	v_cmp_lt_f32_e64 s4, v23, v24
	v_cndmask_b32_e64 v16, v23, v24, s4
	s_and_saveexec_b32 s6, s14
	s_cbranch_execz .LBB759_70
; %bb.67:
	s_ashr_i32 s11, s5, 31
	v_add_co_u32 v23, s4, v3, s5
	v_add_co_ci_u32_e64 v24, null, s11, v4, s4
	global_load_ubyte v7, v[23:24], off
	s_waitcnt vmcnt(0)
	v_and_b32_e32 v7, 1, v7
	v_cmp_eq_u32_e64 s4, 1, v7
	v_mov_b32_e32 v7, 0
	s_xor_b32 s4, s4, -1
	s_and_saveexec_b32 s11, s4
	s_cbranch_execz .LBB759_69
; %bb.68:
	v_sub_f32_e32 v6, v6, v16
	v_mul_f32_e32 v7, 0x3fb8aa3b, v6
	v_cmp_ngt_f32_e64 s4, 0xc2ce8ed0, v6
	v_fma_f32 v14, 0x3fb8aa3b, v6, -v7
	v_rndne_f32_e32 v23, v7
	v_fmamk_f32 v14, v6, 0x32a5705f, v14
	v_sub_f32_e32 v7, v7, v23
	v_add_f32_e32 v7, v7, v14
	v_cvt_i32_f32_e32 v14, v23
	v_exp_f32_e32 v7, v7
	v_ldexp_f32 v7, v7, v14
	v_cndmask_b32_e64 v7, 0, v7, s4
	v_cmp_nlt_f32_e64 s4, 0x42b17218, v6
	v_cndmask_b32_e64 v7, 0x7f800000, v7, s4
	v_add_f32_e32 v10, v10, v7
.LBB759_69:
	s_or_b32 exec_lo, exec_lo, s11
.LBB759_70:
	s_or_b32 exec_lo, exec_lo, s6
	v_mov_b32_e32 v6, 0
	v_mov_b32_e32 v14, 0
	s_and_saveexec_b32 s6, s9
	s_cbranch_execnz .LBB759_73
; %bb.71:
	s_or_b32 exec_lo, exec_lo, s6
	s_and_saveexec_b32 s6, s8
	s_cbranch_execnz .LBB759_76
.LBB759_72:
	s_or_b32 exec_lo, exec_lo, s6
	v_mov_b32_e32 v12, 0
	s_and_saveexec_b32 s6, s7
	s_cbranch_execnz .LBB759_79
	s_branch .LBB759_82
.LBB759_73:
	s_ashr_i32 s9, s5, 31
	v_add_co_u32 v23, s4, v3, s5
	v_add_co_ci_u32_e64 v24, null, s9, v4, s4
	global_load_ubyte v14, v[23:24], off offset:32
	s_waitcnt vmcnt(0)
	v_and_b32_e32 v14, 1, v14
	v_cmp_eq_u32_e64 s4, 1, v14
	v_mov_b32_e32 v14, 0
	s_xor_b32 s4, s4, -1
	s_and_saveexec_b32 s9, s4
	s_cbranch_execz .LBB759_75
; %bb.74:
	v_sub_f32_e32 v13, v13, v16
	v_mul_f32_e32 v14, 0x3fb8aa3b, v13
	v_cmp_ngt_f32_e64 s4, 0xc2ce8ed0, v13
	v_fma_f32 v23, 0x3fb8aa3b, v13, -v14
	v_rndne_f32_e32 v24, v14
	v_fmamk_f32 v23, v13, 0x32a5705f, v23
	v_sub_f32_e32 v14, v14, v24
	v_add_f32_e32 v14, v14, v23
	v_cvt_i32_f32_e32 v23, v24
	v_exp_f32_e32 v14, v14
	v_ldexp_f32 v14, v14, v23
	v_cndmask_b32_e64 v14, 0, v14, s4
	v_cmp_nlt_f32_e64 s4, 0x42b17218, v13
	v_cndmask_b32_e64 v14, 0x7f800000, v14, s4
	v_add_f32_e32 v10, v10, v14
.LBB759_75:
	s_or_b32 exec_lo, exec_lo, s9
	s_or_b32 exec_lo, exec_lo, s6
	s_and_saveexec_b32 s6, s8
	s_cbranch_execz .LBB759_72
.LBB759_76:
	s_ashr_i32 s8, s5, 31
	v_add_co_u32 v23, s4, v3, s5
	v_add_co_ci_u32_e64 v24, null, s8, v4, s4
	global_load_ubyte v6, v[23:24], off offset:64
	s_waitcnt vmcnt(0)
	v_and_b32_e32 v6, 1, v6
	v_cmp_eq_u32_e64 s4, 1, v6
	v_mov_b32_e32 v6, 0
	s_xor_b32 s4, s4, -1
	s_and_saveexec_b32 s8, s4
	s_cbranch_execz .LBB759_78
; %bb.77:
	v_sub_f32_e32 v6, v12, v16
	v_mul_f32_e32 v12, 0x3fb8aa3b, v6
	v_cmp_ngt_f32_e64 s4, 0xc2ce8ed0, v6
	v_fma_f32 v13, 0x3fb8aa3b, v6, -v12
	v_rndne_f32_e32 v23, v12
	v_fmamk_f32 v13, v6, 0x32a5705f, v13
	v_sub_f32_e32 v12, v12, v23
	v_add_f32_e32 v12, v12, v13
	v_cvt_i32_f32_e32 v13, v23
	v_exp_f32_e32 v12, v12
	v_ldexp_f32 v12, v12, v13
	v_cndmask_b32_e64 v12, 0, v12, s4
	v_cmp_nlt_f32_e64 s4, 0x42b17218, v6
	v_cndmask_b32_e64 v6, 0x7f800000, v12, s4
	v_add_f32_e32 v10, v10, v6
.LBB759_78:
	s_or_b32 exec_lo, exec_lo, s8
	s_or_b32 exec_lo, exec_lo, s6
	v_mov_b32_e32 v12, 0
	s_and_saveexec_b32 s6, s7
	s_cbranch_execz .LBB759_82
.LBB759_79:
	s_ashr_i32 s7, s5, 31
	v_add_co_u32 v3, s4, v3, s5
	v_add_co_ci_u32_e64 v4, null, s7, v4, s4
	v_mov_b32_e32 v12, 0
	global_load_ubyte v3, v[3:4], off offset:96
	s_waitcnt vmcnt(0)
	v_and_b32_e32 v3, 1, v3
	v_cmp_eq_u32_e64 s4, 1, v3
	s_xor_b32 s4, s4, -1
	s_and_saveexec_b32 s5, s4
	s_cbranch_execz .LBB759_81
; %bb.80:
	v_sub_f32_e32 v0, v0, v16
	v_mul_f32_e32 v3, 0x3fb8aa3b, v0
	v_cmp_ngt_f32_e64 s4, 0xc2ce8ed0, v0
	v_fma_f32 v4, 0x3fb8aa3b, v0, -v3
	v_rndne_f32_e32 v12, v3
	v_fmamk_f32 v4, v0, 0x32a5705f, v4
	v_sub_f32_e32 v3, v3, v12
	v_add_f32_e32 v3, v3, v4
	v_cvt_i32_f32_e32 v4, v12
	v_exp_f32_e32 v3, v3
	v_ldexp_f32 v3, v3, v4
	v_cndmask_b32_e64 v3, 0, v3, s4
	v_cmp_nlt_f32_e64 s4, 0x42b17218, v0
	v_cndmask_b32_e64 v12, 0x7f800000, v3, s4
	v_add_f32_e32 v10, v10, v12
.LBB759_81:
	s_or_b32 exec_lo, exec_lo, s5
.LBB759_82:
	s_or_b32 exec_lo, exec_lo, s6
	ds_bpermute_b32 v0, v5, v9
	ds_bpermute_b32 v3, v5, v10
	s_waitcnt lgkmcnt(1)
	v_add_f32_e32 v0, v9, v0
	s_waitcnt lgkmcnt(0)
	v_add_f32_e32 v3, v10, v3
	ds_bpermute_b32 v4, v17, v0
	ds_bpermute_b32 v5, v17, v3
	s_waitcnt lgkmcnt(1)
	v_add_f32_e32 v0, v0, v4
	s_waitcnt lgkmcnt(0)
	v_add_f32_e32 v3, v3, v5
	;; [unrolled: 6-line block ×4, first 2 shown]
	ds_bpermute_b32 v9, v20, v5
	ds_bpermute_b32 v4, v20, v3
	s_and_saveexec_b32 s4, vcc_lo
	s_cbranch_execz .LBB759_110
; %bb.83:
	v_add_co_u32 v0, vcc_lo, s12, v1
	v_add_co_ci_u32_e64 v1, null, s13, v2, vcc_lo
	s_and_saveexec_b32 s5, s3
	s_cbranch_execz .LBB759_96
; %bb.84:
	s_waitcnt lgkmcnt(1)
	v_add_f32_e32 v2, v5, v9
	v_mov_b32_e32 v5, 0x7fc0
	v_cmp_neq_f32_e64 s4, 0, v2
	s_and_saveexec_b32 s6, s4
	s_cbranch_execz .LBB759_86
; %bb.85:
	v_div_scale_f32 v5, null, v2, v2, v21
	v_div_scale_f32 v13, vcc_lo, v21, v2, v21
	v_rcp_f32_e32 v9, v5
	v_fma_f32 v10, -v5, v9, 1.0
	v_fmac_f32_e32 v9, v10, v9
	v_mul_f32_e32 v10, v13, v9
	v_fma_f32 v16, -v5, v10, v13
	v_fmac_f32_e32 v10, v16, v9
	v_fma_f32 v5, -v5, v10, v13
	v_div_fmas_f32 v5, v5, v9, v10
	v_div_fixup_f32 v5, v5, v2, v21
	v_bfe_u32 v9, v5, 16, 1
	v_cmp_o_f32_e32 vcc_lo, v5, v5
	v_add3_u32 v5, v5, v9, 0x7fff
	v_mov_b32_e32 v9, 0x7fc0
	v_cndmask_b32_sdwa v5, v9, v5, vcc_lo dst_sel:DWORD dst_unused:UNUSED_PAD src0_sel:DWORD src1_sel:WORD_1
.LBB759_86:
	s_or_b32 exec_lo, exec_lo, s6
	global_store_short v[0:1], v5, off
	s_and_b32 exec_lo, exec_lo, s2
	s_cbranch_execz .LBB759_96
; %bb.87:
	v_mov_b32_e32 v5, 0x7fc0
	s_and_saveexec_b32 s6, s4
	s_cbranch_execz .LBB759_89
; %bb.88:
	v_div_scale_f32 v5, null, v2, v2, v22
	v_div_scale_f32 v13, vcc_lo, v22, v2, v22
	v_rcp_f32_e32 v9, v5
	v_fma_f32 v10, -v5, v9, 1.0
	v_fmac_f32_e32 v9, v10, v9
	v_mul_f32_e32 v10, v13, v9
	v_fma_f32 v16, -v5, v10, v13
	v_fmac_f32_e32 v10, v16, v9
	v_fma_f32 v5, -v5, v10, v13
	v_div_fmas_f32 v5, v5, v9, v10
	v_div_fixup_f32 v5, v5, v2, v22
	v_bfe_u32 v9, v5, 16, 1
	v_cmp_o_f32_e32 vcc_lo, v5, v5
	v_add3_u32 v5, v5, v9, 0x7fff
	v_mov_b32_e32 v9, 0x7fc0
	v_cndmask_b32_sdwa v5, v9, v5, vcc_lo dst_sel:DWORD dst_unused:UNUSED_PAD src0_sel:DWORD src1_sel:WORD_1
.LBB759_89:
	s_or_b32 exec_lo, exec_lo, s6
	global_store_short v[0:1], v5, off offset:64
	s_and_b32 exec_lo, exec_lo, s1
	s_cbranch_execz .LBB759_96
; %bb.90:
	v_mov_b32_e32 v5, 0x7fc0
	s_and_saveexec_b32 s6, s4
	s_cbranch_execz .LBB759_92
; %bb.91:
	v_div_scale_f32 v5, null, v2, v2, v8
	v_div_scale_f32 v13, vcc_lo, v8, v2, v8
	v_rcp_f32_e32 v9, v5
	v_fma_f32 v10, -v5, v9, 1.0
	v_fmac_f32_e32 v9, v10, v9
	v_mul_f32_e32 v10, v13, v9
	v_fma_f32 v16, -v5, v10, v13
	v_fmac_f32_e32 v10, v16, v9
	v_fma_f32 v5, -v5, v10, v13
	v_div_fmas_f32 v5, v5, v9, v10
	v_div_fixup_f32 v5, v5, v2, v8
	v_bfe_u32 v8, v5, 16, 1
	v_cmp_o_f32_e32 vcc_lo, v5, v5
	v_add3_u32 v5, v5, v8, 0x7fff
	v_mov_b32_e32 v8, 0x7fc0
	v_cndmask_b32_sdwa v5, v8, v5, vcc_lo dst_sel:DWORD dst_unused:UNUSED_PAD src0_sel:DWORD src1_sel:WORD_1
.LBB759_92:
	s_or_b32 exec_lo, exec_lo, s6
	global_store_short v[0:1], v5, off offset:128
	;; [unrolled: 26-line block ×3, first 2 shown]
.LBB759_96:
	s_or_b32 exec_lo, exec_lo, s5
	v_cmp_ne_u32_e32 vcc_lo, 1, v11
	s_and_b32 exec_lo, exec_lo, vcc_lo
	s_cbranch_execz .LBB759_110
; %bb.97:
	s_and_b32 exec_lo, exec_lo, s3
	s_cbranch_execz .LBB759_110
; %bb.98:
	s_waitcnt lgkmcnt(0)
	v_add_f32_e32 v2, v3, v4
	v_mov_b32_e32 v3, 0x7fc0
	s_mov_b32 s11, 0
	v_cmp_neq_f32_e64 s3, 0, v2
	s_and_saveexec_b32 s4, s3
	s_cbranch_execz .LBB759_100
; %bb.99:
	v_div_scale_f32 v3, null, v2, v2, v7
	v_div_scale_f32 v8, vcc_lo, v7, v2, v7
	v_rcp_f32_e32 v4, v3
	v_fma_f32 v5, -v3, v4, 1.0
	v_fmac_f32_e32 v4, v5, v4
	v_mul_f32_e32 v5, v8, v4
	v_fma_f32 v9, -v3, v5, v8
	v_fmac_f32_e32 v5, v9, v4
	v_fma_f32 v3, -v3, v5, v8
	v_div_fmas_f32 v3, v3, v4, v5
	v_div_fixup_f32 v3, v3, v2, v7
	v_bfe_u32 v4, v3, 16, 1
	v_cmp_o_f32_e32 vcc_lo, v3, v3
	v_add3_u32 v3, v3, v4, 0x7fff
	v_mov_b32_e32 v4, 0x7fc0
	v_cndmask_b32_sdwa v3, v4, v3, vcc_lo dst_sel:DWORD dst_unused:UNUSED_PAD src0_sel:DWORD src1_sel:WORD_1
.LBB759_100:
	s_or_b32 exec_lo, exec_lo, s4
	s_lshl_b64 s[4:5], s[10:11], 1
	v_add_co_u32 v0, vcc_lo, v0, s4
	v_add_co_ci_u32_e64 v1, null, s5, v1, vcc_lo
	global_store_short v[0:1], v3, off
	s_and_b32 exec_lo, exec_lo, s2
	s_cbranch_execz .LBB759_110
; %bb.101:
	v_mov_b32_e32 v3, 0x7fc0
	s_and_saveexec_b32 s2, s3
	s_cbranch_execz .LBB759_103
; %bb.102:
	v_div_scale_f32 v3, null, v2, v2, v14
	v_div_scale_f32 v7, vcc_lo, v14, v2, v14
	v_rcp_f32_e32 v4, v3
	v_fma_f32 v5, -v3, v4, 1.0
	v_fmac_f32_e32 v4, v5, v4
	v_mul_f32_e32 v5, v7, v4
	v_fma_f32 v8, -v3, v5, v7
	v_fmac_f32_e32 v5, v8, v4
	v_fma_f32 v3, -v3, v5, v7
	v_div_fmas_f32 v3, v3, v4, v5
	v_div_fixup_f32 v3, v3, v2, v14
	v_bfe_u32 v4, v3, 16, 1
	v_cmp_o_f32_e32 vcc_lo, v3, v3
	v_add3_u32 v3, v3, v4, 0x7fff
	v_mov_b32_e32 v4, 0x7fc0
	v_cndmask_b32_sdwa v3, v4, v3, vcc_lo dst_sel:DWORD dst_unused:UNUSED_PAD src0_sel:DWORD src1_sel:WORD_1
.LBB759_103:
	s_or_b32 exec_lo, exec_lo, s2
	global_store_short v[0:1], v3, off offset:64
	s_and_b32 exec_lo, exec_lo, s1
	s_cbranch_execz .LBB759_110
; %bb.104:
	v_mov_b32_e32 v3, 0x7fc0
	s_and_saveexec_b32 s1, s3
	s_cbranch_execz .LBB759_106
; %bb.105:
	v_div_scale_f32 v3, null, v2, v2, v6
	v_div_scale_f32 v7, vcc_lo, v6, v2, v6
	v_rcp_f32_e32 v4, v3
	v_fma_f32 v5, -v3, v4, 1.0
	v_fmac_f32_e32 v4, v5, v4
	v_mul_f32_e32 v5, v7, v4
	v_fma_f32 v8, -v3, v5, v7
	v_fmac_f32_e32 v5, v8, v4
	v_fma_f32 v3, -v3, v5, v7
	v_div_fmas_f32 v3, v3, v4, v5
	v_div_fixup_f32 v3, v3, v2, v6
	v_bfe_u32 v4, v3, 16, 1
	v_cmp_o_f32_e32 vcc_lo, v3, v3
	v_add3_u32 v3, v3, v4, 0x7fff
	v_mov_b32_e32 v4, 0x7fc0
	v_cndmask_b32_sdwa v3, v4, v3, vcc_lo dst_sel:DWORD dst_unused:UNUSED_PAD src0_sel:DWORD src1_sel:WORD_1
.LBB759_106:
	s_or_b32 exec_lo, exec_lo, s1
	global_store_short v[0:1], v3, off offset:128
	;; [unrolled: 26-line block ×3, first 2 shown]
.LBB759_110:
	s_endpgm
	.section	.rodata,"a",@progbits
	.p2align	6, 0x0
	.amdhsa_kernel _ZN12_GLOBAL__N_120softmax_warp_forwardIN3c108BFloat16ES2_fLi7ELb0ELb1ELi32EEEvPT0_PKT_iiiPKbib
		.amdhsa_group_segment_fixed_size 0
		.amdhsa_private_segment_fixed_size 0
		.amdhsa_kernarg_size 304
		.amdhsa_user_sgpr_count 6
		.amdhsa_user_sgpr_private_segment_buffer 1
		.amdhsa_user_sgpr_dispatch_ptr 0
		.amdhsa_user_sgpr_queue_ptr 0
		.amdhsa_user_sgpr_kernarg_segment_ptr 1
		.amdhsa_user_sgpr_dispatch_id 0
		.amdhsa_user_sgpr_flat_scratch_init 0
		.amdhsa_user_sgpr_private_segment_size 0
		.amdhsa_wavefront_size32 1
		.amdhsa_uses_dynamic_stack 0
		.amdhsa_system_sgpr_private_segment_wavefront_offset 0
		.amdhsa_system_sgpr_workgroup_id_x 1
		.amdhsa_system_sgpr_workgroup_id_y 0
		.amdhsa_system_sgpr_workgroup_id_z 0
		.amdhsa_system_sgpr_workgroup_info 0
		.amdhsa_system_vgpr_workitem_id 1
		.amdhsa_next_free_vgpr 27
		.amdhsa_next_free_sgpr 24
		.amdhsa_reserve_vcc 1
		.amdhsa_reserve_flat_scratch 0
		.amdhsa_float_round_mode_32 0
		.amdhsa_float_round_mode_16_64 0
		.amdhsa_float_denorm_mode_32 3
		.amdhsa_float_denorm_mode_16_64 3
		.amdhsa_dx10_clamp 1
		.amdhsa_ieee_mode 1
		.amdhsa_fp16_overflow 0
		.amdhsa_workgroup_processor_mode 1
		.amdhsa_memory_ordered 1
		.amdhsa_forward_progress 1
		.amdhsa_shared_vgpr_count 0
		.amdhsa_exception_fp_ieee_invalid_op 0
		.amdhsa_exception_fp_denorm_src 0
		.amdhsa_exception_fp_ieee_div_zero 0
		.amdhsa_exception_fp_ieee_overflow 0
		.amdhsa_exception_fp_ieee_underflow 0
		.amdhsa_exception_fp_ieee_inexact 0
		.amdhsa_exception_int_div_zero 0
	.end_amdhsa_kernel
	.section	.text._ZN12_GLOBAL__N_120softmax_warp_forwardIN3c108BFloat16ES2_fLi7ELb0ELb1ELi32EEEvPT0_PKT_iiiPKbib,"axG",@progbits,_ZN12_GLOBAL__N_120softmax_warp_forwardIN3c108BFloat16ES2_fLi7ELb0ELb1ELi32EEEvPT0_PKT_iiiPKbib,comdat
.Lfunc_end759:
	.size	_ZN12_GLOBAL__N_120softmax_warp_forwardIN3c108BFloat16ES2_fLi7ELb0ELb1ELi32EEEvPT0_PKT_iiiPKbib, .Lfunc_end759-_ZN12_GLOBAL__N_120softmax_warp_forwardIN3c108BFloat16ES2_fLi7ELb0ELb1ELi32EEEvPT0_PKT_iiiPKbib
                                        ; -- End function
	.set _ZN12_GLOBAL__N_120softmax_warp_forwardIN3c108BFloat16ES2_fLi7ELb0ELb1ELi32EEEvPT0_PKT_iiiPKbib.num_vgpr, 27
	.set _ZN12_GLOBAL__N_120softmax_warp_forwardIN3c108BFloat16ES2_fLi7ELb0ELb1ELi32EEEvPT0_PKT_iiiPKbib.num_agpr, 0
	.set _ZN12_GLOBAL__N_120softmax_warp_forwardIN3c108BFloat16ES2_fLi7ELb0ELb1ELi32EEEvPT0_PKT_iiiPKbib.numbered_sgpr, 24
	.set _ZN12_GLOBAL__N_120softmax_warp_forwardIN3c108BFloat16ES2_fLi7ELb0ELb1ELi32EEEvPT0_PKT_iiiPKbib.num_named_barrier, 0
	.set _ZN12_GLOBAL__N_120softmax_warp_forwardIN3c108BFloat16ES2_fLi7ELb0ELb1ELi32EEEvPT0_PKT_iiiPKbib.private_seg_size, 0
	.set _ZN12_GLOBAL__N_120softmax_warp_forwardIN3c108BFloat16ES2_fLi7ELb0ELb1ELi32EEEvPT0_PKT_iiiPKbib.uses_vcc, 1
	.set _ZN12_GLOBAL__N_120softmax_warp_forwardIN3c108BFloat16ES2_fLi7ELb0ELb1ELi32EEEvPT0_PKT_iiiPKbib.uses_flat_scratch, 0
	.set _ZN12_GLOBAL__N_120softmax_warp_forwardIN3c108BFloat16ES2_fLi7ELb0ELb1ELi32EEEvPT0_PKT_iiiPKbib.has_dyn_sized_stack, 0
	.set _ZN12_GLOBAL__N_120softmax_warp_forwardIN3c108BFloat16ES2_fLi7ELb0ELb1ELi32EEEvPT0_PKT_iiiPKbib.has_recursion, 0
	.set _ZN12_GLOBAL__N_120softmax_warp_forwardIN3c108BFloat16ES2_fLi7ELb0ELb1ELi32EEEvPT0_PKT_iiiPKbib.has_indirect_call, 0
	.section	.AMDGPU.csdata,"",@progbits
; Kernel info:
; codeLenInByte = 5016
; TotalNumSgprs: 26
; NumVgprs: 27
; ScratchSize: 0
; MemoryBound: 0
; FloatMode: 240
; IeeeMode: 1
; LDSByteSize: 0 bytes/workgroup (compile time only)
; SGPRBlocks: 0
; VGPRBlocks: 3
; NumSGPRsForWavesPerEU: 26
; NumVGPRsForWavesPerEU: 27
; Occupancy: 16
; WaveLimiterHint : 0
; COMPUTE_PGM_RSRC2:SCRATCH_EN: 0
; COMPUTE_PGM_RSRC2:USER_SGPR: 6
; COMPUTE_PGM_RSRC2:TRAP_HANDLER: 0
; COMPUTE_PGM_RSRC2:TGID_X_EN: 1
; COMPUTE_PGM_RSRC2:TGID_Y_EN: 0
; COMPUTE_PGM_RSRC2:TGID_Z_EN: 0
; COMPUTE_PGM_RSRC2:TIDIG_COMP_CNT: 1
	.section	.text._ZN12_GLOBAL__N_120softmax_warp_forwardIN3c108BFloat16ES2_fLi8ELb0ELb1ELi64EEEvPT0_PKT_iiiPKbib,"axG",@progbits,_ZN12_GLOBAL__N_120softmax_warp_forwardIN3c108BFloat16ES2_fLi8ELb0ELb1ELi64EEEvPT0_PKT_iiiPKbib,comdat
	.globl	_ZN12_GLOBAL__N_120softmax_warp_forwardIN3c108BFloat16ES2_fLi8ELb0ELb1ELi64EEEvPT0_PKT_iiiPKbib ; -- Begin function _ZN12_GLOBAL__N_120softmax_warp_forwardIN3c108BFloat16ES2_fLi8ELb0ELb1ELi64EEEvPT0_PKT_iiiPKbib
	.p2align	8
	.type	_ZN12_GLOBAL__N_120softmax_warp_forwardIN3c108BFloat16ES2_fLi8ELb0ELb1ELi64EEEvPT0_PKT_iiiPKbib,@function
_ZN12_GLOBAL__N_120softmax_warp_forwardIN3c108BFloat16ES2_fLi8ELb0ELb1ELi64EEEvPT0_PKT_iiiPKbib: ; @_ZN12_GLOBAL__N_120softmax_warp_forwardIN3c108BFloat16ES2_fLi8ELb0ELb1ELi64EEEvPT0_PKT_iiiPKbib
; %bb.0:
	s_clause 0x1
	s_load_dword s0, s[4:5], 0x3c
	s_load_dwordx4 s[12:15], s[4:5], 0x10
	s_waitcnt lgkmcnt(0)
	s_lshr_b32 s0, s0, 16
	v_mad_u64_u32 v[1:2], null, s6, s0, v[1:2]
	s_load_dwordx2 s[0:1], s[4:5], 0x28
	v_mul_lo_u32 v6, v1, s13
	v_add_nc_u32_e32 v2, v6, v0
	v_ashrrev_i32_e32 v3, 31, v2
	s_waitcnt lgkmcnt(0)
	s_bitcmp0_b32 s1, 0
	v_mov_b32_e32 v5, v3
	v_mov_b32_e32 v4, v2
	s_cbranch_scc1 .LBB760_2
; %bb.1:
	s_abs_i32 s1, s0
	v_sub_nc_u32_e32 v7, 0, v6
	v_cvt_f32_u32_e32 v4, s1
	s_sub_i32 s2, 0, s1
	v_max_i32_e32 v7, v6, v7
	v_rcp_iflag_f32_e32 v4, v4
	v_xor_b32_e32 v6, s0, v6
	v_ashrrev_i32_e32 v6, 31, v6
	v_mul_f32_e32 v4, 0x4f7ffffe, v4
	v_cvt_u32_f32_e32 v4, v4
	v_mul_lo_u32 v5, s2, v4
	v_mul_hi_u32 v5, v4, v5
	v_add_nc_u32_e32 v4, v4, v5
	v_mul_hi_u32 v4, v7, v4
	v_mul_lo_u32 v5, v4, s1
	v_sub_nc_u32_e32 v5, v7, v5
	v_add_nc_u32_e32 v7, 1, v4
	v_subrev_nc_u32_e32 v8, s1, v5
	v_cmp_le_u32_e32 vcc_lo, s1, v5
	v_cndmask_b32_e32 v4, v4, v7, vcc_lo
	v_cndmask_b32_e32 v5, v5, v8, vcc_lo
	v_add_nc_u32_e32 v7, 1, v4
	v_cmp_le_u32_e32 vcc_lo, s1, v5
	v_cndmask_b32_e32 v4, v4, v7, vcc_lo
	v_xor_b32_e32 v4, v4, v6
	v_sub_nc_u32_e32 v4, v4, v6
	v_mad_u64_u32 v[4:5], null, v4, s13, v[0:1]
	v_ashrrev_i32_e32 v5, 31, v4
.LBB760_2:
	s_load_dwordx4 s[8:11], s[4:5], 0x0
	v_lshlrev_b64 v[13:14], 1, v[2:3]
	v_sub_nc_u32_e32 v17, s12, v1
	v_cmp_gt_i32_e32 vcc_lo, s14, v0
	v_mov_b32_e32 v8, 0xff800000
	v_mov_b32_e32 v1, 0xff800000
	v_cmp_lt_i32_e64 s3, 0, v17
	s_waitcnt lgkmcnt(0)
	v_add_co_u32 v6, s0, s10, v13
	v_add_co_ci_u32_e64 v7, null, s11, v14, s0
	s_and_b32 s10, s3, vcc_lo
	s_and_saveexec_b32 s0, s10
	s_cbranch_execz .LBB760_4
; %bb.3:
	global_load_ushort v1, v[6:7], off
	s_waitcnt vmcnt(0)
	v_lshlrev_b32_e32 v1, 16, v1
.LBB760_4:
	s_or_b32 exec_lo, exec_lo, s0
	v_add_nc_u32_e32 v2, 64, v0
	v_cmp_gt_i32_e64 s2, s14, v2
	s_and_b32 s11, s3, s2
	s_and_saveexec_b32 s0, s11
	s_cbranch_execz .LBB760_6
; %bb.5:
	global_load_ushort v2, v[6:7], off offset:128
	s_waitcnt vmcnt(0)
	v_lshlrev_b32_e32 v8, 16, v2
.LBB760_6:
	s_or_b32 exec_lo, exec_lo, s0
	v_add_nc_u32_e32 v2, 0x80, v0
	v_mov_b32_e32 v3, 0xff800000
	v_cmp_gt_i32_e64 s1, s14, v2
	v_mov_b32_e32 v2, 0xff800000
	s_and_b32 s7, s3, s1
	s_and_saveexec_b32 s0, s7
	s_cbranch_execz .LBB760_8
; %bb.7:
	global_load_ushort v2, v[6:7], off offset:256
	s_waitcnt vmcnt(0)
	v_lshlrev_b32_e32 v2, 16, v2
.LBB760_8:
	s_or_b32 exec_lo, exec_lo, s0
	v_add_nc_u32_e32 v0, 0xc0, v0
	v_cmp_gt_i32_e64 s0, s14, v0
	s_and_b32 s6, s3, s0
	s_and_saveexec_b32 s3, s6
	s_cbranch_execz .LBB760_10
; %bb.9:
	global_load_ushort v0, v[6:7], off offset:384
	s_waitcnt vmcnt(0)
	v_lshlrev_b32_e32 v3, 16, v0
.LBB760_10:
	s_or_b32 exec_lo, exec_lo, s3
	s_load_dwordx2 s[4:5], s[4:5], 0x20
	s_waitcnt lgkmcnt(0)
	v_add_co_u32 v15, s3, s4, v4
	v_add_co_ci_u32_e64 v16, null, s5, v5, s3
	s_mov_b32 s4, 0
	s_and_saveexec_b32 s5, s10
	s_cbranch_execz .LBB760_16
; %bb.11:
	global_load_ubyte v0, v[15:16], off
	s_waitcnt vmcnt(0)
	v_and_b32_e32 v0, 1, v0
	v_cmp_eq_u32_e64 s3, 1, v0
	s_xor_b32 s3, s3, -1
	s_and_b32 s4, s3, exec_lo
	s_or_b32 exec_lo, exec_lo, s5
	v_mov_b32_e32 v0, v1
	s_and_saveexec_b32 s5, s11
	s_cbranch_execnz .LBB760_17
.LBB760_12:
	s_or_b32 exec_lo, exec_lo, s5
	s_and_saveexec_b32 s5, s7
	s_cbranch_execz .LBB760_20
.LBB760_13:
	global_load_ubyte v4, v[15:16], off offset:128
	s_waitcnt vmcnt(0)
	v_and_b32_e32 v4, 1, v4
	v_cmp_eq_u32_e64 s3, 1, v4
	s_xor_b32 s13, s3, -1
	s_mov_b32 s3, s4
	s_and_saveexec_b32 s12, s13
; %bb.14:
	v_cmp_gt_f32_e64 s3, v0, v2
	s_and_b32 s3, s4, s3
	v_cndmask_b32_e64 v0, v2, v0, s3
	s_or_b32 s3, s4, exec_lo
; %bb.15:
	s_or_b32 exec_lo, exec_lo, s12
	s_andn2_b32 s4, s4, exec_lo
	s_and_b32 s3, s3, exec_lo
	s_or_b32 s4, s4, s3
	s_or_b32 exec_lo, exec_lo, s5
	s_and_saveexec_b32 s5, s6
	s_cbranch_execz .LBB760_24
	s_branch .LBB760_21
.LBB760_16:
	s_or_b32 exec_lo, exec_lo, s5
	v_mov_b32_e32 v0, v1
	s_and_saveexec_b32 s5, s11
	s_cbranch_execz .LBB760_12
.LBB760_17:
	global_load_ubyte v0, v[15:16], off offset:64
	s_waitcnt vmcnt(0)
	v_and_b32_e32 v0, 1, v0
	v_cmp_eq_u32_e64 s3, 1, v0
	v_mov_b32_e32 v0, v1
	s_xor_b32 s13, s3, -1
	s_mov_b32 s3, s4
	s_and_saveexec_b32 s12, s13
; %bb.18:
	v_cmp_gt_f32_e64 s3, v1, v8
	s_and_b32 s3, s4, s3
	v_cndmask_b32_e64 v0, v8, v1, s3
	s_or_b32 s3, s4, exec_lo
; %bb.19:
	s_or_b32 exec_lo, exec_lo, s12
	s_andn2_b32 s4, s4, exec_lo
	s_and_b32 s3, s3, exec_lo
	s_or_b32 s4, s4, s3
	s_or_b32 exec_lo, exec_lo, s5
	s_and_saveexec_b32 s5, s7
	s_cbranch_execnz .LBB760_13
.LBB760_20:
	s_or_b32 exec_lo, exec_lo, s5
	s_and_saveexec_b32 s5, s6
	s_cbranch_execz .LBB760_24
.LBB760_21:
	global_load_ubyte v4, v[15:16], off offset:192
	s_waitcnt vmcnt(0)
	v_and_b32_e32 v4, 1, v4
	v_cmp_eq_u32_e64 s3, 1, v4
	s_xor_b32 s13, s3, -1
	s_mov_b32 s3, s4
	s_and_saveexec_b32 s12, s13
; %bb.22:
	v_cmp_gt_f32_e64 s3, v0, v3
	s_and_b32 s3, s4, s3
	v_cndmask_b32_e64 v0, v3, v0, s3
	s_or_b32 s3, s4, exec_lo
; %bb.23:
	s_or_b32 exec_lo, exec_lo, s12
	s_andn2_b32 s4, s4, exec_lo
	s_and_b32 s3, s3, exec_lo
	s_or_b32 s4, s4, s3
.LBB760_24:
	s_or_b32 exec_lo, exec_lo, s5
	v_mbcnt_lo_u32_b32 v4, -1, 0
	v_cndmask_b32_e64 v0, 0xff800000, v0, s4
	s_xor_b32 s4, s11, -1
	v_or_b32_e32 v5, 32, v4
	v_xor_b32_e32 v6, 16, v4
	v_cmp_gt_i32_e64 s3, 64, v5
	v_cndmask_b32_e64 v5, v4, v5, s3
	v_cmp_gt_i32_e64 s3, 64, v6
	v_lshlrev_b32_e32 v18, 2, v5
	v_cndmask_b32_e64 v6, v4, v6, s3
	ds_bpermute_b32 v5, v18, v0
	v_lshlrev_b32_e32 v19, 2, v6
	v_xor_b32_e32 v6, 8, v4
	s_waitcnt lgkmcnt(0)
	v_cmp_lt_f32_e64 s3, v0, v5
	v_cndmask_b32_e64 v0, v0, v5, s3
	v_cmp_gt_i32_e64 s3, 64, v6
	ds_bpermute_b32 v5, v19, v0
	v_cndmask_b32_e64 v6, v4, v6, s3
	v_lshlrev_b32_e32 v20, 2, v6
	v_xor_b32_e32 v6, 4, v4
	s_waitcnt lgkmcnt(0)
	v_cmp_lt_f32_e64 s3, v0, v5
	v_cndmask_b32_e64 v0, v0, v5, s3
	v_cmp_gt_i32_e64 s3, 64, v6
	ds_bpermute_b32 v5, v20, v0
	v_cndmask_b32_e64 v6, v4, v6, s3
	;; [unrolled: 8-line block ×4, first 2 shown]
	v_lshlrev_b32_e32 v23, 2, v4
	s_waitcnt lgkmcnt(0)
	v_cmp_lt_f32_e64 s3, v0, v5
	v_cndmask_b32_e64 v0, v0, v5, s3
	ds_bpermute_b32 v4, v23, v0
	s_waitcnt lgkmcnt(0)
	v_cmp_lt_f32_e64 s3, v0, v4
	v_cndmask_b32_e64 v24, v0, v4, s3
	v_mov_b32_e32 v0, 0
	s_and_saveexec_b32 s5, s10
	s_cbranch_execz .LBB760_28
; %bb.25:
	global_load_ubyte v0, v[15:16], off
	s_waitcnt vmcnt(0)
	v_and_b32_e32 v0, 1, v0
	v_cmp_eq_u32_e64 s3, 1, v0
	v_mov_b32_e32 v0, 0
	s_xor_b32 s3, s3, -1
	s_and_saveexec_b32 s10, s3
	s_cbranch_execz .LBB760_27
; %bb.26:
	v_sub_f32_e32 v0, v1, v24
	v_mul_f32_e32 v1, 0x3fb8aa3b, v0
	v_cmp_ngt_f32_e64 s3, 0xc2ce8ed0, v0
	v_fma_f32 v4, 0x3fb8aa3b, v0, -v1
	v_rndne_f32_e32 v5, v1
	v_fmamk_f32 v4, v0, 0x32a5705f, v4
	v_sub_f32_e32 v1, v1, v5
	v_add_f32_e32 v1, v1, v4
	v_cvt_i32_f32_e32 v4, v5
	v_exp_f32_e32 v1, v1
	v_ldexp_f32 v1, v1, v4
	v_cndmask_b32_e64 v1, 0, v1, s3
	v_cmp_nlt_f32_e64 s3, 0x42b17218, v0
	v_cndmask_b32_e64 v0, 0x7f800000, v1, s3
.LBB760_27:
	s_or_b32 exec_lo, exec_lo, s10
.LBB760_28:
	s_or_b32 exec_lo, exec_lo, s5
                                        ; implicit-def: $vgpr9_vgpr10_vgpr11_vgpr12
	s_and_saveexec_b32 s3, s4
	s_xor_b32 s3, exec_lo, s3
	s_cbranch_execz .LBB760_34
; %bb.29:
	s_mov_b32 s4, 0
                                        ; implicit-def: $vgpr8
	v_mov_b32_e32 v1, s4
	v_mov_b32_e32 v12, v3
	;; [unrolled: 1-line block ×5, first 2 shown]
	s_or_saveexec_b32 s5, s3
	s_xor_b32 s4, s7, -1
	s_xor_b32 exec_lo, exec_lo, s5
	s_cbranch_execnz .LBB760_35
.LBB760_30:
	s_or_b32 exec_lo, exec_lo, s5
                                        ; implicit-def: $vgpr5_vgpr6_vgpr7_vgpr8
	s_and_saveexec_b32 s3, s4
	s_xor_b32 s3, exec_lo, s3
	s_cbranch_execz .LBB760_38
.LBB760_31:
	s_mov_b32 s4, 0
	v_mov_b32_e32 v11, s4
	v_mov_b32_e32 v5, v9
	;; [unrolled: 1-line block ×5, first 2 shown]
                                        ; implicit-def: $vgpr9_vgpr10_vgpr11_vgpr12
	s_or_saveexec_b32 s5, s3
	s_xor_b32 s4, s6, -1
	s_xor_b32 exec_lo, exec_lo, s5
	s_cbranch_execnz .LBB760_39
.LBB760_32:
	s_or_b32 exec_lo, exec_lo, s5
                                        ; implicit-def: $vgpr1_vgpr2_vgpr3_vgpr4
	s_and_saveexec_b32 s3, s4
	s_xor_b32 s3, exec_lo, s3
	s_cbranch_execz .LBB760_42
.LBB760_33:
	s_mov_b32 s4, 0
                                        ; implicit-def: $vgpr15_vgpr16
                                        ; implicit-def: $vgpr24
	v_mov_b32_e32 v8, s4
	v_mov_b32_e32 v1, v5
	;; [unrolled: 1-line block ×5, first 2 shown]
                                        ; implicit-def: $vgpr5_vgpr6_vgpr7_vgpr8
	s_andn2_saveexec_b32 s4, s3
	s_cbranch_execz .LBB760_46
	s_branch .LBB760_43
.LBB760_34:
	s_or_saveexec_b32 s5, s3
	s_xor_b32 s4, s7, -1
	s_xor_b32 exec_lo, exec_lo, s5
	s_cbranch_execz .LBB760_30
.LBB760_35:
	global_load_ubyte v4, v[15:16], off offset:64
	s_mov_b32 s7, 0
	v_mov_b32_e32 v12, v3
	v_mov_b32_e32 v10, v1
	;; [unrolled: 1-line block ×5, first 2 shown]
	s_waitcnt vmcnt(0)
	v_and_b32_e32 v4, 1, v4
	v_cmp_eq_u32_e64 s3, 1, v4
	s_xor_b32 s3, s3, -1
	s_and_saveexec_b32 s7, s3
	s_xor_b32 s7, exec_lo, s7
	s_cbranch_execz .LBB760_37
; %bb.36:
	v_sub_f32_e32 v1, v8, v24
	v_mul_f32_e32 v4, 0x3fb8aa3b, v1
	v_cmp_ngt_f32_e64 s3, 0xc2ce8ed0, v1
	v_fma_f32 v5, 0x3fb8aa3b, v1, -v4
	v_rndne_f32_e32 v6, v4
	v_fmamk_f32 v5, v1, 0x32a5705f, v5
	v_sub_f32_e32 v4, v4, v6
	v_add_f32_e32 v4, v4, v5
	v_cvt_i32_f32_e32 v5, v6
	v_exp_f32_e32 v4, v4
	v_ldexp_f32 v4, v4, v5
	v_cndmask_b32_e64 v4, 0, v4, s3
	v_cmp_nlt_f32_e64 s3, 0x42b17218, v1
	v_cndmask_b32_e64 v1, 0x7f800000, v4, s3
	v_mov_b32_e32 v12, v3
	v_mov_b32_e32 v11, v2
	;; [unrolled: 1-line block ×3, first 2 shown]
	v_add_f32_e32 v4, v0, v1
	v_mov_b32_e32 v10, v1
	v_mov_b32_e32 v0, v4
.LBB760_37:
	s_andn2_saveexec_b32 s3, s7
	s_or_b32 exec_lo, exec_lo, s3
	s_or_b32 exec_lo, exec_lo, s5
                                        ; implicit-def: $vgpr5_vgpr6_vgpr7_vgpr8
	s_and_saveexec_b32 s3, s4
	s_xor_b32 s3, exec_lo, s3
	s_cbranch_execnz .LBB760_31
.LBB760_38:
	s_or_saveexec_b32 s5, s3
	s_xor_b32 s4, s6, -1
	s_xor_b32 exec_lo, exec_lo, s5
	s_cbranch_execz .LBB760_32
.LBB760_39:
	global_load_ubyte v1, v[15:16], off offset:128
	s_mov_b32 s6, 0
	v_mov_b32_e32 v5, v9
	v_mov_b32_e32 v7, v11
	;; [unrolled: 1-line block ×5, first 2 shown]
	s_waitcnt vmcnt(0)
	v_and_b32_e32 v1, 1, v1
	v_cmp_eq_u32_e64 s3, 1, v1
	s_xor_b32 s3, s3, -1
	s_and_saveexec_b32 s6, s3
	s_xor_b32 s6, exec_lo, s6
	s_cbranch_execz .LBB760_41
; %bb.40:
	v_sub_f32_e32 v1, v11, v24
	v_mul_f32_e32 v2, 0x3fb8aa3b, v1
	v_cmp_ngt_f32_e64 s3, 0xc2ce8ed0, v1
	v_fma_f32 v3, 0x3fb8aa3b, v1, -v2
	v_rndne_f32_e32 v4, v2
	v_fmamk_f32 v3, v1, 0x32a5705f, v3
	v_sub_f32_e32 v2, v2, v4
	v_add_f32_e32 v2, v2, v3
	v_cvt_i32_f32_e32 v3, v4
	v_exp_f32_e32 v2, v2
	v_ldexp_f32 v2, v2, v3
	v_cndmask_b32_e64 v2, 0, v2, s3
	v_cmp_nlt_f32_e64 s3, 0x42b17218, v1
	v_cndmask_b32_e64 v11, 0x7f800000, v2, s3
	v_mov_b32_e32 v5, v9
	v_mov_b32_e32 v6, v10
	;; [unrolled: 1-line block ×3, first 2 shown]
	v_add_f32_e32 v0, v0, v11
	v_mov_b32_e32 v7, v11
.LBB760_41:
	s_andn2_saveexec_b32 s3, s6
	s_or_b32 exec_lo, exec_lo, s3
	s_or_b32 exec_lo, exec_lo, s5
                                        ; implicit-def: $vgpr1_vgpr2_vgpr3_vgpr4
	s_and_saveexec_b32 s3, s4
	s_xor_b32 s3, exec_lo, s3
	s_cbranch_execnz .LBB760_33
.LBB760_42:
	s_andn2_saveexec_b32 s4, s3
	s_cbranch_execz .LBB760_46
.LBB760_43:
	global_load_ubyte v1, v[15:16], off offset:192
	s_mov_b32 s5, 0
	s_waitcnt vmcnt(0)
	v_and_b32_e32 v1, 1, v1
	v_cmp_eq_u32_e64 s3, 1, v1
	v_mov_b32_e32 v1, v5
	v_mov_b32_e32 v4, v8
	;; [unrolled: 1-line block ×5, first 2 shown]
	s_xor_b32 s3, s3, -1
	s_and_saveexec_b32 s5, s3
	s_xor_b32 s5, exec_lo, s5
	s_cbranch_execz .LBB760_45
; %bb.44:
	v_sub_f32_e32 v1, v8, v24
	v_mul_f32_e32 v2, 0x3fb8aa3b, v1
	v_cmp_ngt_f32_e64 s3, 0xc2ce8ed0, v1
	v_fma_f32 v3, 0x3fb8aa3b, v1, -v2
	v_rndne_f32_e32 v4, v2
	v_fmamk_f32 v3, v1, 0x32a5705f, v3
	v_sub_f32_e32 v2, v2, v4
	v_add_f32_e32 v2, v2, v3
	v_cvt_i32_f32_e32 v3, v4
	v_exp_f32_e32 v2, v2
	v_ldexp_f32 v2, v2, v3
	v_cndmask_b32_e64 v2, 0, v2, s3
	v_cmp_nlt_f32_e64 s3, 0x42b17218, v1
	v_cndmask_b32_e64 v8, 0x7f800000, v2, s3
	v_mov_b32_e32 v1, v5
	v_mov_b32_e32 v2, v6
	;; [unrolled: 1-line block ×3, first 2 shown]
	v_add_f32_e32 v0, v0, v8
	v_mov_b32_e32 v4, v8
.LBB760_45:
	s_andn2_saveexec_b32 s3, s5
	s_or_b32 exec_lo, exec_lo, s3
.LBB760_46:
	s_or_b32 exec_lo, exec_lo, s4
	ds_bpermute_b32 v5, v18, v0
	s_mov_b32 s4, exec_lo
	s_waitcnt lgkmcnt(0)
	v_add_f32_e32 v0, v0, v5
	ds_bpermute_b32 v5, v19, v0
	s_waitcnt lgkmcnt(0)
	v_add_f32_e32 v0, v0, v5
	ds_bpermute_b32 v5, v20, v0
	;; [unrolled: 3-line block ×5, first 2 shown]
	v_cmpx_lt_i32_e32 0, v17
	s_cbranch_execz .LBB760_60
; %bb.47:
	s_and_b32 exec_lo, exec_lo, vcc_lo
	s_cbranch_execz .LBB760_60
; %bb.48:
	s_waitcnt lgkmcnt(0)
	v_add_f32_e32 v5, v0, v5
	v_mov_b32_e32 v6, 0x7fc0
	v_cmp_neq_f32_e64 s3, 0, v5
	s_and_saveexec_b32 s4, s3
	s_cbranch_execz .LBB760_50
; %bb.49:
	v_div_scale_f32 v0, null, v5, v5, v1
	v_div_scale_f32 v8, vcc_lo, v1, v5, v1
	v_rcp_f32_e32 v6, v0
	v_fma_f32 v7, -v0, v6, 1.0
	v_fmac_f32_e32 v6, v7, v6
	v_mul_f32_e32 v7, v8, v6
	v_fma_f32 v9, -v0, v7, v8
	v_fmac_f32_e32 v7, v9, v6
	v_fma_f32 v0, -v0, v7, v8
	v_div_fmas_f32 v0, v0, v6, v7
	v_div_fixup_f32 v0, v0, v5, v1
	v_bfe_u32 v1, v0, 16, 1
	v_cmp_o_f32_e32 vcc_lo, v0, v0
	v_add3_u32 v0, v0, v1, 0x7fff
	v_mov_b32_e32 v1, 0x7fc0
	v_cndmask_b32_sdwa v6, v1, v0, vcc_lo dst_sel:DWORD dst_unused:UNUSED_PAD src0_sel:DWORD src1_sel:WORD_1
.LBB760_50:
	s_or_b32 exec_lo, exec_lo, s4
	v_add_co_u32 v0, vcc_lo, s8, v13
	v_add_co_ci_u32_e64 v1, null, s9, v14, vcc_lo
	global_store_short v[0:1], v6, off
	s_and_b32 exec_lo, exec_lo, s2
	s_cbranch_execz .LBB760_60
; %bb.51:
	v_mov_b32_e32 v6, 0x7fc0
	s_and_saveexec_b32 s2, s3
	s_cbranch_execz .LBB760_53
; %bb.52:
	v_div_scale_f32 v6, null, v5, v5, v2
	v_div_scale_f32 v9, vcc_lo, v2, v5, v2
	v_rcp_f32_e32 v7, v6
	v_fma_f32 v8, -v6, v7, 1.0
	v_fmac_f32_e32 v7, v8, v7
	v_mul_f32_e32 v8, v9, v7
	v_fma_f32 v10, -v6, v8, v9
	v_fmac_f32_e32 v8, v10, v7
	v_fma_f32 v6, -v6, v8, v9
	v_div_fmas_f32 v6, v6, v7, v8
	v_div_fixup_f32 v2, v6, v5, v2
	v_bfe_u32 v6, v2, 16, 1
	v_cmp_o_f32_e32 vcc_lo, v2, v2
	v_add3_u32 v2, v2, v6, 0x7fff
	v_mov_b32_e32 v6, 0x7fc0
	v_cndmask_b32_sdwa v6, v6, v2, vcc_lo dst_sel:DWORD dst_unused:UNUSED_PAD src0_sel:DWORD src1_sel:WORD_1
.LBB760_53:
	s_or_b32 exec_lo, exec_lo, s2
	global_store_short v[0:1], v6, off offset:128
	s_and_b32 exec_lo, exec_lo, s1
	s_cbranch_execz .LBB760_60
; %bb.54:
	v_mov_b32_e32 v2, 0x7fc0
	s_and_saveexec_b32 s1, s3
	s_cbranch_execz .LBB760_56
; %bb.55:
	v_div_scale_f32 v2, null, v5, v5, v3
	v_div_scale_f32 v8, vcc_lo, v3, v5, v3
	v_rcp_f32_e32 v6, v2
	v_fma_f32 v7, -v2, v6, 1.0
	v_fmac_f32_e32 v6, v7, v6
	v_mul_f32_e32 v7, v8, v6
	v_fma_f32 v9, -v2, v7, v8
	v_fmac_f32_e32 v7, v9, v6
	v_fma_f32 v2, -v2, v7, v8
	v_div_fmas_f32 v2, v2, v6, v7
	v_div_fixup_f32 v2, v2, v5, v3
	v_bfe_u32 v3, v2, 16, 1
	v_cmp_o_f32_e32 vcc_lo, v2, v2
	v_add3_u32 v2, v2, v3, 0x7fff
	v_mov_b32_e32 v3, 0x7fc0
	v_cndmask_b32_sdwa v2, v3, v2, vcc_lo dst_sel:DWORD dst_unused:UNUSED_PAD src0_sel:DWORD src1_sel:WORD_1
.LBB760_56:
	s_or_b32 exec_lo, exec_lo, s1
	global_store_short v[0:1], v2, off offset:256
	;; [unrolled: 26-line block ×3, first 2 shown]
.LBB760_60:
	s_endpgm
	.section	.rodata,"a",@progbits
	.p2align	6, 0x0
	.amdhsa_kernel _ZN12_GLOBAL__N_120softmax_warp_forwardIN3c108BFloat16ES2_fLi8ELb0ELb1ELi64EEEvPT0_PKT_iiiPKbib
		.amdhsa_group_segment_fixed_size 0
		.amdhsa_private_segment_fixed_size 0
		.amdhsa_kernarg_size 304
		.amdhsa_user_sgpr_count 6
		.amdhsa_user_sgpr_private_segment_buffer 1
		.amdhsa_user_sgpr_dispatch_ptr 0
		.amdhsa_user_sgpr_queue_ptr 0
		.amdhsa_user_sgpr_kernarg_segment_ptr 1
		.amdhsa_user_sgpr_dispatch_id 0
		.amdhsa_user_sgpr_flat_scratch_init 0
		.amdhsa_user_sgpr_private_segment_size 0
		.amdhsa_wavefront_size32 1
		.amdhsa_uses_dynamic_stack 0
		.amdhsa_system_sgpr_private_segment_wavefront_offset 0
		.amdhsa_system_sgpr_workgroup_id_x 1
		.amdhsa_system_sgpr_workgroup_id_y 0
		.amdhsa_system_sgpr_workgroup_id_z 0
		.amdhsa_system_sgpr_workgroup_info 0
		.amdhsa_system_vgpr_workitem_id 1
		.amdhsa_next_free_vgpr 25
		.amdhsa_next_free_sgpr 16
		.amdhsa_reserve_vcc 1
		.amdhsa_reserve_flat_scratch 0
		.amdhsa_float_round_mode_32 0
		.amdhsa_float_round_mode_16_64 0
		.amdhsa_float_denorm_mode_32 3
		.amdhsa_float_denorm_mode_16_64 3
		.amdhsa_dx10_clamp 1
		.amdhsa_ieee_mode 1
		.amdhsa_fp16_overflow 0
		.amdhsa_workgroup_processor_mode 1
		.amdhsa_memory_ordered 1
		.amdhsa_forward_progress 1
		.amdhsa_shared_vgpr_count 0
		.amdhsa_exception_fp_ieee_invalid_op 0
		.amdhsa_exception_fp_denorm_src 0
		.amdhsa_exception_fp_ieee_div_zero 0
		.amdhsa_exception_fp_ieee_overflow 0
		.amdhsa_exception_fp_ieee_underflow 0
		.amdhsa_exception_fp_ieee_inexact 0
		.amdhsa_exception_int_div_zero 0
	.end_amdhsa_kernel
	.section	.text._ZN12_GLOBAL__N_120softmax_warp_forwardIN3c108BFloat16ES2_fLi8ELb0ELb1ELi64EEEvPT0_PKT_iiiPKbib,"axG",@progbits,_ZN12_GLOBAL__N_120softmax_warp_forwardIN3c108BFloat16ES2_fLi8ELb0ELb1ELi64EEEvPT0_PKT_iiiPKbib,comdat
.Lfunc_end760:
	.size	_ZN12_GLOBAL__N_120softmax_warp_forwardIN3c108BFloat16ES2_fLi8ELb0ELb1ELi64EEEvPT0_PKT_iiiPKbib, .Lfunc_end760-_ZN12_GLOBAL__N_120softmax_warp_forwardIN3c108BFloat16ES2_fLi8ELb0ELb1ELi64EEEvPT0_PKT_iiiPKbib
                                        ; -- End function
	.set _ZN12_GLOBAL__N_120softmax_warp_forwardIN3c108BFloat16ES2_fLi8ELb0ELb1ELi64EEEvPT0_PKT_iiiPKbib.num_vgpr, 25
	.set _ZN12_GLOBAL__N_120softmax_warp_forwardIN3c108BFloat16ES2_fLi8ELb0ELb1ELi64EEEvPT0_PKT_iiiPKbib.num_agpr, 0
	.set _ZN12_GLOBAL__N_120softmax_warp_forwardIN3c108BFloat16ES2_fLi8ELb0ELb1ELi64EEEvPT0_PKT_iiiPKbib.numbered_sgpr, 16
	.set _ZN12_GLOBAL__N_120softmax_warp_forwardIN3c108BFloat16ES2_fLi8ELb0ELb1ELi64EEEvPT0_PKT_iiiPKbib.num_named_barrier, 0
	.set _ZN12_GLOBAL__N_120softmax_warp_forwardIN3c108BFloat16ES2_fLi8ELb0ELb1ELi64EEEvPT0_PKT_iiiPKbib.private_seg_size, 0
	.set _ZN12_GLOBAL__N_120softmax_warp_forwardIN3c108BFloat16ES2_fLi8ELb0ELb1ELi64EEEvPT0_PKT_iiiPKbib.uses_vcc, 1
	.set _ZN12_GLOBAL__N_120softmax_warp_forwardIN3c108BFloat16ES2_fLi8ELb0ELb1ELi64EEEvPT0_PKT_iiiPKbib.uses_flat_scratch, 0
	.set _ZN12_GLOBAL__N_120softmax_warp_forwardIN3c108BFloat16ES2_fLi8ELb0ELb1ELi64EEEvPT0_PKT_iiiPKbib.has_dyn_sized_stack, 0
	.set _ZN12_GLOBAL__N_120softmax_warp_forwardIN3c108BFloat16ES2_fLi8ELb0ELb1ELi64EEEvPT0_PKT_iiiPKbib.has_recursion, 0
	.set _ZN12_GLOBAL__N_120softmax_warp_forwardIN3c108BFloat16ES2_fLi8ELb0ELb1ELi64EEEvPT0_PKT_iiiPKbib.has_indirect_call, 0
	.section	.AMDGPU.csdata,"",@progbits
; Kernel info:
; codeLenInByte = 2920
; TotalNumSgprs: 18
; NumVgprs: 25
; ScratchSize: 0
; MemoryBound: 0
; FloatMode: 240
; IeeeMode: 1
; LDSByteSize: 0 bytes/workgroup (compile time only)
; SGPRBlocks: 0
; VGPRBlocks: 3
; NumSGPRsForWavesPerEU: 18
; NumVGPRsForWavesPerEU: 25
; Occupancy: 16
; WaveLimiterHint : 0
; COMPUTE_PGM_RSRC2:SCRATCH_EN: 0
; COMPUTE_PGM_RSRC2:USER_SGPR: 6
; COMPUTE_PGM_RSRC2:TRAP_HANDLER: 0
; COMPUTE_PGM_RSRC2:TGID_X_EN: 1
; COMPUTE_PGM_RSRC2:TGID_Y_EN: 0
; COMPUTE_PGM_RSRC2:TGID_Z_EN: 0
; COMPUTE_PGM_RSRC2:TIDIG_COMP_CNT: 1
	.section	.text._ZN12_GLOBAL__N_120softmax_warp_forwardIN3c108BFloat16ES2_fLi8ELb0ELb1ELi32EEEvPT0_PKT_iiiPKbib,"axG",@progbits,_ZN12_GLOBAL__N_120softmax_warp_forwardIN3c108BFloat16ES2_fLi8ELb0ELb1ELi32EEEvPT0_PKT_iiiPKbib,comdat
	.globl	_ZN12_GLOBAL__N_120softmax_warp_forwardIN3c108BFloat16ES2_fLi8ELb0ELb1ELi32EEEvPT0_PKT_iiiPKbib ; -- Begin function _ZN12_GLOBAL__N_120softmax_warp_forwardIN3c108BFloat16ES2_fLi8ELb0ELb1ELi32EEEvPT0_PKT_iiiPKbib
	.p2align	8
	.type	_ZN12_GLOBAL__N_120softmax_warp_forwardIN3c108BFloat16ES2_fLi8ELb0ELb1ELi32EEEvPT0_PKT_iiiPKbib,@function
_ZN12_GLOBAL__N_120softmax_warp_forwardIN3c108BFloat16ES2_fLi8ELb0ELb1ELi32EEEvPT0_PKT_iiiPKbib: ; @_ZN12_GLOBAL__N_120softmax_warp_forwardIN3c108BFloat16ES2_fLi8ELb0ELb1ELi32EEEvPT0_PKT_iiiPKbib
; %bb.0:
	s_clause 0x1
	s_load_dword s0, s[4:5], 0x3c
	s_load_dwordx4 s[8:11], s[4:5], 0x10
	s_waitcnt lgkmcnt(0)
	s_lshr_b32 s0, s0, 16
	v_mad_u64_u32 v[1:2], null, s6, s0, v[1:2]
	s_load_dwordx2 s[0:1], s[4:5], 0x28
	v_mul_lo_u32 v4, v1, s9
	v_add_nc_u32_e32 v2, v4, v0
	v_ashrrev_i32_e32 v3, 31, v2
	s_waitcnt lgkmcnt(0)
	s_bitcmp0_b32 s1, 0
	v_mov_b32_e32 v9, v3
	v_mov_b32_e32 v8, v2
	s_cbranch_scc1 .LBB761_2
; %bb.1:
	s_abs_i32 s1, s0
	v_sub_nc_u32_e32 v7, 0, v4
	v_cvt_f32_u32_e32 v5, s1
	s_sub_i32 s2, 0, s1
	v_max_i32_e32 v7, v4, v7
	v_rcp_iflag_f32_e32 v5, v5
	v_xor_b32_e32 v4, s0, v4
	v_ashrrev_i32_e32 v4, 31, v4
	v_mul_f32_e32 v5, 0x4f7ffffe, v5
	v_cvt_u32_f32_e32 v5, v5
	v_mul_lo_u32 v6, s2, v5
	v_mul_hi_u32 v6, v5, v6
	v_add_nc_u32_e32 v5, v5, v6
	v_mul_hi_u32 v5, v7, v5
	v_mul_lo_u32 v6, v5, s1
	v_sub_nc_u32_e32 v6, v7, v6
	v_add_nc_u32_e32 v7, 1, v5
	v_subrev_nc_u32_e32 v8, s1, v6
	v_cmp_le_u32_e32 vcc_lo, s1, v6
	v_cndmask_b32_e32 v5, v5, v7, vcc_lo
	v_cndmask_b32_e32 v6, v6, v8, vcc_lo
	v_add_nc_u32_e32 v7, 1, v5
	v_cmp_le_u32_e32 vcc_lo, s1, v6
	v_cndmask_b32_e32 v5, v5, v7, vcc_lo
	v_xor_b32_e32 v5, v5, v4
	v_sub_nc_u32_e32 v4, v5, v4
	v_mad_u64_u32 v[8:9], null, v4, s9, v[0:1]
	v_ashrrev_i32_e32 v9, 31, v8
.LBB761_2:
	s_load_dwordx4 s[12:15], s[4:5], 0x0
	v_lshlrev_b64 v[24:25], 1, v[2:3]
	v_sub_nc_u32_e32 v28, s8, v1
	v_cmp_gt_i32_e32 vcc_lo, s10, v0
	v_mov_b32_e32 v16, 0xff800000
	v_mov_b32_e32 v1, 0xff800000
	v_cmp_lt_i32_e64 s9, 0, v28
	s_and_b32 s18, s9, vcc_lo
	s_waitcnt lgkmcnt(0)
	v_add_co_u32 v10, s0, s14, v24
	v_add_co_ci_u32_e64 v11, null, s15, v25, s0
	s_and_saveexec_b32 s0, s18
	s_cbranch_execz .LBB761_4
; %bb.3:
	global_load_ushort v1, v[10:11], off
	s_waitcnt vmcnt(0)
	v_lshlrev_b32_e32 v1, 16, v1
.LBB761_4:
	s_or_b32 exec_lo, exec_lo, s0
	v_add_nc_u32_e32 v2, 32, v0
	v_cmp_gt_i32_e64 s8, s10, v2
	s_and_b32 s19, s9, s8
	s_and_saveexec_b32 s0, s19
	s_cbranch_execz .LBB761_6
; %bb.5:
	global_load_ushort v2, v[10:11], off offset:64
	s_waitcnt vmcnt(0)
	v_lshlrev_b32_e32 v16, 16, v2
.LBB761_6:
	s_or_b32 exec_lo, exec_lo, s0
	v_add_nc_u32_e32 v2, 64, v0
	v_mov_b32_e32 v3, 0xff800000
	v_cmp_gt_i32_e64 s7, s10, v2
	v_mov_b32_e32 v2, 0xff800000
	s_and_b32 s17, s9, s7
	s_and_saveexec_b32 s0, s17
	s_cbranch_execz .LBB761_8
; %bb.7:
	global_load_ushort v2, v[10:11], off offset:128
	s_waitcnt vmcnt(0)
	v_lshlrev_b32_e32 v2, 16, v2
.LBB761_8:
	s_or_b32 exec_lo, exec_lo, s0
	v_add_nc_u32_e32 v4, 0x60, v0
	v_cmp_gt_i32_e64 s6, s10, v4
	s_and_b32 s16, s9, s6
	s_and_saveexec_b32 s0, s16
	s_cbranch_execz .LBB761_10
; %bb.9:
	global_load_ushort v3, v[10:11], off offset:192
	s_waitcnt vmcnt(0)
	v_lshlrev_b32_e32 v3, 16, v3
.LBB761_10:
	s_or_b32 exec_lo, exec_lo, s0
	v_add_nc_u32_e32 v4, 0x80, v0
	v_mov_b32_e32 v5, 0xff800000
	v_cmp_gt_i32_e64 s3, s10, v4
	v_mov_b32_e32 v4, 0xff800000
	s_and_b32 s15, s9, s3
	s_and_saveexec_b32 s0, s15
	s_cbranch_execz .LBB761_12
; %bb.11:
	global_load_ushort v4, v[10:11], off offset:256
	s_waitcnt vmcnt(0)
	v_lshlrev_b32_e32 v4, 16, v4
.LBB761_12:
	;; [unrolled: 24-line block ×3, first 2 shown]
	s_or_b32 exec_lo, exec_lo, s0
	v_add_nc_u32_e32 v0, 0xe0, v0
	v_cmp_gt_i32_e64 s0, s10, v0
	s_and_b32 s9, s9, s0
	s_and_saveexec_b32 s10, s9
	s_cbranch_execz .LBB761_18
; %bb.17:
	global_load_ushort v0, v[10:11], off offset:448
	s_waitcnt vmcnt(0)
	v_lshlrev_b32_e32 v7, 16, v0
.LBB761_18:
	s_or_b32 exec_lo, exec_lo, s10
	s_load_dwordx2 s[4:5], s[4:5], 0x20
	s_waitcnt lgkmcnt(0)
	v_add_co_u32 v26, s4, s4, v8
	v_add_co_ci_u32_e64 v27, null, s5, v9, s4
	s_mov_b32 s5, 0
	s_and_saveexec_b32 s10, s18
	s_cbranch_execz .LBB761_32
; %bb.19:
	global_load_ubyte v0, v[26:27], off
	s_waitcnt vmcnt(0)
	v_and_b32_e32 v0, 1, v0
	v_cmp_eq_u32_e64 s4, 1, v0
	s_xor_b32 s4, s4, -1
	s_and_b32 s5, s4, exec_lo
	s_or_b32 exec_lo, exec_lo, s10
	v_mov_b32_e32 v0, v1
	s_and_saveexec_b32 s10, s19
	s_cbranch_execnz .LBB761_33
.LBB761_20:
	s_or_b32 exec_lo, exec_lo, s10
	s_and_saveexec_b32 s10, s17
	s_cbranch_execz .LBB761_36
.LBB761_21:
	global_load_ubyte v8, v[26:27], off offset:64
	s_waitcnt vmcnt(0)
	v_and_b32_e32 v8, 1, v8
	v_cmp_eq_u32_e64 s4, 1, v8
	s_xor_b32 s21, s4, -1
	s_mov_b32 s4, s5
	s_and_saveexec_b32 s20, s21
; %bb.22:
	v_cmp_gt_f32_e64 s4, v0, v2
	s_and_b32 s4, s5, s4
	v_cndmask_b32_e64 v0, v2, v0, s4
	s_or_b32 s4, s5, exec_lo
; %bb.23:
	s_or_b32 exec_lo, exec_lo, s20
	s_andn2_b32 s5, s5, exec_lo
	s_and_b32 s4, s4, exec_lo
	s_or_b32 s5, s5, s4
	s_or_b32 exec_lo, exec_lo, s10
	s_and_saveexec_b32 s10, s16
	s_cbranch_execnz .LBB761_37
.LBB761_24:
	s_or_b32 exec_lo, exec_lo, s10
	s_and_saveexec_b32 s10, s15
	s_cbranch_execz .LBB761_40
.LBB761_25:
	global_load_ubyte v8, v[26:27], off offset:128
	s_waitcnt vmcnt(0)
	v_and_b32_e32 v8, 1, v8
	v_cmp_eq_u32_e64 s4, 1, v8
	s_xor_b32 s21, s4, -1
	s_mov_b32 s4, s5
	s_and_saveexec_b32 s20, s21
; %bb.26:
	v_cmp_gt_f32_e64 s4, v0, v4
	s_and_b32 s4, s5, s4
	v_cndmask_b32_e64 v0, v4, v0, s4
	s_or_b32 s4, s5, exec_lo
; %bb.27:
	s_or_b32 exec_lo, exec_lo, s20
	s_andn2_b32 s5, s5, exec_lo
	s_and_b32 s4, s4, exec_lo
	s_or_b32 s5, s5, s4
	s_or_b32 exec_lo, exec_lo, s10
	s_and_saveexec_b32 s10, s14
	s_cbranch_execnz .LBB761_41
.LBB761_28:
	s_or_b32 exec_lo, exec_lo, s10
	s_and_saveexec_b32 s10, s11
	s_cbranch_execz .LBB761_44
.LBB761_29:
	global_load_ubyte v8, v[26:27], off offset:192
	s_waitcnt vmcnt(0)
	v_and_b32_e32 v8, 1, v8
	v_cmp_eq_u32_e64 s4, 1, v8
	s_xor_b32 s21, s4, -1
	s_mov_b32 s4, s5
	s_and_saveexec_b32 s20, s21
; %bb.30:
	v_cmp_gt_f32_e64 s4, v0, v6
	s_and_b32 s4, s5, s4
	v_cndmask_b32_e64 v0, v6, v0, s4
	s_or_b32 s4, s5, exec_lo
; %bb.31:
	s_or_b32 exec_lo, exec_lo, s20
	s_andn2_b32 s5, s5, exec_lo
	s_and_b32 s4, s4, exec_lo
	s_or_b32 s5, s5, s4
	s_or_b32 exec_lo, exec_lo, s10
	s_and_saveexec_b32 s10, s9
	s_cbranch_execz .LBB761_48
	s_branch .LBB761_45
.LBB761_32:
	s_or_b32 exec_lo, exec_lo, s10
	v_mov_b32_e32 v0, v1
	s_and_saveexec_b32 s10, s19
	s_cbranch_execz .LBB761_20
.LBB761_33:
	global_load_ubyte v0, v[26:27], off offset:32
	s_waitcnt vmcnt(0)
	v_and_b32_e32 v0, 1, v0
	v_cmp_eq_u32_e64 s4, 1, v0
	v_mov_b32_e32 v0, v1
	s_xor_b32 s21, s4, -1
	s_mov_b32 s4, s5
	s_and_saveexec_b32 s20, s21
; %bb.34:
	v_cmp_gt_f32_e64 s4, v1, v16
	s_and_b32 s4, s5, s4
	v_cndmask_b32_e64 v0, v16, v1, s4
	s_or_b32 s4, s5, exec_lo
; %bb.35:
	s_or_b32 exec_lo, exec_lo, s20
	s_andn2_b32 s5, s5, exec_lo
	s_and_b32 s4, s4, exec_lo
	s_or_b32 s5, s5, s4
	s_or_b32 exec_lo, exec_lo, s10
	s_and_saveexec_b32 s10, s17
	s_cbranch_execnz .LBB761_21
.LBB761_36:
	s_or_b32 exec_lo, exec_lo, s10
	s_and_saveexec_b32 s10, s16
	s_cbranch_execz .LBB761_24
.LBB761_37:
	global_load_ubyte v8, v[26:27], off offset:96
	s_waitcnt vmcnt(0)
	v_and_b32_e32 v8, 1, v8
	v_cmp_eq_u32_e64 s4, 1, v8
	s_xor_b32 s21, s4, -1
	s_mov_b32 s4, s5
	s_and_saveexec_b32 s20, s21
; %bb.38:
	v_cmp_gt_f32_e64 s4, v0, v3
	s_and_b32 s4, s5, s4
	v_cndmask_b32_e64 v0, v3, v0, s4
	s_or_b32 s4, s5, exec_lo
; %bb.39:
	s_or_b32 exec_lo, exec_lo, s20
	s_andn2_b32 s5, s5, exec_lo
	s_and_b32 s4, s4, exec_lo
	s_or_b32 s5, s5, s4
	s_or_b32 exec_lo, exec_lo, s10
	s_and_saveexec_b32 s10, s15
	s_cbranch_execnz .LBB761_25
.LBB761_40:
	s_or_b32 exec_lo, exec_lo, s10
	s_and_saveexec_b32 s10, s14
	s_cbranch_execz .LBB761_28
.LBB761_41:
	global_load_ubyte v8, v[26:27], off offset:160
	s_waitcnt vmcnt(0)
	v_and_b32_e32 v8, 1, v8
	v_cmp_eq_u32_e64 s4, 1, v8
	s_xor_b32 s21, s4, -1
	s_mov_b32 s4, s5
	s_and_saveexec_b32 s20, s21
; %bb.42:
	v_cmp_gt_f32_e64 s4, v0, v5
	s_and_b32 s4, s5, s4
	v_cndmask_b32_e64 v0, v5, v0, s4
	s_or_b32 s4, s5, exec_lo
; %bb.43:
	s_or_b32 exec_lo, exec_lo, s20
	s_andn2_b32 s5, s5, exec_lo
	s_and_b32 s4, s4, exec_lo
	s_or_b32 s5, s5, s4
	s_or_b32 exec_lo, exec_lo, s10
	s_and_saveexec_b32 s10, s11
	s_cbranch_execnz .LBB761_29
.LBB761_44:
	s_or_b32 exec_lo, exec_lo, s10
	s_and_saveexec_b32 s10, s9
	s_cbranch_execz .LBB761_48
.LBB761_45:
	global_load_ubyte v8, v[26:27], off offset:224
	s_waitcnt vmcnt(0)
	v_and_b32_e32 v8, 1, v8
	v_cmp_eq_u32_e64 s4, 1, v8
	s_xor_b32 s21, s4, -1
	s_mov_b32 s4, s5
	s_and_saveexec_b32 s20, s21
; %bb.46:
	v_cmp_gt_f32_e64 s4, v0, v7
	s_and_b32 s4, s5, s4
	v_cndmask_b32_e64 v0, v7, v0, s4
	s_or_b32 s4, s5, exec_lo
; %bb.47:
	s_or_b32 exec_lo, exec_lo, s20
	s_andn2_b32 s5, s5, exec_lo
	s_and_b32 s4, s4, exec_lo
	s_or_b32 s5, s5, s4
.LBB761_48:
	s_or_b32 exec_lo, exec_lo, s10
	v_mbcnt_lo_u32_b32 v8, -1, 0
	v_cndmask_b32_e64 v0, 0xff800000, v0, s5
	s_xor_b32 s5, s19, -1
	v_xor_b32_e32 v9, 16, v8
	v_xor_b32_e32 v10, 8, v8
	v_cmp_gt_i32_e64 s4, 32, v9
	v_cndmask_b32_e64 v9, v8, v9, s4
	v_cmp_gt_i32_e64 s4, 32, v10
	v_lshlrev_b32_e32 v29, 2, v9
	v_cndmask_b32_e64 v10, v8, v10, s4
	ds_bpermute_b32 v9, v29, v0
	v_lshlrev_b32_e32 v30, 2, v10
	v_xor_b32_e32 v10, 4, v8
	s_waitcnt lgkmcnt(0)
	v_cmp_lt_f32_e64 s4, v0, v9
	v_cndmask_b32_e64 v0, v0, v9, s4
	v_cmp_gt_i32_e64 s4, 32, v10
	ds_bpermute_b32 v9, v30, v0
	v_cndmask_b32_e64 v10, v8, v10, s4
	v_lshlrev_b32_e32 v31, 2, v10
	v_xor_b32_e32 v10, 2, v8
	s_waitcnt lgkmcnt(0)
	v_cmp_lt_f32_e64 s4, v0, v9
	v_cndmask_b32_e64 v0, v0, v9, s4
	v_cmp_gt_i32_e64 s4, 32, v10
	ds_bpermute_b32 v9, v31, v0
	v_cndmask_b32_e64 v10, v8, v10, s4
	;; [unrolled: 8-line block ×3, first 2 shown]
	v_lshlrev_b32_e32 v33, 2, v8
	s_waitcnt lgkmcnt(0)
	v_cmp_lt_f32_e64 s4, v0, v9
	v_cndmask_b32_e64 v0, v0, v9, s4
	ds_bpermute_b32 v8, v33, v0
	s_waitcnt lgkmcnt(0)
	v_cmp_lt_f32_e64 s4, v0, v8
	v_cndmask_b32_e64 v34, v0, v8, s4
	v_mov_b32_e32 v0, 0
	s_and_saveexec_b32 s10, s18
	s_cbranch_execz .LBB761_52
; %bb.49:
	global_load_ubyte v0, v[26:27], off
	s_waitcnt vmcnt(0)
	v_and_b32_e32 v0, 1, v0
	v_cmp_eq_u32_e64 s4, 1, v0
	v_mov_b32_e32 v0, 0
	s_xor_b32 s4, s4, -1
	s_and_saveexec_b32 s18, s4
	s_cbranch_execz .LBB761_51
; %bb.50:
	v_sub_f32_e32 v0, v1, v34
	v_mul_f32_e32 v1, 0x3fb8aa3b, v0
	v_cmp_ngt_f32_e64 s4, 0xc2ce8ed0, v0
	v_fma_f32 v8, 0x3fb8aa3b, v0, -v1
	v_rndne_f32_e32 v9, v1
	v_fmamk_f32 v8, v0, 0x32a5705f, v8
	v_sub_f32_e32 v1, v1, v9
	v_add_f32_e32 v1, v1, v8
	v_cvt_i32_f32_e32 v8, v9
	v_exp_f32_e32 v1, v1
	v_ldexp_f32 v1, v1, v8
	v_cndmask_b32_e64 v1, 0, v1, s4
	v_cmp_nlt_f32_e64 s4, 0x42b17218, v0
	v_cndmask_b32_e64 v0, 0x7f800000, v1, s4
.LBB761_51:
	s_or_b32 exec_lo, exec_lo, s18
.LBB761_52:
	s_or_b32 exec_lo, exec_lo, s10
                                        ; implicit-def: $vgpr8_vgpr9_vgpr10_vgpr11_vgpr12_vgpr13_vgpr14_vgpr15
	s_and_saveexec_b32 s4, s5
	s_xor_b32 s4, exec_lo, s4
	s_cbranch_execz .LBB761_66
; %bb.53:
	s_mov_b32 s5, 0
                                        ; implicit-def: $vgpr16
	v_mov_b32_e32 v1, s5
	v_mov_b32_e32 v15, v7
	;; [unrolled: 1-line block ×9, first 2 shown]
	s_or_saveexec_b32 s10, s4
	s_xor_b32 s5, s17, -1
	s_xor_b32 exec_lo, exec_lo, s10
	s_cbranch_execnz .LBB761_67
.LBB761_54:
	s_or_b32 exec_lo, exec_lo, s10
                                        ; implicit-def: $vgpr16_vgpr17_vgpr18_vgpr19_vgpr20_vgpr21_vgpr22_vgpr23
	s_and_saveexec_b32 s4, s5
	s_xor_b32 s4, exec_lo, s4
	s_cbranch_execz .LBB761_70
.LBB761_55:
	s_mov_b32 s5, 0
	v_mov_b32_e32 v10, s5
	v_mov_b32_e32 v23, v15
	v_mov_b32_e32 v22, v14
	v_mov_b32_e32 v21, v13
	v_mov_b32_e32 v20, v12
	v_mov_b32_e32 v19, v11
	v_mov_b32_e32 v18, v10
	v_mov_b32_e32 v17, v9
	v_mov_b32_e32 v16, v8
                                        ; implicit-def: $vgpr8_vgpr9_vgpr10_vgpr11_vgpr12_vgpr13_vgpr14_vgpr15
	s_or_saveexec_b32 s10, s4
	s_xor_b32 s5, s16, -1
	s_xor_b32 exec_lo, exec_lo, s10
	s_cbranch_execnz .LBB761_71
.LBB761_56:
	s_or_b32 exec_lo, exec_lo, s10
                                        ; implicit-def: $vgpr1_vgpr2_vgpr3_vgpr4_vgpr5_vgpr6_vgpr7_vgpr8
	s_and_saveexec_b32 s4, s5
	s_xor_b32 s4, exec_lo, s4
	s_cbranch_execz .LBB761_74
.LBB761_57:
	s_mov_b32 s5, 0
	v_mov_b32_e32 v19, s5
	v_mov_b32_e32 v1, v16
	v_mov_b32_e32 v2, v17
	v_mov_b32_e32 v3, v18
	v_mov_b32_e32 v5, v20
	v_mov_b32_e32 v4, v19
	v_mov_b32_e32 v6, v21
	v_mov_b32_e32 v7, v22
	v_mov_b32_e32 v8, v23
                                        ; implicit-def: $vgpr16_vgpr17_vgpr18_vgpr19_vgpr20_vgpr21_vgpr22_vgpr23
	s_or_saveexec_b32 s10, s4
	s_xor_b32 s5, s15, -1
	s_xor_b32 exec_lo, exec_lo, s10
	s_cbranch_execnz .LBB761_75
.LBB761_58:
	s_or_b32 exec_lo, exec_lo, s10
                                        ; implicit-def: $vgpr9_vgpr10_vgpr11_vgpr12_vgpr13_vgpr14_vgpr15_vgpr16
	s_and_saveexec_b32 s4, s5
	s_xor_b32 s4, exec_lo, s4
	s_cbranch_execz .LBB761_78
.LBB761_59:
	s_mov_b32 s5, 0
	v_mov_b32_e32 v5, s5
	v_mov_b32_e32 v16, v8
	;; [unrolled: 1-line block ×9, first 2 shown]
                                        ; implicit-def: $vgpr1_vgpr2_vgpr3_vgpr4_vgpr5_vgpr6_vgpr7_vgpr8
	s_or_saveexec_b32 s10, s4
	s_xor_b32 s5, s14, -1
	s_xor_b32 exec_lo, exec_lo, s10
	s_cbranch_execnz .LBB761_79
.LBB761_60:
	s_or_b32 exec_lo, exec_lo, s10
                                        ; implicit-def: $vgpr1_vgpr2_vgpr3_vgpr4_vgpr5_vgpr6_vgpr7_vgpr8
	s_and_saveexec_b32 s4, s5
	s_xor_b32 s4, exec_lo, s4
	s_cbranch_execz .LBB761_82
.LBB761_61:
	s_mov_b32 s5, 0
	v_mov_b32_e32 v14, s5
	v_mov_b32_e32 v1, v9
	;; [unrolled: 1-line block ×9, first 2 shown]
                                        ; implicit-def: $vgpr9_vgpr10_vgpr11_vgpr12_vgpr13_vgpr14_vgpr15_vgpr16
	s_or_saveexec_b32 s10, s4
	s_xor_b32 s5, s11, -1
	s_xor_b32 exec_lo, exec_lo, s10
	s_cbranch_execnz .LBB761_83
.LBB761_62:
	s_or_b32 exec_lo, exec_lo, s10
                                        ; implicit-def: $vgpr9_vgpr10_vgpr11_vgpr12_vgpr13_vgpr14_vgpr15_vgpr16
	s_and_saveexec_b32 s4, s5
	s_xor_b32 s4, exec_lo, s4
	s_cbranch_execz .LBB761_86
.LBB761_63:
	s_mov_b32 s5, 0
	v_mov_b32_e32 v7, s5
	v_mov_b32_e32 v16, v8
	;; [unrolled: 1-line block ×9, first 2 shown]
                                        ; implicit-def: $vgpr1_vgpr2_vgpr3_vgpr4_vgpr5_vgpr6_vgpr7_vgpr8
	s_or_saveexec_b32 s10, s4
	s_xor_b32 s5, s9, -1
	s_xor_b32 exec_lo, exec_lo, s10
	s_cbranch_execnz .LBB761_87
.LBB761_64:
	s_or_b32 exec_lo, exec_lo, s10
                                        ; implicit-def: $vgpr1_vgpr2_vgpr3_vgpr4_vgpr5_vgpr6_vgpr7_vgpr8
	s_and_saveexec_b32 s4, s5
	s_xor_b32 s4, exec_lo, s4
	s_cbranch_execz .LBB761_90
.LBB761_65:
	s_mov_b32 s5, 0
                                        ; implicit-def: $vgpr26_vgpr27
                                        ; implicit-def: $vgpr34
	v_mov_b32_e32 v16, s5
	v_mov_b32_e32 v1, v9
	v_mov_b32_e32 v2, v10
	v_mov_b32_e32 v3, v11
	v_mov_b32_e32 v4, v12
	v_mov_b32_e32 v5, v13
	v_mov_b32_e32 v6, v14
	v_mov_b32_e32 v7, v15
	v_mov_b32_e32 v8, v16
                                        ; implicit-def: $vgpr9_vgpr10_vgpr11_vgpr12_vgpr13_vgpr14_vgpr15_vgpr16
	s_andn2_saveexec_b32 s5, s4
	s_cbranch_execz .LBB761_94
	s_branch .LBB761_91
.LBB761_66:
	s_or_saveexec_b32 s10, s4
	s_xor_b32 s5, s17, -1
	s_xor_b32 exec_lo, exec_lo, s10
	s_cbranch_execz .LBB761_54
.LBB761_67:
	global_load_ubyte v8, v[26:27], off offset:32
	s_mov_b32 s17, 0
	s_waitcnt vmcnt(0)
	v_and_b32_e32 v8, 1, v8
	v_cmp_eq_u32_e64 s4, 1, v8
	v_mov_b32_e32 v15, v7
	v_mov_b32_e32 v9, v1
	;; [unrolled: 1-line block ×9, first 2 shown]
	s_xor_b32 s4, s4, -1
	s_and_saveexec_b32 s17, s4
	s_xor_b32 s17, exec_lo, s17
	s_cbranch_execz .LBB761_69
; %bb.68:
	v_sub_f32_e32 v1, v16, v34
	v_mul_f32_e32 v8, 0x3fb8aa3b, v1
	v_cmp_ngt_f32_e64 s4, 0xc2ce8ed0, v1
	v_fma_f32 v9, 0x3fb8aa3b, v1, -v8
	v_rndne_f32_e32 v10, v8
	v_fmamk_f32 v9, v1, 0x32a5705f, v9
	v_sub_f32_e32 v8, v8, v10
	v_add_f32_e32 v8, v8, v9
	v_cvt_i32_f32_e32 v9, v10
	v_exp_f32_e32 v8, v8
	v_ldexp_f32 v8, v8, v9
	v_cndmask_b32_e64 v8, 0, v8, s4
	v_cmp_nlt_f32_e64 s4, 0x42b17218, v1
	v_cndmask_b32_e64 v1, 0x7f800000, v8, s4
	v_mov_b32_e32 v15, v7
	v_mov_b32_e32 v14, v6
	;; [unrolled: 1-line block ×4, first 2 shown]
	v_add_f32_e32 v16, v0, v1
	v_mov_b32_e32 v11, v3
	v_mov_b32_e32 v10, v2
	;; [unrolled: 1-line block ×5, first 2 shown]
.LBB761_69:
	s_andn2_saveexec_b32 s4, s17
	s_or_b32 exec_lo, exec_lo, s4
	s_or_b32 exec_lo, exec_lo, s10
                                        ; implicit-def: $vgpr16_vgpr17_vgpr18_vgpr19_vgpr20_vgpr21_vgpr22_vgpr23
	s_and_saveexec_b32 s4, s5
	s_xor_b32 s4, exec_lo, s4
	s_cbranch_execnz .LBB761_55
.LBB761_70:
	s_or_saveexec_b32 s10, s4
	s_xor_b32 s5, s16, -1
	s_xor_b32 exec_lo, exec_lo, s10
	s_cbranch_execz .LBB761_56
.LBB761_71:
	global_load_ubyte v1, v[26:27], off offset:64
	s_mov_b32 s16, 0
	v_mov_b32_e32 v23, v15
	v_mov_b32_e32 v18, v10
	;; [unrolled: 1-line block ×9, first 2 shown]
	s_waitcnt vmcnt(0)
	v_and_b32_e32 v1, 1, v1
	v_cmp_eq_u32_e64 s4, 1, v1
	s_xor_b32 s4, s4, -1
	s_and_saveexec_b32 s16, s4
	s_xor_b32 s16, exec_lo, s16
	s_cbranch_execz .LBB761_73
; %bb.72:
	v_sub_f32_e32 v1, v10, v34
	v_mul_f32_e32 v2, 0x3fb8aa3b, v1
	v_cmp_ngt_f32_e64 s4, 0xc2ce8ed0, v1
	v_fma_f32 v3, 0x3fb8aa3b, v1, -v2
	v_rndne_f32_e32 v4, v2
	v_fmamk_f32 v3, v1, 0x32a5705f, v3
	v_sub_f32_e32 v2, v2, v4
	v_add_f32_e32 v2, v2, v3
	v_cvt_i32_f32_e32 v3, v4
	v_exp_f32_e32 v2, v2
	v_ldexp_f32 v2, v2, v3
	v_cndmask_b32_e64 v2, 0, v2, s4
	v_cmp_nlt_f32_e64 s4, 0x42b17218, v1
	v_cndmask_b32_e64 v10, 0x7f800000, v2, s4
	v_mov_b32_e32 v23, v15
	v_mov_b32_e32 v22, v14
	;; [unrolled: 1-line block ×4, first 2 shown]
	v_add_f32_e32 v0, v0, v10
	v_mov_b32_e32 v19, v11
	v_mov_b32_e32 v18, v10
	;; [unrolled: 1-line block ×4, first 2 shown]
.LBB761_73:
	s_andn2_saveexec_b32 s4, s16
	s_or_b32 exec_lo, exec_lo, s4
	s_or_b32 exec_lo, exec_lo, s10
                                        ; implicit-def: $vgpr1_vgpr2_vgpr3_vgpr4_vgpr5_vgpr6_vgpr7_vgpr8
	s_and_saveexec_b32 s4, s5
	s_xor_b32 s4, exec_lo, s4
	s_cbranch_execnz .LBB761_57
.LBB761_74:
	s_or_saveexec_b32 s10, s4
	s_xor_b32 s5, s15, -1
	s_xor_b32 exec_lo, exec_lo, s10
	s_cbranch_execz .LBB761_58
.LBB761_75:
	global_load_ubyte v1, v[26:27], off offset:96
	s_mov_b32 s15, 0
	s_waitcnt vmcnt(0)
	v_and_b32_e32 v1, 1, v1
	v_cmp_eq_u32_e64 s4, 1, v1
	v_mov_b32_e32 v1, v16
	v_mov_b32_e32 v4, v19
	;; [unrolled: 1-line block ×9, first 2 shown]
	s_xor_b32 s4, s4, -1
	s_and_saveexec_b32 s15, s4
	s_xor_b32 s15, exec_lo, s15
	s_cbranch_execz .LBB761_77
; %bb.76:
	v_sub_f32_e32 v1, v19, v34
	v_mul_f32_e32 v2, 0x3fb8aa3b, v1
	v_cmp_ngt_f32_e64 s4, 0xc2ce8ed0, v1
	v_fma_f32 v3, 0x3fb8aa3b, v1, -v2
	v_rndne_f32_e32 v4, v2
	v_fmamk_f32 v3, v1, 0x32a5705f, v3
	v_sub_f32_e32 v2, v2, v4
	v_add_f32_e32 v2, v2, v3
	v_cvt_i32_f32_e32 v3, v4
	v_exp_f32_e32 v2, v2
	v_ldexp_f32 v2, v2, v3
	v_cndmask_b32_e64 v2, 0, v2, s4
	v_cmp_nlt_f32_e64 s4, 0x42b17218, v1
	v_cndmask_b32_e64 v19, 0x7f800000, v2, s4
	v_mov_b32_e32 v1, v16
	v_mov_b32_e32 v2, v17
	;; [unrolled: 1-line block ×4, first 2 shown]
	v_add_f32_e32 v0, v0, v19
	v_mov_b32_e32 v4, v19
	v_mov_b32_e32 v6, v21
	;; [unrolled: 1-line block ×4, first 2 shown]
.LBB761_77:
	s_andn2_saveexec_b32 s4, s15
	s_or_b32 exec_lo, exec_lo, s4
	s_or_b32 exec_lo, exec_lo, s10
                                        ; implicit-def: $vgpr9_vgpr10_vgpr11_vgpr12_vgpr13_vgpr14_vgpr15_vgpr16
	s_and_saveexec_b32 s4, s5
	s_xor_b32 s4, exec_lo, s4
	s_cbranch_execnz .LBB761_59
.LBB761_78:
	s_or_saveexec_b32 s10, s4
	s_xor_b32 s5, s14, -1
	s_xor_b32 exec_lo, exec_lo, s10
	s_cbranch_execz .LBB761_60
.LBB761_79:
	global_load_ubyte v9, v[26:27], off offset:128
	s_mov_b32 s14, 0
	s_waitcnt vmcnt(0)
	v_and_b32_e32 v9, 1, v9
	v_cmp_eq_u32_e64 s4, 1, v9
	v_mov_b32_e32 v16, v8
	v_mov_b32_e32 v13, v5
	;; [unrolled: 1-line block ×9, first 2 shown]
	s_xor_b32 s4, s4, -1
	s_and_saveexec_b32 s14, s4
	s_xor_b32 s14, exec_lo, s14
	s_cbranch_execz .LBB761_81
; %bb.80:
	v_sub_f32_e32 v5, v5, v34
	v_mul_f32_e32 v9, 0x3fb8aa3b, v5
	v_cmp_ngt_f32_e64 s4, 0xc2ce8ed0, v5
	v_fma_f32 v10, 0x3fb8aa3b, v5, -v9
	v_rndne_f32_e32 v11, v9
	v_fmamk_f32 v10, v5, 0x32a5705f, v10
	v_sub_f32_e32 v9, v9, v11
	v_add_f32_e32 v9, v9, v10
	v_cvt_i32_f32_e32 v10, v11
	v_exp_f32_e32 v9, v9
	v_ldexp_f32 v9, v9, v10
	v_cndmask_b32_e64 v9, 0, v9, s4
	v_cmp_nlt_f32_e64 s4, 0x42b17218, v5
	v_cndmask_b32_e64 v5, 0x7f800000, v9, s4
	v_mov_b32_e32 v16, v8
	v_mov_b32_e32 v15, v7
	;; [unrolled: 1-line block ×4, first 2 shown]
	v_add_f32_e32 v0, v0, v5
	v_mov_b32_e32 v13, v5
	v_mov_b32_e32 v11, v3
	;; [unrolled: 1-line block ×4, first 2 shown]
.LBB761_81:
	s_andn2_saveexec_b32 s4, s14
	s_or_b32 exec_lo, exec_lo, s4
	s_or_b32 exec_lo, exec_lo, s10
                                        ; implicit-def: $vgpr1_vgpr2_vgpr3_vgpr4_vgpr5_vgpr6_vgpr7_vgpr8
	s_and_saveexec_b32 s4, s5
	s_xor_b32 s4, exec_lo, s4
	s_cbranch_execnz .LBB761_61
.LBB761_82:
	s_or_saveexec_b32 s10, s4
	s_xor_b32 s5, s11, -1
	s_xor_b32 exec_lo, exec_lo, s10
	s_cbranch_execz .LBB761_62
.LBB761_83:
	global_load_ubyte v1, v[26:27], off offset:160
	s_mov_b32 s11, 0
	s_waitcnt vmcnt(0)
	v_and_b32_e32 v1, 1, v1
	v_cmp_eq_u32_e64 s4, 1, v1
	v_mov_b32_e32 v1, v9
	v_mov_b32_e32 v6, v14
	v_mov_b32_e32 v2, v10
	v_mov_b32_e32 v3, v11
	v_mov_b32_e32 v4, v12
	v_mov_b32_e32 v5, v13
	v_mov_b32_e32 v7, v15
	v_mov_b32_e32 v8, v16
	v_mov_b32_e32 v6, s11
	s_xor_b32 s4, s4, -1
	s_and_saveexec_b32 s11, s4
	s_xor_b32 s11, exec_lo, s11
	s_cbranch_execz .LBB761_85
; %bb.84:
	v_sub_f32_e32 v1, v14, v34
	v_mul_f32_e32 v2, 0x3fb8aa3b, v1
	v_cmp_ngt_f32_e64 s4, 0xc2ce8ed0, v1
	v_fma_f32 v3, 0x3fb8aa3b, v1, -v2
	v_rndne_f32_e32 v4, v2
	v_fmamk_f32 v3, v1, 0x32a5705f, v3
	v_sub_f32_e32 v2, v2, v4
	v_add_f32_e32 v2, v2, v3
	v_cvt_i32_f32_e32 v3, v4
	v_exp_f32_e32 v2, v2
	v_ldexp_f32 v2, v2, v3
	v_cndmask_b32_e64 v2, 0, v2, s4
	v_cmp_nlt_f32_e64 s4, 0x42b17218, v1
	v_cndmask_b32_e64 v14, 0x7f800000, v2, s4
	v_mov_b32_e32 v1, v9
	v_mov_b32_e32 v2, v10
	;; [unrolled: 1-line block ×4, first 2 shown]
	v_add_f32_e32 v0, v0, v14
	v_mov_b32_e32 v5, v13
	v_mov_b32_e32 v6, v14
	;; [unrolled: 1-line block ×4, first 2 shown]
.LBB761_85:
	s_andn2_saveexec_b32 s4, s11
	s_or_b32 exec_lo, exec_lo, s4
	s_or_b32 exec_lo, exec_lo, s10
                                        ; implicit-def: $vgpr9_vgpr10_vgpr11_vgpr12_vgpr13_vgpr14_vgpr15_vgpr16
	s_and_saveexec_b32 s4, s5
	s_xor_b32 s4, exec_lo, s4
	s_cbranch_execnz .LBB761_63
.LBB761_86:
	s_or_saveexec_b32 s10, s4
	s_xor_b32 s5, s9, -1
	s_xor_b32 exec_lo, exec_lo, s10
	s_cbranch_execz .LBB761_64
.LBB761_87:
	global_load_ubyte v9, v[26:27], off offset:192
	s_mov_b32 s9, 0
	s_waitcnt vmcnt(0)
	v_and_b32_e32 v9, 1, v9
	v_cmp_eq_u32_e64 s4, 1, v9
	v_mov_b32_e32 v16, v8
	v_mov_b32_e32 v15, v7
	v_mov_b32_e32 v14, v6
	v_mov_b32_e32 v13, v5
	v_mov_b32_e32 v12, v4
	v_mov_b32_e32 v11, v3
	v_mov_b32_e32 v10, v2
	v_mov_b32_e32 v9, v1
	v_mov_b32_e32 v15, s9
	s_xor_b32 s4, s4, -1
	s_and_saveexec_b32 s9, s4
	s_xor_b32 s9, exec_lo, s9
	s_cbranch_execz .LBB761_89
; %bb.88:
	v_sub_f32_e32 v7, v7, v34
	v_mul_f32_e32 v9, 0x3fb8aa3b, v7
	v_cmp_ngt_f32_e64 s4, 0xc2ce8ed0, v7
	v_fma_f32 v10, 0x3fb8aa3b, v7, -v9
	v_rndne_f32_e32 v11, v9
	v_fmamk_f32 v10, v7, 0x32a5705f, v10
	v_sub_f32_e32 v9, v9, v11
	v_add_f32_e32 v9, v9, v10
	v_cvt_i32_f32_e32 v10, v11
	v_exp_f32_e32 v9, v9
	v_ldexp_f32 v9, v9, v10
	v_cndmask_b32_e64 v9, 0, v9, s4
	v_cmp_nlt_f32_e64 s4, 0x42b17218, v7
	v_cndmask_b32_e64 v7, 0x7f800000, v9, s4
	v_mov_b32_e32 v16, v8
	v_mov_b32_e32 v14, v6
	;; [unrolled: 1-line block ×4, first 2 shown]
	v_add_f32_e32 v0, v0, v7
	v_mov_b32_e32 v15, v7
	v_mov_b32_e32 v11, v3
	;; [unrolled: 1-line block ×4, first 2 shown]
.LBB761_89:
	s_andn2_saveexec_b32 s4, s9
	s_or_b32 exec_lo, exec_lo, s4
	s_or_b32 exec_lo, exec_lo, s10
                                        ; implicit-def: $vgpr1_vgpr2_vgpr3_vgpr4_vgpr5_vgpr6_vgpr7_vgpr8
	s_and_saveexec_b32 s4, s5
	s_xor_b32 s4, exec_lo, s4
	s_cbranch_execnz .LBB761_65
.LBB761_90:
	s_andn2_saveexec_b32 s5, s4
	s_cbranch_execz .LBB761_94
.LBB761_91:
	global_load_ubyte v1, v[26:27], off offset:224
	s_mov_b32 s9, 0
	s_waitcnt vmcnt(0)
	v_and_b32_e32 v1, 1, v1
	v_cmp_eq_u32_e64 s4, 1, v1
	v_mov_b32_e32 v1, v9
	v_mov_b32_e32 v8, v16
	;; [unrolled: 1-line block ×9, first 2 shown]
	s_xor_b32 s4, s4, -1
	s_and_saveexec_b32 s9, s4
	s_xor_b32 s9, exec_lo, s9
	s_cbranch_execz .LBB761_93
; %bb.92:
	v_sub_f32_e32 v1, v16, v34
	v_mul_f32_e32 v2, 0x3fb8aa3b, v1
	v_cmp_ngt_f32_e64 s4, 0xc2ce8ed0, v1
	v_fma_f32 v3, 0x3fb8aa3b, v1, -v2
	v_rndne_f32_e32 v4, v2
	v_fmamk_f32 v3, v1, 0x32a5705f, v3
	v_sub_f32_e32 v2, v2, v4
	v_add_f32_e32 v2, v2, v3
	v_cvt_i32_f32_e32 v3, v4
	v_exp_f32_e32 v2, v2
	v_ldexp_f32 v2, v2, v3
	v_cndmask_b32_e64 v2, 0, v2, s4
	v_cmp_nlt_f32_e64 s4, 0x42b17218, v1
	v_cndmask_b32_e64 v16, 0x7f800000, v2, s4
	v_mov_b32_e32 v1, v9
	v_mov_b32_e32 v2, v10
	;; [unrolled: 1-line block ×4, first 2 shown]
	v_add_f32_e32 v0, v0, v16
	v_mov_b32_e32 v5, v13
	v_mov_b32_e32 v6, v14
	;; [unrolled: 1-line block ×4, first 2 shown]
.LBB761_93:
	s_andn2_saveexec_b32 s4, s9
	s_or_b32 exec_lo, exec_lo, s4
.LBB761_94:
	s_or_b32 exec_lo, exec_lo, s5
	ds_bpermute_b32 v9, v29, v0
	s_mov_b32 s5, exec_lo
	s_waitcnt lgkmcnt(0)
	v_add_f32_e32 v0, v0, v9
	ds_bpermute_b32 v9, v30, v0
	s_waitcnt lgkmcnt(0)
	v_add_f32_e32 v0, v0, v9
	ds_bpermute_b32 v9, v31, v0
	;; [unrolled: 3-line block ×4, first 2 shown]
	v_cmpx_lt_i32_e32 0, v28
	s_cbranch_execz .LBB761_120
; %bb.95:
	s_and_b32 exec_lo, exec_lo, vcc_lo
	s_cbranch_execz .LBB761_120
; %bb.96:
	s_waitcnt lgkmcnt(0)
	v_add_f32_e32 v9, v0, v9
	v_mov_b32_e32 v10, 0x7fc0
	v_cmp_neq_f32_e64 s4, 0, v9
	s_and_saveexec_b32 s5, s4
	s_cbranch_execz .LBB761_98
; %bb.97:
	v_div_scale_f32 v0, null, v9, v9, v1
	v_div_scale_f32 v12, vcc_lo, v1, v9, v1
	v_rcp_f32_e32 v10, v0
	v_fma_f32 v11, -v0, v10, 1.0
	v_fmac_f32_e32 v10, v11, v10
	v_mul_f32_e32 v11, v12, v10
	v_fma_f32 v13, -v0, v11, v12
	v_fmac_f32_e32 v11, v13, v10
	v_fma_f32 v0, -v0, v11, v12
	v_div_fmas_f32 v0, v0, v10, v11
	v_div_fixup_f32 v0, v0, v9, v1
	v_bfe_u32 v1, v0, 16, 1
	v_cmp_o_f32_e32 vcc_lo, v0, v0
	v_add3_u32 v0, v0, v1, 0x7fff
	v_mov_b32_e32 v1, 0x7fc0
	v_cndmask_b32_sdwa v10, v1, v0, vcc_lo dst_sel:DWORD dst_unused:UNUSED_PAD src0_sel:DWORD src1_sel:WORD_1
.LBB761_98:
	s_or_b32 exec_lo, exec_lo, s5
	v_add_co_u32 v0, vcc_lo, s12, v24
	v_add_co_ci_u32_e64 v1, null, s13, v25, vcc_lo
	global_store_short v[0:1], v10, off
	s_and_b32 exec_lo, exec_lo, s8
	s_cbranch_execz .LBB761_120
; %bb.99:
	v_mov_b32_e32 v10, 0x7fc0
	s_and_saveexec_b32 s5, s4
	s_cbranch_execz .LBB761_101
; %bb.100:
	v_div_scale_f32 v10, null, v9, v9, v2
	v_div_scale_f32 v13, vcc_lo, v2, v9, v2
	v_rcp_f32_e32 v11, v10
	v_fma_f32 v12, -v10, v11, 1.0
	v_fmac_f32_e32 v11, v12, v11
	v_mul_f32_e32 v12, v13, v11
	v_fma_f32 v14, -v10, v12, v13
	v_fmac_f32_e32 v12, v14, v11
	v_fma_f32 v10, -v10, v12, v13
	v_div_fmas_f32 v10, v10, v11, v12
	v_div_fixup_f32 v2, v10, v9, v2
	v_bfe_u32 v10, v2, 16, 1
	v_cmp_o_f32_e32 vcc_lo, v2, v2
	v_add3_u32 v2, v2, v10, 0x7fff
	v_mov_b32_e32 v10, 0x7fc0
	v_cndmask_b32_sdwa v10, v10, v2, vcc_lo dst_sel:DWORD dst_unused:UNUSED_PAD src0_sel:DWORD src1_sel:WORD_1
.LBB761_101:
	s_or_b32 exec_lo, exec_lo, s5
	global_store_short v[0:1], v10, off offset:64
	s_and_b32 exec_lo, exec_lo, s7
	s_cbranch_execz .LBB761_120
; %bb.102:
	v_mov_b32_e32 v2, 0x7fc0
	s_and_saveexec_b32 s5, s4
	s_cbranch_execz .LBB761_104
; %bb.103:
	v_div_scale_f32 v2, null, v9, v9, v3
	v_div_scale_f32 v12, vcc_lo, v3, v9, v3
	v_rcp_f32_e32 v10, v2
	v_fma_f32 v11, -v2, v10, 1.0
	v_fmac_f32_e32 v10, v11, v10
	v_mul_f32_e32 v11, v12, v10
	v_fma_f32 v13, -v2, v11, v12
	v_fmac_f32_e32 v11, v13, v10
	v_fma_f32 v2, -v2, v11, v12
	v_div_fmas_f32 v2, v2, v10, v11
	v_div_fixup_f32 v2, v2, v9, v3
	v_bfe_u32 v3, v2, 16, 1
	v_cmp_o_f32_e32 vcc_lo, v2, v2
	v_add3_u32 v2, v2, v3, 0x7fff
	v_mov_b32_e32 v3, 0x7fc0
	v_cndmask_b32_sdwa v2, v3, v2, vcc_lo dst_sel:DWORD dst_unused:UNUSED_PAD src0_sel:DWORD src1_sel:WORD_1
.LBB761_104:
	s_or_b32 exec_lo, exec_lo, s5
	global_store_short v[0:1], v2, off offset:128
	;; [unrolled: 26-line block ×7, first 2 shown]
.LBB761_120:
	s_endpgm
	.section	.rodata,"a",@progbits
	.p2align	6, 0x0
	.amdhsa_kernel _ZN12_GLOBAL__N_120softmax_warp_forwardIN3c108BFloat16ES2_fLi8ELb0ELb1ELi32EEEvPT0_PKT_iiiPKbib
		.amdhsa_group_segment_fixed_size 0
		.amdhsa_private_segment_fixed_size 0
		.amdhsa_kernarg_size 304
		.amdhsa_user_sgpr_count 6
		.amdhsa_user_sgpr_private_segment_buffer 1
		.amdhsa_user_sgpr_dispatch_ptr 0
		.amdhsa_user_sgpr_queue_ptr 0
		.amdhsa_user_sgpr_kernarg_segment_ptr 1
		.amdhsa_user_sgpr_dispatch_id 0
		.amdhsa_user_sgpr_flat_scratch_init 0
		.amdhsa_user_sgpr_private_segment_size 0
		.amdhsa_wavefront_size32 1
		.amdhsa_uses_dynamic_stack 0
		.amdhsa_system_sgpr_private_segment_wavefront_offset 0
		.amdhsa_system_sgpr_workgroup_id_x 1
		.amdhsa_system_sgpr_workgroup_id_y 0
		.amdhsa_system_sgpr_workgroup_id_z 0
		.amdhsa_system_sgpr_workgroup_info 0
		.amdhsa_system_vgpr_workitem_id 1
		.amdhsa_next_free_vgpr 35
		.amdhsa_next_free_sgpr 22
		.amdhsa_reserve_vcc 1
		.amdhsa_reserve_flat_scratch 0
		.amdhsa_float_round_mode_32 0
		.amdhsa_float_round_mode_16_64 0
		.amdhsa_float_denorm_mode_32 3
		.amdhsa_float_denorm_mode_16_64 3
		.amdhsa_dx10_clamp 1
		.amdhsa_ieee_mode 1
		.amdhsa_fp16_overflow 0
		.amdhsa_workgroup_processor_mode 1
		.amdhsa_memory_ordered 1
		.amdhsa_forward_progress 1
		.amdhsa_shared_vgpr_count 0
		.amdhsa_exception_fp_ieee_invalid_op 0
		.amdhsa_exception_fp_denorm_src 0
		.amdhsa_exception_fp_ieee_div_zero 0
		.amdhsa_exception_fp_ieee_overflow 0
		.amdhsa_exception_fp_ieee_underflow 0
		.amdhsa_exception_fp_ieee_inexact 0
		.amdhsa_exception_int_div_zero 0
	.end_amdhsa_kernel
	.section	.text._ZN12_GLOBAL__N_120softmax_warp_forwardIN3c108BFloat16ES2_fLi8ELb0ELb1ELi32EEEvPT0_PKT_iiiPKbib,"axG",@progbits,_ZN12_GLOBAL__N_120softmax_warp_forwardIN3c108BFloat16ES2_fLi8ELb0ELb1ELi32EEEvPT0_PKT_iiiPKbib,comdat
.Lfunc_end761:
	.size	_ZN12_GLOBAL__N_120softmax_warp_forwardIN3c108BFloat16ES2_fLi8ELb0ELb1ELi32EEEvPT0_PKT_iiiPKbib, .Lfunc_end761-_ZN12_GLOBAL__N_120softmax_warp_forwardIN3c108BFloat16ES2_fLi8ELb0ELb1ELi32EEEvPT0_PKT_iiiPKbib
                                        ; -- End function
	.set _ZN12_GLOBAL__N_120softmax_warp_forwardIN3c108BFloat16ES2_fLi8ELb0ELb1ELi32EEEvPT0_PKT_iiiPKbib.num_vgpr, 35
	.set _ZN12_GLOBAL__N_120softmax_warp_forwardIN3c108BFloat16ES2_fLi8ELb0ELb1ELi32EEEvPT0_PKT_iiiPKbib.num_agpr, 0
	.set _ZN12_GLOBAL__N_120softmax_warp_forwardIN3c108BFloat16ES2_fLi8ELb0ELb1ELi32EEEvPT0_PKT_iiiPKbib.numbered_sgpr, 22
	.set _ZN12_GLOBAL__N_120softmax_warp_forwardIN3c108BFloat16ES2_fLi8ELb0ELb1ELi32EEEvPT0_PKT_iiiPKbib.num_named_barrier, 0
	.set _ZN12_GLOBAL__N_120softmax_warp_forwardIN3c108BFloat16ES2_fLi8ELb0ELb1ELi32EEEvPT0_PKT_iiiPKbib.private_seg_size, 0
	.set _ZN12_GLOBAL__N_120softmax_warp_forwardIN3c108BFloat16ES2_fLi8ELb0ELb1ELi32EEEvPT0_PKT_iiiPKbib.uses_vcc, 1
	.set _ZN12_GLOBAL__N_120softmax_warp_forwardIN3c108BFloat16ES2_fLi8ELb0ELb1ELi32EEEvPT0_PKT_iiiPKbib.uses_flat_scratch, 0
	.set _ZN12_GLOBAL__N_120softmax_warp_forwardIN3c108BFloat16ES2_fLi8ELb0ELb1ELi32EEEvPT0_PKT_iiiPKbib.has_dyn_sized_stack, 0
	.set _ZN12_GLOBAL__N_120softmax_warp_forwardIN3c108BFloat16ES2_fLi8ELb0ELb1ELi32EEEvPT0_PKT_iiiPKbib.has_recursion, 0
	.set _ZN12_GLOBAL__N_120softmax_warp_forwardIN3c108BFloat16ES2_fLi8ELb0ELb1ELi32EEEvPT0_PKT_iiiPKbib.has_indirect_call, 0
	.section	.AMDGPU.csdata,"",@progbits
; Kernel info:
; codeLenInByte = 5536
; TotalNumSgprs: 24
; NumVgprs: 35
; ScratchSize: 0
; MemoryBound: 0
; FloatMode: 240
; IeeeMode: 1
; LDSByteSize: 0 bytes/workgroup (compile time only)
; SGPRBlocks: 0
; VGPRBlocks: 4
; NumSGPRsForWavesPerEU: 24
; NumVGPRsForWavesPerEU: 35
; Occupancy: 16
; WaveLimiterHint : 0
; COMPUTE_PGM_RSRC2:SCRATCH_EN: 0
; COMPUTE_PGM_RSRC2:USER_SGPR: 6
; COMPUTE_PGM_RSRC2:TRAP_HANDLER: 0
; COMPUTE_PGM_RSRC2:TGID_X_EN: 1
; COMPUTE_PGM_RSRC2:TGID_Y_EN: 0
; COMPUTE_PGM_RSRC2:TGID_Z_EN: 0
; COMPUTE_PGM_RSRC2:TIDIG_COMP_CNT: 1
	.section	.text._ZN12_GLOBAL__N_120softmax_warp_forwardIN3c108BFloat16ES2_fLi9ELb0ELb1ELi64EEEvPT0_PKT_iiiPKbib,"axG",@progbits,_ZN12_GLOBAL__N_120softmax_warp_forwardIN3c108BFloat16ES2_fLi9ELb0ELb1ELi64EEEvPT0_PKT_iiiPKbib,comdat
	.globl	_ZN12_GLOBAL__N_120softmax_warp_forwardIN3c108BFloat16ES2_fLi9ELb0ELb1ELi64EEEvPT0_PKT_iiiPKbib ; -- Begin function _ZN12_GLOBAL__N_120softmax_warp_forwardIN3c108BFloat16ES2_fLi9ELb0ELb1ELi64EEEvPT0_PKT_iiiPKbib
	.p2align	8
	.type	_ZN12_GLOBAL__N_120softmax_warp_forwardIN3c108BFloat16ES2_fLi9ELb0ELb1ELi64EEEvPT0_PKT_iiiPKbib,@function
_ZN12_GLOBAL__N_120softmax_warp_forwardIN3c108BFloat16ES2_fLi9ELb0ELb1ELi64EEEvPT0_PKT_iiiPKbib: ; @_ZN12_GLOBAL__N_120softmax_warp_forwardIN3c108BFloat16ES2_fLi9ELb0ELb1ELi64EEEvPT0_PKT_iiiPKbib
; %bb.0:
	s_clause 0x1
	s_load_dword s0, s[4:5], 0x3c
	s_load_dwordx4 s[8:11], s[4:5], 0x10
	s_waitcnt lgkmcnt(0)
	s_lshr_b32 s0, s0, 16
	v_mad_u64_u32 v[1:2], null, s6, s0, v[1:2]
	s_load_dwordx2 s[0:1], s[4:5], 0x28
	v_mul_lo_u32 v4, v1, s9
	v_add_nc_u32_e32 v2, v4, v0
	v_ashrrev_i32_e32 v3, 31, v2
	s_waitcnt lgkmcnt(0)
	s_bitcmp0_b32 s1, 0
	v_mov_b32_e32 v9, v3
	v_mov_b32_e32 v8, v2
	s_cbranch_scc1 .LBB762_2
; %bb.1:
	s_abs_i32 s1, s0
	v_sub_nc_u32_e32 v7, 0, v4
	v_cvt_f32_u32_e32 v5, s1
	s_sub_i32 s2, 0, s1
	v_max_i32_e32 v7, v4, v7
	v_rcp_iflag_f32_e32 v5, v5
	v_xor_b32_e32 v4, s0, v4
	v_ashrrev_i32_e32 v4, 31, v4
	v_mul_f32_e32 v5, 0x4f7ffffe, v5
	v_cvt_u32_f32_e32 v5, v5
	v_mul_lo_u32 v6, s2, v5
	v_mul_hi_u32 v6, v5, v6
	v_add_nc_u32_e32 v5, v5, v6
	v_mul_hi_u32 v5, v7, v5
	v_mul_lo_u32 v6, v5, s1
	v_sub_nc_u32_e32 v6, v7, v6
	v_add_nc_u32_e32 v7, 1, v5
	v_subrev_nc_u32_e32 v8, s1, v6
	v_cmp_le_u32_e32 vcc_lo, s1, v6
	v_cndmask_b32_e32 v5, v5, v7, vcc_lo
	v_cndmask_b32_e32 v6, v6, v8, vcc_lo
	v_add_nc_u32_e32 v7, 1, v5
	v_cmp_le_u32_e32 vcc_lo, s1, v6
	v_cndmask_b32_e32 v5, v5, v7, vcc_lo
	v_xor_b32_e32 v5, v5, v4
	v_sub_nc_u32_e32 v4, v5, v4
	v_mad_u64_u32 v[8:9], null, v4, s9, v[0:1]
	v_ashrrev_i32_e32 v9, 31, v8
.LBB762_2:
	s_load_dwordx4 s[12:15], s[4:5], 0x0
	v_lshlrev_b64 v[24:25], 1, v[2:3]
	v_sub_nc_u32_e32 v28, s8, v1
	v_cmp_gt_i32_e32 vcc_lo, s10, v0
	v_mov_b32_e32 v16, 0xff800000
	v_mov_b32_e32 v1, 0xff800000
	v_cmp_lt_i32_e64 s9, 0, v28
	s_and_b32 s18, s9, vcc_lo
	s_waitcnt lgkmcnt(0)
	v_add_co_u32 v10, s0, s14, v24
	v_add_co_ci_u32_e64 v11, null, s15, v25, s0
	s_and_saveexec_b32 s0, s18
	s_cbranch_execz .LBB762_4
; %bb.3:
	global_load_ushort v1, v[10:11], off
	s_waitcnt vmcnt(0)
	v_lshlrev_b32_e32 v1, 16, v1
.LBB762_4:
	s_or_b32 exec_lo, exec_lo, s0
	v_add_nc_u32_e32 v2, 64, v0
	v_cmp_gt_i32_e64 s8, s10, v2
	s_and_b32 s19, s9, s8
	s_and_saveexec_b32 s0, s19
	s_cbranch_execz .LBB762_6
; %bb.5:
	global_load_ushort v2, v[10:11], off offset:128
	s_waitcnt vmcnt(0)
	v_lshlrev_b32_e32 v16, 16, v2
.LBB762_6:
	s_or_b32 exec_lo, exec_lo, s0
	v_add_nc_u32_e32 v2, 0x80, v0
	v_mov_b32_e32 v3, 0xff800000
	v_cmp_gt_i32_e64 s7, s10, v2
	v_mov_b32_e32 v2, 0xff800000
	s_and_b32 s17, s9, s7
	s_and_saveexec_b32 s0, s17
	s_cbranch_execz .LBB762_8
; %bb.7:
	global_load_ushort v2, v[10:11], off offset:256
	s_waitcnt vmcnt(0)
	v_lshlrev_b32_e32 v2, 16, v2
.LBB762_8:
	s_or_b32 exec_lo, exec_lo, s0
	v_add_nc_u32_e32 v4, 0xc0, v0
	v_cmp_gt_i32_e64 s6, s10, v4
	s_and_b32 s16, s9, s6
	s_and_saveexec_b32 s0, s16
	s_cbranch_execz .LBB762_10
; %bb.9:
	global_load_ushort v3, v[10:11], off offset:384
	s_waitcnt vmcnt(0)
	v_lshlrev_b32_e32 v3, 16, v3
.LBB762_10:
	s_or_b32 exec_lo, exec_lo, s0
	v_add_nc_u32_e32 v4, 0x100, v0
	v_mov_b32_e32 v5, 0xff800000
	v_cmp_gt_i32_e64 s3, s10, v4
	v_mov_b32_e32 v4, 0xff800000
	s_and_b32 s15, s9, s3
	s_and_saveexec_b32 s0, s15
	s_cbranch_execz .LBB762_12
; %bb.11:
	global_load_ushort v4, v[10:11], off offset:512
	s_waitcnt vmcnt(0)
	v_lshlrev_b32_e32 v4, 16, v4
.LBB762_12:
	;; [unrolled: 24-line block ×3, first 2 shown]
	s_or_b32 exec_lo, exec_lo, s0
	v_add_nc_u32_e32 v0, 0x1c0, v0
	v_cmp_gt_i32_e64 s0, s10, v0
	s_and_b32 s9, s9, s0
	s_and_saveexec_b32 s10, s9
	s_cbranch_execz .LBB762_18
; %bb.17:
	global_load_ushort v0, v[10:11], off offset:896
	s_waitcnt vmcnt(0)
	v_lshlrev_b32_e32 v7, 16, v0
.LBB762_18:
	s_or_b32 exec_lo, exec_lo, s10
	s_load_dwordx2 s[4:5], s[4:5], 0x20
	s_waitcnt lgkmcnt(0)
	v_add_co_u32 v26, s4, s4, v8
	v_add_co_ci_u32_e64 v27, null, s5, v9, s4
	s_mov_b32 s5, 0
	s_and_saveexec_b32 s10, s18
	s_cbranch_execz .LBB762_32
; %bb.19:
	global_load_ubyte v0, v[26:27], off
	s_waitcnt vmcnt(0)
	v_and_b32_e32 v0, 1, v0
	v_cmp_eq_u32_e64 s4, 1, v0
	s_xor_b32 s4, s4, -1
	s_and_b32 s5, s4, exec_lo
	s_or_b32 exec_lo, exec_lo, s10
	v_mov_b32_e32 v0, v1
	s_and_saveexec_b32 s10, s19
	s_cbranch_execnz .LBB762_33
.LBB762_20:
	s_or_b32 exec_lo, exec_lo, s10
	s_and_saveexec_b32 s10, s17
	s_cbranch_execz .LBB762_36
.LBB762_21:
	global_load_ubyte v8, v[26:27], off offset:128
	s_waitcnt vmcnt(0)
	v_and_b32_e32 v8, 1, v8
	v_cmp_eq_u32_e64 s4, 1, v8
	s_xor_b32 s21, s4, -1
	s_mov_b32 s4, s5
	s_and_saveexec_b32 s20, s21
; %bb.22:
	v_cmp_gt_f32_e64 s4, v0, v2
	s_and_b32 s4, s5, s4
	v_cndmask_b32_e64 v0, v2, v0, s4
	s_or_b32 s4, s5, exec_lo
; %bb.23:
	s_or_b32 exec_lo, exec_lo, s20
	s_andn2_b32 s5, s5, exec_lo
	s_and_b32 s4, s4, exec_lo
	s_or_b32 s5, s5, s4
	s_or_b32 exec_lo, exec_lo, s10
	s_and_saveexec_b32 s10, s16
	s_cbranch_execnz .LBB762_37
.LBB762_24:
	s_or_b32 exec_lo, exec_lo, s10
	s_and_saveexec_b32 s10, s15
	s_cbranch_execz .LBB762_40
.LBB762_25:
	global_load_ubyte v8, v[26:27], off offset:256
	s_waitcnt vmcnt(0)
	v_and_b32_e32 v8, 1, v8
	v_cmp_eq_u32_e64 s4, 1, v8
	s_xor_b32 s21, s4, -1
	s_mov_b32 s4, s5
	s_and_saveexec_b32 s20, s21
; %bb.26:
	v_cmp_gt_f32_e64 s4, v0, v4
	s_and_b32 s4, s5, s4
	v_cndmask_b32_e64 v0, v4, v0, s4
	s_or_b32 s4, s5, exec_lo
; %bb.27:
	s_or_b32 exec_lo, exec_lo, s20
	s_andn2_b32 s5, s5, exec_lo
	s_and_b32 s4, s4, exec_lo
	s_or_b32 s5, s5, s4
	s_or_b32 exec_lo, exec_lo, s10
	s_and_saveexec_b32 s10, s14
	s_cbranch_execnz .LBB762_41
.LBB762_28:
	s_or_b32 exec_lo, exec_lo, s10
	s_and_saveexec_b32 s10, s11
	s_cbranch_execz .LBB762_44
.LBB762_29:
	global_load_ubyte v8, v[26:27], off offset:384
	s_waitcnt vmcnt(0)
	v_and_b32_e32 v8, 1, v8
	v_cmp_eq_u32_e64 s4, 1, v8
	s_xor_b32 s21, s4, -1
	s_mov_b32 s4, s5
	s_and_saveexec_b32 s20, s21
; %bb.30:
	v_cmp_gt_f32_e64 s4, v0, v6
	s_and_b32 s4, s5, s4
	v_cndmask_b32_e64 v0, v6, v0, s4
	s_or_b32 s4, s5, exec_lo
; %bb.31:
	s_or_b32 exec_lo, exec_lo, s20
	s_andn2_b32 s5, s5, exec_lo
	s_and_b32 s4, s4, exec_lo
	s_or_b32 s5, s5, s4
	s_or_b32 exec_lo, exec_lo, s10
	s_and_saveexec_b32 s10, s9
	s_cbranch_execz .LBB762_48
	s_branch .LBB762_45
.LBB762_32:
	s_or_b32 exec_lo, exec_lo, s10
	v_mov_b32_e32 v0, v1
	s_and_saveexec_b32 s10, s19
	s_cbranch_execz .LBB762_20
.LBB762_33:
	global_load_ubyte v0, v[26:27], off offset:64
	s_waitcnt vmcnt(0)
	v_and_b32_e32 v0, 1, v0
	v_cmp_eq_u32_e64 s4, 1, v0
	v_mov_b32_e32 v0, v1
	s_xor_b32 s21, s4, -1
	s_mov_b32 s4, s5
	s_and_saveexec_b32 s20, s21
; %bb.34:
	v_cmp_gt_f32_e64 s4, v1, v16
	s_and_b32 s4, s5, s4
	v_cndmask_b32_e64 v0, v16, v1, s4
	s_or_b32 s4, s5, exec_lo
; %bb.35:
	s_or_b32 exec_lo, exec_lo, s20
	s_andn2_b32 s5, s5, exec_lo
	s_and_b32 s4, s4, exec_lo
	s_or_b32 s5, s5, s4
	s_or_b32 exec_lo, exec_lo, s10
	s_and_saveexec_b32 s10, s17
	s_cbranch_execnz .LBB762_21
.LBB762_36:
	s_or_b32 exec_lo, exec_lo, s10
	s_and_saveexec_b32 s10, s16
	s_cbranch_execz .LBB762_24
.LBB762_37:
	global_load_ubyte v8, v[26:27], off offset:192
	s_waitcnt vmcnt(0)
	v_and_b32_e32 v8, 1, v8
	v_cmp_eq_u32_e64 s4, 1, v8
	s_xor_b32 s21, s4, -1
	s_mov_b32 s4, s5
	s_and_saveexec_b32 s20, s21
; %bb.38:
	v_cmp_gt_f32_e64 s4, v0, v3
	s_and_b32 s4, s5, s4
	v_cndmask_b32_e64 v0, v3, v0, s4
	s_or_b32 s4, s5, exec_lo
; %bb.39:
	s_or_b32 exec_lo, exec_lo, s20
	s_andn2_b32 s5, s5, exec_lo
	s_and_b32 s4, s4, exec_lo
	s_or_b32 s5, s5, s4
	s_or_b32 exec_lo, exec_lo, s10
	s_and_saveexec_b32 s10, s15
	s_cbranch_execnz .LBB762_25
.LBB762_40:
	s_or_b32 exec_lo, exec_lo, s10
	s_and_saveexec_b32 s10, s14
	s_cbranch_execz .LBB762_28
.LBB762_41:
	global_load_ubyte v8, v[26:27], off offset:320
	s_waitcnt vmcnt(0)
	v_and_b32_e32 v8, 1, v8
	v_cmp_eq_u32_e64 s4, 1, v8
	s_xor_b32 s21, s4, -1
	s_mov_b32 s4, s5
	s_and_saveexec_b32 s20, s21
; %bb.42:
	v_cmp_gt_f32_e64 s4, v0, v5
	s_and_b32 s4, s5, s4
	v_cndmask_b32_e64 v0, v5, v0, s4
	s_or_b32 s4, s5, exec_lo
; %bb.43:
	s_or_b32 exec_lo, exec_lo, s20
	s_andn2_b32 s5, s5, exec_lo
	s_and_b32 s4, s4, exec_lo
	s_or_b32 s5, s5, s4
	s_or_b32 exec_lo, exec_lo, s10
	s_and_saveexec_b32 s10, s11
	s_cbranch_execnz .LBB762_29
.LBB762_44:
	s_or_b32 exec_lo, exec_lo, s10
	s_and_saveexec_b32 s10, s9
	s_cbranch_execz .LBB762_48
.LBB762_45:
	global_load_ubyte v8, v[26:27], off offset:448
	s_waitcnt vmcnt(0)
	v_and_b32_e32 v8, 1, v8
	v_cmp_eq_u32_e64 s4, 1, v8
	s_xor_b32 s21, s4, -1
	s_mov_b32 s4, s5
	s_and_saveexec_b32 s20, s21
; %bb.46:
	v_cmp_gt_f32_e64 s4, v0, v7
	s_and_b32 s4, s5, s4
	v_cndmask_b32_e64 v0, v7, v0, s4
	s_or_b32 s4, s5, exec_lo
; %bb.47:
	s_or_b32 exec_lo, exec_lo, s20
	s_andn2_b32 s5, s5, exec_lo
	s_and_b32 s4, s4, exec_lo
	s_or_b32 s5, s5, s4
.LBB762_48:
	s_or_b32 exec_lo, exec_lo, s10
	v_mbcnt_lo_u32_b32 v8, -1, 0
	v_cndmask_b32_e64 v0, 0xff800000, v0, s5
	s_xor_b32 s5, s19, -1
	v_or_b32_e32 v9, 32, v8
	v_xor_b32_e32 v10, 16, v8
	v_cmp_gt_i32_e64 s4, 64, v9
	v_cndmask_b32_e64 v9, v8, v9, s4
	v_cmp_gt_i32_e64 s4, 64, v10
	v_lshlrev_b32_e32 v29, 2, v9
	v_cndmask_b32_e64 v10, v8, v10, s4
	ds_bpermute_b32 v9, v29, v0
	v_lshlrev_b32_e32 v30, 2, v10
	v_xor_b32_e32 v10, 8, v8
	s_waitcnt lgkmcnt(0)
	v_cmp_lt_f32_e64 s4, v0, v9
	v_cndmask_b32_e64 v0, v0, v9, s4
	v_cmp_gt_i32_e64 s4, 64, v10
	ds_bpermute_b32 v9, v30, v0
	v_cndmask_b32_e64 v10, v8, v10, s4
	v_lshlrev_b32_e32 v31, 2, v10
	v_xor_b32_e32 v10, 4, v8
	s_waitcnt lgkmcnt(0)
	v_cmp_lt_f32_e64 s4, v0, v9
	v_cndmask_b32_e64 v0, v0, v9, s4
	v_cmp_gt_i32_e64 s4, 64, v10
	ds_bpermute_b32 v9, v31, v0
	v_cndmask_b32_e64 v10, v8, v10, s4
	;; [unrolled: 8-line block ×4, first 2 shown]
	v_lshlrev_b32_e32 v34, 2, v8
	s_waitcnt lgkmcnt(0)
	v_cmp_lt_f32_e64 s4, v0, v9
	v_cndmask_b32_e64 v0, v0, v9, s4
	ds_bpermute_b32 v8, v34, v0
	s_waitcnt lgkmcnt(0)
	v_cmp_lt_f32_e64 s4, v0, v8
	v_cndmask_b32_e64 v35, v0, v8, s4
	v_mov_b32_e32 v0, 0
	s_and_saveexec_b32 s10, s18
	s_cbranch_execz .LBB762_52
; %bb.49:
	global_load_ubyte v0, v[26:27], off
	s_waitcnt vmcnt(0)
	v_and_b32_e32 v0, 1, v0
	v_cmp_eq_u32_e64 s4, 1, v0
	v_mov_b32_e32 v0, 0
	s_xor_b32 s4, s4, -1
	s_and_saveexec_b32 s18, s4
	s_cbranch_execz .LBB762_51
; %bb.50:
	v_sub_f32_e32 v0, v1, v35
	v_mul_f32_e32 v1, 0x3fb8aa3b, v0
	v_cmp_ngt_f32_e64 s4, 0xc2ce8ed0, v0
	v_fma_f32 v8, 0x3fb8aa3b, v0, -v1
	v_rndne_f32_e32 v9, v1
	v_fmamk_f32 v8, v0, 0x32a5705f, v8
	v_sub_f32_e32 v1, v1, v9
	v_add_f32_e32 v1, v1, v8
	v_cvt_i32_f32_e32 v8, v9
	v_exp_f32_e32 v1, v1
	v_ldexp_f32 v1, v1, v8
	v_cndmask_b32_e64 v1, 0, v1, s4
	v_cmp_nlt_f32_e64 s4, 0x42b17218, v0
	v_cndmask_b32_e64 v0, 0x7f800000, v1, s4
.LBB762_51:
	s_or_b32 exec_lo, exec_lo, s18
.LBB762_52:
	s_or_b32 exec_lo, exec_lo, s10
                                        ; implicit-def: $vgpr8_vgpr9_vgpr10_vgpr11_vgpr12_vgpr13_vgpr14_vgpr15
	s_and_saveexec_b32 s4, s5
	s_xor_b32 s4, exec_lo, s4
	s_cbranch_execz .LBB762_66
; %bb.53:
	s_mov_b32 s5, 0
                                        ; implicit-def: $vgpr16
	v_mov_b32_e32 v1, s5
	v_mov_b32_e32 v15, v7
	;; [unrolled: 1-line block ×9, first 2 shown]
	s_or_saveexec_b32 s10, s4
	s_xor_b32 s5, s17, -1
	s_xor_b32 exec_lo, exec_lo, s10
	s_cbranch_execnz .LBB762_67
.LBB762_54:
	s_or_b32 exec_lo, exec_lo, s10
                                        ; implicit-def: $vgpr16_vgpr17_vgpr18_vgpr19_vgpr20_vgpr21_vgpr22_vgpr23
	s_and_saveexec_b32 s4, s5
	s_xor_b32 s4, exec_lo, s4
	s_cbranch_execz .LBB762_70
.LBB762_55:
	s_mov_b32 s5, 0
	v_mov_b32_e32 v10, s5
	v_mov_b32_e32 v23, v15
	;; [unrolled: 1-line block ×9, first 2 shown]
                                        ; implicit-def: $vgpr8_vgpr9_vgpr10_vgpr11_vgpr12_vgpr13_vgpr14_vgpr15
	s_or_saveexec_b32 s10, s4
	s_xor_b32 s5, s16, -1
	s_xor_b32 exec_lo, exec_lo, s10
	s_cbranch_execnz .LBB762_71
.LBB762_56:
	s_or_b32 exec_lo, exec_lo, s10
                                        ; implicit-def: $vgpr1_vgpr2_vgpr3_vgpr4_vgpr5_vgpr6_vgpr7_vgpr8
	s_and_saveexec_b32 s4, s5
	s_xor_b32 s4, exec_lo, s4
	s_cbranch_execz .LBB762_74
.LBB762_57:
	s_mov_b32 s5, 0
	v_mov_b32_e32 v19, s5
	v_mov_b32_e32 v1, v16
	;; [unrolled: 1-line block ×9, first 2 shown]
                                        ; implicit-def: $vgpr16_vgpr17_vgpr18_vgpr19_vgpr20_vgpr21_vgpr22_vgpr23
	s_or_saveexec_b32 s10, s4
	s_xor_b32 s5, s15, -1
	s_xor_b32 exec_lo, exec_lo, s10
	s_cbranch_execnz .LBB762_75
.LBB762_58:
	s_or_b32 exec_lo, exec_lo, s10
                                        ; implicit-def: $vgpr9_vgpr10_vgpr11_vgpr12_vgpr13_vgpr14_vgpr15_vgpr16
	s_and_saveexec_b32 s4, s5
	s_xor_b32 s4, exec_lo, s4
	s_cbranch_execz .LBB762_78
.LBB762_59:
	s_mov_b32 s5, 0
	v_mov_b32_e32 v5, s5
	v_mov_b32_e32 v16, v8
	;; [unrolled: 1-line block ×9, first 2 shown]
                                        ; implicit-def: $vgpr1_vgpr2_vgpr3_vgpr4_vgpr5_vgpr6_vgpr7_vgpr8
	s_or_saveexec_b32 s10, s4
	s_xor_b32 s5, s14, -1
	s_xor_b32 exec_lo, exec_lo, s10
	s_cbranch_execnz .LBB762_79
.LBB762_60:
	s_or_b32 exec_lo, exec_lo, s10
                                        ; implicit-def: $vgpr1_vgpr2_vgpr3_vgpr4_vgpr5_vgpr6_vgpr7_vgpr8
	s_and_saveexec_b32 s4, s5
	s_xor_b32 s4, exec_lo, s4
	s_cbranch_execz .LBB762_82
.LBB762_61:
	s_mov_b32 s5, 0
	v_mov_b32_e32 v14, s5
	v_mov_b32_e32 v1, v9
	;; [unrolled: 1-line block ×9, first 2 shown]
                                        ; implicit-def: $vgpr9_vgpr10_vgpr11_vgpr12_vgpr13_vgpr14_vgpr15_vgpr16
	s_or_saveexec_b32 s10, s4
	s_xor_b32 s5, s11, -1
	s_xor_b32 exec_lo, exec_lo, s10
	s_cbranch_execnz .LBB762_83
.LBB762_62:
	s_or_b32 exec_lo, exec_lo, s10
                                        ; implicit-def: $vgpr9_vgpr10_vgpr11_vgpr12_vgpr13_vgpr14_vgpr15_vgpr16
	s_and_saveexec_b32 s4, s5
	s_xor_b32 s4, exec_lo, s4
	s_cbranch_execz .LBB762_86
.LBB762_63:
	s_mov_b32 s5, 0
	v_mov_b32_e32 v7, s5
	v_mov_b32_e32 v16, v8
	;; [unrolled: 1-line block ×9, first 2 shown]
                                        ; implicit-def: $vgpr1_vgpr2_vgpr3_vgpr4_vgpr5_vgpr6_vgpr7_vgpr8
	s_or_saveexec_b32 s10, s4
	s_xor_b32 s5, s9, -1
	s_xor_b32 exec_lo, exec_lo, s10
	s_cbranch_execnz .LBB762_87
.LBB762_64:
	s_or_b32 exec_lo, exec_lo, s10
                                        ; implicit-def: $vgpr1_vgpr2_vgpr3_vgpr4_vgpr5_vgpr6_vgpr7_vgpr8
	s_and_saveexec_b32 s4, s5
	s_xor_b32 s4, exec_lo, s4
	s_cbranch_execz .LBB762_90
.LBB762_65:
	s_mov_b32 s5, 0
                                        ; implicit-def: $vgpr26_vgpr27
                                        ; implicit-def: $vgpr35
	v_mov_b32_e32 v16, s5
	v_mov_b32_e32 v1, v9
	;; [unrolled: 1-line block ×9, first 2 shown]
                                        ; implicit-def: $vgpr9_vgpr10_vgpr11_vgpr12_vgpr13_vgpr14_vgpr15_vgpr16
	s_andn2_saveexec_b32 s5, s4
	s_cbranch_execz .LBB762_94
	s_branch .LBB762_91
.LBB762_66:
	s_or_saveexec_b32 s10, s4
	s_xor_b32 s5, s17, -1
	s_xor_b32 exec_lo, exec_lo, s10
	s_cbranch_execz .LBB762_54
.LBB762_67:
	global_load_ubyte v8, v[26:27], off offset:64
	s_mov_b32 s17, 0
	s_waitcnt vmcnt(0)
	v_and_b32_e32 v8, 1, v8
	v_cmp_eq_u32_e64 s4, 1, v8
	v_mov_b32_e32 v15, v7
	v_mov_b32_e32 v9, v1
	v_mov_b32_e32 v14, v6
	v_mov_b32_e32 v13, v5
	v_mov_b32_e32 v12, v4
	v_mov_b32_e32 v11, v3
	v_mov_b32_e32 v10, v2
	v_mov_b32_e32 v8, v0
	v_mov_b32_e32 v9, s17
	s_xor_b32 s4, s4, -1
	s_and_saveexec_b32 s17, s4
	s_xor_b32 s17, exec_lo, s17
	s_cbranch_execz .LBB762_69
; %bb.68:
	v_sub_f32_e32 v1, v16, v35
	v_mul_f32_e32 v8, 0x3fb8aa3b, v1
	v_cmp_ngt_f32_e64 s4, 0xc2ce8ed0, v1
	v_fma_f32 v9, 0x3fb8aa3b, v1, -v8
	v_rndne_f32_e32 v10, v8
	v_fmamk_f32 v9, v1, 0x32a5705f, v9
	v_sub_f32_e32 v8, v8, v10
	v_add_f32_e32 v8, v8, v9
	v_cvt_i32_f32_e32 v9, v10
	v_exp_f32_e32 v8, v8
	v_ldexp_f32 v8, v8, v9
	v_cndmask_b32_e64 v8, 0, v8, s4
	v_cmp_nlt_f32_e64 s4, 0x42b17218, v1
	v_cndmask_b32_e64 v1, 0x7f800000, v8, s4
	v_mov_b32_e32 v15, v7
	v_mov_b32_e32 v14, v6
	v_mov_b32_e32 v13, v5
	v_mov_b32_e32 v12, v4
	v_add_f32_e32 v16, v0, v1
	v_mov_b32_e32 v11, v3
	v_mov_b32_e32 v10, v2
	;; [unrolled: 1-line block ×5, first 2 shown]
.LBB762_69:
	s_andn2_saveexec_b32 s4, s17
	s_or_b32 exec_lo, exec_lo, s4
	s_or_b32 exec_lo, exec_lo, s10
                                        ; implicit-def: $vgpr16_vgpr17_vgpr18_vgpr19_vgpr20_vgpr21_vgpr22_vgpr23
	s_and_saveexec_b32 s4, s5
	s_xor_b32 s4, exec_lo, s4
	s_cbranch_execnz .LBB762_55
.LBB762_70:
	s_or_saveexec_b32 s10, s4
	s_xor_b32 s5, s16, -1
	s_xor_b32 exec_lo, exec_lo, s10
	s_cbranch_execz .LBB762_56
.LBB762_71:
	global_load_ubyte v1, v[26:27], off offset:128
	s_mov_b32 s16, 0
	v_mov_b32_e32 v23, v15
	v_mov_b32_e32 v18, v10
	;; [unrolled: 1-line block ×9, first 2 shown]
	s_waitcnt vmcnt(0)
	v_and_b32_e32 v1, 1, v1
	v_cmp_eq_u32_e64 s4, 1, v1
	s_xor_b32 s4, s4, -1
	s_and_saveexec_b32 s16, s4
	s_xor_b32 s16, exec_lo, s16
	s_cbranch_execz .LBB762_73
; %bb.72:
	v_sub_f32_e32 v1, v10, v35
	v_mul_f32_e32 v2, 0x3fb8aa3b, v1
	v_cmp_ngt_f32_e64 s4, 0xc2ce8ed0, v1
	v_fma_f32 v3, 0x3fb8aa3b, v1, -v2
	v_rndne_f32_e32 v4, v2
	v_fmamk_f32 v3, v1, 0x32a5705f, v3
	v_sub_f32_e32 v2, v2, v4
	v_add_f32_e32 v2, v2, v3
	v_cvt_i32_f32_e32 v3, v4
	v_exp_f32_e32 v2, v2
	v_ldexp_f32 v2, v2, v3
	v_cndmask_b32_e64 v2, 0, v2, s4
	v_cmp_nlt_f32_e64 s4, 0x42b17218, v1
	v_cndmask_b32_e64 v10, 0x7f800000, v2, s4
	v_mov_b32_e32 v23, v15
	v_mov_b32_e32 v22, v14
	;; [unrolled: 1-line block ×4, first 2 shown]
	v_add_f32_e32 v0, v0, v10
	v_mov_b32_e32 v19, v11
	v_mov_b32_e32 v18, v10
	;; [unrolled: 1-line block ×4, first 2 shown]
.LBB762_73:
	s_andn2_saveexec_b32 s4, s16
	s_or_b32 exec_lo, exec_lo, s4
	s_or_b32 exec_lo, exec_lo, s10
                                        ; implicit-def: $vgpr1_vgpr2_vgpr3_vgpr4_vgpr5_vgpr6_vgpr7_vgpr8
	s_and_saveexec_b32 s4, s5
	s_xor_b32 s4, exec_lo, s4
	s_cbranch_execnz .LBB762_57
.LBB762_74:
	s_or_saveexec_b32 s10, s4
	s_xor_b32 s5, s15, -1
	s_xor_b32 exec_lo, exec_lo, s10
	s_cbranch_execz .LBB762_58
.LBB762_75:
	global_load_ubyte v1, v[26:27], off offset:192
	s_mov_b32 s15, 0
	s_waitcnt vmcnt(0)
	v_and_b32_e32 v1, 1, v1
	v_cmp_eq_u32_e64 s4, 1, v1
	v_mov_b32_e32 v1, v16
	v_mov_b32_e32 v4, v19
	;; [unrolled: 1-line block ×9, first 2 shown]
	s_xor_b32 s4, s4, -1
	s_and_saveexec_b32 s15, s4
	s_xor_b32 s15, exec_lo, s15
	s_cbranch_execz .LBB762_77
; %bb.76:
	v_sub_f32_e32 v1, v19, v35
	v_mul_f32_e32 v2, 0x3fb8aa3b, v1
	v_cmp_ngt_f32_e64 s4, 0xc2ce8ed0, v1
	v_fma_f32 v3, 0x3fb8aa3b, v1, -v2
	v_rndne_f32_e32 v4, v2
	v_fmamk_f32 v3, v1, 0x32a5705f, v3
	v_sub_f32_e32 v2, v2, v4
	v_add_f32_e32 v2, v2, v3
	v_cvt_i32_f32_e32 v3, v4
	v_exp_f32_e32 v2, v2
	v_ldexp_f32 v2, v2, v3
	v_cndmask_b32_e64 v2, 0, v2, s4
	v_cmp_nlt_f32_e64 s4, 0x42b17218, v1
	v_cndmask_b32_e64 v19, 0x7f800000, v2, s4
	v_mov_b32_e32 v1, v16
	v_mov_b32_e32 v2, v17
	v_mov_b32_e32 v3, v18
	v_mov_b32_e32 v5, v20
	v_add_f32_e32 v0, v0, v19
	v_mov_b32_e32 v4, v19
	v_mov_b32_e32 v6, v21
	;; [unrolled: 1-line block ×4, first 2 shown]
.LBB762_77:
	s_andn2_saveexec_b32 s4, s15
	s_or_b32 exec_lo, exec_lo, s4
	s_or_b32 exec_lo, exec_lo, s10
                                        ; implicit-def: $vgpr9_vgpr10_vgpr11_vgpr12_vgpr13_vgpr14_vgpr15_vgpr16
	s_and_saveexec_b32 s4, s5
	s_xor_b32 s4, exec_lo, s4
	s_cbranch_execnz .LBB762_59
.LBB762_78:
	s_or_saveexec_b32 s10, s4
	s_xor_b32 s5, s14, -1
	s_xor_b32 exec_lo, exec_lo, s10
	s_cbranch_execz .LBB762_60
.LBB762_79:
	global_load_ubyte v9, v[26:27], off offset:256
	s_mov_b32 s14, 0
	s_waitcnt vmcnt(0)
	v_and_b32_e32 v9, 1, v9
	v_cmp_eq_u32_e64 s4, 1, v9
	v_mov_b32_e32 v16, v8
	v_mov_b32_e32 v13, v5
	;; [unrolled: 1-line block ×9, first 2 shown]
	s_xor_b32 s4, s4, -1
	s_and_saveexec_b32 s14, s4
	s_xor_b32 s14, exec_lo, s14
	s_cbranch_execz .LBB762_81
; %bb.80:
	v_sub_f32_e32 v5, v5, v35
	v_mul_f32_e32 v9, 0x3fb8aa3b, v5
	v_cmp_ngt_f32_e64 s4, 0xc2ce8ed0, v5
	v_fma_f32 v10, 0x3fb8aa3b, v5, -v9
	v_rndne_f32_e32 v11, v9
	v_fmamk_f32 v10, v5, 0x32a5705f, v10
	v_sub_f32_e32 v9, v9, v11
	v_add_f32_e32 v9, v9, v10
	v_cvt_i32_f32_e32 v10, v11
	v_exp_f32_e32 v9, v9
	v_ldexp_f32 v9, v9, v10
	v_cndmask_b32_e64 v9, 0, v9, s4
	v_cmp_nlt_f32_e64 s4, 0x42b17218, v5
	v_cndmask_b32_e64 v5, 0x7f800000, v9, s4
	v_mov_b32_e32 v16, v8
	v_mov_b32_e32 v15, v7
	;; [unrolled: 1-line block ×4, first 2 shown]
	v_add_f32_e32 v0, v0, v5
	v_mov_b32_e32 v13, v5
	v_mov_b32_e32 v11, v3
	;; [unrolled: 1-line block ×4, first 2 shown]
.LBB762_81:
	s_andn2_saveexec_b32 s4, s14
	s_or_b32 exec_lo, exec_lo, s4
	s_or_b32 exec_lo, exec_lo, s10
                                        ; implicit-def: $vgpr1_vgpr2_vgpr3_vgpr4_vgpr5_vgpr6_vgpr7_vgpr8
	s_and_saveexec_b32 s4, s5
	s_xor_b32 s4, exec_lo, s4
	s_cbranch_execnz .LBB762_61
.LBB762_82:
	s_or_saveexec_b32 s10, s4
	s_xor_b32 s5, s11, -1
	s_xor_b32 exec_lo, exec_lo, s10
	s_cbranch_execz .LBB762_62
.LBB762_83:
	global_load_ubyte v1, v[26:27], off offset:320
	s_mov_b32 s11, 0
	s_waitcnt vmcnt(0)
	v_and_b32_e32 v1, 1, v1
	v_cmp_eq_u32_e64 s4, 1, v1
	v_mov_b32_e32 v1, v9
	v_mov_b32_e32 v6, v14
	;; [unrolled: 1-line block ×9, first 2 shown]
	s_xor_b32 s4, s4, -1
	s_and_saveexec_b32 s11, s4
	s_xor_b32 s11, exec_lo, s11
	s_cbranch_execz .LBB762_85
; %bb.84:
	v_sub_f32_e32 v1, v14, v35
	v_mul_f32_e32 v2, 0x3fb8aa3b, v1
	v_cmp_ngt_f32_e64 s4, 0xc2ce8ed0, v1
	v_fma_f32 v3, 0x3fb8aa3b, v1, -v2
	v_rndne_f32_e32 v4, v2
	v_fmamk_f32 v3, v1, 0x32a5705f, v3
	v_sub_f32_e32 v2, v2, v4
	v_add_f32_e32 v2, v2, v3
	v_cvt_i32_f32_e32 v3, v4
	v_exp_f32_e32 v2, v2
	v_ldexp_f32 v2, v2, v3
	v_cndmask_b32_e64 v2, 0, v2, s4
	v_cmp_nlt_f32_e64 s4, 0x42b17218, v1
	v_cndmask_b32_e64 v14, 0x7f800000, v2, s4
	v_mov_b32_e32 v1, v9
	v_mov_b32_e32 v2, v10
	;; [unrolled: 1-line block ×4, first 2 shown]
	v_add_f32_e32 v0, v0, v14
	v_mov_b32_e32 v5, v13
	v_mov_b32_e32 v6, v14
	;; [unrolled: 1-line block ×4, first 2 shown]
.LBB762_85:
	s_andn2_saveexec_b32 s4, s11
	s_or_b32 exec_lo, exec_lo, s4
	s_or_b32 exec_lo, exec_lo, s10
                                        ; implicit-def: $vgpr9_vgpr10_vgpr11_vgpr12_vgpr13_vgpr14_vgpr15_vgpr16
	s_and_saveexec_b32 s4, s5
	s_xor_b32 s4, exec_lo, s4
	s_cbranch_execnz .LBB762_63
.LBB762_86:
	s_or_saveexec_b32 s10, s4
	s_xor_b32 s5, s9, -1
	s_xor_b32 exec_lo, exec_lo, s10
	s_cbranch_execz .LBB762_64
.LBB762_87:
	global_load_ubyte v9, v[26:27], off offset:384
	s_mov_b32 s9, 0
	s_waitcnt vmcnt(0)
	v_and_b32_e32 v9, 1, v9
	v_cmp_eq_u32_e64 s4, 1, v9
	v_mov_b32_e32 v16, v8
	v_mov_b32_e32 v15, v7
	v_mov_b32_e32 v14, v6
	v_mov_b32_e32 v13, v5
	v_mov_b32_e32 v12, v4
	v_mov_b32_e32 v11, v3
	v_mov_b32_e32 v10, v2
	v_mov_b32_e32 v9, v1
	v_mov_b32_e32 v15, s9
	s_xor_b32 s4, s4, -1
	s_and_saveexec_b32 s9, s4
	s_xor_b32 s9, exec_lo, s9
	s_cbranch_execz .LBB762_89
; %bb.88:
	v_sub_f32_e32 v7, v7, v35
	v_mul_f32_e32 v9, 0x3fb8aa3b, v7
	v_cmp_ngt_f32_e64 s4, 0xc2ce8ed0, v7
	v_fma_f32 v10, 0x3fb8aa3b, v7, -v9
	v_rndne_f32_e32 v11, v9
	v_fmamk_f32 v10, v7, 0x32a5705f, v10
	v_sub_f32_e32 v9, v9, v11
	v_add_f32_e32 v9, v9, v10
	v_cvt_i32_f32_e32 v10, v11
	v_exp_f32_e32 v9, v9
	v_ldexp_f32 v9, v9, v10
	v_cndmask_b32_e64 v9, 0, v9, s4
	v_cmp_nlt_f32_e64 s4, 0x42b17218, v7
	v_cndmask_b32_e64 v7, 0x7f800000, v9, s4
	v_mov_b32_e32 v16, v8
	v_mov_b32_e32 v14, v6
	;; [unrolled: 1-line block ×4, first 2 shown]
	v_add_f32_e32 v0, v0, v7
	v_mov_b32_e32 v15, v7
	v_mov_b32_e32 v11, v3
	;; [unrolled: 1-line block ×4, first 2 shown]
.LBB762_89:
	s_andn2_saveexec_b32 s4, s9
	s_or_b32 exec_lo, exec_lo, s4
	s_or_b32 exec_lo, exec_lo, s10
                                        ; implicit-def: $vgpr1_vgpr2_vgpr3_vgpr4_vgpr5_vgpr6_vgpr7_vgpr8
	s_and_saveexec_b32 s4, s5
	s_xor_b32 s4, exec_lo, s4
	s_cbranch_execnz .LBB762_65
.LBB762_90:
	s_andn2_saveexec_b32 s5, s4
	s_cbranch_execz .LBB762_94
.LBB762_91:
	global_load_ubyte v1, v[26:27], off offset:448
	s_mov_b32 s9, 0
	s_waitcnt vmcnt(0)
	v_and_b32_e32 v1, 1, v1
	v_cmp_eq_u32_e64 s4, 1, v1
	v_mov_b32_e32 v1, v9
	v_mov_b32_e32 v8, v16
	;; [unrolled: 1-line block ×9, first 2 shown]
	s_xor_b32 s4, s4, -1
	s_and_saveexec_b32 s9, s4
	s_xor_b32 s9, exec_lo, s9
	s_cbranch_execz .LBB762_93
; %bb.92:
	v_sub_f32_e32 v1, v16, v35
	v_mul_f32_e32 v2, 0x3fb8aa3b, v1
	v_cmp_ngt_f32_e64 s4, 0xc2ce8ed0, v1
	v_fma_f32 v3, 0x3fb8aa3b, v1, -v2
	v_rndne_f32_e32 v4, v2
	v_fmamk_f32 v3, v1, 0x32a5705f, v3
	v_sub_f32_e32 v2, v2, v4
	v_add_f32_e32 v2, v2, v3
	v_cvt_i32_f32_e32 v3, v4
	v_exp_f32_e32 v2, v2
	v_ldexp_f32 v2, v2, v3
	v_cndmask_b32_e64 v2, 0, v2, s4
	v_cmp_nlt_f32_e64 s4, 0x42b17218, v1
	v_cndmask_b32_e64 v16, 0x7f800000, v2, s4
	v_mov_b32_e32 v1, v9
	v_mov_b32_e32 v2, v10
	;; [unrolled: 1-line block ×4, first 2 shown]
	v_add_f32_e32 v0, v0, v16
	v_mov_b32_e32 v5, v13
	v_mov_b32_e32 v6, v14
	;; [unrolled: 1-line block ×4, first 2 shown]
.LBB762_93:
	s_andn2_saveexec_b32 s4, s9
	s_or_b32 exec_lo, exec_lo, s4
.LBB762_94:
	s_or_b32 exec_lo, exec_lo, s5
	ds_bpermute_b32 v9, v29, v0
	s_mov_b32 s5, exec_lo
	s_waitcnt lgkmcnt(0)
	v_add_f32_e32 v0, v0, v9
	ds_bpermute_b32 v9, v30, v0
	s_waitcnt lgkmcnt(0)
	v_add_f32_e32 v0, v0, v9
	ds_bpermute_b32 v9, v31, v0
	;; [unrolled: 3-line block ×5, first 2 shown]
	v_cmpx_lt_i32_e32 0, v28
	s_cbranch_execz .LBB762_120
; %bb.95:
	s_and_b32 exec_lo, exec_lo, vcc_lo
	s_cbranch_execz .LBB762_120
; %bb.96:
	s_waitcnt lgkmcnt(0)
	v_add_f32_e32 v9, v0, v9
	v_mov_b32_e32 v10, 0x7fc0
	v_cmp_neq_f32_e64 s4, 0, v9
	s_and_saveexec_b32 s5, s4
	s_cbranch_execz .LBB762_98
; %bb.97:
	v_div_scale_f32 v0, null, v9, v9, v1
	v_div_scale_f32 v12, vcc_lo, v1, v9, v1
	v_rcp_f32_e32 v10, v0
	v_fma_f32 v11, -v0, v10, 1.0
	v_fmac_f32_e32 v10, v11, v10
	v_mul_f32_e32 v11, v12, v10
	v_fma_f32 v13, -v0, v11, v12
	v_fmac_f32_e32 v11, v13, v10
	v_fma_f32 v0, -v0, v11, v12
	v_div_fmas_f32 v0, v0, v10, v11
	v_div_fixup_f32 v0, v0, v9, v1
	v_bfe_u32 v1, v0, 16, 1
	v_cmp_o_f32_e32 vcc_lo, v0, v0
	v_add3_u32 v0, v0, v1, 0x7fff
	v_mov_b32_e32 v1, 0x7fc0
	v_cndmask_b32_sdwa v10, v1, v0, vcc_lo dst_sel:DWORD dst_unused:UNUSED_PAD src0_sel:DWORD src1_sel:WORD_1
.LBB762_98:
	s_or_b32 exec_lo, exec_lo, s5
	v_add_co_u32 v0, vcc_lo, s12, v24
	v_add_co_ci_u32_e64 v1, null, s13, v25, vcc_lo
	global_store_short v[0:1], v10, off
	s_and_b32 exec_lo, exec_lo, s8
	s_cbranch_execz .LBB762_120
; %bb.99:
	v_mov_b32_e32 v10, 0x7fc0
	s_and_saveexec_b32 s5, s4
	s_cbranch_execz .LBB762_101
; %bb.100:
	v_div_scale_f32 v10, null, v9, v9, v2
	v_div_scale_f32 v13, vcc_lo, v2, v9, v2
	v_rcp_f32_e32 v11, v10
	v_fma_f32 v12, -v10, v11, 1.0
	v_fmac_f32_e32 v11, v12, v11
	v_mul_f32_e32 v12, v13, v11
	v_fma_f32 v14, -v10, v12, v13
	v_fmac_f32_e32 v12, v14, v11
	v_fma_f32 v10, -v10, v12, v13
	v_div_fmas_f32 v10, v10, v11, v12
	v_div_fixup_f32 v2, v10, v9, v2
	v_bfe_u32 v10, v2, 16, 1
	v_cmp_o_f32_e32 vcc_lo, v2, v2
	v_add3_u32 v2, v2, v10, 0x7fff
	v_mov_b32_e32 v10, 0x7fc0
	v_cndmask_b32_sdwa v10, v10, v2, vcc_lo dst_sel:DWORD dst_unused:UNUSED_PAD src0_sel:DWORD src1_sel:WORD_1
.LBB762_101:
	s_or_b32 exec_lo, exec_lo, s5
	global_store_short v[0:1], v10, off offset:128
	s_and_b32 exec_lo, exec_lo, s7
	s_cbranch_execz .LBB762_120
; %bb.102:
	v_mov_b32_e32 v2, 0x7fc0
	s_and_saveexec_b32 s5, s4
	s_cbranch_execz .LBB762_104
; %bb.103:
	v_div_scale_f32 v2, null, v9, v9, v3
	v_div_scale_f32 v12, vcc_lo, v3, v9, v3
	v_rcp_f32_e32 v10, v2
	v_fma_f32 v11, -v2, v10, 1.0
	v_fmac_f32_e32 v10, v11, v10
	v_mul_f32_e32 v11, v12, v10
	v_fma_f32 v13, -v2, v11, v12
	v_fmac_f32_e32 v11, v13, v10
	v_fma_f32 v2, -v2, v11, v12
	v_div_fmas_f32 v2, v2, v10, v11
	v_div_fixup_f32 v2, v2, v9, v3
	v_bfe_u32 v3, v2, 16, 1
	v_cmp_o_f32_e32 vcc_lo, v2, v2
	v_add3_u32 v2, v2, v3, 0x7fff
	v_mov_b32_e32 v3, 0x7fc0
	v_cndmask_b32_sdwa v2, v3, v2, vcc_lo dst_sel:DWORD dst_unused:UNUSED_PAD src0_sel:DWORD src1_sel:WORD_1
.LBB762_104:
	s_or_b32 exec_lo, exec_lo, s5
	global_store_short v[0:1], v2, off offset:256
	;; [unrolled: 26-line block ×7, first 2 shown]
.LBB762_120:
	s_endpgm
	.section	.rodata,"a",@progbits
	.p2align	6, 0x0
	.amdhsa_kernel _ZN12_GLOBAL__N_120softmax_warp_forwardIN3c108BFloat16ES2_fLi9ELb0ELb1ELi64EEEvPT0_PKT_iiiPKbib
		.amdhsa_group_segment_fixed_size 0
		.amdhsa_private_segment_fixed_size 0
		.amdhsa_kernarg_size 304
		.amdhsa_user_sgpr_count 6
		.amdhsa_user_sgpr_private_segment_buffer 1
		.amdhsa_user_sgpr_dispatch_ptr 0
		.amdhsa_user_sgpr_queue_ptr 0
		.amdhsa_user_sgpr_kernarg_segment_ptr 1
		.amdhsa_user_sgpr_dispatch_id 0
		.amdhsa_user_sgpr_flat_scratch_init 0
		.amdhsa_user_sgpr_private_segment_size 0
		.amdhsa_wavefront_size32 1
		.amdhsa_uses_dynamic_stack 0
		.amdhsa_system_sgpr_private_segment_wavefront_offset 0
		.amdhsa_system_sgpr_workgroup_id_x 1
		.amdhsa_system_sgpr_workgroup_id_y 0
		.amdhsa_system_sgpr_workgroup_id_z 0
		.amdhsa_system_sgpr_workgroup_info 0
		.amdhsa_system_vgpr_workitem_id 1
		.amdhsa_next_free_vgpr 36
		.amdhsa_next_free_sgpr 22
		.amdhsa_reserve_vcc 1
		.amdhsa_reserve_flat_scratch 0
		.amdhsa_float_round_mode_32 0
		.amdhsa_float_round_mode_16_64 0
		.amdhsa_float_denorm_mode_32 3
		.amdhsa_float_denorm_mode_16_64 3
		.amdhsa_dx10_clamp 1
		.amdhsa_ieee_mode 1
		.amdhsa_fp16_overflow 0
		.amdhsa_workgroup_processor_mode 1
		.amdhsa_memory_ordered 1
		.amdhsa_forward_progress 1
		.amdhsa_shared_vgpr_count 0
		.amdhsa_exception_fp_ieee_invalid_op 0
		.amdhsa_exception_fp_denorm_src 0
		.amdhsa_exception_fp_ieee_div_zero 0
		.amdhsa_exception_fp_ieee_overflow 0
		.amdhsa_exception_fp_ieee_underflow 0
		.amdhsa_exception_fp_ieee_inexact 0
		.amdhsa_exception_int_div_zero 0
	.end_amdhsa_kernel
	.section	.text._ZN12_GLOBAL__N_120softmax_warp_forwardIN3c108BFloat16ES2_fLi9ELb0ELb1ELi64EEEvPT0_PKT_iiiPKbib,"axG",@progbits,_ZN12_GLOBAL__N_120softmax_warp_forwardIN3c108BFloat16ES2_fLi9ELb0ELb1ELi64EEEvPT0_PKT_iiiPKbib,comdat
.Lfunc_end762:
	.size	_ZN12_GLOBAL__N_120softmax_warp_forwardIN3c108BFloat16ES2_fLi9ELb0ELb1ELi64EEEvPT0_PKT_iiiPKbib, .Lfunc_end762-_ZN12_GLOBAL__N_120softmax_warp_forwardIN3c108BFloat16ES2_fLi9ELb0ELb1ELi64EEEvPT0_PKT_iiiPKbib
                                        ; -- End function
	.set _ZN12_GLOBAL__N_120softmax_warp_forwardIN3c108BFloat16ES2_fLi9ELb0ELb1ELi64EEEvPT0_PKT_iiiPKbib.num_vgpr, 36
	.set _ZN12_GLOBAL__N_120softmax_warp_forwardIN3c108BFloat16ES2_fLi9ELb0ELb1ELi64EEEvPT0_PKT_iiiPKbib.num_agpr, 0
	.set _ZN12_GLOBAL__N_120softmax_warp_forwardIN3c108BFloat16ES2_fLi9ELb0ELb1ELi64EEEvPT0_PKT_iiiPKbib.numbered_sgpr, 22
	.set _ZN12_GLOBAL__N_120softmax_warp_forwardIN3c108BFloat16ES2_fLi9ELb0ELb1ELi64EEEvPT0_PKT_iiiPKbib.num_named_barrier, 0
	.set _ZN12_GLOBAL__N_120softmax_warp_forwardIN3c108BFloat16ES2_fLi9ELb0ELb1ELi64EEEvPT0_PKT_iiiPKbib.private_seg_size, 0
	.set _ZN12_GLOBAL__N_120softmax_warp_forwardIN3c108BFloat16ES2_fLi9ELb0ELb1ELi64EEEvPT0_PKT_iiiPKbib.uses_vcc, 1
	.set _ZN12_GLOBAL__N_120softmax_warp_forwardIN3c108BFloat16ES2_fLi9ELb0ELb1ELi64EEEvPT0_PKT_iiiPKbib.uses_flat_scratch, 0
	.set _ZN12_GLOBAL__N_120softmax_warp_forwardIN3c108BFloat16ES2_fLi9ELb0ELb1ELi64EEEvPT0_PKT_iiiPKbib.has_dyn_sized_stack, 0
	.set _ZN12_GLOBAL__N_120softmax_warp_forwardIN3c108BFloat16ES2_fLi9ELb0ELb1ELi64EEEvPT0_PKT_iiiPKbib.has_recursion, 0
	.set _ZN12_GLOBAL__N_120softmax_warp_forwardIN3c108BFloat16ES2_fLi9ELb0ELb1ELi64EEEvPT0_PKT_iiiPKbib.has_indirect_call, 0
	.section	.AMDGPU.csdata,"",@progbits
; Kernel info:
; codeLenInByte = 5608
; TotalNumSgprs: 24
; NumVgprs: 36
; ScratchSize: 0
; MemoryBound: 0
; FloatMode: 240
; IeeeMode: 1
; LDSByteSize: 0 bytes/workgroup (compile time only)
; SGPRBlocks: 0
; VGPRBlocks: 4
; NumSGPRsForWavesPerEU: 24
; NumVGPRsForWavesPerEU: 36
; Occupancy: 16
; WaveLimiterHint : 0
; COMPUTE_PGM_RSRC2:SCRATCH_EN: 0
; COMPUTE_PGM_RSRC2:USER_SGPR: 6
; COMPUTE_PGM_RSRC2:TRAP_HANDLER: 0
; COMPUTE_PGM_RSRC2:TGID_X_EN: 1
; COMPUTE_PGM_RSRC2:TGID_Y_EN: 0
; COMPUTE_PGM_RSRC2:TGID_Z_EN: 0
; COMPUTE_PGM_RSRC2:TIDIG_COMP_CNT: 1
	.section	.text._ZN12_GLOBAL__N_120softmax_warp_forwardIN3c108BFloat16ES2_fLi9ELb0ELb1ELi32EEEvPT0_PKT_iiiPKbib,"axG",@progbits,_ZN12_GLOBAL__N_120softmax_warp_forwardIN3c108BFloat16ES2_fLi9ELb0ELb1ELi32EEEvPT0_PKT_iiiPKbib,comdat
	.globl	_ZN12_GLOBAL__N_120softmax_warp_forwardIN3c108BFloat16ES2_fLi9ELb0ELb1ELi32EEEvPT0_PKT_iiiPKbib ; -- Begin function _ZN12_GLOBAL__N_120softmax_warp_forwardIN3c108BFloat16ES2_fLi9ELb0ELb1ELi32EEEvPT0_PKT_iiiPKbib
	.p2align	8
	.type	_ZN12_GLOBAL__N_120softmax_warp_forwardIN3c108BFloat16ES2_fLi9ELb0ELb1ELi32EEEvPT0_PKT_iiiPKbib,@function
_ZN12_GLOBAL__N_120softmax_warp_forwardIN3c108BFloat16ES2_fLi9ELb0ELb1ELi32EEEvPT0_PKT_iiiPKbib: ; @_ZN12_GLOBAL__N_120softmax_warp_forwardIN3c108BFloat16ES2_fLi9ELb0ELb1ELi32EEEvPT0_PKT_iiiPKbib
; %bb.0:
	s_clause 0x1
	s_load_dword s0, s[4:5], 0x3c
	s_load_dwordx4 s[16:19], s[4:5], 0x10
	s_waitcnt lgkmcnt(0)
	s_lshr_b32 s0, s0, 16
	v_mad_u64_u32 v[1:2], null, s6, s0, v[1:2]
	s_load_dwordx2 s[0:1], s[4:5], 0x28
	v_mul_lo_u32 v4, v1, s17
	v_add_nc_u32_e32 v2, v4, v0
	v_ashrrev_i32_e32 v3, 31, v2
	s_waitcnt lgkmcnt(0)
	s_bitcmp0_b32 s1, 0
	v_mov_b32_e32 v17, v3
	v_mov_b32_e32 v16, v2
	s_cbranch_scc1 .LBB763_2
; %bb.1:
	s_abs_i32 s1, s0
	v_sub_nc_u32_e32 v7, 0, v4
	v_cvt_f32_u32_e32 v5, s1
	s_sub_i32 s2, 0, s1
	v_max_i32_e32 v7, v4, v7
	v_rcp_iflag_f32_e32 v5, v5
	v_xor_b32_e32 v4, s0, v4
	v_ashrrev_i32_e32 v4, 31, v4
	v_mul_f32_e32 v5, 0x4f7ffffe, v5
	v_cvt_u32_f32_e32 v5, v5
	v_mul_lo_u32 v6, s2, v5
	v_mul_hi_u32 v6, v5, v6
	v_add_nc_u32_e32 v5, v5, v6
	v_mul_hi_u32 v5, v7, v5
	v_mul_lo_u32 v6, v5, s1
	v_sub_nc_u32_e32 v6, v7, v6
	v_add_nc_u32_e32 v7, 1, v5
	v_subrev_nc_u32_e32 v8, s1, v6
	v_cmp_le_u32_e32 vcc_lo, s1, v6
	v_cndmask_b32_e32 v5, v5, v7, vcc_lo
	v_cndmask_b32_e32 v6, v6, v8, vcc_lo
	v_add_nc_u32_e32 v7, 1, v5
	v_cmp_le_u32_e32 vcc_lo, s1, v6
	v_cndmask_b32_e32 v5, v5, v7, vcc_lo
	v_xor_b32_e32 v5, v5, v4
	v_sub_nc_u32_e32 v4, v5, v4
	v_mad_u64_u32 v[16:17], null, v4, s17, v[0:1]
	v_ashrrev_i32_e32 v17, 31, v16
.LBB763_2:
	s_load_dwordx4 s[20:23], s[4:5], 0x0
	v_lshlrev_b64 v[48:49], 1, v[2:3]
	v_sub_nc_u32_e32 v52, s16, v1
	v_cmp_gt_i32_e32 vcc_lo, s18, v0
	v_mov_b32_e32 v32, 0xff800000
	v_mov_b32_e32 v1, 0xff800000
	v_cmp_lt_i32_e64 s17, 0, v52
	s_and_b32 s35, s17, vcc_lo
	s_waitcnt lgkmcnt(0)
	v_add_co_u32 v18, s0, s22, v48
	v_add_co_ci_u32_e64 v19, null, s23, v49, s0
	s_and_saveexec_b32 s0, s35
	s_cbranch_execz .LBB763_4
; %bb.3:
	global_load_ushort v1, v[18:19], off
	s_waitcnt vmcnt(0)
	v_lshlrev_b32_e32 v1, 16, v1
.LBB763_4:
	s_or_b32 exec_lo, exec_lo, s0
	v_add_nc_u32_e32 v2, 32, v0
	v_cmp_gt_i32_e64 s16, s18, v2
	s_and_b32 s36, s17, s16
	s_and_saveexec_b32 s0, s36
	s_cbranch_execz .LBB763_6
; %bb.5:
	global_load_ushort v2, v[18:19], off offset:64
	s_waitcnt vmcnt(0)
	v_lshlrev_b32_e32 v32, 16, v2
.LBB763_6:
	s_or_b32 exec_lo, exec_lo, s0
	v_add_nc_u32_e32 v2, 64, v0
	v_mov_b32_e32 v3, 0xff800000
	v_cmp_gt_i32_e64 s15, s18, v2
	v_mov_b32_e32 v2, 0xff800000
	s_and_b32 s34, s17, s15
	s_and_saveexec_b32 s0, s34
	s_cbranch_execz .LBB763_8
; %bb.7:
	global_load_ushort v2, v[18:19], off offset:128
	s_waitcnt vmcnt(0)
	v_lshlrev_b32_e32 v2, 16, v2
.LBB763_8:
	s_or_b32 exec_lo, exec_lo, s0
	v_add_nc_u32_e32 v4, 0x60, v0
	v_cmp_gt_i32_e64 s14, s18, v4
	s_and_b32 s33, s17, s14
	s_and_saveexec_b32 s0, s33
	s_cbranch_execz .LBB763_10
; %bb.9:
	global_load_ushort v3, v[18:19], off offset:192
	s_waitcnt vmcnt(0)
	v_lshlrev_b32_e32 v3, 16, v3
.LBB763_10:
	s_or_b32 exec_lo, exec_lo, s0
	v_add_nc_u32_e32 v4, 0x80, v0
	v_mov_b32_e32 v5, 0xff800000
	v_cmp_gt_i32_e64 s13, s18, v4
	v_mov_b32_e32 v4, 0xff800000
	s_and_b32 s31, s17, s13
	s_and_saveexec_b32 s0, s31
	s_cbranch_execz .LBB763_12
; %bb.11:
	global_load_ushort v4, v[18:19], off offset:256
	s_waitcnt vmcnt(0)
	v_lshlrev_b32_e32 v4, 16, v4
.LBB763_12:
	s_or_b32 exec_lo, exec_lo, s0
	v_add_nc_u32_e32 v6, 0xa0, v0
	v_cmp_gt_i32_e64 s12, s18, v6
	s_and_b32 s30, s17, s12
	s_and_saveexec_b32 s0, s30
	s_cbranch_execz .LBB763_14
; %bb.13:
	global_load_ushort v5, v[18:19], off offset:320
	s_waitcnt vmcnt(0)
	v_lshlrev_b32_e32 v5, 16, v5
.LBB763_14:
	s_or_b32 exec_lo, exec_lo, s0
	v_add_nc_u32_e32 v6, 0xc0, v0
	v_mov_b32_e32 v7, 0xff800000
	v_cmp_gt_i32_e64 s11, s18, v6
	v_mov_b32_e32 v6, 0xff800000
	s_and_b32 s29, s17, s11
	s_and_saveexec_b32 s0, s29
	s_cbranch_execz .LBB763_16
; %bb.15:
	global_load_ushort v6, v[18:19], off offset:384
	s_waitcnt vmcnt(0)
	v_lshlrev_b32_e32 v6, 16, v6
.LBB763_16:
	s_or_b32 exec_lo, exec_lo, s0
	v_add_nc_u32_e32 v8, 0xe0, v0
	v_cmp_gt_i32_e64 s10, s18, v8
	s_and_b32 s28, s17, s10
	s_and_saveexec_b32 s0, s28
	s_cbranch_execz .LBB763_18
; %bb.17:
	global_load_ushort v7, v[18:19], off offset:448
	s_waitcnt vmcnt(0)
	v_lshlrev_b32_e32 v7, 16, v7
.LBB763_18:
	s_or_b32 exec_lo, exec_lo, s0
	v_add_nc_u32_e32 v8, 0x100, v0
	v_mov_b32_e32 v9, 0xff800000
	v_cmp_gt_i32_e64 s9, s18, v8
	v_mov_b32_e32 v8, 0xff800000
	s_and_b32 s27, s17, s9
	s_and_saveexec_b32 s0, s27
	s_cbranch_execz .LBB763_20
; %bb.19:
	global_load_ushort v8, v[18:19], off offset:512
	s_waitcnt vmcnt(0)
	v_lshlrev_b32_e32 v8, 16, v8
.LBB763_20:
	s_or_b32 exec_lo, exec_lo, s0
	v_add_nc_u32_e32 v10, 0x120, v0
	v_cmp_gt_i32_e64 s8, s18, v10
	s_and_b32 s26, s17, s8
	s_and_saveexec_b32 s0, s26
	s_cbranch_execz .LBB763_22
; %bb.21:
	global_load_ushort v9, v[18:19], off offset:576
	s_waitcnt vmcnt(0)
	v_lshlrev_b32_e32 v9, 16, v9
.LBB763_22:
	s_or_b32 exec_lo, exec_lo, s0
	v_add_nc_u32_e32 v10, 0x140, v0
	v_mov_b32_e32 v11, 0xff800000
	v_cmp_gt_i32_e64 s7, s18, v10
	v_mov_b32_e32 v10, 0xff800000
	s_and_b32 s25, s17, s7
	s_and_saveexec_b32 s0, s25
	s_cbranch_execz .LBB763_24
; %bb.23:
	global_load_ushort v10, v[18:19], off offset:640
	s_waitcnt vmcnt(0)
	v_lshlrev_b32_e32 v10, 16, v10
.LBB763_24:
	s_or_b32 exec_lo, exec_lo, s0
	v_add_nc_u32_e32 v12, 0x160, v0
	v_cmp_gt_i32_e64 s6, s18, v12
	s_and_b32 s24, s17, s6
	s_and_saveexec_b32 s0, s24
	s_cbranch_execz .LBB763_26
; %bb.25:
	global_load_ushort v11, v[18:19], off offset:704
	s_waitcnt vmcnt(0)
	v_lshlrev_b32_e32 v11, 16, v11
.LBB763_26:
	s_or_b32 exec_lo, exec_lo, s0
	v_add_nc_u32_e32 v12, 0x180, v0
	v_mov_b32_e32 v13, 0xff800000
	v_cmp_gt_i32_e64 s3, s18, v12
	v_mov_b32_e32 v12, 0xff800000
	s_and_b32 s23, s17, s3
	s_and_saveexec_b32 s0, s23
	s_cbranch_execz .LBB763_28
; %bb.27:
	global_load_ushort v12, v[18:19], off offset:768
	s_waitcnt vmcnt(0)
	v_lshlrev_b32_e32 v12, 16, v12
.LBB763_28:
	s_or_b32 exec_lo, exec_lo, s0
	v_add_nc_u32_e32 v14, 0x1a0, v0
	v_cmp_gt_i32_e64 s2, s18, v14
	s_and_b32 s22, s17, s2
	s_and_saveexec_b32 s0, s22
	s_cbranch_execz .LBB763_30
; %bb.29:
	global_load_ushort v13, v[18:19], off offset:832
	s_waitcnt vmcnt(0)
	v_lshlrev_b32_e32 v13, 16, v13
.LBB763_30:
	s_or_b32 exec_lo, exec_lo, s0
	v_add_nc_u32_e32 v14, 0x1c0, v0
	v_mov_b32_e32 v15, 0xff800000
	v_cmp_gt_i32_e64 s1, s18, v14
	v_mov_b32_e32 v14, 0xff800000
	s_and_b32 s19, s17, s1
	s_and_saveexec_b32 s0, s19
	s_cbranch_execz .LBB763_32
; %bb.31:
	global_load_ushort v14, v[18:19], off offset:896
	s_waitcnt vmcnt(0)
	v_lshlrev_b32_e32 v14, 16, v14
.LBB763_32:
	s_or_b32 exec_lo, exec_lo, s0
	v_add_nc_u32_e32 v0, 0x1e0, v0
	v_cmp_gt_i32_e64 s0, s18, v0
	s_and_b32 s17, s17, s0
	s_and_saveexec_b32 s18, s17
	s_cbranch_execz .LBB763_34
; %bb.33:
	global_load_ushort v0, v[18:19], off offset:960
	s_waitcnt vmcnt(0)
	v_lshlrev_b32_e32 v15, 16, v0
.LBB763_34:
	s_or_b32 exec_lo, exec_lo, s18
	s_load_dwordx2 s[4:5], s[4:5], 0x20
	s_waitcnt lgkmcnt(0)
	v_add_co_u32 v50, s4, s4, v16
	v_add_co_ci_u32_e64 v51, null, s5, v17, s4
	s_mov_b32 s5, 0
	s_and_saveexec_b32 s18, s35
	s_cbranch_execz .LBB763_64
; %bb.35:
	global_load_ubyte v0, v[50:51], off
	s_waitcnt vmcnt(0)
	v_and_b32_e32 v0, 1, v0
	v_cmp_eq_u32_e64 s4, 1, v0
	s_xor_b32 s4, s4, -1
	s_and_b32 s5, s4, exec_lo
	s_or_b32 exec_lo, exec_lo, s18
	v_mov_b32_e32 v0, v1
	s_and_saveexec_b32 s18, s36
	s_cbranch_execnz .LBB763_65
.LBB763_36:
	s_or_b32 exec_lo, exec_lo, s18
	s_and_saveexec_b32 s18, s34
	s_cbranch_execz .LBB763_68
.LBB763_37:
	global_load_ubyte v16, v[50:51], off offset:64
	s_waitcnt vmcnt(0)
	v_and_b32_e32 v16, 1, v16
	v_cmp_eq_u32_e64 s4, 1, v16
	s_xor_b32 s38, s4, -1
	s_mov_b32 s4, s5
	s_and_saveexec_b32 s37, s38
; %bb.38:
	v_cmp_gt_f32_e64 s4, v0, v2
	s_and_b32 s4, s5, s4
	v_cndmask_b32_e64 v0, v2, v0, s4
	s_or_b32 s4, s5, exec_lo
; %bb.39:
	s_or_b32 exec_lo, exec_lo, s37
	s_andn2_b32 s5, s5, exec_lo
	s_and_b32 s4, s4, exec_lo
	s_or_b32 s5, s5, s4
	s_or_b32 exec_lo, exec_lo, s18
	s_and_saveexec_b32 s18, s33
	s_cbranch_execnz .LBB763_69
.LBB763_40:
	s_or_b32 exec_lo, exec_lo, s18
	s_and_saveexec_b32 s18, s31
	s_cbranch_execz .LBB763_72
.LBB763_41:
	global_load_ubyte v16, v[50:51], off offset:128
	s_waitcnt vmcnt(0)
	v_and_b32_e32 v16, 1, v16
	v_cmp_eq_u32_e64 s4, 1, v16
	s_xor_b32 s38, s4, -1
	s_mov_b32 s4, s5
	s_and_saveexec_b32 s37, s38
; %bb.42:
	v_cmp_gt_f32_e64 s4, v0, v4
	s_and_b32 s4, s5, s4
	v_cndmask_b32_e64 v0, v4, v0, s4
	s_or_b32 s4, s5, exec_lo
; %bb.43:
	s_or_b32 exec_lo, exec_lo, s37
	s_andn2_b32 s5, s5, exec_lo
	s_and_b32 s4, s4, exec_lo
	s_or_b32 s5, s5, s4
	s_or_b32 exec_lo, exec_lo, s18
	s_and_saveexec_b32 s18, s30
	s_cbranch_execnz .LBB763_73
.LBB763_44:
	s_or_b32 exec_lo, exec_lo, s18
	s_and_saveexec_b32 s18, s29
	s_cbranch_execz .LBB763_76
.LBB763_45:
	global_load_ubyte v16, v[50:51], off offset:192
	s_waitcnt vmcnt(0)
	v_and_b32_e32 v16, 1, v16
	v_cmp_eq_u32_e64 s4, 1, v16
	s_xor_b32 s38, s4, -1
	s_mov_b32 s4, s5
	s_and_saveexec_b32 s37, s38
; %bb.46:
	v_cmp_gt_f32_e64 s4, v0, v6
	s_and_b32 s4, s5, s4
	v_cndmask_b32_e64 v0, v6, v0, s4
	s_or_b32 s4, s5, exec_lo
; %bb.47:
	s_or_b32 exec_lo, exec_lo, s37
	s_andn2_b32 s5, s5, exec_lo
	s_and_b32 s4, s4, exec_lo
	s_or_b32 s5, s5, s4
	s_or_b32 exec_lo, exec_lo, s18
	s_and_saveexec_b32 s18, s28
	s_cbranch_execnz .LBB763_77
.LBB763_48:
	s_or_b32 exec_lo, exec_lo, s18
	s_and_saveexec_b32 s18, s27
	s_cbranch_execz .LBB763_80
.LBB763_49:
	global_load_ubyte v16, v[50:51], off offset:256
	s_waitcnt vmcnt(0)
	v_and_b32_e32 v16, 1, v16
	v_cmp_eq_u32_e64 s4, 1, v16
	s_xor_b32 s38, s4, -1
	s_mov_b32 s4, s5
	s_and_saveexec_b32 s37, s38
; %bb.50:
	v_cmp_gt_f32_e64 s4, v0, v8
	s_and_b32 s4, s5, s4
	v_cndmask_b32_e64 v0, v8, v0, s4
	s_or_b32 s4, s5, exec_lo
; %bb.51:
	s_or_b32 exec_lo, exec_lo, s37
	s_andn2_b32 s5, s5, exec_lo
	s_and_b32 s4, s4, exec_lo
	s_or_b32 s5, s5, s4
	s_or_b32 exec_lo, exec_lo, s18
	s_and_saveexec_b32 s18, s26
	s_cbranch_execnz .LBB763_81
.LBB763_52:
	s_or_b32 exec_lo, exec_lo, s18
	s_and_saveexec_b32 s18, s25
	s_cbranch_execz .LBB763_84
.LBB763_53:
	global_load_ubyte v16, v[50:51], off offset:320
	s_waitcnt vmcnt(0)
	v_and_b32_e32 v16, 1, v16
	v_cmp_eq_u32_e64 s4, 1, v16
	s_xor_b32 s38, s4, -1
	s_mov_b32 s4, s5
	s_and_saveexec_b32 s37, s38
; %bb.54:
	v_cmp_gt_f32_e64 s4, v0, v10
	s_and_b32 s4, s5, s4
	v_cndmask_b32_e64 v0, v10, v0, s4
	s_or_b32 s4, s5, exec_lo
; %bb.55:
	s_or_b32 exec_lo, exec_lo, s37
	s_andn2_b32 s5, s5, exec_lo
	s_and_b32 s4, s4, exec_lo
	s_or_b32 s5, s5, s4
	s_or_b32 exec_lo, exec_lo, s18
	s_and_saveexec_b32 s18, s24
	s_cbranch_execnz .LBB763_85
.LBB763_56:
	s_or_b32 exec_lo, exec_lo, s18
	s_and_saveexec_b32 s18, s23
	s_cbranch_execz .LBB763_88
.LBB763_57:
	global_load_ubyte v16, v[50:51], off offset:384
	s_waitcnt vmcnt(0)
	v_and_b32_e32 v16, 1, v16
	v_cmp_eq_u32_e64 s4, 1, v16
	s_xor_b32 s38, s4, -1
	s_mov_b32 s4, s5
	s_and_saveexec_b32 s37, s38
; %bb.58:
	v_cmp_gt_f32_e64 s4, v0, v12
	s_and_b32 s4, s5, s4
	v_cndmask_b32_e64 v0, v12, v0, s4
	s_or_b32 s4, s5, exec_lo
; %bb.59:
	s_or_b32 exec_lo, exec_lo, s37
	s_andn2_b32 s5, s5, exec_lo
	s_and_b32 s4, s4, exec_lo
	s_or_b32 s5, s5, s4
	s_or_b32 exec_lo, exec_lo, s18
	s_and_saveexec_b32 s18, s22
	s_cbranch_execnz .LBB763_89
.LBB763_60:
	s_or_b32 exec_lo, exec_lo, s18
	s_and_saveexec_b32 s18, s19
	s_cbranch_execz .LBB763_92
.LBB763_61:
	global_load_ubyte v16, v[50:51], off offset:448
	s_waitcnt vmcnt(0)
	v_and_b32_e32 v16, 1, v16
	v_cmp_eq_u32_e64 s4, 1, v16
	s_xor_b32 s38, s4, -1
	s_mov_b32 s4, s5
	s_and_saveexec_b32 s37, s38
; %bb.62:
	v_cmp_gt_f32_e64 s4, v0, v14
	s_and_b32 s4, s5, s4
	v_cndmask_b32_e64 v0, v14, v0, s4
	s_or_b32 s4, s5, exec_lo
; %bb.63:
	s_or_b32 exec_lo, exec_lo, s37
	s_andn2_b32 s5, s5, exec_lo
	s_and_b32 s4, s4, exec_lo
	s_or_b32 s5, s5, s4
	s_or_b32 exec_lo, exec_lo, s18
	s_and_saveexec_b32 s18, s17
	s_cbranch_execz .LBB763_96
	s_branch .LBB763_93
.LBB763_64:
	s_or_b32 exec_lo, exec_lo, s18
	v_mov_b32_e32 v0, v1
	s_and_saveexec_b32 s18, s36
	s_cbranch_execz .LBB763_36
.LBB763_65:
	global_load_ubyte v0, v[50:51], off offset:32
	s_waitcnt vmcnt(0)
	v_and_b32_e32 v0, 1, v0
	v_cmp_eq_u32_e64 s4, 1, v0
	v_mov_b32_e32 v0, v1
	s_xor_b32 s38, s4, -1
	s_mov_b32 s4, s5
	s_and_saveexec_b32 s37, s38
; %bb.66:
	v_cmp_gt_f32_e64 s4, v1, v32
	s_and_b32 s4, s5, s4
	v_cndmask_b32_e64 v0, v32, v1, s4
	s_or_b32 s4, s5, exec_lo
; %bb.67:
	s_or_b32 exec_lo, exec_lo, s37
	s_andn2_b32 s5, s5, exec_lo
	s_and_b32 s4, s4, exec_lo
	s_or_b32 s5, s5, s4
	s_or_b32 exec_lo, exec_lo, s18
	s_and_saveexec_b32 s18, s34
	s_cbranch_execnz .LBB763_37
.LBB763_68:
	s_or_b32 exec_lo, exec_lo, s18
	s_and_saveexec_b32 s18, s33
	s_cbranch_execz .LBB763_40
.LBB763_69:
	global_load_ubyte v16, v[50:51], off offset:96
	s_waitcnt vmcnt(0)
	v_and_b32_e32 v16, 1, v16
	v_cmp_eq_u32_e64 s4, 1, v16
	s_xor_b32 s38, s4, -1
	s_mov_b32 s4, s5
	s_and_saveexec_b32 s37, s38
; %bb.70:
	v_cmp_gt_f32_e64 s4, v0, v3
	s_and_b32 s4, s5, s4
	v_cndmask_b32_e64 v0, v3, v0, s4
	s_or_b32 s4, s5, exec_lo
; %bb.71:
	s_or_b32 exec_lo, exec_lo, s37
	s_andn2_b32 s5, s5, exec_lo
	s_and_b32 s4, s4, exec_lo
	s_or_b32 s5, s5, s4
	s_or_b32 exec_lo, exec_lo, s18
	s_and_saveexec_b32 s18, s31
	s_cbranch_execnz .LBB763_41
.LBB763_72:
	s_or_b32 exec_lo, exec_lo, s18
	s_and_saveexec_b32 s18, s30
	s_cbranch_execz .LBB763_44
.LBB763_73:
	global_load_ubyte v16, v[50:51], off offset:160
	s_waitcnt vmcnt(0)
	v_and_b32_e32 v16, 1, v16
	v_cmp_eq_u32_e64 s4, 1, v16
	s_xor_b32 s38, s4, -1
	s_mov_b32 s4, s5
	s_and_saveexec_b32 s37, s38
; %bb.74:
	v_cmp_gt_f32_e64 s4, v0, v5
	s_and_b32 s4, s5, s4
	v_cndmask_b32_e64 v0, v5, v0, s4
	s_or_b32 s4, s5, exec_lo
; %bb.75:
	s_or_b32 exec_lo, exec_lo, s37
	s_andn2_b32 s5, s5, exec_lo
	s_and_b32 s4, s4, exec_lo
	s_or_b32 s5, s5, s4
	s_or_b32 exec_lo, exec_lo, s18
	s_and_saveexec_b32 s18, s29
	s_cbranch_execnz .LBB763_45
.LBB763_76:
	s_or_b32 exec_lo, exec_lo, s18
	s_and_saveexec_b32 s18, s28
	s_cbranch_execz .LBB763_48
.LBB763_77:
	global_load_ubyte v16, v[50:51], off offset:224
	s_waitcnt vmcnt(0)
	v_and_b32_e32 v16, 1, v16
	v_cmp_eq_u32_e64 s4, 1, v16
	s_xor_b32 s38, s4, -1
	s_mov_b32 s4, s5
	s_and_saveexec_b32 s37, s38
; %bb.78:
	v_cmp_gt_f32_e64 s4, v0, v7
	s_and_b32 s4, s5, s4
	v_cndmask_b32_e64 v0, v7, v0, s4
	s_or_b32 s4, s5, exec_lo
; %bb.79:
	s_or_b32 exec_lo, exec_lo, s37
	s_andn2_b32 s5, s5, exec_lo
	s_and_b32 s4, s4, exec_lo
	s_or_b32 s5, s5, s4
	s_or_b32 exec_lo, exec_lo, s18
	s_and_saveexec_b32 s18, s27
	s_cbranch_execnz .LBB763_49
.LBB763_80:
	s_or_b32 exec_lo, exec_lo, s18
	s_and_saveexec_b32 s18, s26
	s_cbranch_execz .LBB763_52
.LBB763_81:
	global_load_ubyte v16, v[50:51], off offset:288
	s_waitcnt vmcnt(0)
	v_and_b32_e32 v16, 1, v16
	v_cmp_eq_u32_e64 s4, 1, v16
	s_xor_b32 s38, s4, -1
	s_mov_b32 s4, s5
	s_and_saveexec_b32 s37, s38
; %bb.82:
	v_cmp_gt_f32_e64 s4, v0, v9
	s_and_b32 s4, s5, s4
	v_cndmask_b32_e64 v0, v9, v0, s4
	s_or_b32 s4, s5, exec_lo
; %bb.83:
	s_or_b32 exec_lo, exec_lo, s37
	s_andn2_b32 s5, s5, exec_lo
	s_and_b32 s4, s4, exec_lo
	s_or_b32 s5, s5, s4
	s_or_b32 exec_lo, exec_lo, s18
	s_and_saveexec_b32 s18, s25
	s_cbranch_execnz .LBB763_53
.LBB763_84:
	s_or_b32 exec_lo, exec_lo, s18
	s_and_saveexec_b32 s18, s24
	s_cbranch_execz .LBB763_56
.LBB763_85:
	global_load_ubyte v16, v[50:51], off offset:352
	s_waitcnt vmcnt(0)
	v_and_b32_e32 v16, 1, v16
	v_cmp_eq_u32_e64 s4, 1, v16
	s_xor_b32 s38, s4, -1
	s_mov_b32 s4, s5
	s_and_saveexec_b32 s37, s38
; %bb.86:
	v_cmp_gt_f32_e64 s4, v0, v11
	s_and_b32 s4, s5, s4
	v_cndmask_b32_e64 v0, v11, v0, s4
	s_or_b32 s4, s5, exec_lo
; %bb.87:
	s_or_b32 exec_lo, exec_lo, s37
	s_andn2_b32 s5, s5, exec_lo
	s_and_b32 s4, s4, exec_lo
	s_or_b32 s5, s5, s4
	s_or_b32 exec_lo, exec_lo, s18
	s_and_saveexec_b32 s18, s23
	s_cbranch_execnz .LBB763_57
.LBB763_88:
	s_or_b32 exec_lo, exec_lo, s18
	s_and_saveexec_b32 s18, s22
	s_cbranch_execz .LBB763_60
.LBB763_89:
	global_load_ubyte v16, v[50:51], off offset:416
	s_waitcnt vmcnt(0)
	v_and_b32_e32 v16, 1, v16
	v_cmp_eq_u32_e64 s4, 1, v16
	s_xor_b32 s38, s4, -1
	s_mov_b32 s4, s5
	s_and_saveexec_b32 s37, s38
; %bb.90:
	v_cmp_gt_f32_e64 s4, v0, v13
	s_and_b32 s4, s5, s4
	v_cndmask_b32_e64 v0, v13, v0, s4
	s_or_b32 s4, s5, exec_lo
; %bb.91:
	s_or_b32 exec_lo, exec_lo, s37
	s_andn2_b32 s5, s5, exec_lo
	s_and_b32 s4, s4, exec_lo
	s_or_b32 s5, s5, s4
	s_or_b32 exec_lo, exec_lo, s18
	s_and_saveexec_b32 s18, s19
	s_cbranch_execnz .LBB763_61
.LBB763_92:
	s_or_b32 exec_lo, exec_lo, s18
	s_and_saveexec_b32 s18, s17
	s_cbranch_execz .LBB763_96
.LBB763_93:
	global_load_ubyte v16, v[50:51], off offset:480
	s_waitcnt vmcnt(0)
	v_and_b32_e32 v16, 1, v16
	v_cmp_eq_u32_e64 s4, 1, v16
	s_xor_b32 s38, s4, -1
	s_mov_b32 s4, s5
	s_and_saveexec_b32 s37, s38
; %bb.94:
	v_cmp_gt_f32_e64 s4, v0, v15
	s_and_b32 s4, s5, s4
	v_cndmask_b32_e64 v0, v15, v0, s4
	s_or_b32 s4, s5, exec_lo
; %bb.95:
	s_or_b32 exec_lo, exec_lo, s37
	s_andn2_b32 s5, s5, exec_lo
	s_and_b32 s4, s4, exec_lo
	s_or_b32 s5, s5, s4
.LBB763_96:
	s_or_b32 exec_lo, exec_lo, s18
	v_mbcnt_lo_u32_b32 v16, -1, 0
	v_cndmask_b32_e64 v0, 0xff800000, v0, s5
	s_xor_b32 s5, s36, -1
	v_xor_b32_e32 v17, 16, v16
	v_xor_b32_e32 v18, 8, v16
	v_cmp_gt_i32_e64 s4, 32, v17
	v_cndmask_b32_e64 v17, v16, v17, s4
	v_cmp_gt_i32_e64 s4, 32, v18
	v_lshlrev_b32_e32 v53, 2, v17
	v_cndmask_b32_e64 v18, v16, v18, s4
	ds_bpermute_b32 v17, v53, v0
	v_lshlrev_b32_e32 v54, 2, v18
	v_xor_b32_e32 v18, 4, v16
	s_waitcnt lgkmcnt(0)
	v_cmp_lt_f32_e64 s4, v0, v17
	v_cndmask_b32_e64 v0, v0, v17, s4
	v_cmp_gt_i32_e64 s4, 32, v18
	ds_bpermute_b32 v17, v54, v0
	v_cndmask_b32_e64 v18, v16, v18, s4
	v_lshlrev_b32_e32 v55, 2, v18
	v_xor_b32_e32 v18, 2, v16
	s_waitcnt lgkmcnt(0)
	v_cmp_lt_f32_e64 s4, v0, v17
	v_cndmask_b32_e64 v0, v0, v17, s4
	v_cmp_gt_i32_e64 s4, 32, v18
	ds_bpermute_b32 v17, v55, v0
	v_cndmask_b32_e64 v18, v16, v18, s4
	;; [unrolled: 8-line block ×3, first 2 shown]
	v_lshlrev_b32_e32 v57, 2, v16
	s_waitcnt lgkmcnt(0)
	v_cmp_lt_f32_e64 s4, v0, v17
	v_cndmask_b32_e64 v0, v0, v17, s4
	ds_bpermute_b32 v16, v57, v0
	s_waitcnt lgkmcnt(0)
	v_cmp_lt_f32_e64 s4, v0, v16
	v_cndmask_b32_e64 v58, v0, v16, s4
	v_mov_b32_e32 v0, 0
	s_and_saveexec_b32 s18, s35
	s_cbranch_execz .LBB763_100
; %bb.97:
	global_load_ubyte v0, v[50:51], off
	s_waitcnt vmcnt(0)
	v_and_b32_e32 v0, 1, v0
	v_cmp_eq_u32_e64 s4, 1, v0
	v_mov_b32_e32 v0, 0
	s_xor_b32 s4, s4, -1
	s_and_saveexec_b32 s35, s4
	s_cbranch_execz .LBB763_99
; %bb.98:
	v_sub_f32_e32 v0, v1, v58
	v_mul_f32_e32 v1, 0x3fb8aa3b, v0
	v_cmp_ngt_f32_e64 s4, 0xc2ce8ed0, v0
	v_fma_f32 v16, 0x3fb8aa3b, v0, -v1
	v_rndne_f32_e32 v17, v1
	v_fmamk_f32 v16, v0, 0x32a5705f, v16
	v_sub_f32_e32 v1, v1, v17
	v_add_f32_e32 v1, v1, v16
	v_cvt_i32_f32_e32 v16, v17
	v_exp_f32_e32 v1, v1
	v_ldexp_f32 v1, v1, v16
	v_cndmask_b32_e64 v1, 0, v1, s4
	v_cmp_nlt_f32_e64 s4, 0x42b17218, v0
	v_cndmask_b32_e64 v0, 0x7f800000, v1, s4
.LBB763_99:
	s_or_b32 exec_lo, exec_lo, s35
.LBB763_100:
	s_or_b32 exec_lo, exec_lo, s18
                                        ; implicit-def: $vgpr16_vgpr17_vgpr18_vgpr19_vgpr20_vgpr21_vgpr22_vgpr23_vgpr24_vgpr25_vgpr26_vgpr27_vgpr28_vgpr29_vgpr30_vgpr31
	s_and_saveexec_b32 s4, s5
	s_xor_b32 s4, exec_lo, s4
	s_cbranch_execz .LBB763_130
; %bb.101:
	s_mov_b32 s5, 0
                                        ; implicit-def: $vgpr32
	v_mov_b32_e32 v1, s5
	v_mov_b32_e32 v31, v15
	;; [unrolled: 1-line block ×17, first 2 shown]
	s_or_saveexec_b32 s18, s4
	s_xor_b32 s5, s34, -1
	s_xor_b32 exec_lo, exec_lo, s18
	s_cbranch_execnz .LBB763_131
.LBB763_102:
	s_or_b32 exec_lo, exec_lo, s18
                                        ; implicit-def: $vgpr32_vgpr33_vgpr34_vgpr35_vgpr36_vgpr37_vgpr38_vgpr39_vgpr40_vgpr41_vgpr42_vgpr43_vgpr44_vgpr45_vgpr46_vgpr47
	s_and_saveexec_b32 s4, s5
	s_xor_b32 s4, exec_lo, s4
	s_cbranch_execz .LBB763_134
.LBB763_103:
	s_mov_b32 s5, 0
	v_mov_b32_e32 v18, s5
	v_mov_b32_e32 v47, v31
	;; [unrolled: 1-line block ×17, first 2 shown]
                                        ; implicit-def: $vgpr16_vgpr17_vgpr18_vgpr19_vgpr20_vgpr21_vgpr22_vgpr23_vgpr24_vgpr25_vgpr26_vgpr27_vgpr28_vgpr29_vgpr30_vgpr31
	s_or_saveexec_b32 s18, s4
	s_xor_b32 s5, s33, -1
	s_xor_b32 exec_lo, exec_lo, s18
	s_cbranch_execnz .LBB763_135
.LBB763_104:
	s_or_b32 exec_lo, exec_lo, s18
                                        ; implicit-def: $vgpr1_vgpr2_vgpr3_vgpr4_vgpr5_vgpr6_vgpr7_vgpr8_vgpr9_vgpr10_vgpr11_vgpr12_vgpr13_vgpr14_vgpr15_vgpr16
	s_and_saveexec_b32 s4, s5
	s_xor_b32 s4, exec_lo, s4
	s_cbranch_execz .LBB763_138
.LBB763_105:
	s_mov_b32 s5, 0
	v_mov_b32_e32 v35, s5
	v_mov_b32_e32 v1, v32
	;; [unrolled: 1-line block ×17, first 2 shown]
                                        ; implicit-def: $vgpr32_vgpr33_vgpr34_vgpr35_vgpr36_vgpr37_vgpr38_vgpr39_vgpr40_vgpr41_vgpr42_vgpr43_vgpr44_vgpr45_vgpr46_vgpr47
	s_or_saveexec_b32 s18, s4
	s_xor_b32 s5, s31, -1
	s_xor_b32 exec_lo, exec_lo, s18
	s_cbranch_execnz .LBB763_139
.LBB763_106:
	s_or_b32 exec_lo, exec_lo, s18
                                        ; implicit-def: $vgpr17_vgpr18_vgpr19_vgpr20_vgpr21_vgpr22_vgpr23_vgpr24_vgpr25_vgpr26_vgpr27_vgpr28_vgpr29_vgpr30_vgpr31_vgpr32
	s_and_saveexec_b32 s4, s5
	s_xor_b32 s4, exec_lo, s4
	s_cbranch_execz .LBB763_142
.LBB763_107:
	s_mov_b32 s5, 0
	v_mov_b32_e32 v5, s5
	v_mov_b32_e32 v32, v16
	v_mov_b32_e32 v31, v15
	v_mov_b32_e32 v30, v14
	v_mov_b32_e32 v29, v13
	v_mov_b32_e32 v28, v12
	v_mov_b32_e32 v27, v11
	v_mov_b32_e32 v26, v10
	v_mov_b32_e32 v25, v9
	v_mov_b32_e32 v24, v8
	v_mov_b32_e32 v23, v7
	v_mov_b32_e32 v22, v6
	v_mov_b32_e32 v21, v5
	v_mov_b32_e32 v20, v4
	v_mov_b32_e32 v19, v3
	v_mov_b32_e32 v18, v2
	v_mov_b32_e32 v17, v1
                                        ; implicit-def: $vgpr1_vgpr2_vgpr3_vgpr4_vgpr5_vgpr6_vgpr7_vgpr8_vgpr9_vgpr10_vgpr11_vgpr12_vgpr13_vgpr14_vgpr15_vgpr16
	s_or_saveexec_b32 s18, s4
	s_xor_b32 s5, s30, -1
	s_xor_b32 exec_lo, exec_lo, s18
	s_cbranch_execnz .LBB763_143
.LBB763_108:
	s_or_b32 exec_lo, exec_lo, s18
                                        ; implicit-def: $vgpr1_vgpr2_vgpr3_vgpr4_vgpr5_vgpr6_vgpr7_vgpr8_vgpr9_vgpr10_vgpr11_vgpr12_vgpr13_vgpr14_vgpr15_vgpr16
	s_and_saveexec_b32 s4, s5
	s_xor_b32 s4, exec_lo, s4
	s_cbranch_execz .LBB763_146
.LBB763_109:
	s_mov_b32 s5, 0
	v_mov_b32_e32 v22, s5
	v_mov_b32_e32 v1, v17
	;; [unrolled: 1-line block ×17, first 2 shown]
                                        ; implicit-def: $vgpr17_vgpr18_vgpr19_vgpr20_vgpr21_vgpr22_vgpr23_vgpr24_vgpr25_vgpr26_vgpr27_vgpr28_vgpr29_vgpr30_vgpr31_vgpr32
	s_or_saveexec_b32 s18, s4
	s_xor_b32 s5, s29, -1
	s_xor_b32 exec_lo, exec_lo, s18
	s_cbranch_execnz .LBB763_147
.LBB763_110:
	s_or_b32 exec_lo, exec_lo, s18
                                        ; implicit-def: $vgpr17_vgpr18_vgpr19_vgpr20_vgpr21_vgpr22_vgpr23_vgpr24_vgpr25_vgpr26_vgpr27_vgpr28_vgpr29_vgpr30_vgpr31_vgpr32
	s_and_saveexec_b32 s4, s5
	s_xor_b32 s4, exec_lo, s4
	s_cbranch_execz .LBB763_150
.LBB763_111:
	s_mov_b32 s5, 0
	v_mov_b32_e32 v7, s5
	v_mov_b32_e32 v32, v16
	;; [unrolled: 1-line block ×17, first 2 shown]
                                        ; implicit-def: $vgpr1_vgpr2_vgpr3_vgpr4_vgpr5_vgpr6_vgpr7_vgpr8_vgpr9_vgpr10_vgpr11_vgpr12_vgpr13_vgpr14_vgpr15_vgpr16
	s_or_saveexec_b32 s18, s4
	s_xor_b32 s5, s28, -1
	s_xor_b32 exec_lo, exec_lo, s18
	s_cbranch_execnz .LBB763_151
.LBB763_112:
	s_or_b32 exec_lo, exec_lo, s18
                                        ; implicit-def: $vgpr1_vgpr2_vgpr3_vgpr4_vgpr5_vgpr6_vgpr7_vgpr8_vgpr9_vgpr10_vgpr11_vgpr12_vgpr13_vgpr14_vgpr15_vgpr16
	s_and_saveexec_b32 s4, s5
	s_xor_b32 s4, exec_lo, s4
	s_cbranch_execz .LBB763_154
.LBB763_113:
	s_mov_b32 s5, 0
	v_mov_b32_e32 v24, s5
	v_mov_b32_e32 v1, v17
	;; [unrolled: 1-line block ×17, first 2 shown]
                                        ; implicit-def: $vgpr17_vgpr18_vgpr19_vgpr20_vgpr21_vgpr22_vgpr23_vgpr24_vgpr25_vgpr26_vgpr27_vgpr28_vgpr29_vgpr30_vgpr31_vgpr32
	s_or_saveexec_b32 s18, s4
	s_xor_b32 s5, s27, -1
	s_xor_b32 exec_lo, exec_lo, s18
	s_cbranch_execnz .LBB763_155
.LBB763_114:
	s_or_b32 exec_lo, exec_lo, s18
                                        ; implicit-def: $vgpr17_vgpr18_vgpr19_vgpr20_vgpr21_vgpr22_vgpr23_vgpr24_vgpr25_vgpr26_vgpr27_vgpr28_vgpr29_vgpr30_vgpr31_vgpr32
	s_and_saveexec_b32 s4, s5
	s_xor_b32 s4, exec_lo, s4
	s_cbranch_execz .LBB763_158
.LBB763_115:
	s_mov_b32 s5, 0
	v_mov_b32_e32 v9, s5
	v_mov_b32_e32 v32, v16
	;; [unrolled: 1-line block ×17, first 2 shown]
                                        ; implicit-def: $vgpr1_vgpr2_vgpr3_vgpr4_vgpr5_vgpr6_vgpr7_vgpr8_vgpr9_vgpr10_vgpr11_vgpr12_vgpr13_vgpr14_vgpr15_vgpr16
	s_or_saveexec_b32 s18, s4
	s_xor_b32 s5, s26, -1
	s_xor_b32 exec_lo, exec_lo, s18
	s_cbranch_execnz .LBB763_159
.LBB763_116:
	s_or_b32 exec_lo, exec_lo, s18
                                        ; implicit-def: $vgpr1_vgpr2_vgpr3_vgpr4_vgpr5_vgpr6_vgpr7_vgpr8_vgpr9_vgpr10_vgpr11_vgpr12_vgpr13_vgpr14_vgpr15_vgpr16
	s_and_saveexec_b32 s4, s5
	s_xor_b32 s4, exec_lo, s4
	s_cbranch_execz .LBB763_162
.LBB763_117:
	s_mov_b32 s5, 0
	v_mov_b32_e32 v26, s5
	v_mov_b32_e32 v1, v17
	;; [unrolled: 1-line block ×17, first 2 shown]
                                        ; implicit-def: $vgpr17_vgpr18_vgpr19_vgpr20_vgpr21_vgpr22_vgpr23_vgpr24_vgpr25_vgpr26_vgpr27_vgpr28_vgpr29_vgpr30_vgpr31_vgpr32
	s_or_saveexec_b32 s18, s4
	s_xor_b32 s5, s25, -1
	s_xor_b32 exec_lo, exec_lo, s18
	s_cbranch_execnz .LBB763_163
.LBB763_118:
	s_or_b32 exec_lo, exec_lo, s18
                                        ; implicit-def: $vgpr17_vgpr18_vgpr19_vgpr20_vgpr21_vgpr22_vgpr23_vgpr24_vgpr25_vgpr26_vgpr27_vgpr28_vgpr29_vgpr30_vgpr31_vgpr32
	s_and_saveexec_b32 s4, s5
	s_xor_b32 s4, exec_lo, s4
	s_cbranch_execz .LBB763_166
.LBB763_119:
	s_mov_b32 s5, 0
	v_mov_b32_e32 v11, s5
	v_mov_b32_e32 v32, v16
	;; [unrolled: 1-line block ×17, first 2 shown]
                                        ; implicit-def: $vgpr1_vgpr2_vgpr3_vgpr4_vgpr5_vgpr6_vgpr7_vgpr8_vgpr9_vgpr10_vgpr11_vgpr12_vgpr13_vgpr14_vgpr15_vgpr16
	s_or_saveexec_b32 s18, s4
	s_xor_b32 s5, s24, -1
	s_xor_b32 exec_lo, exec_lo, s18
	s_cbranch_execnz .LBB763_167
.LBB763_120:
	s_or_b32 exec_lo, exec_lo, s18
                                        ; implicit-def: $vgpr1_vgpr2_vgpr3_vgpr4_vgpr5_vgpr6_vgpr7_vgpr8_vgpr9_vgpr10_vgpr11_vgpr12_vgpr13_vgpr14_vgpr15_vgpr16
	s_and_saveexec_b32 s4, s5
	s_xor_b32 s4, exec_lo, s4
	s_cbranch_execz .LBB763_170
.LBB763_121:
	s_mov_b32 s5, 0
	v_mov_b32_e32 v28, s5
	v_mov_b32_e32 v1, v17
	;; [unrolled: 1-line block ×17, first 2 shown]
                                        ; implicit-def: $vgpr17_vgpr18_vgpr19_vgpr20_vgpr21_vgpr22_vgpr23_vgpr24_vgpr25_vgpr26_vgpr27_vgpr28_vgpr29_vgpr30_vgpr31_vgpr32
	s_or_saveexec_b32 s18, s4
	s_xor_b32 s5, s23, -1
	s_xor_b32 exec_lo, exec_lo, s18
	s_cbranch_execnz .LBB763_171
.LBB763_122:
	s_or_b32 exec_lo, exec_lo, s18
                                        ; implicit-def: $vgpr17_vgpr18_vgpr19_vgpr20_vgpr21_vgpr22_vgpr23_vgpr24_vgpr25_vgpr26_vgpr27_vgpr28_vgpr29_vgpr30_vgpr31_vgpr32
	s_and_saveexec_b32 s4, s5
	s_xor_b32 s4, exec_lo, s4
	s_cbranch_execz .LBB763_174
.LBB763_123:
	s_mov_b32 s5, 0
	v_mov_b32_e32 v13, s5
	v_mov_b32_e32 v32, v16
	;; [unrolled: 1-line block ×17, first 2 shown]
                                        ; implicit-def: $vgpr1_vgpr2_vgpr3_vgpr4_vgpr5_vgpr6_vgpr7_vgpr8_vgpr9_vgpr10_vgpr11_vgpr12_vgpr13_vgpr14_vgpr15_vgpr16
	s_or_saveexec_b32 s18, s4
	s_xor_b32 s5, s22, -1
	s_xor_b32 exec_lo, exec_lo, s18
	s_cbranch_execnz .LBB763_175
.LBB763_124:
	s_or_b32 exec_lo, exec_lo, s18
                                        ; implicit-def: $vgpr1_vgpr2_vgpr3_vgpr4_vgpr5_vgpr6_vgpr7_vgpr8_vgpr9_vgpr10_vgpr11_vgpr12_vgpr13_vgpr14_vgpr15_vgpr16
	s_and_saveexec_b32 s4, s5
	s_xor_b32 s4, exec_lo, s4
	s_cbranch_execz .LBB763_178
.LBB763_125:
	s_mov_b32 s5, 0
	v_mov_b32_e32 v30, s5
	v_mov_b32_e32 v1, v17
	;; [unrolled: 1-line block ×17, first 2 shown]
                                        ; implicit-def: $vgpr17_vgpr18_vgpr19_vgpr20_vgpr21_vgpr22_vgpr23_vgpr24_vgpr25_vgpr26_vgpr27_vgpr28_vgpr29_vgpr30_vgpr31_vgpr32
	s_or_saveexec_b32 s18, s4
	s_xor_b32 s5, s19, -1
	s_xor_b32 exec_lo, exec_lo, s18
	s_cbranch_execnz .LBB763_179
.LBB763_126:
	s_or_b32 exec_lo, exec_lo, s18
                                        ; implicit-def: $vgpr17_vgpr18_vgpr19_vgpr20_vgpr21_vgpr22_vgpr23_vgpr24_vgpr25_vgpr26_vgpr27_vgpr28_vgpr29_vgpr30_vgpr31_vgpr32
	s_and_saveexec_b32 s4, s5
	s_xor_b32 s4, exec_lo, s4
	s_cbranch_execz .LBB763_182
.LBB763_127:
	s_mov_b32 s5, 0
	v_mov_b32_e32 v15, s5
	v_mov_b32_e32 v32, v16
	v_mov_b32_e32 v30, v14
	v_mov_b32_e32 v29, v13
	v_mov_b32_e32 v28, v12
	v_mov_b32_e32 v31, v15
	v_mov_b32_e32 v27, v11
	v_mov_b32_e32 v26, v10
	v_mov_b32_e32 v25, v9
	v_mov_b32_e32 v24, v8
	v_mov_b32_e32 v23, v7
	v_mov_b32_e32 v22, v6
	v_mov_b32_e32 v21, v5
	v_mov_b32_e32 v20, v4
	v_mov_b32_e32 v19, v3
	v_mov_b32_e32 v18, v2
	v_mov_b32_e32 v17, v1
                                        ; implicit-def: $vgpr1_vgpr2_vgpr3_vgpr4_vgpr5_vgpr6_vgpr7_vgpr8_vgpr9_vgpr10_vgpr11_vgpr12_vgpr13_vgpr14_vgpr15_vgpr16
	s_or_saveexec_b32 s18, s4
	s_xor_b32 s5, s17, -1
	s_xor_b32 exec_lo, exec_lo, s18
	s_cbranch_execnz .LBB763_183
.LBB763_128:
	s_or_b32 exec_lo, exec_lo, s18
                                        ; implicit-def: $vgpr1_vgpr2_vgpr3_vgpr4_vgpr5_vgpr6_vgpr7_vgpr8_vgpr9_vgpr10_vgpr11_vgpr12_vgpr13_vgpr14_vgpr15_vgpr16
	s_and_saveexec_b32 s4, s5
	s_xor_b32 s4, exec_lo, s4
	s_cbranch_execz .LBB763_186
.LBB763_129:
	s_mov_b32 s5, 0
                                        ; implicit-def: $vgpr50_vgpr51
                                        ; implicit-def: $vgpr58
	v_mov_b32_e32 v32, s5
	v_mov_b32_e32 v1, v17
	v_mov_b32_e32 v2, v18
	v_mov_b32_e32 v3, v19
	v_mov_b32_e32 v4, v20
	v_mov_b32_e32 v5, v21
	v_mov_b32_e32 v6, v22
	v_mov_b32_e32 v7, v23
	v_mov_b32_e32 v8, v24
	v_mov_b32_e32 v9, v25
	v_mov_b32_e32 v10, v26
	v_mov_b32_e32 v11, v27
	v_mov_b32_e32 v12, v28
	v_mov_b32_e32 v13, v29
	v_mov_b32_e32 v14, v30
	v_mov_b32_e32 v15, v31
	v_mov_b32_e32 v16, v32
                                        ; implicit-def: $vgpr17_vgpr18_vgpr19_vgpr20_vgpr21_vgpr22_vgpr23_vgpr24_vgpr25_vgpr26_vgpr27_vgpr28_vgpr29_vgpr30_vgpr31_vgpr32
	s_andn2_saveexec_b32 s5, s4
	s_cbranch_execz .LBB763_190
	s_branch .LBB763_187
.LBB763_130:
	s_or_saveexec_b32 s18, s4
	s_xor_b32 s5, s34, -1
	s_xor_b32 exec_lo, exec_lo, s18
	s_cbranch_execz .LBB763_102
.LBB763_131:
	global_load_ubyte v16, v[50:51], off offset:32
	s_mov_b32 s34, 0
	s_waitcnt vmcnt(0)
	v_and_b32_e32 v16, 1, v16
	v_cmp_eq_u32_e64 s4, 1, v16
	v_mov_b32_e32 v31, v15
	v_mov_b32_e32 v17, v1
	v_mov_b32_e32 v30, v14
	v_mov_b32_e32 v29, v13
	v_mov_b32_e32 v28, v12
	v_mov_b32_e32 v27, v11
	v_mov_b32_e32 v26, v10
	v_mov_b32_e32 v25, v9
	v_mov_b32_e32 v24, v8
	v_mov_b32_e32 v23, v7
	v_mov_b32_e32 v22, v6
	v_mov_b32_e32 v21, v5
	v_mov_b32_e32 v20, v4
	v_mov_b32_e32 v19, v3
	v_mov_b32_e32 v18, v2
	v_mov_b32_e32 v16, v0
	v_mov_b32_e32 v17, s34
	s_xor_b32 s4, s4, -1
	s_and_saveexec_b32 s34, s4
	s_xor_b32 s34, exec_lo, s34
	s_cbranch_execz .LBB763_133
; %bb.132:
	v_sub_f32_e32 v1, v32, v58
	v_mul_f32_e32 v16, 0x3fb8aa3b, v1
	v_cmp_ngt_f32_e64 s4, 0xc2ce8ed0, v1
	v_fma_f32 v17, 0x3fb8aa3b, v1, -v16
	v_rndne_f32_e32 v18, v16
	v_fmamk_f32 v17, v1, 0x32a5705f, v17
	v_sub_f32_e32 v16, v16, v18
	v_add_f32_e32 v16, v16, v17
	v_cvt_i32_f32_e32 v17, v18
	v_exp_f32_e32 v16, v16
	v_ldexp_f32 v16, v16, v17
	v_cndmask_b32_e64 v16, 0, v16, s4
	v_cmp_nlt_f32_e64 s4, 0x42b17218, v1
	v_cndmask_b32_e64 v1, 0x7f800000, v16, s4
	v_mov_b32_e32 v31, v15
	v_mov_b32_e32 v30, v14
	;; [unrolled: 1-line block ×4, first 2 shown]
	v_add_f32_e32 v32, v0, v1
	v_mov_b32_e32 v27, v11
	v_mov_b32_e32 v26, v10
	;; [unrolled: 1-line block ×13, first 2 shown]
.LBB763_133:
	s_andn2_saveexec_b32 s4, s34
	s_or_b32 exec_lo, exec_lo, s4
	s_or_b32 exec_lo, exec_lo, s18
                                        ; implicit-def: $vgpr32_vgpr33_vgpr34_vgpr35_vgpr36_vgpr37_vgpr38_vgpr39_vgpr40_vgpr41_vgpr42_vgpr43_vgpr44_vgpr45_vgpr46_vgpr47
	s_and_saveexec_b32 s4, s5
	s_xor_b32 s4, exec_lo, s4
	s_cbranch_execnz .LBB763_103
.LBB763_134:
	s_or_saveexec_b32 s18, s4
	s_xor_b32 s5, s33, -1
	s_xor_b32 exec_lo, exec_lo, s18
	s_cbranch_execz .LBB763_104
.LBB763_135:
	global_load_ubyte v1, v[50:51], off offset:64
	s_mov_b32 s33, 0
	v_mov_b32_e32 v47, v31
	v_mov_b32_e32 v34, v18
	;; [unrolled: 1-line block ×17, first 2 shown]
	s_waitcnt vmcnt(0)
	v_and_b32_e32 v1, 1, v1
	v_cmp_eq_u32_e64 s4, 1, v1
	s_xor_b32 s4, s4, -1
	s_and_saveexec_b32 s33, s4
	s_xor_b32 s33, exec_lo, s33
	s_cbranch_execz .LBB763_137
; %bb.136:
	v_sub_f32_e32 v1, v18, v58
	v_mul_f32_e32 v2, 0x3fb8aa3b, v1
	v_cmp_ngt_f32_e64 s4, 0xc2ce8ed0, v1
	v_fma_f32 v3, 0x3fb8aa3b, v1, -v2
	v_rndne_f32_e32 v4, v2
	v_fmamk_f32 v3, v1, 0x32a5705f, v3
	v_sub_f32_e32 v2, v2, v4
	v_add_f32_e32 v2, v2, v3
	v_cvt_i32_f32_e32 v3, v4
	v_exp_f32_e32 v2, v2
	v_ldexp_f32 v2, v2, v3
	v_cndmask_b32_e64 v2, 0, v2, s4
	v_cmp_nlt_f32_e64 s4, 0x42b17218, v1
	v_cndmask_b32_e64 v18, 0x7f800000, v2, s4
	v_mov_b32_e32 v47, v31
	v_mov_b32_e32 v46, v30
	;; [unrolled: 1-line block ×16, first 2 shown]
	v_add_f32_e32 v0, v0, v18
.LBB763_137:
	s_andn2_saveexec_b32 s4, s33
	s_or_b32 exec_lo, exec_lo, s4
	s_or_b32 exec_lo, exec_lo, s18
                                        ; implicit-def: $vgpr1_vgpr2_vgpr3_vgpr4_vgpr5_vgpr6_vgpr7_vgpr8_vgpr9_vgpr10_vgpr11_vgpr12_vgpr13_vgpr14_vgpr15_vgpr16
	s_and_saveexec_b32 s4, s5
	s_xor_b32 s4, exec_lo, s4
	s_cbranch_execnz .LBB763_105
.LBB763_138:
	s_or_saveexec_b32 s18, s4
	s_xor_b32 s5, s31, -1
	s_xor_b32 exec_lo, exec_lo, s18
	s_cbranch_execz .LBB763_106
.LBB763_139:
	global_load_ubyte v1, v[50:51], off offset:96
	s_mov_b32 s31, 0
	s_waitcnt vmcnt(0)
	v_and_b32_e32 v1, 1, v1
	v_cmp_eq_u32_e64 s4, 1, v1
	v_mov_b32_e32 v1, v32
	v_mov_b32_e32 v4, v35
	;; [unrolled: 1-line block ×17, first 2 shown]
	s_xor_b32 s4, s4, -1
	s_and_saveexec_b32 s31, s4
	s_xor_b32 s31, exec_lo, s31
	s_cbranch_execz .LBB763_141
; %bb.140:
	v_sub_f32_e32 v1, v35, v58
	v_mul_f32_e32 v2, 0x3fb8aa3b, v1
	v_cmp_ngt_f32_e64 s4, 0xc2ce8ed0, v1
	v_fma_f32 v3, 0x3fb8aa3b, v1, -v2
	v_rndne_f32_e32 v4, v2
	v_fmamk_f32 v3, v1, 0x32a5705f, v3
	v_sub_f32_e32 v2, v2, v4
	v_add_f32_e32 v2, v2, v3
	v_cvt_i32_f32_e32 v3, v4
	v_exp_f32_e32 v2, v2
	v_ldexp_f32 v2, v2, v3
	v_cndmask_b32_e64 v2, 0, v2, s4
	v_cmp_nlt_f32_e64 s4, 0x42b17218, v1
	v_cndmask_b32_e64 v35, 0x7f800000, v2, s4
	v_mov_b32_e32 v1, v32
	v_mov_b32_e32 v2, v33
	;; [unrolled: 1-line block ×16, first 2 shown]
	v_add_f32_e32 v0, v0, v35
.LBB763_141:
	s_andn2_saveexec_b32 s4, s31
	s_or_b32 exec_lo, exec_lo, s4
	s_or_b32 exec_lo, exec_lo, s18
                                        ; implicit-def: $vgpr17_vgpr18_vgpr19_vgpr20_vgpr21_vgpr22_vgpr23_vgpr24_vgpr25_vgpr26_vgpr27_vgpr28_vgpr29_vgpr30_vgpr31_vgpr32
	s_and_saveexec_b32 s4, s5
	s_xor_b32 s4, exec_lo, s4
	s_cbranch_execnz .LBB763_107
.LBB763_142:
	s_or_saveexec_b32 s18, s4
	s_xor_b32 s5, s30, -1
	s_xor_b32 exec_lo, exec_lo, s18
	s_cbranch_execz .LBB763_108
.LBB763_143:
	global_load_ubyte v17, v[50:51], off offset:128
	s_mov_b32 s30, 0
	s_waitcnt vmcnt(0)
	v_and_b32_e32 v17, 1, v17
	v_cmp_eq_u32_e64 s4, 1, v17
	v_mov_b32_e32 v32, v16
	v_mov_b32_e32 v21, v5
	;; [unrolled: 1-line block ×17, first 2 shown]
	s_xor_b32 s4, s4, -1
	s_and_saveexec_b32 s30, s4
	s_xor_b32 s30, exec_lo, s30
	s_cbranch_execz .LBB763_145
; %bb.144:
	v_sub_f32_e32 v5, v5, v58
	v_mul_f32_e32 v17, 0x3fb8aa3b, v5
	v_cmp_ngt_f32_e64 s4, 0xc2ce8ed0, v5
	v_fma_f32 v18, 0x3fb8aa3b, v5, -v17
	v_rndne_f32_e32 v19, v17
	v_fmamk_f32 v18, v5, 0x32a5705f, v18
	v_sub_f32_e32 v17, v17, v19
	v_add_f32_e32 v17, v17, v18
	v_cvt_i32_f32_e32 v18, v19
	v_exp_f32_e32 v17, v17
	v_ldexp_f32 v17, v17, v18
	v_cndmask_b32_e64 v17, 0, v17, s4
	v_cmp_nlt_f32_e64 s4, 0x42b17218, v5
	v_cndmask_b32_e64 v5, 0x7f800000, v17, s4
	v_mov_b32_e32 v32, v16
	v_mov_b32_e32 v31, v15
	v_mov_b32_e32 v30, v14
	v_mov_b32_e32 v29, v13
	v_mov_b32_e32 v28, v12
	v_mov_b32_e32 v27, v11
	v_mov_b32_e32 v26, v10
	v_mov_b32_e32 v25, v9
	v_mov_b32_e32 v24, v8
	v_mov_b32_e32 v23, v7
	v_mov_b32_e32 v22, v6
	v_mov_b32_e32 v21, v5
	v_mov_b32_e32 v20, v4
	v_mov_b32_e32 v19, v3
	v_mov_b32_e32 v18, v2
	v_mov_b32_e32 v17, v1
	v_add_f32_e32 v0, v0, v5
.LBB763_145:
	s_andn2_saveexec_b32 s4, s30
	s_or_b32 exec_lo, exec_lo, s4
	s_or_b32 exec_lo, exec_lo, s18
                                        ; implicit-def: $vgpr1_vgpr2_vgpr3_vgpr4_vgpr5_vgpr6_vgpr7_vgpr8_vgpr9_vgpr10_vgpr11_vgpr12_vgpr13_vgpr14_vgpr15_vgpr16
	s_and_saveexec_b32 s4, s5
	s_xor_b32 s4, exec_lo, s4
	s_cbranch_execnz .LBB763_109
.LBB763_146:
	s_or_saveexec_b32 s18, s4
	s_xor_b32 s5, s29, -1
	s_xor_b32 exec_lo, exec_lo, s18
	s_cbranch_execz .LBB763_110
.LBB763_147:
	global_load_ubyte v1, v[50:51], off offset:160
	s_mov_b32 s29, 0
	s_waitcnt vmcnt(0)
	v_and_b32_e32 v1, 1, v1
	v_cmp_eq_u32_e64 s4, 1, v1
	v_mov_b32_e32 v1, v17
	v_mov_b32_e32 v6, v22
	;; [unrolled: 1-line block ×17, first 2 shown]
	s_xor_b32 s4, s4, -1
	s_and_saveexec_b32 s29, s4
	s_xor_b32 s29, exec_lo, s29
	s_cbranch_execz .LBB763_149
; %bb.148:
	v_sub_f32_e32 v1, v22, v58
	v_mul_f32_e32 v2, 0x3fb8aa3b, v1
	v_cmp_ngt_f32_e64 s4, 0xc2ce8ed0, v1
	v_fma_f32 v3, 0x3fb8aa3b, v1, -v2
	v_rndne_f32_e32 v4, v2
	v_fmamk_f32 v3, v1, 0x32a5705f, v3
	v_sub_f32_e32 v2, v2, v4
	v_add_f32_e32 v2, v2, v3
	v_cvt_i32_f32_e32 v3, v4
	v_exp_f32_e32 v2, v2
	v_ldexp_f32 v2, v2, v3
	v_cndmask_b32_e64 v2, 0, v2, s4
	v_cmp_nlt_f32_e64 s4, 0x42b17218, v1
	v_cndmask_b32_e64 v22, 0x7f800000, v2, s4
	v_mov_b32_e32 v1, v17
	v_mov_b32_e32 v2, v18
	v_mov_b32_e32 v3, v19
	v_mov_b32_e32 v4, v20
	v_mov_b32_e32 v5, v21
	v_mov_b32_e32 v6, v22
	v_mov_b32_e32 v7, v23
	v_mov_b32_e32 v8, v24
	v_mov_b32_e32 v9, v25
	v_mov_b32_e32 v10, v26
	v_mov_b32_e32 v11, v27
	v_mov_b32_e32 v12, v28
	v_mov_b32_e32 v13, v29
	v_mov_b32_e32 v14, v30
	v_mov_b32_e32 v15, v31
	v_mov_b32_e32 v16, v32
	v_add_f32_e32 v0, v0, v22
.LBB763_149:
	s_andn2_saveexec_b32 s4, s29
	s_or_b32 exec_lo, exec_lo, s4
	s_or_b32 exec_lo, exec_lo, s18
                                        ; implicit-def: $vgpr17_vgpr18_vgpr19_vgpr20_vgpr21_vgpr22_vgpr23_vgpr24_vgpr25_vgpr26_vgpr27_vgpr28_vgpr29_vgpr30_vgpr31_vgpr32
	s_and_saveexec_b32 s4, s5
	s_xor_b32 s4, exec_lo, s4
	s_cbranch_execnz .LBB763_111
.LBB763_150:
	s_or_saveexec_b32 s18, s4
	s_xor_b32 s5, s28, -1
	s_xor_b32 exec_lo, exec_lo, s18
	s_cbranch_execz .LBB763_112
.LBB763_151:
	global_load_ubyte v17, v[50:51], off offset:192
	s_mov_b32 s28, 0
	s_waitcnt vmcnt(0)
	v_and_b32_e32 v17, 1, v17
	v_cmp_eq_u32_e64 s4, 1, v17
	v_mov_b32_e32 v32, v16
	v_mov_b32_e32 v23, v7
	;; [unrolled: 1-line block ×17, first 2 shown]
	s_xor_b32 s4, s4, -1
	s_and_saveexec_b32 s28, s4
	s_xor_b32 s28, exec_lo, s28
	s_cbranch_execz .LBB763_153
; %bb.152:
	v_sub_f32_e32 v7, v7, v58
	v_mul_f32_e32 v17, 0x3fb8aa3b, v7
	v_cmp_ngt_f32_e64 s4, 0xc2ce8ed0, v7
	v_fma_f32 v18, 0x3fb8aa3b, v7, -v17
	v_rndne_f32_e32 v19, v17
	v_fmamk_f32 v18, v7, 0x32a5705f, v18
	v_sub_f32_e32 v17, v17, v19
	v_add_f32_e32 v17, v17, v18
	v_cvt_i32_f32_e32 v18, v19
	v_exp_f32_e32 v17, v17
	v_ldexp_f32 v17, v17, v18
	v_cndmask_b32_e64 v17, 0, v17, s4
	v_cmp_nlt_f32_e64 s4, 0x42b17218, v7
	v_cndmask_b32_e64 v7, 0x7f800000, v17, s4
	v_mov_b32_e32 v32, v16
	v_mov_b32_e32 v31, v15
	;; [unrolled: 1-line block ×16, first 2 shown]
	v_add_f32_e32 v0, v0, v7
.LBB763_153:
	s_andn2_saveexec_b32 s4, s28
	s_or_b32 exec_lo, exec_lo, s4
	s_or_b32 exec_lo, exec_lo, s18
                                        ; implicit-def: $vgpr1_vgpr2_vgpr3_vgpr4_vgpr5_vgpr6_vgpr7_vgpr8_vgpr9_vgpr10_vgpr11_vgpr12_vgpr13_vgpr14_vgpr15_vgpr16
	s_and_saveexec_b32 s4, s5
	s_xor_b32 s4, exec_lo, s4
	s_cbranch_execnz .LBB763_113
.LBB763_154:
	s_or_saveexec_b32 s18, s4
	s_xor_b32 s5, s27, -1
	s_xor_b32 exec_lo, exec_lo, s18
	s_cbranch_execz .LBB763_114
.LBB763_155:
	global_load_ubyte v1, v[50:51], off offset:224
	s_mov_b32 s27, 0
	s_waitcnt vmcnt(0)
	v_and_b32_e32 v1, 1, v1
	v_cmp_eq_u32_e64 s4, 1, v1
	v_mov_b32_e32 v1, v17
	v_mov_b32_e32 v8, v24
	v_mov_b32_e32 v2, v18
	v_mov_b32_e32 v3, v19
	v_mov_b32_e32 v4, v20
	v_mov_b32_e32 v5, v21
	v_mov_b32_e32 v6, v22
	v_mov_b32_e32 v7, v23
	v_mov_b32_e32 v9, v25
	v_mov_b32_e32 v10, v26
	v_mov_b32_e32 v11, v27
	v_mov_b32_e32 v12, v28
	v_mov_b32_e32 v13, v29
	v_mov_b32_e32 v14, v30
	v_mov_b32_e32 v15, v31
	v_mov_b32_e32 v16, v32
	v_mov_b32_e32 v8, s27
	s_xor_b32 s4, s4, -1
	s_and_saveexec_b32 s27, s4
	s_xor_b32 s27, exec_lo, s27
	s_cbranch_execz .LBB763_157
; %bb.156:
	v_sub_f32_e32 v1, v24, v58
	v_mul_f32_e32 v2, 0x3fb8aa3b, v1
	v_cmp_ngt_f32_e64 s4, 0xc2ce8ed0, v1
	v_fma_f32 v3, 0x3fb8aa3b, v1, -v2
	v_rndne_f32_e32 v4, v2
	v_fmamk_f32 v3, v1, 0x32a5705f, v3
	v_sub_f32_e32 v2, v2, v4
	v_add_f32_e32 v2, v2, v3
	v_cvt_i32_f32_e32 v3, v4
	v_exp_f32_e32 v2, v2
	v_ldexp_f32 v2, v2, v3
	v_cndmask_b32_e64 v2, 0, v2, s4
	v_cmp_nlt_f32_e64 s4, 0x42b17218, v1
	v_cndmask_b32_e64 v24, 0x7f800000, v2, s4
	v_mov_b32_e32 v1, v17
	v_mov_b32_e32 v2, v18
	;; [unrolled: 1-line block ×16, first 2 shown]
	v_add_f32_e32 v0, v0, v24
.LBB763_157:
	s_andn2_saveexec_b32 s4, s27
	s_or_b32 exec_lo, exec_lo, s4
	s_or_b32 exec_lo, exec_lo, s18
                                        ; implicit-def: $vgpr17_vgpr18_vgpr19_vgpr20_vgpr21_vgpr22_vgpr23_vgpr24_vgpr25_vgpr26_vgpr27_vgpr28_vgpr29_vgpr30_vgpr31_vgpr32
	s_and_saveexec_b32 s4, s5
	s_xor_b32 s4, exec_lo, s4
	s_cbranch_execnz .LBB763_115
.LBB763_158:
	s_or_saveexec_b32 s18, s4
	s_xor_b32 s5, s26, -1
	s_xor_b32 exec_lo, exec_lo, s18
	s_cbranch_execz .LBB763_116
.LBB763_159:
	global_load_ubyte v17, v[50:51], off offset:256
	s_mov_b32 s26, 0
	s_waitcnt vmcnt(0)
	v_and_b32_e32 v17, 1, v17
	v_cmp_eq_u32_e64 s4, 1, v17
	v_mov_b32_e32 v32, v16
	v_mov_b32_e32 v25, v9
	;; [unrolled: 1-line block ×17, first 2 shown]
	s_xor_b32 s4, s4, -1
	s_and_saveexec_b32 s26, s4
	s_xor_b32 s26, exec_lo, s26
	s_cbranch_execz .LBB763_161
; %bb.160:
	v_sub_f32_e32 v9, v9, v58
	v_mul_f32_e32 v17, 0x3fb8aa3b, v9
	v_cmp_ngt_f32_e64 s4, 0xc2ce8ed0, v9
	v_fma_f32 v18, 0x3fb8aa3b, v9, -v17
	v_rndne_f32_e32 v19, v17
	v_fmamk_f32 v18, v9, 0x32a5705f, v18
	v_sub_f32_e32 v17, v17, v19
	v_add_f32_e32 v17, v17, v18
	v_cvt_i32_f32_e32 v18, v19
	v_exp_f32_e32 v17, v17
	v_ldexp_f32 v17, v17, v18
	v_cndmask_b32_e64 v17, 0, v17, s4
	v_cmp_nlt_f32_e64 s4, 0x42b17218, v9
	v_cndmask_b32_e64 v9, 0x7f800000, v17, s4
	v_mov_b32_e32 v32, v16
	v_mov_b32_e32 v31, v15
	;; [unrolled: 1-line block ×16, first 2 shown]
	v_add_f32_e32 v0, v0, v9
.LBB763_161:
	s_andn2_saveexec_b32 s4, s26
	s_or_b32 exec_lo, exec_lo, s4
	s_or_b32 exec_lo, exec_lo, s18
                                        ; implicit-def: $vgpr1_vgpr2_vgpr3_vgpr4_vgpr5_vgpr6_vgpr7_vgpr8_vgpr9_vgpr10_vgpr11_vgpr12_vgpr13_vgpr14_vgpr15_vgpr16
	s_and_saveexec_b32 s4, s5
	s_xor_b32 s4, exec_lo, s4
	s_cbranch_execnz .LBB763_117
.LBB763_162:
	s_or_saveexec_b32 s18, s4
	s_xor_b32 s5, s25, -1
	s_xor_b32 exec_lo, exec_lo, s18
	s_cbranch_execz .LBB763_118
.LBB763_163:
	global_load_ubyte v1, v[50:51], off offset:288
	s_mov_b32 s25, 0
	s_waitcnt vmcnt(0)
	v_and_b32_e32 v1, 1, v1
	v_cmp_eq_u32_e64 s4, 1, v1
	v_mov_b32_e32 v1, v17
	v_mov_b32_e32 v10, v26
	;; [unrolled: 1-line block ×17, first 2 shown]
	s_xor_b32 s4, s4, -1
	s_and_saveexec_b32 s25, s4
	s_xor_b32 s25, exec_lo, s25
	s_cbranch_execz .LBB763_165
; %bb.164:
	v_sub_f32_e32 v1, v26, v58
	v_mul_f32_e32 v2, 0x3fb8aa3b, v1
	v_cmp_ngt_f32_e64 s4, 0xc2ce8ed0, v1
	v_fma_f32 v3, 0x3fb8aa3b, v1, -v2
	v_rndne_f32_e32 v4, v2
	v_fmamk_f32 v3, v1, 0x32a5705f, v3
	v_sub_f32_e32 v2, v2, v4
	v_add_f32_e32 v2, v2, v3
	v_cvt_i32_f32_e32 v3, v4
	v_exp_f32_e32 v2, v2
	v_ldexp_f32 v2, v2, v3
	v_cndmask_b32_e64 v2, 0, v2, s4
	v_cmp_nlt_f32_e64 s4, 0x42b17218, v1
	v_cndmask_b32_e64 v26, 0x7f800000, v2, s4
	v_mov_b32_e32 v1, v17
	v_mov_b32_e32 v2, v18
	;; [unrolled: 1-line block ×16, first 2 shown]
	v_add_f32_e32 v0, v0, v26
.LBB763_165:
	s_andn2_saveexec_b32 s4, s25
	s_or_b32 exec_lo, exec_lo, s4
	s_or_b32 exec_lo, exec_lo, s18
                                        ; implicit-def: $vgpr17_vgpr18_vgpr19_vgpr20_vgpr21_vgpr22_vgpr23_vgpr24_vgpr25_vgpr26_vgpr27_vgpr28_vgpr29_vgpr30_vgpr31_vgpr32
	s_and_saveexec_b32 s4, s5
	s_xor_b32 s4, exec_lo, s4
	s_cbranch_execnz .LBB763_119
.LBB763_166:
	s_or_saveexec_b32 s18, s4
	s_xor_b32 s5, s24, -1
	s_xor_b32 exec_lo, exec_lo, s18
	s_cbranch_execz .LBB763_120
.LBB763_167:
	global_load_ubyte v17, v[50:51], off offset:320
	s_mov_b32 s24, 0
	s_waitcnt vmcnt(0)
	v_and_b32_e32 v17, 1, v17
	v_cmp_eq_u32_e64 s4, 1, v17
	v_mov_b32_e32 v32, v16
	v_mov_b32_e32 v27, v11
	;; [unrolled: 1-line block ×17, first 2 shown]
	s_xor_b32 s4, s4, -1
	s_and_saveexec_b32 s24, s4
	s_xor_b32 s24, exec_lo, s24
	s_cbranch_execz .LBB763_169
; %bb.168:
	v_sub_f32_e32 v11, v11, v58
	v_mul_f32_e32 v17, 0x3fb8aa3b, v11
	v_cmp_ngt_f32_e64 s4, 0xc2ce8ed0, v11
	v_fma_f32 v18, 0x3fb8aa3b, v11, -v17
	v_rndne_f32_e32 v19, v17
	v_fmamk_f32 v18, v11, 0x32a5705f, v18
	v_sub_f32_e32 v17, v17, v19
	v_add_f32_e32 v17, v17, v18
	v_cvt_i32_f32_e32 v18, v19
	v_exp_f32_e32 v17, v17
	v_ldexp_f32 v17, v17, v18
	v_cndmask_b32_e64 v17, 0, v17, s4
	v_cmp_nlt_f32_e64 s4, 0x42b17218, v11
	v_cndmask_b32_e64 v11, 0x7f800000, v17, s4
	v_mov_b32_e32 v32, v16
	v_mov_b32_e32 v31, v15
	;; [unrolled: 1-line block ×16, first 2 shown]
	v_add_f32_e32 v0, v0, v11
.LBB763_169:
	s_andn2_saveexec_b32 s4, s24
	s_or_b32 exec_lo, exec_lo, s4
	s_or_b32 exec_lo, exec_lo, s18
                                        ; implicit-def: $vgpr1_vgpr2_vgpr3_vgpr4_vgpr5_vgpr6_vgpr7_vgpr8_vgpr9_vgpr10_vgpr11_vgpr12_vgpr13_vgpr14_vgpr15_vgpr16
	s_and_saveexec_b32 s4, s5
	s_xor_b32 s4, exec_lo, s4
	s_cbranch_execnz .LBB763_121
.LBB763_170:
	s_or_saveexec_b32 s18, s4
	s_xor_b32 s5, s23, -1
	s_xor_b32 exec_lo, exec_lo, s18
	s_cbranch_execz .LBB763_122
.LBB763_171:
	global_load_ubyte v1, v[50:51], off offset:352
	s_mov_b32 s23, 0
	s_waitcnt vmcnt(0)
	v_and_b32_e32 v1, 1, v1
	v_cmp_eq_u32_e64 s4, 1, v1
	v_mov_b32_e32 v1, v17
	v_mov_b32_e32 v12, v28
	;; [unrolled: 1-line block ×17, first 2 shown]
	s_xor_b32 s4, s4, -1
	s_and_saveexec_b32 s23, s4
	s_xor_b32 s23, exec_lo, s23
	s_cbranch_execz .LBB763_173
; %bb.172:
	v_sub_f32_e32 v1, v28, v58
	v_mul_f32_e32 v2, 0x3fb8aa3b, v1
	v_cmp_ngt_f32_e64 s4, 0xc2ce8ed0, v1
	v_fma_f32 v3, 0x3fb8aa3b, v1, -v2
	v_rndne_f32_e32 v4, v2
	v_fmamk_f32 v3, v1, 0x32a5705f, v3
	v_sub_f32_e32 v2, v2, v4
	v_add_f32_e32 v2, v2, v3
	v_cvt_i32_f32_e32 v3, v4
	v_exp_f32_e32 v2, v2
	v_ldexp_f32 v2, v2, v3
	v_cndmask_b32_e64 v2, 0, v2, s4
	v_cmp_nlt_f32_e64 s4, 0x42b17218, v1
	v_cndmask_b32_e64 v28, 0x7f800000, v2, s4
	v_mov_b32_e32 v1, v17
	v_mov_b32_e32 v2, v18
	;; [unrolled: 1-line block ×16, first 2 shown]
	v_add_f32_e32 v0, v0, v28
.LBB763_173:
	s_andn2_saveexec_b32 s4, s23
	s_or_b32 exec_lo, exec_lo, s4
	s_or_b32 exec_lo, exec_lo, s18
                                        ; implicit-def: $vgpr17_vgpr18_vgpr19_vgpr20_vgpr21_vgpr22_vgpr23_vgpr24_vgpr25_vgpr26_vgpr27_vgpr28_vgpr29_vgpr30_vgpr31_vgpr32
	s_and_saveexec_b32 s4, s5
	s_xor_b32 s4, exec_lo, s4
	s_cbranch_execnz .LBB763_123
.LBB763_174:
	s_or_saveexec_b32 s18, s4
	s_xor_b32 s5, s22, -1
	s_xor_b32 exec_lo, exec_lo, s18
	s_cbranch_execz .LBB763_124
.LBB763_175:
	global_load_ubyte v17, v[50:51], off offset:384
	s_mov_b32 s22, 0
	s_waitcnt vmcnt(0)
	v_and_b32_e32 v17, 1, v17
	v_cmp_eq_u32_e64 s4, 1, v17
	v_mov_b32_e32 v32, v16
	v_mov_b32_e32 v29, v13
	;; [unrolled: 1-line block ×17, first 2 shown]
	s_xor_b32 s4, s4, -1
	s_and_saveexec_b32 s22, s4
	s_xor_b32 s22, exec_lo, s22
	s_cbranch_execz .LBB763_177
; %bb.176:
	v_sub_f32_e32 v13, v13, v58
	v_mul_f32_e32 v17, 0x3fb8aa3b, v13
	v_cmp_ngt_f32_e64 s4, 0xc2ce8ed0, v13
	v_fma_f32 v18, 0x3fb8aa3b, v13, -v17
	v_rndne_f32_e32 v19, v17
	v_fmamk_f32 v18, v13, 0x32a5705f, v18
	v_sub_f32_e32 v17, v17, v19
	v_add_f32_e32 v17, v17, v18
	v_cvt_i32_f32_e32 v18, v19
	v_exp_f32_e32 v17, v17
	v_ldexp_f32 v17, v17, v18
	v_cndmask_b32_e64 v17, 0, v17, s4
	v_cmp_nlt_f32_e64 s4, 0x42b17218, v13
	v_cndmask_b32_e64 v13, 0x7f800000, v17, s4
	v_mov_b32_e32 v32, v16
	v_mov_b32_e32 v31, v15
	;; [unrolled: 1-line block ×16, first 2 shown]
	v_add_f32_e32 v0, v0, v13
.LBB763_177:
	s_andn2_saveexec_b32 s4, s22
	s_or_b32 exec_lo, exec_lo, s4
	s_or_b32 exec_lo, exec_lo, s18
                                        ; implicit-def: $vgpr1_vgpr2_vgpr3_vgpr4_vgpr5_vgpr6_vgpr7_vgpr8_vgpr9_vgpr10_vgpr11_vgpr12_vgpr13_vgpr14_vgpr15_vgpr16
	s_and_saveexec_b32 s4, s5
	s_xor_b32 s4, exec_lo, s4
	s_cbranch_execnz .LBB763_125
.LBB763_178:
	s_or_saveexec_b32 s18, s4
	s_xor_b32 s5, s19, -1
	s_xor_b32 exec_lo, exec_lo, s18
	s_cbranch_execz .LBB763_126
.LBB763_179:
	global_load_ubyte v1, v[50:51], off offset:416
	s_mov_b32 s19, 0
	s_waitcnt vmcnt(0)
	v_and_b32_e32 v1, 1, v1
	v_cmp_eq_u32_e64 s4, 1, v1
	v_mov_b32_e32 v1, v17
	v_mov_b32_e32 v14, v30
	;; [unrolled: 1-line block ×17, first 2 shown]
	s_xor_b32 s4, s4, -1
	s_and_saveexec_b32 s19, s4
	s_xor_b32 s19, exec_lo, s19
	s_cbranch_execz .LBB763_181
; %bb.180:
	v_sub_f32_e32 v1, v30, v58
	v_mul_f32_e32 v2, 0x3fb8aa3b, v1
	v_cmp_ngt_f32_e64 s4, 0xc2ce8ed0, v1
	v_fma_f32 v3, 0x3fb8aa3b, v1, -v2
	v_rndne_f32_e32 v4, v2
	v_fmamk_f32 v3, v1, 0x32a5705f, v3
	v_sub_f32_e32 v2, v2, v4
	v_add_f32_e32 v2, v2, v3
	v_cvt_i32_f32_e32 v3, v4
	v_exp_f32_e32 v2, v2
	v_ldexp_f32 v2, v2, v3
	v_cndmask_b32_e64 v2, 0, v2, s4
	v_cmp_nlt_f32_e64 s4, 0x42b17218, v1
	v_cndmask_b32_e64 v30, 0x7f800000, v2, s4
	v_mov_b32_e32 v1, v17
	v_mov_b32_e32 v2, v18
	;; [unrolled: 1-line block ×16, first 2 shown]
	v_add_f32_e32 v0, v0, v30
.LBB763_181:
	s_andn2_saveexec_b32 s4, s19
	s_or_b32 exec_lo, exec_lo, s4
	s_or_b32 exec_lo, exec_lo, s18
                                        ; implicit-def: $vgpr17_vgpr18_vgpr19_vgpr20_vgpr21_vgpr22_vgpr23_vgpr24_vgpr25_vgpr26_vgpr27_vgpr28_vgpr29_vgpr30_vgpr31_vgpr32
	s_and_saveexec_b32 s4, s5
	s_xor_b32 s4, exec_lo, s4
	s_cbranch_execnz .LBB763_127
.LBB763_182:
	s_or_saveexec_b32 s18, s4
	s_xor_b32 s5, s17, -1
	s_xor_b32 exec_lo, exec_lo, s18
	s_cbranch_execz .LBB763_128
.LBB763_183:
	global_load_ubyte v17, v[50:51], off offset:448
	s_mov_b32 s17, 0
	s_waitcnt vmcnt(0)
	v_and_b32_e32 v17, 1, v17
	v_cmp_eq_u32_e64 s4, 1, v17
	v_mov_b32_e32 v32, v16
	v_mov_b32_e32 v31, v15
	;; [unrolled: 1-line block ×17, first 2 shown]
	s_xor_b32 s4, s4, -1
	s_and_saveexec_b32 s17, s4
	s_xor_b32 s17, exec_lo, s17
	s_cbranch_execz .LBB763_185
; %bb.184:
	v_sub_f32_e32 v15, v15, v58
	v_mul_f32_e32 v17, 0x3fb8aa3b, v15
	v_cmp_ngt_f32_e64 s4, 0xc2ce8ed0, v15
	v_fma_f32 v18, 0x3fb8aa3b, v15, -v17
	v_rndne_f32_e32 v19, v17
	v_fmamk_f32 v18, v15, 0x32a5705f, v18
	v_sub_f32_e32 v17, v17, v19
	v_add_f32_e32 v17, v17, v18
	v_cvt_i32_f32_e32 v18, v19
	v_exp_f32_e32 v17, v17
	v_ldexp_f32 v17, v17, v18
	v_cndmask_b32_e64 v17, 0, v17, s4
	v_cmp_nlt_f32_e64 s4, 0x42b17218, v15
	v_cndmask_b32_e64 v15, 0x7f800000, v17, s4
	v_mov_b32_e32 v32, v16
	v_mov_b32_e32 v30, v14
	;; [unrolled: 1-line block ×16, first 2 shown]
	v_add_f32_e32 v0, v0, v15
.LBB763_185:
	s_andn2_saveexec_b32 s4, s17
	s_or_b32 exec_lo, exec_lo, s4
	s_or_b32 exec_lo, exec_lo, s18
                                        ; implicit-def: $vgpr1_vgpr2_vgpr3_vgpr4_vgpr5_vgpr6_vgpr7_vgpr8_vgpr9_vgpr10_vgpr11_vgpr12_vgpr13_vgpr14_vgpr15_vgpr16
	s_and_saveexec_b32 s4, s5
	s_xor_b32 s4, exec_lo, s4
	s_cbranch_execnz .LBB763_129
.LBB763_186:
	s_andn2_saveexec_b32 s5, s4
	s_cbranch_execz .LBB763_190
.LBB763_187:
	global_load_ubyte v1, v[50:51], off offset:480
	s_mov_b32 s17, 0
	s_waitcnt vmcnt(0)
	v_and_b32_e32 v1, 1, v1
	v_cmp_eq_u32_e64 s4, 1, v1
	v_mov_b32_e32 v1, v17
	v_mov_b32_e32 v16, v32
	;; [unrolled: 1-line block ×17, first 2 shown]
	s_xor_b32 s4, s4, -1
	s_and_saveexec_b32 s17, s4
	s_xor_b32 s17, exec_lo, s17
	s_cbranch_execz .LBB763_189
; %bb.188:
	v_sub_f32_e32 v1, v32, v58
	v_mul_f32_e32 v2, 0x3fb8aa3b, v1
	v_cmp_ngt_f32_e64 s4, 0xc2ce8ed0, v1
	v_fma_f32 v3, 0x3fb8aa3b, v1, -v2
	v_rndne_f32_e32 v4, v2
	v_fmamk_f32 v3, v1, 0x32a5705f, v3
	v_sub_f32_e32 v2, v2, v4
	v_add_f32_e32 v2, v2, v3
	v_cvt_i32_f32_e32 v3, v4
	v_exp_f32_e32 v2, v2
	v_ldexp_f32 v2, v2, v3
	v_cndmask_b32_e64 v2, 0, v2, s4
	v_cmp_nlt_f32_e64 s4, 0x42b17218, v1
	v_cndmask_b32_e64 v32, 0x7f800000, v2, s4
	v_mov_b32_e32 v1, v17
	v_mov_b32_e32 v2, v18
	;; [unrolled: 1-line block ×16, first 2 shown]
	v_add_f32_e32 v0, v0, v32
.LBB763_189:
	s_andn2_saveexec_b32 s4, s17
	s_or_b32 exec_lo, exec_lo, s4
.LBB763_190:
	s_or_b32 exec_lo, exec_lo, s5
	ds_bpermute_b32 v17, v53, v0
	s_mov_b32 s5, exec_lo
	s_waitcnt lgkmcnt(0)
	v_add_f32_e32 v0, v0, v17
	ds_bpermute_b32 v17, v54, v0
	s_waitcnt lgkmcnt(0)
	v_add_f32_e32 v0, v0, v17
	ds_bpermute_b32 v17, v55, v0
	;; [unrolled: 3-line block ×4, first 2 shown]
	v_cmpx_lt_i32_e32 0, v52
	s_cbranch_execz .LBB763_240
; %bb.191:
	s_and_b32 exec_lo, exec_lo, vcc_lo
	s_cbranch_execz .LBB763_240
; %bb.192:
	s_waitcnt lgkmcnt(0)
	v_add_f32_e32 v17, v0, v17
	v_mov_b32_e32 v18, 0x7fc0
	v_cmp_neq_f32_e64 s4, 0, v17
	s_and_saveexec_b32 s5, s4
	s_cbranch_execz .LBB763_194
; %bb.193:
	v_div_scale_f32 v0, null, v17, v17, v1
	v_div_scale_f32 v20, vcc_lo, v1, v17, v1
	v_rcp_f32_e32 v18, v0
	v_fma_f32 v19, -v0, v18, 1.0
	v_fmac_f32_e32 v18, v19, v18
	v_mul_f32_e32 v19, v20, v18
	v_fma_f32 v21, -v0, v19, v20
	v_fmac_f32_e32 v19, v21, v18
	v_fma_f32 v0, -v0, v19, v20
	v_div_fmas_f32 v0, v0, v18, v19
	v_div_fixup_f32 v0, v0, v17, v1
	v_bfe_u32 v1, v0, 16, 1
	v_cmp_o_f32_e32 vcc_lo, v0, v0
	v_add3_u32 v0, v0, v1, 0x7fff
	v_mov_b32_e32 v1, 0x7fc0
	v_cndmask_b32_sdwa v18, v1, v0, vcc_lo dst_sel:DWORD dst_unused:UNUSED_PAD src0_sel:DWORD src1_sel:WORD_1
.LBB763_194:
	s_or_b32 exec_lo, exec_lo, s5
	v_add_co_u32 v0, vcc_lo, s20, v48
	v_add_co_ci_u32_e64 v1, null, s21, v49, vcc_lo
	global_store_short v[0:1], v18, off
	s_and_b32 exec_lo, exec_lo, s16
	s_cbranch_execz .LBB763_240
; %bb.195:
	v_mov_b32_e32 v18, 0x7fc0
	s_and_saveexec_b32 s5, s4
	s_cbranch_execz .LBB763_197
; %bb.196:
	v_div_scale_f32 v18, null, v17, v17, v2
	v_div_scale_f32 v21, vcc_lo, v2, v17, v2
	v_rcp_f32_e32 v19, v18
	v_fma_f32 v20, -v18, v19, 1.0
	v_fmac_f32_e32 v19, v20, v19
	v_mul_f32_e32 v20, v21, v19
	v_fma_f32 v22, -v18, v20, v21
	v_fmac_f32_e32 v20, v22, v19
	v_fma_f32 v18, -v18, v20, v21
	v_div_fmas_f32 v18, v18, v19, v20
	v_div_fixup_f32 v2, v18, v17, v2
	v_bfe_u32 v18, v2, 16, 1
	v_cmp_o_f32_e32 vcc_lo, v2, v2
	v_add3_u32 v2, v2, v18, 0x7fff
	v_mov_b32_e32 v18, 0x7fc0
	v_cndmask_b32_sdwa v18, v18, v2, vcc_lo dst_sel:DWORD dst_unused:UNUSED_PAD src0_sel:DWORD src1_sel:WORD_1
.LBB763_197:
	s_or_b32 exec_lo, exec_lo, s5
	global_store_short v[0:1], v18, off offset:64
	s_and_b32 exec_lo, exec_lo, s15
	s_cbranch_execz .LBB763_240
; %bb.198:
	v_mov_b32_e32 v2, 0x7fc0
	s_and_saveexec_b32 s5, s4
	s_cbranch_execz .LBB763_200
; %bb.199:
	v_div_scale_f32 v2, null, v17, v17, v3
	v_div_scale_f32 v20, vcc_lo, v3, v17, v3
	v_rcp_f32_e32 v18, v2
	v_fma_f32 v19, -v2, v18, 1.0
	v_fmac_f32_e32 v18, v19, v18
	v_mul_f32_e32 v19, v20, v18
	v_fma_f32 v21, -v2, v19, v20
	v_fmac_f32_e32 v19, v21, v18
	v_fma_f32 v2, -v2, v19, v20
	v_div_fmas_f32 v2, v2, v18, v19
	v_div_fixup_f32 v2, v2, v17, v3
	v_bfe_u32 v3, v2, 16, 1
	v_cmp_o_f32_e32 vcc_lo, v2, v2
	v_add3_u32 v2, v2, v3, 0x7fff
	v_mov_b32_e32 v3, 0x7fc0
	v_cndmask_b32_sdwa v2, v3, v2, vcc_lo dst_sel:DWORD dst_unused:UNUSED_PAD src0_sel:DWORD src1_sel:WORD_1
.LBB763_200:
	s_or_b32 exec_lo, exec_lo, s5
	global_store_short v[0:1], v2, off offset:128
	;; [unrolled: 26-line block ×15, first 2 shown]
.LBB763_240:
	s_endpgm
	.section	.rodata,"a",@progbits
	.p2align	6, 0x0
	.amdhsa_kernel _ZN12_GLOBAL__N_120softmax_warp_forwardIN3c108BFloat16ES2_fLi9ELb0ELb1ELi32EEEvPT0_PKT_iiiPKbib
		.amdhsa_group_segment_fixed_size 0
		.amdhsa_private_segment_fixed_size 0
		.amdhsa_kernarg_size 304
		.amdhsa_user_sgpr_count 6
		.amdhsa_user_sgpr_private_segment_buffer 1
		.amdhsa_user_sgpr_dispatch_ptr 0
		.amdhsa_user_sgpr_queue_ptr 0
		.amdhsa_user_sgpr_kernarg_segment_ptr 1
		.amdhsa_user_sgpr_dispatch_id 0
		.amdhsa_user_sgpr_flat_scratch_init 0
		.amdhsa_user_sgpr_private_segment_size 0
		.amdhsa_wavefront_size32 1
		.amdhsa_uses_dynamic_stack 0
		.amdhsa_system_sgpr_private_segment_wavefront_offset 0
		.amdhsa_system_sgpr_workgroup_id_x 1
		.amdhsa_system_sgpr_workgroup_id_y 0
		.amdhsa_system_sgpr_workgroup_id_z 0
		.amdhsa_system_sgpr_workgroup_info 0
		.amdhsa_system_vgpr_workitem_id 1
		.amdhsa_next_free_vgpr 59
		.amdhsa_next_free_sgpr 39
		.amdhsa_reserve_vcc 1
		.amdhsa_reserve_flat_scratch 0
		.amdhsa_float_round_mode_32 0
		.amdhsa_float_round_mode_16_64 0
		.amdhsa_float_denorm_mode_32 3
		.amdhsa_float_denorm_mode_16_64 3
		.amdhsa_dx10_clamp 1
		.amdhsa_ieee_mode 1
		.amdhsa_fp16_overflow 0
		.amdhsa_workgroup_processor_mode 1
		.amdhsa_memory_ordered 1
		.amdhsa_forward_progress 1
		.amdhsa_shared_vgpr_count 0
		.amdhsa_exception_fp_ieee_invalid_op 0
		.amdhsa_exception_fp_denorm_src 0
		.amdhsa_exception_fp_ieee_div_zero 0
		.amdhsa_exception_fp_ieee_overflow 0
		.amdhsa_exception_fp_ieee_underflow 0
		.amdhsa_exception_fp_ieee_inexact 0
		.amdhsa_exception_int_div_zero 0
	.end_amdhsa_kernel
	.section	.text._ZN12_GLOBAL__N_120softmax_warp_forwardIN3c108BFloat16ES2_fLi9ELb0ELb1ELi32EEEvPT0_PKT_iiiPKbib,"axG",@progbits,_ZN12_GLOBAL__N_120softmax_warp_forwardIN3c108BFloat16ES2_fLi9ELb0ELb1ELi32EEEvPT0_PKT_iiiPKbib,comdat
.Lfunc_end763:
	.size	_ZN12_GLOBAL__N_120softmax_warp_forwardIN3c108BFloat16ES2_fLi9ELb0ELb1ELi32EEEvPT0_PKT_iiiPKbib, .Lfunc_end763-_ZN12_GLOBAL__N_120softmax_warp_forwardIN3c108BFloat16ES2_fLi9ELb0ELb1ELi32EEEvPT0_PKT_iiiPKbib
                                        ; -- End function
	.set _ZN12_GLOBAL__N_120softmax_warp_forwardIN3c108BFloat16ES2_fLi9ELb0ELb1ELi32EEEvPT0_PKT_iiiPKbib.num_vgpr, 59
	.set _ZN12_GLOBAL__N_120softmax_warp_forwardIN3c108BFloat16ES2_fLi9ELb0ELb1ELi32EEEvPT0_PKT_iiiPKbib.num_agpr, 0
	.set _ZN12_GLOBAL__N_120softmax_warp_forwardIN3c108BFloat16ES2_fLi9ELb0ELb1ELi32EEEvPT0_PKT_iiiPKbib.numbered_sgpr, 39
	.set _ZN12_GLOBAL__N_120softmax_warp_forwardIN3c108BFloat16ES2_fLi9ELb0ELb1ELi32EEEvPT0_PKT_iiiPKbib.num_named_barrier, 0
	.set _ZN12_GLOBAL__N_120softmax_warp_forwardIN3c108BFloat16ES2_fLi9ELb0ELb1ELi32EEEvPT0_PKT_iiiPKbib.private_seg_size, 0
	.set _ZN12_GLOBAL__N_120softmax_warp_forwardIN3c108BFloat16ES2_fLi9ELb0ELb1ELi32EEEvPT0_PKT_iiiPKbib.uses_vcc, 1
	.set _ZN12_GLOBAL__N_120softmax_warp_forwardIN3c108BFloat16ES2_fLi9ELb0ELb1ELi32EEEvPT0_PKT_iiiPKbib.uses_flat_scratch, 0
	.set _ZN12_GLOBAL__N_120softmax_warp_forwardIN3c108BFloat16ES2_fLi9ELb0ELb1ELi32EEEvPT0_PKT_iiiPKbib.has_dyn_sized_stack, 0
	.set _ZN12_GLOBAL__N_120softmax_warp_forwardIN3c108BFloat16ES2_fLi9ELb0ELb1ELi32EEEvPT0_PKT_iiiPKbib.has_recursion, 0
	.set _ZN12_GLOBAL__N_120softmax_warp_forwardIN3c108BFloat16ES2_fLi9ELb0ELb1ELi32EEEvPT0_PKT_iiiPKbib.has_indirect_call, 0
	.section	.AMDGPU.csdata,"",@progbits
; Kernel info:
; codeLenInByte = 12064
; TotalNumSgprs: 41
; NumVgprs: 59
; ScratchSize: 0
; MemoryBound: 0
; FloatMode: 240
; IeeeMode: 1
; LDSByteSize: 0 bytes/workgroup (compile time only)
; SGPRBlocks: 0
; VGPRBlocks: 7
; NumSGPRsForWavesPerEU: 41
; NumVGPRsForWavesPerEU: 59
; Occupancy: 16
; WaveLimiterHint : 0
; COMPUTE_PGM_RSRC2:SCRATCH_EN: 0
; COMPUTE_PGM_RSRC2:USER_SGPR: 6
; COMPUTE_PGM_RSRC2:TRAP_HANDLER: 0
; COMPUTE_PGM_RSRC2:TGID_X_EN: 1
; COMPUTE_PGM_RSRC2:TGID_Y_EN: 0
; COMPUTE_PGM_RSRC2:TGID_Z_EN: 0
; COMPUTE_PGM_RSRC2:TIDIG_COMP_CNT: 1
	.section	.text._ZN12_GLOBAL__N_120softmax_warp_forwardIN3c108BFloat16ES2_fLi10ELb0ELb1ELi64EEEvPT0_PKT_iiiPKbib,"axG",@progbits,_ZN12_GLOBAL__N_120softmax_warp_forwardIN3c108BFloat16ES2_fLi10ELb0ELb1ELi64EEEvPT0_PKT_iiiPKbib,comdat
	.globl	_ZN12_GLOBAL__N_120softmax_warp_forwardIN3c108BFloat16ES2_fLi10ELb0ELb1ELi64EEEvPT0_PKT_iiiPKbib ; -- Begin function _ZN12_GLOBAL__N_120softmax_warp_forwardIN3c108BFloat16ES2_fLi10ELb0ELb1ELi64EEEvPT0_PKT_iiiPKbib
	.p2align	8
	.type	_ZN12_GLOBAL__N_120softmax_warp_forwardIN3c108BFloat16ES2_fLi10ELb0ELb1ELi64EEEvPT0_PKT_iiiPKbib,@function
_ZN12_GLOBAL__N_120softmax_warp_forwardIN3c108BFloat16ES2_fLi10ELb0ELb1ELi64EEEvPT0_PKT_iiiPKbib: ; @_ZN12_GLOBAL__N_120softmax_warp_forwardIN3c108BFloat16ES2_fLi10ELb0ELb1ELi64EEEvPT0_PKT_iiiPKbib
; %bb.0:
	s_clause 0x1
	s_load_dword s0, s[4:5], 0x3c
	s_load_dwordx4 s[16:19], s[4:5], 0x10
	s_waitcnt lgkmcnt(0)
	s_lshr_b32 s0, s0, 16
	v_mad_u64_u32 v[1:2], null, s6, s0, v[1:2]
	s_load_dwordx2 s[0:1], s[4:5], 0x28
	v_mul_lo_u32 v4, v1, s17
	v_add_nc_u32_e32 v2, v4, v0
	v_ashrrev_i32_e32 v3, 31, v2
	s_waitcnt lgkmcnt(0)
	s_bitcmp0_b32 s1, 0
	v_mov_b32_e32 v17, v3
	v_mov_b32_e32 v16, v2
	s_cbranch_scc1 .LBB764_2
; %bb.1:
	s_abs_i32 s1, s0
	v_sub_nc_u32_e32 v7, 0, v4
	v_cvt_f32_u32_e32 v5, s1
	s_sub_i32 s2, 0, s1
	v_max_i32_e32 v7, v4, v7
	v_rcp_iflag_f32_e32 v5, v5
	v_xor_b32_e32 v4, s0, v4
	v_ashrrev_i32_e32 v4, 31, v4
	v_mul_f32_e32 v5, 0x4f7ffffe, v5
	v_cvt_u32_f32_e32 v5, v5
	v_mul_lo_u32 v6, s2, v5
	v_mul_hi_u32 v6, v5, v6
	v_add_nc_u32_e32 v5, v5, v6
	v_mul_hi_u32 v5, v7, v5
	v_mul_lo_u32 v6, v5, s1
	v_sub_nc_u32_e32 v6, v7, v6
	v_add_nc_u32_e32 v7, 1, v5
	v_subrev_nc_u32_e32 v8, s1, v6
	v_cmp_le_u32_e32 vcc_lo, s1, v6
	v_cndmask_b32_e32 v5, v5, v7, vcc_lo
	v_cndmask_b32_e32 v6, v6, v8, vcc_lo
	v_add_nc_u32_e32 v7, 1, v5
	v_cmp_le_u32_e32 vcc_lo, s1, v6
	v_cndmask_b32_e32 v5, v5, v7, vcc_lo
	v_xor_b32_e32 v5, v5, v4
	v_sub_nc_u32_e32 v4, v5, v4
	v_mad_u64_u32 v[16:17], null, v4, s17, v[0:1]
	v_ashrrev_i32_e32 v17, 31, v16
.LBB764_2:
	s_load_dwordx4 s[20:23], s[4:5], 0x0
	v_lshlrev_b64 v[48:49], 1, v[2:3]
	v_sub_nc_u32_e32 v52, s16, v1
	v_cmp_gt_i32_e32 vcc_lo, s18, v0
	v_mov_b32_e32 v32, 0xff800000
	v_mov_b32_e32 v1, 0xff800000
	v_cmp_lt_i32_e64 s17, 0, v52
	s_and_b32 s35, s17, vcc_lo
	s_waitcnt lgkmcnt(0)
	v_add_co_u32 v18, s0, s22, v48
	v_add_co_ci_u32_e64 v19, null, s23, v49, s0
	s_and_saveexec_b32 s0, s35
	s_cbranch_execz .LBB764_4
; %bb.3:
	global_load_ushort v1, v[18:19], off
	s_waitcnt vmcnt(0)
	v_lshlrev_b32_e32 v1, 16, v1
.LBB764_4:
	s_or_b32 exec_lo, exec_lo, s0
	v_add_nc_u32_e32 v2, 64, v0
	v_cmp_gt_i32_e64 s16, s18, v2
	s_and_b32 s36, s17, s16
	s_and_saveexec_b32 s0, s36
	s_cbranch_execz .LBB764_6
; %bb.5:
	global_load_ushort v2, v[18:19], off offset:128
	s_waitcnt vmcnt(0)
	v_lshlrev_b32_e32 v32, 16, v2
.LBB764_6:
	s_or_b32 exec_lo, exec_lo, s0
	v_add_nc_u32_e32 v2, 0x80, v0
	v_mov_b32_e32 v3, 0xff800000
	v_cmp_gt_i32_e64 s15, s18, v2
	v_mov_b32_e32 v2, 0xff800000
	s_and_b32 s34, s17, s15
	s_and_saveexec_b32 s0, s34
	s_cbranch_execz .LBB764_8
; %bb.7:
	global_load_ushort v2, v[18:19], off offset:256
	s_waitcnt vmcnt(0)
	v_lshlrev_b32_e32 v2, 16, v2
.LBB764_8:
	s_or_b32 exec_lo, exec_lo, s0
	v_add_nc_u32_e32 v4, 0xc0, v0
	v_cmp_gt_i32_e64 s14, s18, v4
	s_and_b32 s33, s17, s14
	s_and_saveexec_b32 s0, s33
	s_cbranch_execz .LBB764_10
; %bb.9:
	global_load_ushort v3, v[18:19], off offset:384
	s_waitcnt vmcnt(0)
	v_lshlrev_b32_e32 v3, 16, v3
.LBB764_10:
	s_or_b32 exec_lo, exec_lo, s0
	v_add_nc_u32_e32 v4, 0x100, v0
	v_mov_b32_e32 v5, 0xff800000
	v_cmp_gt_i32_e64 s13, s18, v4
	v_mov_b32_e32 v4, 0xff800000
	s_and_b32 s31, s17, s13
	s_and_saveexec_b32 s0, s31
	s_cbranch_execz .LBB764_12
; %bb.11:
	global_load_ushort v4, v[18:19], off offset:512
	s_waitcnt vmcnt(0)
	v_lshlrev_b32_e32 v4, 16, v4
.LBB764_12:
	;; [unrolled: 24-line block ×7, first 2 shown]
	s_or_b32 exec_lo, exec_lo, s0
	v_add_nc_u32_e32 v0, 0x3c0, v0
	v_cmp_gt_i32_e64 s0, s18, v0
	s_and_b32 s17, s17, s0
	s_and_saveexec_b32 s18, s17
	s_cbranch_execz .LBB764_34
; %bb.33:
	global_load_ushort v0, v[18:19], off offset:1920
	s_waitcnt vmcnt(0)
	v_lshlrev_b32_e32 v15, 16, v0
.LBB764_34:
	s_or_b32 exec_lo, exec_lo, s18
	s_load_dwordx2 s[4:5], s[4:5], 0x20
	s_waitcnt lgkmcnt(0)
	v_add_co_u32 v50, s4, s4, v16
	v_add_co_ci_u32_e64 v51, null, s5, v17, s4
	s_mov_b32 s5, 0
	s_and_saveexec_b32 s18, s35
	s_cbranch_execz .LBB764_64
; %bb.35:
	global_load_ubyte v0, v[50:51], off
	s_waitcnt vmcnt(0)
	v_and_b32_e32 v0, 1, v0
	v_cmp_eq_u32_e64 s4, 1, v0
	s_xor_b32 s4, s4, -1
	s_and_b32 s5, s4, exec_lo
	s_or_b32 exec_lo, exec_lo, s18
	v_mov_b32_e32 v0, v1
	s_and_saveexec_b32 s18, s36
	s_cbranch_execnz .LBB764_65
.LBB764_36:
	s_or_b32 exec_lo, exec_lo, s18
	s_and_saveexec_b32 s18, s34
	s_cbranch_execz .LBB764_68
.LBB764_37:
	global_load_ubyte v16, v[50:51], off offset:128
	s_waitcnt vmcnt(0)
	v_and_b32_e32 v16, 1, v16
	v_cmp_eq_u32_e64 s4, 1, v16
	s_xor_b32 s38, s4, -1
	s_mov_b32 s4, s5
	s_and_saveexec_b32 s37, s38
; %bb.38:
	v_cmp_gt_f32_e64 s4, v0, v2
	s_and_b32 s4, s5, s4
	v_cndmask_b32_e64 v0, v2, v0, s4
	s_or_b32 s4, s5, exec_lo
; %bb.39:
	s_or_b32 exec_lo, exec_lo, s37
	s_andn2_b32 s5, s5, exec_lo
	s_and_b32 s4, s4, exec_lo
	s_or_b32 s5, s5, s4
	s_or_b32 exec_lo, exec_lo, s18
	s_and_saveexec_b32 s18, s33
	s_cbranch_execnz .LBB764_69
.LBB764_40:
	s_or_b32 exec_lo, exec_lo, s18
	s_and_saveexec_b32 s18, s31
	s_cbranch_execz .LBB764_72
.LBB764_41:
	global_load_ubyte v16, v[50:51], off offset:256
	s_waitcnt vmcnt(0)
	v_and_b32_e32 v16, 1, v16
	v_cmp_eq_u32_e64 s4, 1, v16
	s_xor_b32 s38, s4, -1
	s_mov_b32 s4, s5
	s_and_saveexec_b32 s37, s38
; %bb.42:
	v_cmp_gt_f32_e64 s4, v0, v4
	s_and_b32 s4, s5, s4
	v_cndmask_b32_e64 v0, v4, v0, s4
	s_or_b32 s4, s5, exec_lo
; %bb.43:
	s_or_b32 exec_lo, exec_lo, s37
	s_andn2_b32 s5, s5, exec_lo
	s_and_b32 s4, s4, exec_lo
	s_or_b32 s5, s5, s4
	s_or_b32 exec_lo, exec_lo, s18
	s_and_saveexec_b32 s18, s30
	s_cbranch_execnz .LBB764_73
.LBB764_44:
	s_or_b32 exec_lo, exec_lo, s18
	s_and_saveexec_b32 s18, s29
	s_cbranch_execz .LBB764_76
.LBB764_45:
	global_load_ubyte v16, v[50:51], off offset:384
	s_waitcnt vmcnt(0)
	v_and_b32_e32 v16, 1, v16
	v_cmp_eq_u32_e64 s4, 1, v16
	s_xor_b32 s38, s4, -1
	s_mov_b32 s4, s5
	s_and_saveexec_b32 s37, s38
; %bb.46:
	v_cmp_gt_f32_e64 s4, v0, v6
	s_and_b32 s4, s5, s4
	v_cndmask_b32_e64 v0, v6, v0, s4
	s_or_b32 s4, s5, exec_lo
; %bb.47:
	s_or_b32 exec_lo, exec_lo, s37
	s_andn2_b32 s5, s5, exec_lo
	s_and_b32 s4, s4, exec_lo
	s_or_b32 s5, s5, s4
	s_or_b32 exec_lo, exec_lo, s18
	s_and_saveexec_b32 s18, s28
	s_cbranch_execnz .LBB764_77
.LBB764_48:
	s_or_b32 exec_lo, exec_lo, s18
	s_and_saveexec_b32 s18, s27
	s_cbranch_execz .LBB764_80
.LBB764_49:
	global_load_ubyte v16, v[50:51], off offset:512
	s_waitcnt vmcnt(0)
	v_and_b32_e32 v16, 1, v16
	v_cmp_eq_u32_e64 s4, 1, v16
	s_xor_b32 s38, s4, -1
	s_mov_b32 s4, s5
	s_and_saveexec_b32 s37, s38
; %bb.50:
	v_cmp_gt_f32_e64 s4, v0, v8
	s_and_b32 s4, s5, s4
	v_cndmask_b32_e64 v0, v8, v0, s4
	s_or_b32 s4, s5, exec_lo
; %bb.51:
	s_or_b32 exec_lo, exec_lo, s37
	s_andn2_b32 s5, s5, exec_lo
	s_and_b32 s4, s4, exec_lo
	s_or_b32 s5, s5, s4
	s_or_b32 exec_lo, exec_lo, s18
	s_and_saveexec_b32 s18, s26
	s_cbranch_execnz .LBB764_81
.LBB764_52:
	s_or_b32 exec_lo, exec_lo, s18
	s_and_saveexec_b32 s18, s25
	s_cbranch_execz .LBB764_84
.LBB764_53:
	global_load_ubyte v16, v[50:51], off offset:640
	s_waitcnt vmcnt(0)
	v_and_b32_e32 v16, 1, v16
	v_cmp_eq_u32_e64 s4, 1, v16
	s_xor_b32 s38, s4, -1
	s_mov_b32 s4, s5
	s_and_saveexec_b32 s37, s38
; %bb.54:
	v_cmp_gt_f32_e64 s4, v0, v10
	s_and_b32 s4, s5, s4
	v_cndmask_b32_e64 v0, v10, v0, s4
	s_or_b32 s4, s5, exec_lo
; %bb.55:
	s_or_b32 exec_lo, exec_lo, s37
	s_andn2_b32 s5, s5, exec_lo
	s_and_b32 s4, s4, exec_lo
	s_or_b32 s5, s5, s4
	s_or_b32 exec_lo, exec_lo, s18
	s_and_saveexec_b32 s18, s24
	s_cbranch_execnz .LBB764_85
.LBB764_56:
	s_or_b32 exec_lo, exec_lo, s18
	s_and_saveexec_b32 s18, s23
	s_cbranch_execz .LBB764_88
.LBB764_57:
	global_load_ubyte v16, v[50:51], off offset:768
	s_waitcnt vmcnt(0)
	v_and_b32_e32 v16, 1, v16
	v_cmp_eq_u32_e64 s4, 1, v16
	s_xor_b32 s38, s4, -1
	s_mov_b32 s4, s5
	s_and_saveexec_b32 s37, s38
; %bb.58:
	v_cmp_gt_f32_e64 s4, v0, v12
	s_and_b32 s4, s5, s4
	v_cndmask_b32_e64 v0, v12, v0, s4
	s_or_b32 s4, s5, exec_lo
; %bb.59:
	s_or_b32 exec_lo, exec_lo, s37
	s_andn2_b32 s5, s5, exec_lo
	s_and_b32 s4, s4, exec_lo
	s_or_b32 s5, s5, s4
	s_or_b32 exec_lo, exec_lo, s18
	s_and_saveexec_b32 s18, s22
	s_cbranch_execnz .LBB764_89
.LBB764_60:
	s_or_b32 exec_lo, exec_lo, s18
	s_and_saveexec_b32 s18, s19
	s_cbranch_execz .LBB764_92
.LBB764_61:
	global_load_ubyte v16, v[50:51], off offset:896
	s_waitcnt vmcnt(0)
	v_and_b32_e32 v16, 1, v16
	v_cmp_eq_u32_e64 s4, 1, v16
	s_xor_b32 s38, s4, -1
	s_mov_b32 s4, s5
	s_and_saveexec_b32 s37, s38
; %bb.62:
	v_cmp_gt_f32_e64 s4, v0, v14
	s_and_b32 s4, s5, s4
	v_cndmask_b32_e64 v0, v14, v0, s4
	s_or_b32 s4, s5, exec_lo
; %bb.63:
	s_or_b32 exec_lo, exec_lo, s37
	s_andn2_b32 s5, s5, exec_lo
	s_and_b32 s4, s4, exec_lo
	s_or_b32 s5, s5, s4
	s_or_b32 exec_lo, exec_lo, s18
	s_and_saveexec_b32 s18, s17
	s_cbranch_execz .LBB764_96
	s_branch .LBB764_93
.LBB764_64:
	s_or_b32 exec_lo, exec_lo, s18
	v_mov_b32_e32 v0, v1
	s_and_saveexec_b32 s18, s36
	s_cbranch_execz .LBB764_36
.LBB764_65:
	global_load_ubyte v0, v[50:51], off offset:64
	s_waitcnt vmcnt(0)
	v_and_b32_e32 v0, 1, v0
	v_cmp_eq_u32_e64 s4, 1, v0
	v_mov_b32_e32 v0, v1
	s_xor_b32 s38, s4, -1
	s_mov_b32 s4, s5
	s_and_saveexec_b32 s37, s38
; %bb.66:
	v_cmp_gt_f32_e64 s4, v1, v32
	s_and_b32 s4, s5, s4
	v_cndmask_b32_e64 v0, v32, v1, s4
	s_or_b32 s4, s5, exec_lo
; %bb.67:
	s_or_b32 exec_lo, exec_lo, s37
	s_andn2_b32 s5, s5, exec_lo
	s_and_b32 s4, s4, exec_lo
	s_or_b32 s5, s5, s4
	s_or_b32 exec_lo, exec_lo, s18
	s_and_saveexec_b32 s18, s34
	s_cbranch_execnz .LBB764_37
.LBB764_68:
	s_or_b32 exec_lo, exec_lo, s18
	s_and_saveexec_b32 s18, s33
	s_cbranch_execz .LBB764_40
.LBB764_69:
	global_load_ubyte v16, v[50:51], off offset:192
	s_waitcnt vmcnt(0)
	v_and_b32_e32 v16, 1, v16
	v_cmp_eq_u32_e64 s4, 1, v16
	s_xor_b32 s38, s4, -1
	s_mov_b32 s4, s5
	s_and_saveexec_b32 s37, s38
; %bb.70:
	v_cmp_gt_f32_e64 s4, v0, v3
	s_and_b32 s4, s5, s4
	v_cndmask_b32_e64 v0, v3, v0, s4
	s_or_b32 s4, s5, exec_lo
; %bb.71:
	s_or_b32 exec_lo, exec_lo, s37
	s_andn2_b32 s5, s5, exec_lo
	s_and_b32 s4, s4, exec_lo
	s_or_b32 s5, s5, s4
	s_or_b32 exec_lo, exec_lo, s18
	s_and_saveexec_b32 s18, s31
	s_cbranch_execnz .LBB764_41
.LBB764_72:
	s_or_b32 exec_lo, exec_lo, s18
	s_and_saveexec_b32 s18, s30
	s_cbranch_execz .LBB764_44
.LBB764_73:
	global_load_ubyte v16, v[50:51], off offset:320
	s_waitcnt vmcnt(0)
	v_and_b32_e32 v16, 1, v16
	v_cmp_eq_u32_e64 s4, 1, v16
	s_xor_b32 s38, s4, -1
	s_mov_b32 s4, s5
	s_and_saveexec_b32 s37, s38
; %bb.74:
	v_cmp_gt_f32_e64 s4, v0, v5
	s_and_b32 s4, s5, s4
	v_cndmask_b32_e64 v0, v5, v0, s4
	s_or_b32 s4, s5, exec_lo
; %bb.75:
	s_or_b32 exec_lo, exec_lo, s37
	s_andn2_b32 s5, s5, exec_lo
	s_and_b32 s4, s4, exec_lo
	s_or_b32 s5, s5, s4
	s_or_b32 exec_lo, exec_lo, s18
	s_and_saveexec_b32 s18, s29
	s_cbranch_execnz .LBB764_45
.LBB764_76:
	s_or_b32 exec_lo, exec_lo, s18
	s_and_saveexec_b32 s18, s28
	s_cbranch_execz .LBB764_48
.LBB764_77:
	global_load_ubyte v16, v[50:51], off offset:448
	s_waitcnt vmcnt(0)
	v_and_b32_e32 v16, 1, v16
	v_cmp_eq_u32_e64 s4, 1, v16
	s_xor_b32 s38, s4, -1
	s_mov_b32 s4, s5
	s_and_saveexec_b32 s37, s38
; %bb.78:
	v_cmp_gt_f32_e64 s4, v0, v7
	s_and_b32 s4, s5, s4
	v_cndmask_b32_e64 v0, v7, v0, s4
	s_or_b32 s4, s5, exec_lo
; %bb.79:
	s_or_b32 exec_lo, exec_lo, s37
	s_andn2_b32 s5, s5, exec_lo
	s_and_b32 s4, s4, exec_lo
	s_or_b32 s5, s5, s4
	s_or_b32 exec_lo, exec_lo, s18
	s_and_saveexec_b32 s18, s27
	s_cbranch_execnz .LBB764_49
.LBB764_80:
	s_or_b32 exec_lo, exec_lo, s18
	s_and_saveexec_b32 s18, s26
	s_cbranch_execz .LBB764_52
.LBB764_81:
	global_load_ubyte v16, v[50:51], off offset:576
	s_waitcnt vmcnt(0)
	v_and_b32_e32 v16, 1, v16
	v_cmp_eq_u32_e64 s4, 1, v16
	s_xor_b32 s38, s4, -1
	s_mov_b32 s4, s5
	s_and_saveexec_b32 s37, s38
; %bb.82:
	v_cmp_gt_f32_e64 s4, v0, v9
	s_and_b32 s4, s5, s4
	v_cndmask_b32_e64 v0, v9, v0, s4
	s_or_b32 s4, s5, exec_lo
; %bb.83:
	s_or_b32 exec_lo, exec_lo, s37
	s_andn2_b32 s5, s5, exec_lo
	s_and_b32 s4, s4, exec_lo
	s_or_b32 s5, s5, s4
	s_or_b32 exec_lo, exec_lo, s18
	s_and_saveexec_b32 s18, s25
	s_cbranch_execnz .LBB764_53
.LBB764_84:
	s_or_b32 exec_lo, exec_lo, s18
	s_and_saveexec_b32 s18, s24
	s_cbranch_execz .LBB764_56
.LBB764_85:
	global_load_ubyte v16, v[50:51], off offset:704
	s_waitcnt vmcnt(0)
	v_and_b32_e32 v16, 1, v16
	v_cmp_eq_u32_e64 s4, 1, v16
	s_xor_b32 s38, s4, -1
	s_mov_b32 s4, s5
	s_and_saveexec_b32 s37, s38
; %bb.86:
	v_cmp_gt_f32_e64 s4, v0, v11
	s_and_b32 s4, s5, s4
	v_cndmask_b32_e64 v0, v11, v0, s4
	s_or_b32 s4, s5, exec_lo
; %bb.87:
	s_or_b32 exec_lo, exec_lo, s37
	s_andn2_b32 s5, s5, exec_lo
	s_and_b32 s4, s4, exec_lo
	s_or_b32 s5, s5, s4
	s_or_b32 exec_lo, exec_lo, s18
	s_and_saveexec_b32 s18, s23
	s_cbranch_execnz .LBB764_57
.LBB764_88:
	s_or_b32 exec_lo, exec_lo, s18
	s_and_saveexec_b32 s18, s22
	s_cbranch_execz .LBB764_60
.LBB764_89:
	global_load_ubyte v16, v[50:51], off offset:832
	s_waitcnt vmcnt(0)
	v_and_b32_e32 v16, 1, v16
	v_cmp_eq_u32_e64 s4, 1, v16
	s_xor_b32 s38, s4, -1
	s_mov_b32 s4, s5
	s_and_saveexec_b32 s37, s38
; %bb.90:
	v_cmp_gt_f32_e64 s4, v0, v13
	s_and_b32 s4, s5, s4
	v_cndmask_b32_e64 v0, v13, v0, s4
	s_or_b32 s4, s5, exec_lo
; %bb.91:
	s_or_b32 exec_lo, exec_lo, s37
	s_andn2_b32 s5, s5, exec_lo
	s_and_b32 s4, s4, exec_lo
	s_or_b32 s5, s5, s4
	s_or_b32 exec_lo, exec_lo, s18
	s_and_saveexec_b32 s18, s19
	s_cbranch_execnz .LBB764_61
.LBB764_92:
	s_or_b32 exec_lo, exec_lo, s18
	s_and_saveexec_b32 s18, s17
	s_cbranch_execz .LBB764_96
.LBB764_93:
	global_load_ubyte v16, v[50:51], off offset:960
	s_waitcnt vmcnt(0)
	v_and_b32_e32 v16, 1, v16
	v_cmp_eq_u32_e64 s4, 1, v16
	s_xor_b32 s38, s4, -1
	s_mov_b32 s4, s5
	s_and_saveexec_b32 s37, s38
; %bb.94:
	v_cmp_gt_f32_e64 s4, v0, v15
	s_and_b32 s4, s5, s4
	v_cndmask_b32_e64 v0, v15, v0, s4
	s_or_b32 s4, s5, exec_lo
; %bb.95:
	s_or_b32 exec_lo, exec_lo, s37
	s_andn2_b32 s5, s5, exec_lo
	s_and_b32 s4, s4, exec_lo
	s_or_b32 s5, s5, s4
.LBB764_96:
	s_or_b32 exec_lo, exec_lo, s18
	v_mbcnt_lo_u32_b32 v16, -1, 0
	v_cndmask_b32_e64 v0, 0xff800000, v0, s5
	s_xor_b32 s5, s36, -1
	v_or_b32_e32 v17, 32, v16
	v_xor_b32_e32 v18, 16, v16
	v_cmp_gt_i32_e64 s4, 64, v17
	v_cndmask_b32_e64 v17, v16, v17, s4
	v_cmp_gt_i32_e64 s4, 64, v18
	v_lshlrev_b32_e32 v53, 2, v17
	v_cndmask_b32_e64 v18, v16, v18, s4
	ds_bpermute_b32 v17, v53, v0
	v_lshlrev_b32_e32 v54, 2, v18
	v_xor_b32_e32 v18, 8, v16
	s_waitcnt lgkmcnt(0)
	v_cmp_lt_f32_e64 s4, v0, v17
	v_cndmask_b32_e64 v0, v0, v17, s4
	v_cmp_gt_i32_e64 s4, 64, v18
	ds_bpermute_b32 v17, v54, v0
	v_cndmask_b32_e64 v18, v16, v18, s4
	v_lshlrev_b32_e32 v55, 2, v18
	v_xor_b32_e32 v18, 4, v16
	s_waitcnt lgkmcnt(0)
	v_cmp_lt_f32_e64 s4, v0, v17
	v_cndmask_b32_e64 v0, v0, v17, s4
	v_cmp_gt_i32_e64 s4, 64, v18
	ds_bpermute_b32 v17, v55, v0
	v_cndmask_b32_e64 v18, v16, v18, s4
	;; [unrolled: 8-line block ×4, first 2 shown]
	v_lshlrev_b32_e32 v58, 2, v16
	s_waitcnt lgkmcnt(0)
	v_cmp_lt_f32_e64 s4, v0, v17
	v_cndmask_b32_e64 v0, v0, v17, s4
	ds_bpermute_b32 v16, v58, v0
	s_waitcnt lgkmcnt(0)
	v_cmp_lt_f32_e64 s4, v0, v16
	v_cndmask_b32_e64 v59, v0, v16, s4
	v_mov_b32_e32 v0, 0
	s_and_saveexec_b32 s18, s35
	s_cbranch_execz .LBB764_100
; %bb.97:
	global_load_ubyte v0, v[50:51], off
	s_waitcnt vmcnt(0)
	v_and_b32_e32 v0, 1, v0
	v_cmp_eq_u32_e64 s4, 1, v0
	v_mov_b32_e32 v0, 0
	s_xor_b32 s4, s4, -1
	s_and_saveexec_b32 s35, s4
	s_cbranch_execz .LBB764_99
; %bb.98:
	v_sub_f32_e32 v0, v1, v59
	v_mul_f32_e32 v1, 0x3fb8aa3b, v0
	v_cmp_ngt_f32_e64 s4, 0xc2ce8ed0, v0
	v_fma_f32 v16, 0x3fb8aa3b, v0, -v1
	v_rndne_f32_e32 v17, v1
	v_fmamk_f32 v16, v0, 0x32a5705f, v16
	v_sub_f32_e32 v1, v1, v17
	v_add_f32_e32 v1, v1, v16
	v_cvt_i32_f32_e32 v16, v17
	v_exp_f32_e32 v1, v1
	v_ldexp_f32 v1, v1, v16
	v_cndmask_b32_e64 v1, 0, v1, s4
	v_cmp_nlt_f32_e64 s4, 0x42b17218, v0
	v_cndmask_b32_e64 v0, 0x7f800000, v1, s4
.LBB764_99:
	s_or_b32 exec_lo, exec_lo, s35
.LBB764_100:
	s_or_b32 exec_lo, exec_lo, s18
                                        ; implicit-def: $vgpr16_vgpr17_vgpr18_vgpr19_vgpr20_vgpr21_vgpr22_vgpr23_vgpr24_vgpr25_vgpr26_vgpr27_vgpr28_vgpr29_vgpr30_vgpr31
	s_and_saveexec_b32 s4, s5
	s_xor_b32 s4, exec_lo, s4
	s_cbranch_execz .LBB764_130
; %bb.101:
	s_mov_b32 s5, 0
                                        ; implicit-def: $vgpr32
	v_mov_b32_e32 v1, s5
	v_mov_b32_e32 v31, v15
	;; [unrolled: 1-line block ×17, first 2 shown]
	s_or_saveexec_b32 s18, s4
	s_xor_b32 s5, s34, -1
	s_xor_b32 exec_lo, exec_lo, s18
	s_cbranch_execnz .LBB764_131
.LBB764_102:
	s_or_b32 exec_lo, exec_lo, s18
                                        ; implicit-def: $vgpr32_vgpr33_vgpr34_vgpr35_vgpr36_vgpr37_vgpr38_vgpr39_vgpr40_vgpr41_vgpr42_vgpr43_vgpr44_vgpr45_vgpr46_vgpr47
	s_and_saveexec_b32 s4, s5
	s_xor_b32 s4, exec_lo, s4
	s_cbranch_execz .LBB764_134
.LBB764_103:
	s_mov_b32 s5, 0
	v_mov_b32_e32 v18, s5
	v_mov_b32_e32 v47, v31
	;; [unrolled: 1-line block ×17, first 2 shown]
                                        ; implicit-def: $vgpr16_vgpr17_vgpr18_vgpr19_vgpr20_vgpr21_vgpr22_vgpr23_vgpr24_vgpr25_vgpr26_vgpr27_vgpr28_vgpr29_vgpr30_vgpr31
	s_or_saveexec_b32 s18, s4
	s_xor_b32 s5, s33, -1
	s_xor_b32 exec_lo, exec_lo, s18
	s_cbranch_execnz .LBB764_135
.LBB764_104:
	s_or_b32 exec_lo, exec_lo, s18
                                        ; implicit-def: $vgpr1_vgpr2_vgpr3_vgpr4_vgpr5_vgpr6_vgpr7_vgpr8_vgpr9_vgpr10_vgpr11_vgpr12_vgpr13_vgpr14_vgpr15_vgpr16
	s_and_saveexec_b32 s4, s5
	s_xor_b32 s4, exec_lo, s4
	s_cbranch_execz .LBB764_138
.LBB764_105:
	s_mov_b32 s5, 0
	v_mov_b32_e32 v35, s5
	v_mov_b32_e32 v1, v32
	;; [unrolled: 1-line block ×17, first 2 shown]
                                        ; implicit-def: $vgpr32_vgpr33_vgpr34_vgpr35_vgpr36_vgpr37_vgpr38_vgpr39_vgpr40_vgpr41_vgpr42_vgpr43_vgpr44_vgpr45_vgpr46_vgpr47
	s_or_saveexec_b32 s18, s4
	s_xor_b32 s5, s31, -1
	s_xor_b32 exec_lo, exec_lo, s18
	s_cbranch_execnz .LBB764_139
.LBB764_106:
	s_or_b32 exec_lo, exec_lo, s18
                                        ; implicit-def: $vgpr17_vgpr18_vgpr19_vgpr20_vgpr21_vgpr22_vgpr23_vgpr24_vgpr25_vgpr26_vgpr27_vgpr28_vgpr29_vgpr30_vgpr31_vgpr32
	s_and_saveexec_b32 s4, s5
	s_xor_b32 s4, exec_lo, s4
	s_cbranch_execz .LBB764_142
.LBB764_107:
	s_mov_b32 s5, 0
	v_mov_b32_e32 v5, s5
	v_mov_b32_e32 v32, v16
	;; [unrolled: 1-line block ×17, first 2 shown]
                                        ; implicit-def: $vgpr1_vgpr2_vgpr3_vgpr4_vgpr5_vgpr6_vgpr7_vgpr8_vgpr9_vgpr10_vgpr11_vgpr12_vgpr13_vgpr14_vgpr15_vgpr16
	s_or_saveexec_b32 s18, s4
	s_xor_b32 s5, s30, -1
	s_xor_b32 exec_lo, exec_lo, s18
	s_cbranch_execnz .LBB764_143
.LBB764_108:
	s_or_b32 exec_lo, exec_lo, s18
                                        ; implicit-def: $vgpr1_vgpr2_vgpr3_vgpr4_vgpr5_vgpr6_vgpr7_vgpr8_vgpr9_vgpr10_vgpr11_vgpr12_vgpr13_vgpr14_vgpr15_vgpr16
	s_and_saveexec_b32 s4, s5
	s_xor_b32 s4, exec_lo, s4
	s_cbranch_execz .LBB764_146
.LBB764_109:
	s_mov_b32 s5, 0
	v_mov_b32_e32 v22, s5
	v_mov_b32_e32 v1, v17
	;; [unrolled: 1-line block ×17, first 2 shown]
                                        ; implicit-def: $vgpr17_vgpr18_vgpr19_vgpr20_vgpr21_vgpr22_vgpr23_vgpr24_vgpr25_vgpr26_vgpr27_vgpr28_vgpr29_vgpr30_vgpr31_vgpr32
	s_or_saveexec_b32 s18, s4
	s_xor_b32 s5, s29, -1
	s_xor_b32 exec_lo, exec_lo, s18
	s_cbranch_execnz .LBB764_147
.LBB764_110:
	s_or_b32 exec_lo, exec_lo, s18
                                        ; implicit-def: $vgpr17_vgpr18_vgpr19_vgpr20_vgpr21_vgpr22_vgpr23_vgpr24_vgpr25_vgpr26_vgpr27_vgpr28_vgpr29_vgpr30_vgpr31_vgpr32
	s_and_saveexec_b32 s4, s5
	s_xor_b32 s4, exec_lo, s4
	s_cbranch_execz .LBB764_150
.LBB764_111:
	s_mov_b32 s5, 0
	v_mov_b32_e32 v7, s5
	v_mov_b32_e32 v32, v16
	v_mov_b32_e32 v31, v15
	v_mov_b32_e32 v30, v14
	v_mov_b32_e32 v29, v13
	v_mov_b32_e32 v28, v12
	v_mov_b32_e32 v27, v11
	v_mov_b32_e32 v26, v10
	v_mov_b32_e32 v25, v9
	v_mov_b32_e32 v24, v8
	v_mov_b32_e32 v23, v7
	v_mov_b32_e32 v22, v6
	v_mov_b32_e32 v21, v5
	v_mov_b32_e32 v20, v4
	v_mov_b32_e32 v19, v3
	v_mov_b32_e32 v18, v2
	v_mov_b32_e32 v17, v1
                                        ; implicit-def: $vgpr1_vgpr2_vgpr3_vgpr4_vgpr5_vgpr6_vgpr7_vgpr8_vgpr9_vgpr10_vgpr11_vgpr12_vgpr13_vgpr14_vgpr15_vgpr16
	s_or_saveexec_b32 s18, s4
	s_xor_b32 s5, s28, -1
	s_xor_b32 exec_lo, exec_lo, s18
	s_cbranch_execnz .LBB764_151
.LBB764_112:
	s_or_b32 exec_lo, exec_lo, s18
                                        ; implicit-def: $vgpr1_vgpr2_vgpr3_vgpr4_vgpr5_vgpr6_vgpr7_vgpr8_vgpr9_vgpr10_vgpr11_vgpr12_vgpr13_vgpr14_vgpr15_vgpr16
	s_and_saveexec_b32 s4, s5
	s_xor_b32 s4, exec_lo, s4
	s_cbranch_execz .LBB764_154
.LBB764_113:
	s_mov_b32 s5, 0
	v_mov_b32_e32 v24, s5
	v_mov_b32_e32 v1, v17
	;; [unrolled: 1-line block ×17, first 2 shown]
                                        ; implicit-def: $vgpr17_vgpr18_vgpr19_vgpr20_vgpr21_vgpr22_vgpr23_vgpr24_vgpr25_vgpr26_vgpr27_vgpr28_vgpr29_vgpr30_vgpr31_vgpr32
	s_or_saveexec_b32 s18, s4
	s_xor_b32 s5, s27, -1
	s_xor_b32 exec_lo, exec_lo, s18
	s_cbranch_execnz .LBB764_155
.LBB764_114:
	s_or_b32 exec_lo, exec_lo, s18
                                        ; implicit-def: $vgpr17_vgpr18_vgpr19_vgpr20_vgpr21_vgpr22_vgpr23_vgpr24_vgpr25_vgpr26_vgpr27_vgpr28_vgpr29_vgpr30_vgpr31_vgpr32
	s_and_saveexec_b32 s4, s5
	s_xor_b32 s4, exec_lo, s4
	s_cbranch_execz .LBB764_158
.LBB764_115:
	s_mov_b32 s5, 0
	v_mov_b32_e32 v9, s5
	v_mov_b32_e32 v32, v16
	;; [unrolled: 1-line block ×17, first 2 shown]
                                        ; implicit-def: $vgpr1_vgpr2_vgpr3_vgpr4_vgpr5_vgpr6_vgpr7_vgpr8_vgpr9_vgpr10_vgpr11_vgpr12_vgpr13_vgpr14_vgpr15_vgpr16
	s_or_saveexec_b32 s18, s4
	s_xor_b32 s5, s26, -1
	s_xor_b32 exec_lo, exec_lo, s18
	s_cbranch_execnz .LBB764_159
.LBB764_116:
	s_or_b32 exec_lo, exec_lo, s18
                                        ; implicit-def: $vgpr1_vgpr2_vgpr3_vgpr4_vgpr5_vgpr6_vgpr7_vgpr8_vgpr9_vgpr10_vgpr11_vgpr12_vgpr13_vgpr14_vgpr15_vgpr16
	s_and_saveexec_b32 s4, s5
	s_xor_b32 s4, exec_lo, s4
	s_cbranch_execz .LBB764_162
.LBB764_117:
	s_mov_b32 s5, 0
	v_mov_b32_e32 v26, s5
	v_mov_b32_e32 v1, v17
	;; [unrolled: 1-line block ×17, first 2 shown]
                                        ; implicit-def: $vgpr17_vgpr18_vgpr19_vgpr20_vgpr21_vgpr22_vgpr23_vgpr24_vgpr25_vgpr26_vgpr27_vgpr28_vgpr29_vgpr30_vgpr31_vgpr32
	s_or_saveexec_b32 s18, s4
	s_xor_b32 s5, s25, -1
	s_xor_b32 exec_lo, exec_lo, s18
	s_cbranch_execnz .LBB764_163
.LBB764_118:
	s_or_b32 exec_lo, exec_lo, s18
                                        ; implicit-def: $vgpr17_vgpr18_vgpr19_vgpr20_vgpr21_vgpr22_vgpr23_vgpr24_vgpr25_vgpr26_vgpr27_vgpr28_vgpr29_vgpr30_vgpr31_vgpr32
	s_and_saveexec_b32 s4, s5
	s_xor_b32 s4, exec_lo, s4
	s_cbranch_execz .LBB764_166
.LBB764_119:
	s_mov_b32 s5, 0
	v_mov_b32_e32 v11, s5
	v_mov_b32_e32 v32, v16
	;; [unrolled: 1-line block ×17, first 2 shown]
                                        ; implicit-def: $vgpr1_vgpr2_vgpr3_vgpr4_vgpr5_vgpr6_vgpr7_vgpr8_vgpr9_vgpr10_vgpr11_vgpr12_vgpr13_vgpr14_vgpr15_vgpr16
	s_or_saveexec_b32 s18, s4
	s_xor_b32 s5, s24, -1
	s_xor_b32 exec_lo, exec_lo, s18
	s_cbranch_execnz .LBB764_167
.LBB764_120:
	s_or_b32 exec_lo, exec_lo, s18
                                        ; implicit-def: $vgpr1_vgpr2_vgpr3_vgpr4_vgpr5_vgpr6_vgpr7_vgpr8_vgpr9_vgpr10_vgpr11_vgpr12_vgpr13_vgpr14_vgpr15_vgpr16
	s_and_saveexec_b32 s4, s5
	s_xor_b32 s4, exec_lo, s4
	s_cbranch_execz .LBB764_170
.LBB764_121:
	s_mov_b32 s5, 0
	v_mov_b32_e32 v28, s5
	v_mov_b32_e32 v1, v17
	;; [unrolled: 1-line block ×17, first 2 shown]
                                        ; implicit-def: $vgpr17_vgpr18_vgpr19_vgpr20_vgpr21_vgpr22_vgpr23_vgpr24_vgpr25_vgpr26_vgpr27_vgpr28_vgpr29_vgpr30_vgpr31_vgpr32
	s_or_saveexec_b32 s18, s4
	s_xor_b32 s5, s23, -1
	s_xor_b32 exec_lo, exec_lo, s18
	s_cbranch_execnz .LBB764_171
.LBB764_122:
	s_or_b32 exec_lo, exec_lo, s18
                                        ; implicit-def: $vgpr17_vgpr18_vgpr19_vgpr20_vgpr21_vgpr22_vgpr23_vgpr24_vgpr25_vgpr26_vgpr27_vgpr28_vgpr29_vgpr30_vgpr31_vgpr32
	s_and_saveexec_b32 s4, s5
	s_xor_b32 s4, exec_lo, s4
	s_cbranch_execz .LBB764_174
.LBB764_123:
	s_mov_b32 s5, 0
	v_mov_b32_e32 v13, s5
	v_mov_b32_e32 v32, v16
	;; [unrolled: 1-line block ×17, first 2 shown]
                                        ; implicit-def: $vgpr1_vgpr2_vgpr3_vgpr4_vgpr5_vgpr6_vgpr7_vgpr8_vgpr9_vgpr10_vgpr11_vgpr12_vgpr13_vgpr14_vgpr15_vgpr16
	s_or_saveexec_b32 s18, s4
	s_xor_b32 s5, s22, -1
	s_xor_b32 exec_lo, exec_lo, s18
	s_cbranch_execnz .LBB764_175
.LBB764_124:
	s_or_b32 exec_lo, exec_lo, s18
                                        ; implicit-def: $vgpr1_vgpr2_vgpr3_vgpr4_vgpr5_vgpr6_vgpr7_vgpr8_vgpr9_vgpr10_vgpr11_vgpr12_vgpr13_vgpr14_vgpr15_vgpr16
	s_and_saveexec_b32 s4, s5
	s_xor_b32 s4, exec_lo, s4
	s_cbranch_execz .LBB764_178
.LBB764_125:
	s_mov_b32 s5, 0
	v_mov_b32_e32 v30, s5
	v_mov_b32_e32 v1, v17
	;; [unrolled: 1-line block ×17, first 2 shown]
                                        ; implicit-def: $vgpr17_vgpr18_vgpr19_vgpr20_vgpr21_vgpr22_vgpr23_vgpr24_vgpr25_vgpr26_vgpr27_vgpr28_vgpr29_vgpr30_vgpr31_vgpr32
	s_or_saveexec_b32 s18, s4
	s_xor_b32 s5, s19, -1
	s_xor_b32 exec_lo, exec_lo, s18
	s_cbranch_execnz .LBB764_179
.LBB764_126:
	s_or_b32 exec_lo, exec_lo, s18
                                        ; implicit-def: $vgpr17_vgpr18_vgpr19_vgpr20_vgpr21_vgpr22_vgpr23_vgpr24_vgpr25_vgpr26_vgpr27_vgpr28_vgpr29_vgpr30_vgpr31_vgpr32
	s_and_saveexec_b32 s4, s5
	s_xor_b32 s4, exec_lo, s4
	s_cbranch_execz .LBB764_182
.LBB764_127:
	s_mov_b32 s5, 0
	v_mov_b32_e32 v15, s5
	v_mov_b32_e32 v32, v16
	;; [unrolled: 1-line block ×17, first 2 shown]
                                        ; implicit-def: $vgpr1_vgpr2_vgpr3_vgpr4_vgpr5_vgpr6_vgpr7_vgpr8_vgpr9_vgpr10_vgpr11_vgpr12_vgpr13_vgpr14_vgpr15_vgpr16
	s_or_saveexec_b32 s18, s4
	s_xor_b32 s5, s17, -1
	s_xor_b32 exec_lo, exec_lo, s18
	s_cbranch_execnz .LBB764_183
.LBB764_128:
	s_or_b32 exec_lo, exec_lo, s18
                                        ; implicit-def: $vgpr1_vgpr2_vgpr3_vgpr4_vgpr5_vgpr6_vgpr7_vgpr8_vgpr9_vgpr10_vgpr11_vgpr12_vgpr13_vgpr14_vgpr15_vgpr16
	s_and_saveexec_b32 s4, s5
	s_xor_b32 s4, exec_lo, s4
	s_cbranch_execz .LBB764_186
.LBB764_129:
	s_mov_b32 s5, 0
                                        ; implicit-def: $vgpr50_vgpr51
                                        ; implicit-def: $vgpr59
	v_mov_b32_e32 v32, s5
	v_mov_b32_e32 v1, v17
	;; [unrolled: 1-line block ×17, first 2 shown]
                                        ; implicit-def: $vgpr17_vgpr18_vgpr19_vgpr20_vgpr21_vgpr22_vgpr23_vgpr24_vgpr25_vgpr26_vgpr27_vgpr28_vgpr29_vgpr30_vgpr31_vgpr32
	s_andn2_saveexec_b32 s5, s4
	s_cbranch_execz .LBB764_190
	s_branch .LBB764_187
.LBB764_130:
	s_or_saveexec_b32 s18, s4
	s_xor_b32 s5, s34, -1
	s_xor_b32 exec_lo, exec_lo, s18
	s_cbranch_execz .LBB764_102
.LBB764_131:
	global_load_ubyte v16, v[50:51], off offset:64
	s_mov_b32 s34, 0
	s_waitcnt vmcnt(0)
	v_and_b32_e32 v16, 1, v16
	v_cmp_eq_u32_e64 s4, 1, v16
	v_mov_b32_e32 v31, v15
	v_mov_b32_e32 v17, v1
	;; [unrolled: 1-line block ×17, first 2 shown]
	s_xor_b32 s4, s4, -1
	s_and_saveexec_b32 s34, s4
	s_xor_b32 s34, exec_lo, s34
	s_cbranch_execz .LBB764_133
; %bb.132:
	v_sub_f32_e32 v1, v32, v59
	v_mul_f32_e32 v16, 0x3fb8aa3b, v1
	v_cmp_ngt_f32_e64 s4, 0xc2ce8ed0, v1
	v_fma_f32 v17, 0x3fb8aa3b, v1, -v16
	v_rndne_f32_e32 v18, v16
	v_fmamk_f32 v17, v1, 0x32a5705f, v17
	v_sub_f32_e32 v16, v16, v18
	v_add_f32_e32 v16, v16, v17
	v_cvt_i32_f32_e32 v17, v18
	v_exp_f32_e32 v16, v16
	v_ldexp_f32 v16, v16, v17
	v_cndmask_b32_e64 v16, 0, v16, s4
	v_cmp_nlt_f32_e64 s4, 0x42b17218, v1
	v_cndmask_b32_e64 v1, 0x7f800000, v16, s4
	v_mov_b32_e32 v31, v15
	v_mov_b32_e32 v30, v14
	;; [unrolled: 1-line block ×4, first 2 shown]
	v_add_f32_e32 v32, v0, v1
	v_mov_b32_e32 v27, v11
	v_mov_b32_e32 v26, v10
	v_mov_b32_e32 v25, v9
	v_mov_b32_e32 v24, v8
	v_mov_b32_e32 v23, v7
	v_mov_b32_e32 v22, v6
	v_mov_b32_e32 v21, v5
	v_mov_b32_e32 v20, v4
	v_mov_b32_e32 v19, v3
	v_mov_b32_e32 v18, v2
	v_mov_b32_e32 v17, v1
	v_mov_b32_e32 v16, v0
	v_mov_b32_e32 v0, v32
.LBB764_133:
	s_andn2_saveexec_b32 s4, s34
	s_or_b32 exec_lo, exec_lo, s4
	s_or_b32 exec_lo, exec_lo, s18
                                        ; implicit-def: $vgpr32_vgpr33_vgpr34_vgpr35_vgpr36_vgpr37_vgpr38_vgpr39_vgpr40_vgpr41_vgpr42_vgpr43_vgpr44_vgpr45_vgpr46_vgpr47
	s_and_saveexec_b32 s4, s5
	s_xor_b32 s4, exec_lo, s4
	s_cbranch_execnz .LBB764_103
.LBB764_134:
	s_or_saveexec_b32 s18, s4
	s_xor_b32 s5, s33, -1
	s_xor_b32 exec_lo, exec_lo, s18
	s_cbranch_execz .LBB764_104
.LBB764_135:
	global_load_ubyte v1, v[50:51], off offset:128
	s_mov_b32 s33, 0
	v_mov_b32_e32 v47, v31
	v_mov_b32_e32 v34, v18
	;; [unrolled: 1-line block ×17, first 2 shown]
	s_waitcnt vmcnt(0)
	v_and_b32_e32 v1, 1, v1
	v_cmp_eq_u32_e64 s4, 1, v1
	s_xor_b32 s4, s4, -1
	s_and_saveexec_b32 s33, s4
	s_xor_b32 s33, exec_lo, s33
	s_cbranch_execz .LBB764_137
; %bb.136:
	v_sub_f32_e32 v1, v18, v59
	v_mul_f32_e32 v2, 0x3fb8aa3b, v1
	v_cmp_ngt_f32_e64 s4, 0xc2ce8ed0, v1
	v_fma_f32 v3, 0x3fb8aa3b, v1, -v2
	v_rndne_f32_e32 v4, v2
	v_fmamk_f32 v3, v1, 0x32a5705f, v3
	v_sub_f32_e32 v2, v2, v4
	v_add_f32_e32 v2, v2, v3
	v_cvt_i32_f32_e32 v3, v4
	v_exp_f32_e32 v2, v2
	v_ldexp_f32 v2, v2, v3
	v_cndmask_b32_e64 v2, 0, v2, s4
	v_cmp_nlt_f32_e64 s4, 0x42b17218, v1
	v_cndmask_b32_e64 v18, 0x7f800000, v2, s4
	v_mov_b32_e32 v47, v31
	v_mov_b32_e32 v46, v30
	v_mov_b32_e32 v45, v29
	v_mov_b32_e32 v44, v28
	v_mov_b32_e32 v43, v27
	v_mov_b32_e32 v42, v26
	v_mov_b32_e32 v41, v25
	v_mov_b32_e32 v40, v24
	v_mov_b32_e32 v39, v23
	v_mov_b32_e32 v38, v22
	v_mov_b32_e32 v37, v21
	v_mov_b32_e32 v36, v20
	v_mov_b32_e32 v35, v19
	v_mov_b32_e32 v34, v18
	v_mov_b32_e32 v33, v17
	v_mov_b32_e32 v32, v16
	v_add_f32_e32 v0, v0, v18
.LBB764_137:
	s_andn2_saveexec_b32 s4, s33
	s_or_b32 exec_lo, exec_lo, s4
	s_or_b32 exec_lo, exec_lo, s18
                                        ; implicit-def: $vgpr1_vgpr2_vgpr3_vgpr4_vgpr5_vgpr6_vgpr7_vgpr8_vgpr9_vgpr10_vgpr11_vgpr12_vgpr13_vgpr14_vgpr15_vgpr16
	s_and_saveexec_b32 s4, s5
	s_xor_b32 s4, exec_lo, s4
	s_cbranch_execnz .LBB764_105
.LBB764_138:
	s_or_saveexec_b32 s18, s4
	s_xor_b32 s5, s31, -1
	s_xor_b32 exec_lo, exec_lo, s18
	s_cbranch_execz .LBB764_106
.LBB764_139:
	global_load_ubyte v1, v[50:51], off offset:192
	s_mov_b32 s31, 0
	s_waitcnt vmcnt(0)
	v_and_b32_e32 v1, 1, v1
	v_cmp_eq_u32_e64 s4, 1, v1
	v_mov_b32_e32 v1, v32
	v_mov_b32_e32 v4, v35
	;; [unrolled: 1-line block ×17, first 2 shown]
	s_xor_b32 s4, s4, -1
	s_and_saveexec_b32 s31, s4
	s_xor_b32 s31, exec_lo, s31
	s_cbranch_execz .LBB764_141
; %bb.140:
	v_sub_f32_e32 v1, v35, v59
	v_mul_f32_e32 v2, 0x3fb8aa3b, v1
	v_cmp_ngt_f32_e64 s4, 0xc2ce8ed0, v1
	v_fma_f32 v3, 0x3fb8aa3b, v1, -v2
	v_rndne_f32_e32 v4, v2
	v_fmamk_f32 v3, v1, 0x32a5705f, v3
	v_sub_f32_e32 v2, v2, v4
	v_add_f32_e32 v2, v2, v3
	v_cvt_i32_f32_e32 v3, v4
	v_exp_f32_e32 v2, v2
	v_ldexp_f32 v2, v2, v3
	v_cndmask_b32_e64 v2, 0, v2, s4
	v_cmp_nlt_f32_e64 s4, 0x42b17218, v1
	v_cndmask_b32_e64 v35, 0x7f800000, v2, s4
	v_mov_b32_e32 v1, v32
	v_mov_b32_e32 v2, v33
	v_mov_b32_e32 v3, v34
	v_mov_b32_e32 v5, v36
	v_mov_b32_e32 v4, v35
	v_mov_b32_e32 v6, v37
	v_mov_b32_e32 v7, v38
	v_mov_b32_e32 v8, v39
	v_mov_b32_e32 v9, v40
	v_mov_b32_e32 v10, v41
	v_mov_b32_e32 v11, v42
	v_mov_b32_e32 v12, v43
	v_mov_b32_e32 v13, v44
	v_mov_b32_e32 v14, v45
	v_mov_b32_e32 v15, v46
	v_mov_b32_e32 v16, v47
	v_add_f32_e32 v0, v0, v35
.LBB764_141:
	s_andn2_saveexec_b32 s4, s31
	s_or_b32 exec_lo, exec_lo, s4
	s_or_b32 exec_lo, exec_lo, s18
                                        ; implicit-def: $vgpr17_vgpr18_vgpr19_vgpr20_vgpr21_vgpr22_vgpr23_vgpr24_vgpr25_vgpr26_vgpr27_vgpr28_vgpr29_vgpr30_vgpr31_vgpr32
	s_and_saveexec_b32 s4, s5
	s_xor_b32 s4, exec_lo, s4
	s_cbranch_execnz .LBB764_107
.LBB764_142:
	s_or_saveexec_b32 s18, s4
	s_xor_b32 s5, s30, -1
	s_xor_b32 exec_lo, exec_lo, s18
	s_cbranch_execz .LBB764_108
.LBB764_143:
	global_load_ubyte v17, v[50:51], off offset:256
	s_mov_b32 s30, 0
	s_waitcnt vmcnt(0)
	v_and_b32_e32 v17, 1, v17
	v_cmp_eq_u32_e64 s4, 1, v17
	v_mov_b32_e32 v32, v16
	v_mov_b32_e32 v21, v5
	;; [unrolled: 1-line block ×17, first 2 shown]
	s_xor_b32 s4, s4, -1
	s_and_saveexec_b32 s30, s4
	s_xor_b32 s30, exec_lo, s30
	s_cbranch_execz .LBB764_145
; %bb.144:
	v_sub_f32_e32 v5, v5, v59
	v_mul_f32_e32 v17, 0x3fb8aa3b, v5
	v_cmp_ngt_f32_e64 s4, 0xc2ce8ed0, v5
	v_fma_f32 v18, 0x3fb8aa3b, v5, -v17
	v_rndne_f32_e32 v19, v17
	v_fmamk_f32 v18, v5, 0x32a5705f, v18
	v_sub_f32_e32 v17, v17, v19
	v_add_f32_e32 v17, v17, v18
	v_cvt_i32_f32_e32 v18, v19
	v_exp_f32_e32 v17, v17
	v_ldexp_f32 v17, v17, v18
	v_cndmask_b32_e64 v17, 0, v17, s4
	v_cmp_nlt_f32_e64 s4, 0x42b17218, v5
	v_cndmask_b32_e64 v5, 0x7f800000, v17, s4
	v_mov_b32_e32 v32, v16
	v_mov_b32_e32 v31, v15
	;; [unrolled: 1-line block ×16, first 2 shown]
	v_add_f32_e32 v0, v0, v5
.LBB764_145:
	s_andn2_saveexec_b32 s4, s30
	s_or_b32 exec_lo, exec_lo, s4
	s_or_b32 exec_lo, exec_lo, s18
                                        ; implicit-def: $vgpr1_vgpr2_vgpr3_vgpr4_vgpr5_vgpr6_vgpr7_vgpr8_vgpr9_vgpr10_vgpr11_vgpr12_vgpr13_vgpr14_vgpr15_vgpr16
	s_and_saveexec_b32 s4, s5
	s_xor_b32 s4, exec_lo, s4
	s_cbranch_execnz .LBB764_109
.LBB764_146:
	s_or_saveexec_b32 s18, s4
	s_xor_b32 s5, s29, -1
	s_xor_b32 exec_lo, exec_lo, s18
	s_cbranch_execz .LBB764_110
.LBB764_147:
	global_load_ubyte v1, v[50:51], off offset:320
	s_mov_b32 s29, 0
	s_waitcnt vmcnt(0)
	v_and_b32_e32 v1, 1, v1
	v_cmp_eq_u32_e64 s4, 1, v1
	v_mov_b32_e32 v1, v17
	v_mov_b32_e32 v6, v22
	;; [unrolled: 1-line block ×17, first 2 shown]
	s_xor_b32 s4, s4, -1
	s_and_saveexec_b32 s29, s4
	s_xor_b32 s29, exec_lo, s29
	s_cbranch_execz .LBB764_149
; %bb.148:
	v_sub_f32_e32 v1, v22, v59
	v_mul_f32_e32 v2, 0x3fb8aa3b, v1
	v_cmp_ngt_f32_e64 s4, 0xc2ce8ed0, v1
	v_fma_f32 v3, 0x3fb8aa3b, v1, -v2
	v_rndne_f32_e32 v4, v2
	v_fmamk_f32 v3, v1, 0x32a5705f, v3
	v_sub_f32_e32 v2, v2, v4
	v_add_f32_e32 v2, v2, v3
	v_cvt_i32_f32_e32 v3, v4
	v_exp_f32_e32 v2, v2
	v_ldexp_f32 v2, v2, v3
	v_cndmask_b32_e64 v2, 0, v2, s4
	v_cmp_nlt_f32_e64 s4, 0x42b17218, v1
	v_cndmask_b32_e64 v22, 0x7f800000, v2, s4
	v_mov_b32_e32 v1, v17
	v_mov_b32_e32 v2, v18
	;; [unrolled: 1-line block ×16, first 2 shown]
	v_add_f32_e32 v0, v0, v22
.LBB764_149:
	s_andn2_saveexec_b32 s4, s29
	s_or_b32 exec_lo, exec_lo, s4
	s_or_b32 exec_lo, exec_lo, s18
                                        ; implicit-def: $vgpr17_vgpr18_vgpr19_vgpr20_vgpr21_vgpr22_vgpr23_vgpr24_vgpr25_vgpr26_vgpr27_vgpr28_vgpr29_vgpr30_vgpr31_vgpr32
	s_and_saveexec_b32 s4, s5
	s_xor_b32 s4, exec_lo, s4
	s_cbranch_execnz .LBB764_111
.LBB764_150:
	s_or_saveexec_b32 s18, s4
	s_xor_b32 s5, s28, -1
	s_xor_b32 exec_lo, exec_lo, s18
	s_cbranch_execz .LBB764_112
.LBB764_151:
	global_load_ubyte v17, v[50:51], off offset:384
	s_mov_b32 s28, 0
	s_waitcnt vmcnt(0)
	v_and_b32_e32 v17, 1, v17
	v_cmp_eq_u32_e64 s4, 1, v17
	v_mov_b32_e32 v32, v16
	v_mov_b32_e32 v23, v7
	;; [unrolled: 1-line block ×17, first 2 shown]
	s_xor_b32 s4, s4, -1
	s_and_saveexec_b32 s28, s4
	s_xor_b32 s28, exec_lo, s28
	s_cbranch_execz .LBB764_153
; %bb.152:
	v_sub_f32_e32 v7, v7, v59
	v_mul_f32_e32 v17, 0x3fb8aa3b, v7
	v_cmp_ngt_f32_e64 s4, 0xc2ce8ed0, v7
	v_fma_f32 v18, 0x3fb8aa3b, v7, -v17
	v_rndne_f32_e32 v19, v17
	v_fmamk_f32 v18, v7, 0x32a5705f, v18
	v_sub_f32_e32 v17, v17, v19
	v_add_f32_e32 v17, v17, v18
	v_cvt_i32_f32_e32 v18, v19
	v_exp_f32_e32 v17, v17
	v_ldexp_f32 v17, v17, v18
	v_cndmask_b32_e64 v17, 0, v17, s4
	v_cmp_nlt_f32_e64 s4, 0x42b17218, v7
	v_cndmask_b32_e64 v7, 0x7f800000, v17, s4
	v_mov_b32_e32 v32, v16
	v_mov_b32_e32 v31, v15
	;; [unrolled: 1-line block ×16, first 2 shown]
	v_add_f32_e32 v0, v0, v7
.LBB764_153:
	s_andn2_saveexec_b32 s4, s28
	s_or_b32 exec_lo, exec_lo, s4
	s_or_b32 exec_lo, exec_lo, s18
                                        ; implicit-def: $vgpr1_vgpr2_vgpr3_vgpr4_vgpr5_vgpr6_vgpr7_vgpr8_vgpr9_vgpr10_vgpr11_vgpr12_vgpr13_vgpr14_vgpr15_vgpr16
	s_and_saveexec_b32 s4, s5
	s_xor_b32 s4, exec_lo, s4
	s_cbranch_execnz .LBB764_113
.LBB764_154:
	s_or_saveexec_b32 s18, s4
	s_xor_b32 s5, s27, -1
	s_xor_b32 exec_lo, exec_lo, s18
	s_cbranch_execz .LBB764_114
.LBB764_155:
	global_load_ubyte v1, v[50:51], off offset:448
	s_mov_b32 s27, 0
	s_waitcnt vmcnt(0)
	v_and_b32_e32 v1, 1, v1
	v_cmp_eq_u32_e64 s4, 1, v1
	v_mov_b32_e32 v1, v17
	v_mov_b32_e32 v8, v24
	v_mov_b32_e32 v2, v18
	v_mov_b32_e32 v3, v19
	v_mov_b32_e32 v4, v20
	v_mov_b32_e32 v5, v21
	v_mov_b32_e32 v6, v22
	v_mov_b32_e32 v7, v23
	v_mov_b32_e32 v9, v25
	v_mov_b32_e32 v10, v26
	v_mov_b32_e32 v11, v27
	v_mov_b32_e32 v12, v28
	v_mov_b32_e32 v13, v29
	v_mov_b32_e32 v14, v30
	v_mov_b32_e32 v15, v31
	v_mov_b32_e32 v16, v32
	v_mov_b32_e32 v8, s27
	s_xor_b32 s4, s4, -1
	s_and_saveexec_b32 s27, s4
	s_xor_b32 s27, exec_lo, s27
	s_cbranch_execz .LBB764_157
; %bb.156:
	v_sub_f32_e32 v1, v24, v59
	v_mul_f32_e32 v2, 0x3fb8aa3b, v1
	v_cmp_ngt_f32_e64 s4, 0xc2ce8ed0, v1
	v_fma_f32 v3, 0x3fb8aa3b, v1, -v2
	v_rndne_f32_e32 v4, v2
	v_fmamk_f32 v3, v1, 0x32a5705f, v3
	v_sub_f32_e32 v2, v2, v4
	v_add_f32_e32 v2, v2, v3
	v_cvt_i32_f32_e32 v3, v4
	v_exp_f32_e32 v2, v2
	v_ldexp_f32 v2, v2, v3
	v_cndmask_b32_e64 v2, 0, v2, s4
	v_cmp_nlt_f32_e64 s4, 0x42b17218, v1
	v_cndmask_b32_e64 v24, 0x7f800000, v2, s4
	v_mov_b32_e32 v1, v17
	v_mov_b32_e32 v2, v18
	;; [unrolled: 1-line block ×16, first 2 shown]
	v_add_f32_e32 v0, v0, v24
.LBB764_157:
	s_andn2_saveexec_b32 s4, s27
	s_or_b32 exec_lo, exec_lo, s4
	s_or_b32 exec_lo, exec_lo, s18
                                        ; implicit-def: $vgpr17_vgpr18_vgpr19_vgpr20_vgpr21_vgpr22_vgpr23_vgpr24_vgpr25_vgpr26_vgpr27_vgpr28_vgpr29_vgpr30_vgpr31_vgpr32
	s_and_saveexec_b32 s4, s5
	s_xor_b32 s4, exec_lo, s4
	s_cbranch_execnz .LBB764_115
.LBB764_158:
	s_or_saveexec_b32 s18, s4
	s_xor_b32 s5, s26, -1
	s_xor_b32 exec_lo, exec_lo, s18
	s_cbranch_execz .LBB764_116
.LBB764_159:
	global_load_ubyte v17, v[50:51], off offset:512
	s_mov_b32 s26, 0
	s_waitcnt vmcnt(0)
	v_and_b32_e32 v17, 1, v17
	v_cmp_eq_u32_e64 s4, 1, v17
	v_mov_b32_e32 v32, v16
	v_mov_b32_e32 v25, v9
	;; [unrolled: 1-line block ×17, first 2 shown]
	s_xor_b32 s4, s4, -1
	s_and_saveexec_b32 s26, s4
	s_xor_b32 s26, exec_lo, s26
	s_cbranch_execz .LBB764_161
; %bb.160:
	v_sub_f32_e32 v9, v9, v59
	v_mul_f32_e32 v17, 0x3fb8aa3b, v9
	v_cmp_ngt_f32_e64 s4, 0xc2ce8ed0, v9
	v_fma_f32 v18, 0x3fb8aa3b, v9, -v17
	v_rndne_f32_e32 v19, v17
	v_fmamk_f32 v18, v9, 0x32a5705f, v18
	v_sub_f32_e32 v17, v17, v19
	v_add_f32_e32 v17, v17, v18
	v_cvt_i32_f32_e32 v18, v19
	v_exp_f32_e32 v17, v17
	v_ldexp_f32 v17, v17, v18
	v_cndmask_b32_e64 v17, 0, v17, s4
	v_cmp_nlt_f32_e64 s4, 0x42b17218, v9
	v_cndmask_b32_e64 v9, 0x7f800000, v17, s4
	v_mov_b32_e32 v32, v16
	v_mov_b32_e32 v31, v15
	;; [unrolled: 1-line block ×16, first 2 shown]
	v_add_f32_e32 v0, v0, v9
.LBB764_161:
	s_andn2_saveexec_b32 s4, s26
	s_or_b32 exec_lo, exec_lo, s4
	s_or_b32 exec_lo, exec_lo, s18
                                        ; implicit-def: $vgpr1_vgpr2_vgpr3_vgpr4_vgpr5_vgpr6_vgpr7_vgpr8_vgpr9_vgpr10_vgpr11_vgpr12_vgpr13_vgpr14_vgpr15_vgpr16
	s_and_saveexec_b32 s4, s5
	s_xor_b32 s4, exec_lo, s4
	s_cbranch_execnz .LBB764_117
.LBB764_162:
	s_or_saveexec_b32 s18, s4
	s_xor_b32 s5, s25, -1
	s_xor_b32 exec_lo, exec_lo, s18
	s_cbranch_execz .LBB764_118
.LBB764_163:
	global_load_ubyte v1, v[50:51], off offset:576
	s_mov_b32 s25, 0
	s_waitcnt vmcnt(0)
	v_and_b32_e32 v1, 1, v1
	v_cmp_eq_u32_e64 s4, 1, v1
	v_mov_b32_e32 v1, v17
	v_mov_b32_e32 v10, v26
	;; [unrolled: 1-line block ×17, first 2 shown]
	s_xor_b32 s4, s4, -1
	s_and_saveexec_b32 s25, s4
	s_xor_b32 s25, exec_lo, s25
	s_cbranch_execz .LBB764_165
; %bb.164:
	v_sub_f32_e32 v1, v26, v59
	v_mul_f32_e32 v2, 0x3fb8aa3b, v1
	v_cmp_ngt_f32_e64 s4, 0xc2ce8ed0, v1
	v_fma_f32 v3, 0x3fb8aa3b, v1, -v2
	v_rndne_f32_e32 v4, v2
	v_fmamk_f32 v3, v1, 0x32a5705f, v3
	v_sub_f32_e32 v2, v2, v4
	v_add_f32_e32 v2, v2, v3
	v_cvt_i32_f32_e32 v3, v4
	v_exp_f32_e32 v2, v2
	v_ldexp_f32 v2, v2, v3
	v_cndmask_b32_e64 v2, 0, v2, s4
	v_cmp_nlt_f32_e64 s4, 0x42b17218, v1
	v_cndmask_b32_e64 v26, 0x7f800000, v2, s4
	v_mov_b32_e32 v1, v17
	v_mov_b32_e32 v2, v18
	;; [unrolled: 1-line block ×16, first 2 shown]
	v_add_f32_e32 v0, v0, v26
.LBB764_165:
	s_andn2_saveexec_b32 s4, s25
	s_or_b32 exec_lo, exec_lo, s4
	s_or_b32 exec_lo, exec_lo, s18
                                        ; implicit-def: $vgpr17_vgpr18_vgpr19_vgpr20_vgpr21_vgpr22_vgpr23_vgpr24_vgpr25_vgpr26_vgpr27_vgpr28_vgpr29_vgpr30_vgpr31_vgpr32
	s_and_saveexec_b32 s4, s5
	s_xor_b32 s4, exec_lo, s4
	s_cbranch_execnz .LBB764_119
.LBB764_166:
	s_or_saveexec_b32 s18, s4
	s_xor_b32 s5, s24, -1
	s_xor_b32 exec_lo, exec_lo, s18
	s_cbranch_execz .LBB764_120
.LBB764_167:
	global_load_ubyte v17, v[50:51], off offset:640
	s_mov_b32 s24, 0
	s_waitcnt vmcnt(0)
	v_and_b32_e32 v17, 1, v17
	v_cmp_eq_u32_e64 s4, 1, v17
	v_mov_b32_e32 v32, v16
	v_mov_b32_e32 v27, v11
	;; [unrolled: 1-line block ×17, first 2 shown]
	s_xor_b32 s4, s4, -1
	s_and_saveexec_b32 s24, s4
	s_xor_b32 s24, exec_lo, s24
	s_cbranch_execz .LBB764_169
; %bb.168:
	v_sub_f32_e32 v11, v11, v59
	v_mul_f32_e32 v17, 0x3fb8aa3b, v11
	v_cmp_ngt_f32_e64 s4, 0xc2ce8ed0, v11
	v_fma_f32 v18, 0x3fb8aa3b, v11, -v17
	v_rndne_f32_e32 v19, v17
	v_fmamk_f32 v18, v11, 0x32a5705f, v18
	v_sub_f32_e32 v17, v17, v19
	v_add_f32_e32 v17, v17, v18
	v_cvt_i32_f32_e32 v18, v19
	v_exp_f32_e32 v17, v17
	v_ldexp_f32 v17, v17, v18
	v_cndmask_b32_e64 v17, 0, v17, s4
	v_cmp_nlt_f32_e64 s4, 0x42b17218, v11
	v_cndmask_b32_e64 v11, 0x7f800000, v17, s4
	v_mov_b32_e32 v32, v16
	v_mov_b32_e32 v31, v15
	;; [unrolled: 1-line block ×16, first 2 shown]
	v_add_f32_e32 v0, v0, v11
.LBB764_169:
	s_andn2_saveexec_b32 s4, s24
	s_or_b32 exec_lo, exec_lo, s4
	s_or_b32 exec_lo, exec_lo, s18
                                        ; implicit-def: $vgpr1_vgpr2_vgpr3_vgpr4_vgpr5_vgpr6_vgpr7_vgpr8_vgpr9_vgpr10_vgpr11_vgpr12_vgpr13_vgpr14_vgpr15_vgpr16
	s_and_saveexec_b32 s4, s5
	s_xor_b32 s4, exec_lo, s4
	s_cbranch_execnz .LBB764_121
.LBB764_170:
	s_or_saveexec_b32 s18, s4
	s_xor_b32 s5, s23, -1
	s_xor_b32 exec_lo, exec_lo, s18
	s_cbranch_execz .LBB764_122
.LBB764_171:
	global_load_ubyte v1, v[50:51], off offset:704
	s_mov_b32 s23, 0
	s_waitcnt vmcnt(0)
	v_and_b32_e32 v1, 1, v1
	v_cmp_eq_u32_e64 s4, 1, v1
	v_mov_b32_e32 v1, v17
	v_mov_b32_e32 v12, v28
	;; [unrolled: 1-line block ×17, first 2 shown]
	s_xor_b32 s4, s4, -1
	s_and_saveexec_b32 s23, s4
	s_xor_b32 s23, exec_lo, s23
	s_cbranch_execz .LBB764_173
; %bb.172:
	v_sub_f32_e32 v1, v28, v59
	v_mul_f32_e32 v2, 0x3fb8aa3b, v1
	v_cmp_ngt_f32_e64 s4, 0xc2ce8ed0, v1
	v_fma_f32 v3, 0x3fb8aa3b, v1, -v2
	v_rndne_f32_e32 v4, v2
	v_fmamk_f32 v3, v1, 0x32a5705f, v3
	v_sub_f32_e32 v2, v2, v4
	v_add_f32_e32 v2, v2, v3
	v_cvt_i32_f32_e32 v3, v4
	v_exp_f32_e32 v2, v2
	v_ldexp_f32 v2, v2, v3
	v_cndmask_b32_e64 v2, 0, v2, s4
	v_cmp_nlt_f32_e64 s4, 0x42b17218, v1
	v_cndmask_b32_e64 v28, 0x7f800000, v2, s4
	v_mov_b32_e32 v1, v17
	v_mov_b32_e32 v2, v18
	;; [unrolled: 1-line block ×16, first 2 shown]
	v_add_f32_e32 v0, v0, v28
.LBB764_173:
	s_andn2_saveexec_b32 s4, s23
	s_or_b32 exec_lo, exec_lo, s4
	s_or_b32 exec_lo, exec_lo, s18
                                        ; implicit-def: $vgpr17_vgpr18_vgpr19_vgpr20_vgpr21_vgpr22_vgpr23_vgpr24_vgpr25_vgpr26_vgpr27_vgpr28_vgpr29_vgpr30_vgpr31_vgpr32
	s_and_saveexec_b32 s4, s5
	s_xor_b32 s4, exec_lo, s4
	s_cbranch_execnz .LBB764_123
.LBB764_174:
	s_or_saveexec_b32 s18, s4
	s_xor_b32 s5, s22, -1
	s_xor_b32 exec_lo, exec_lo, s18
	s_cbranch_execz .LBB764_124
.LBB764_175:
	global_load_ubyte v17, v[50:51], off offset:768
	s_mov_b32 s22, 0
	s_waitcnt vmcnt(0)
	v_and_b32_e32 v17, 1, v17
	v_cmp_eq_u32_e64 s4, 1, v17
	v_mov_b32_e32 v32, v16
	v_mov_b32_e32 v29, v13
	;; [unrolled: 1-line block ×17, first 2 shown]
	s_xor_b32 s4, s4, -1
	s_and_saveexec_b32 s22, s4
	s_xor_b32 s22, exec_lo, s22
	s_cbranch_execz .LBB764_177
; %bb.176:
	v_sub_f32_e32 v13, v13, v59
	v_mul_f32_e32 v17, 0x3fb8aa3b, v13
	v_cmp_ngt_f32_e64 s4, 0xc2ce8ed0, v13
	v_fma_f32 v18, 0x3fb8aa3b, v13, -v17
	v_rndne_f32_e32 v19, v17
	v_fmamk_f32 v18, v13, 0x32a5705f, v18
	v_sub_f32_e32 v17, v17, v19
	v_add_f32_e32 v17, v17, v18
	v_cvt_i32_f32_e32 v18, v19
	v_exp_f32_e32 v17, v17
	v_ldexp_f32 v17, v17, v18
	v_cndmask_b32_e64 v17, 0, v17, s4
	v_cmp_nlt_f32_e64 s4, 0x42b17218, v13
	v_cndmask_b32_e64 v13, 0x7f800000, v17, s4
	v_mov_b32_e32 v32, v16
	v_mov_b32_e32 v31, v15
	;; [unrolled: 1-line block ×16, first 2 shown]
	v_add_f32_e32 v0, v0, v13
.LBB764_177:
	s_andn2_saveexec_b32 s4, s22
	s_or_b32 exec_lo, exec_lo, s4
	s_or_b32 exec_lo, exec_lo, s18
                                        ; implicit-def: $vgpr1_vgpr2_vgpr3_vgpr4_vgpr5_vgpr6_vgpr7_vgpr8_vgpr9_vgpr10_vgpr11_vgpr12_vgpr13_vgpr14_vgpr15_vgpr16
	s_and_saveexec_b32 s4, s5
	s_xor_b32 s4, exec_lo, s4
	s_cbranch_execnz .LBB764_125
.LBB764_178:
	s_or_saveexec_b32 s18, s4
	s_xor_b32 s5, s19, -1
	s_xor_b32 exec_lo, exec_lo, s18
	s_cbranch_execz .LBB764_126
.LBB764_179:
	global_load_ubyte v1, v[50:51], off offset:832
	s_mov_b32 s19, 0
	s_waitcnt vmcnt(0)
	v_and_b32_e32 v1, 1, v1
	v_cmp_eq_u32_e64 s4, 1, v1
	v_mov_b32_e32 v1, v17
	v_mov_b32_e32 v14, v30
	;; [unrolled: 1-line block ×17, first 2 shown]
	s_xor_b32 s4, s4, -1
	s_and_saveexec_b32 s19, s4
	s_xor_b32 s19, exec_lo, s19
	s_cbranch_execz .LBB764_181
; %bb.180:
	v_sub_f32_e32 v1, v30, v59
	v_mul_f32_e32 v2, 0x3fb8aa3b, v1
	v_cmp_ngt_f32_e64 s4, 0xc2ce8ed0, v1
	v_fma_f32 v3, 0x3fb8aa3b, v1, -v2
	v_rndne_f32_e32 v4, v2
	v_fmamk_f32 v3, v1, 0x32a5705f, v3
	v_sub_f32_e32 v2, v2, v4
	v_add_f32_e32 v2, v2, v3
	v_cvt_i32_f32_e32 v3, v4
	v_exp_f32_e32 v2, v2
	v_ldexp_f32 v2, v2, v3
	v_cndmask_b32_e64 v2, 0, v2, s4
	v_cmp_nlt_f32_e64 s4, 0x42b17218, v1
	v_cndmask_b32_e64 v30, 0x7f800000, v2, s4
	v_mov_b32_e32 v1, v17
	v_mov_b32_e32 v2, v18
	;; [unrolled: 1-line block ×16, first 2 shown]
	v_add_f32_e32 v0, v0, v30
.LBB764_181:
	s_andn2_saveexec_b32 s4, s19
	s_or_b32 exec_lo, exec_lo, s4
	s_or_b32 exec_lo, exec_lo, s18
                                        ; implicit-def: $vgpr17_vgpr18_vgpr19_vgpr20_vgpr21_vgpr22_vgpr23_vgpr24_vgpr25_vgpr26_vgpr27_vgpr28_vgpr29_vgpr30_vgpr31_vgpr32
	s_and_saveexec_b32 s4, s5
	s_xor_b32 s4, exec_lo, s4
	s_cbranch_execnz .LBB764_127
.LBB764_182:
	s_or_saveexec_b32 s18, s4
	s_xor_b32 s5, s17, -1
	s_xor_b32 exec_lo, exec_lo, s18
	s_cbranch_execz .LBB764_128
.LBB764_183:
	global_load_ubyte v17, v[50:51], off offset:896
	s_mov_b32 s17, 0
	s_waitcnt vmcnt(0)
	v_and_b32_e32 v17, 1, v17
	v_cmp_eq_u32_e64 s4, 1, v17
	v_mov_b32_e32 v32, v16
	v_mov_b32_e32 v31, v15
	;; [unrolled: 1-line block ×17, first 2 shown]
	s_xor_b32 s4, s4, -1
	s_and_saveexec_b32 s17, s4
	s_xor_b32 s17, exec_lo, s17
	s_cbranch_execz .LBB764_185
; %bb.184:
	v_sub_f32_e32 v15, v15, v59
	v_mul_f32_e32 v17, 0x3fb8aa3b, v15
	v_cmp_ngt_f32_e64 s4, 0xc2ce8ed0, v15
	v_fma_f32 v18, 0x3fb8aa3b, v15, -v17
	v_rndne_f32_e32 v19, v17
	v_fmamk_f32 v18, v15, 0x32a5705f, v18
	v_sub_f32_e32 v17, v17, v19
	v_add_f32_e32 v17, v17, v18
	v_cvt_i32_f32_e32 v18, v19
	v_exp_f32_e32 v17, v17
	v_ldexp_f32 v17, v17, v18
	v_cndmask_b32_e64 v17, 0, v17, s4
	v_cmp_nlt_f32_e64 s4, 0x42b17218, v15
	v_cndmask_b32_e64 v15, 0x7f800000, v17, s4
	v_mov_b32_e32 v32, v16
	v_mov_b32_e32 v30, v14
	;; [unrolled: 1-line block ×16, first 2 shown]
	v_add_f32_e32 v0, v0, v15
.LBB764_185:
	s_andn2_saveexec_b32 s4, s17
	s_or_b32 exec_lo, exec_lo, s4
	s_or_b32 exec_lo, exec_lo, s18
                                        ; implicit-def: $vgpr1_vgpr2_vgpr3_vgpr4_vgpr5_vgpr6_vgpr7_vgpr8_vgpr9_vgpr10_vgpr11_vgpr12_vgpr13_vgpr14_vgpr15_vgpr16
	s_and_saveexec_b32 s4, s5
	s_xor_b32 s4, exec_lo, s4
	s_cbranch_execnz .LBB764_129
.LBB764_186:
	s_andn2_saveexec_b32 s5, s4
	s_cbranch_execz .LBB764_190
.LBB764_187:
	global_load_ubyte v1, v[50:51], off offset:960
	s_mov_b32 s17, 0
	s_waitcnt vmcnt(0)
	v_and_b32_e32 v1, 1, v1
	v_cmp_eq_u32_e64 s4, 1, v1
	v_mov_b32_e32 v1, v17
	v_mov_b32_e32 v16, v32
	;; [unrolled: 1-line block ×17, first 2 shown]
	s_xor_b32 s4, s4, -1
	s_and_saveexec_b32 s17, s4
	s_xor_b32 s17, exec_lo, s17
	s_cbranch_execz .LBB764_189
; %bb.188:
	v_sub_f32_e32 v1, v32, v59
	v_mul_f32_e32 v2, 0x3fb8aa3b, v1
	v_cmp_ngt_f32_e64 s4, 0xc2ce8ed0, v1
	v_fma_f32 v3, 0x3fb8aa3b, v1, -v2
	v_rndne_f32_e32 v4, v2
	v_fmamk_f32 v3, v1, 0x32a5705f, v3
	v_sub_f32_e32 v2, v2, v4
	v_add_f32_e32 v2, v2, v3
	v_cvt_i32_f32_e32 v3, v4
	v_exp_f32_e32 v2, v2
	v_ldexp_f32 v2, v2, v3
	v_cndmask_b32_e64 v2, 0, v2, s4
	v_cmp_nlt_f32_e64 s4, 0x42b17218, v1
	v_cndmask_b32_e64 v32, 0x7f800000, v2, s4
	v_mov_b32_e32 v1, v17
	v_mov_b32_e32 v2, v18
	;; [unrolled: 1-line block ×16, first 2 shown]
	v_add_f32_e32 v0, v0, v32
.LBB764_189:
	s_andn2_saveexec_b32 s4, s17
	s_or_b32 exec_lo, exec_lo, s4
.LBB764_190:
	s_or_b32 exec_lo, exec_lo, s5
	ds_bpermute_b32 v17, v53, v0
	s_mov_b32 s5, exec_lo
	s_waitcnt lgkmcnt(0)
	v_add_f32_e32 v0, v0, v17
	ds_bpermute_b32 v17, v54, v0
	s_waitcnt lgkmcnt(0)
	v_add_f32_e32 v0, v0, v17
	ds_bpermute_b32 v17, v55, v0
	;; [unrolled: 3-line block ×5, first 2 shown]
	v_cmpx_lt_i32_e32 0, v52
	s_cbranch_execz .LBB764_240
; %bb.191:
	s_and_b32 exec_lo, exec_lo, vcc_lo
	s_cbranch_execz .LBB764_240
; %bb.192:
	s_waitcnt lgkmcnt(0)
	v_add_f32_e32 v17, v0, v17
	v_mov_b32_e32 v18, 0x7fc0
	v_cmp_neq_f32_e64 s4, 0, v17
	s_and_saveexec_b32 s5, s4
	s_cbranch_execz .LBB764_194
; %bb.193:
	v_div_scale_f32 v0, null, v17, v17, v1
	v_div_scale_f32 v20, vcc_lo, v1, v17, v1
	v_rcp_f32_e32 v18, v0
	v_fma_f32 v19, -v0, v18, 1.0
	v_fmac_f32_e32 v18, v19, v18
	v_mul_f32_e32 v19, v20, v18
	v_fma_f32 v21, -v0, v19, v20
	v_fmac_f32_e32 v19, v21, v18
	v_fma_f32 v0, -v0, v19, v20
	v_div_fmas_f32 v0, v0, v18, v19
	v_div_fixup_f32 v0, v0, v17, v1
	v_bfe_u32 v1, v0, 16, 1
	v_cmp_o_f32_e32 vcc_lo, v0, v0
	v_add3_u32 v0, v0, v1, 0x7fff
	v_mov_b32_e32 v1, 0x7fc0
	v_cndmask_b32_sdwa v18, v1, v0, vcc_lo dst_sel:DWORD dst_unused:UNUSED_PAD src0_sel:DWORD src1_sel:WORD_1
.LBB764_194:
	s_or_b32 exec_lo, exec_lo, s5
	v_add_co_u32 v0, vcc_lo, s20, v48
	v_add_co_ci_u32_e64 v1, null, s21, v49, vcc_lo
	global_store_short v[0:1], v18, off
	s_and_b32 exec_lo, exec_lo, s16
	s_cbranch_execz .LBB764_240
; %bb.195:
	v_mov_b32_e32 v18, 0x7fc0
	s_and_saveexec_b32 s5, s4
	s_cbranch_execz .LBB764_197
; %bb.196:
	v_div_scale_f32 v18, null, v17, v17, v2
	v_div_scale_f32 v21, vcc_lo, v2, v17, v2
	v_rcp_f32_e32 v19, v18
	v_fma_f32 v20, -v18, v19, 1.0
	v_fmac_f32_e32 v19, v20, v19
	v_mul_f32_e32 v20, v21, v19
	v_fma_f32 v22, -v18, v20, v21
	v_fmac_f32_e32 v20, v22, v19
	v_fma_f32 v18, -v18, v20, v21
	v_div_fmas_f32 v18, v18, v19, v20
	v_div_fixup_f32 v2, v18, v17, v2
	v_bfe_u32 v18, v2, 16, 1
	v_cmp_o_f32_e32 vcc_lo, v2, v2
	v_add3_u32 v2, v2, v18, 0x7fff
	v_mov_b32_e32 v18, 0x7fc0
	v_cndmask_b32_sdwa v18, v18, v2, vcc_lo dst_sel:DWORD dst_unused:UNUSED_PAD src0_sel:DWORD src1_sel:WORD_1
.LBB764_197:
	s_or_b32 exec_lo, exec_lo, s5
	global_store_short v[0:1], v18, off offset:128
	s_and_b32 exec_lo, exec_lo, s15
	s_cbranch_execz .LBB764_240
; %bb.198:
	v_mov_b32_e32 v2, 0x7fc0
	s_and_saveexec_b32 s5, s4
	s_cbranch_execz .LBB764_200
; %bb.199:
	v_div_scale_f32 v2, null, v17, v17, v3
	v_div_scale_f32 v20, vcc_lo, v3, v17, v3
	v_rcp_f32_e32 v18, v2
	v_fma_f32 v19, -v2, v18, 1.0
	v_fmac_f32_e32 v18, v19, v18
	v_mul_f32_e32 v19, v20, v18
	v_fma_f32 v21, -v2, v19, v20
	v_fmac_f32_e32 v19, v21, v18
	v_fma_f32 v2, -v2, v19, v20
	v_div_fmas_f32 v2, v2, v18, v19
	v_div_fixup_f32 v2, v2, v17, v3
	v_bfe_u32 v3, v2, 16, 1
	v_cmp_o_f32_e32 vcc_lo, v2, v2
	v_add3_u32 v2, v2, v3, 0x7fff
	v_mov_b32_e32 v3, 0x7fc0
	v_cndmask_b32_sdwa v2, v3, v2, vcc_lo dst_sel:DWORD dst_unused:UNUSED_PAD src0_sel:DWORD src1_sel:WORD_1
.LBB764_200:
	s_or_b32 exec_lo, exec_lo, s5
	global_store_short v[0:1], v2, off offset:256
	;; [unrolled: 26-line block ×15, first 2 shown]
.LBB764_240:
	s_endpgm
	.section	.rodata,"a",@progbits
	.p2align	6, 0x0
	.amdhsa_kernel _ZN12_GLOBAL__N_120softmax_warp_forwardIN3c108BFloat16ES2_fLi10ELb0ELb1ELi64EEEvPT0_PKT_iiiPKbib
		.amdhsa_group_segment_fixed_size 0
		.amdhsa_private_segment_fixed_size 0
		.amdhsa_kernarg_size 304
		.amdhsa_user_sgpr_count 6
		.amdhsa_user_sgpr_private_segment_buffer 1
		.amdhsa_user_sgpr_dispatch_ptr 0
		.amdhsa_user_sgpr_queue_ptr 0
		.amdhsa_user_sgpr_kernarg_segment_ptr 1
		.amdhsa_user_sgpr_dispatch_id 0
		.amdhsa_user_sgpr_flat_scratch_init 0
		.amdhsa_user_sgpr_private_segment_size 0
		.amdhsa_wavefront_size32 1
		.amdhsa_uses_dynamic_stack 0
		.amdhsa_system_sgpr_private_segment_wavefront_offset 0
		.amdhsa_system_sgpr_workgroup_id_x 1
		.amdhsa_system_sgpr_workgroup_id_y 0
		.amdhsa_system_sgpr_workgroup_id_z 0
		.amdhsa_system_sgpr_workgroup_info 0
		.amdhsa_system_vgpr_workitem_id 1
		.amdhsa_next_free_vgpr 60
		.amdhsa_next_free_sgpr 39
		.amdhsa_reserve_vcc 1
		.amdhsa_reserve_flat_scratch 0
		.amdhsa_float_round_mode_32 0
		.amdhsa_float_round_mode_16_64 0
		.amdhsa_float_denorm_mode_32 3
		.amdhsa_float_denorm_mode_16_64 3
		.amdhsa_dx10_clamp 1
		.amdhsa_ieee_mode 1
		.amdhsa_fp16_overflow 0
		.amdhsa_workgroup_processor_mode 1
		.amdhsa_memory_ordered 1
		.amdhsa_forward_progress 1
		.amdhsa_shared_vgpr_count 0
		.amdhsa_exception_fp_ieee_invalid_op 0
		.amdhsa_exception_fp_denorm_src 0
		.amdhsa_exception_fp_ieee_div_zero 0
		.amdhsa_exception_fp_ieee_overflow 0
		.amdhsa_exception_fp_ieee_underflow 0
		.amdhsa_exception_fp_ieee_inexact 0
		.amdhsa_exception_int_div_zero 0
	.end_amdhsa_kernel
	.section	.text._ZN12_GLOBAL__N_120softmax_warp_forwardIN3c108BFloat16ES2_fLi10ELb0ELb1ELi64EEEvPT0_PKT_iiiPKbib,"axG",@progbits,_ZN12_GLOBAL__N_120softmax_warp_forwardIN3c108BFloat16ES2_fLi10ELb0ELb1ELi64EEEvPT0_PKT_iiiPKbib,comdat
.Lfunc_end764:
	.size	_ZN12_GLOBAL__N_120softmax_warp_forwardIN3c108BFloat16ES2_fLi10ELb0ELb1ELi64EEEvPT0_PKT_iiiPKbib, .Lfunc_end764-_ZN12_GLOBAL__N_120softmax_warp_forwardIN3c108BFloat16ES2_fLi10ELb0ELb1ELi64EEEvPT0_PKT_iiiPKbib
                                        ; -- End function
	.set _ZN12_GLOBAL__N_120softmax_warp_forwardIN3c108BFloat16ES2_fLi10ELb0ELb1ELi64EEEvPT0_PKT_iiiPKbib.num_vgpr, 60
	.set _ZN12_GLOBAL__N_120softmax_warp_forwardIN3c108BFloat16ES2_fLi10ELb0ELb1ELi64EEEvPT0_PKT_iiiPKbib.num_agpr, 0
	.set _ZN12_GLOBAL__N_120softmax_warp_forwardIN3c108BFloat16ES2_fLi10ELb0ELb1ELi64EEEvPT0_PKT_iiiPKbib.numbered_sgpr, 39
	.set _ZN12_GLOBAL__N_120softmax_warp_forwardIN3c108BFloat16ES2_fLi10ELb0ELb1ELi64EEEvPT0_PKT_iiiPKbib.num_named_barrier, 0
	.set _ZN12_GLOBAL__N_120softmax_warp_forwardIN3c108BFloat16ES2_fLi10ELb0ELb1ELi64EEEvPT0_PKT_iiiPKbib.private_seg_size, 0
	.set _ZN12_GLOBAL__N_120softmax_warp_forwardIN3c108BFloat16ES2_fLi10ELb0ELb1ELi64EEEvPT0_PKT_iiiPKbib.uses_vcc, 1
	.set _ZN12_GLOBAL__N_120softmax_warp_forwardIN3c108BFloat16ES2_fLi10ELb0ELb1ELi64EEEvPT0_PKT_iiiPKbib.uses_flat_scratch, 0
	.set _ZN12_GLOBAL__N_120softmax_warp_forwardIN3c108BFloat16ES2_fLi10ELb0ELb1ELi64EEEvPT0_PKT_iiiPKbib.has_dyn_sized_stack, 0
	.set _ZN12_GLOBAL__N_120softmax_warp_forwardIN3c108BFloat16ES2_fLi10ELb0ELb1ELi64EEEvPT0_PKT_iiiPKbib.has_recursion, 0
	.set _ZN12_GLOBAL__N_120softmax_warp_forwardIN3c108BFloat16ES2_fLi10ELb0ELb1ELi64EEEvPT0_PKT_iiiPKbib.has_indirect_call, 0
	.section	.AMDGPU.csdata,"",@progbits
; Kernel info:
; codeLenInByte = 12136
; TotalNumSgprs: 41
; NumVgprs: 60
; ScratchSize: 0
; MemoryBound: 0
; FloatMode: 240
; IeeeMode: 1
; LDSByteSize: 0 bytes/workgroup (compile time only)
; SGPRBlocks: 0
; VGPRBlocks: 7
; NumSGPRsForWavesPerEU: 41
; NumVGPRsForWavesPerEU: 60
; Occupancy: 16
; WaveLimiterHint : 0
; COMPUTE_PGM_RSRC2:SCRATCH_EN: 0
; COMPUTE_PGM_RSRC2:USER_SGPR: 6
; COMPUTE_PGM_RSRC2:TRAP_HANDLER: 0
; COMPUTE_PGM_RSRC2:TGID_X_EN: 1
; COMPUTE_PGM_RSRC2:TGID_Y_EN: 0
; COMPUTE_PGM_RSRC2:TGID_Z_EN: 0
; COMPUTE_PGM_RSRC2:TIDIG_COMP_CNT: 1
	.section	.text._ZN12_GLOBAL__N_120softmax_warp_forwardIN3c108BFloat16ES2_fLi10ELb0ELb1ELi32EEEvPT0_PKT_iiiPKbib,"axG",@progbits,_ZN12_GLOBAL__N_120softmax_warp_forwardIN3c108BFloat16ES2_fLi10ELb0ELb1ELi32EEEvPT0_PKT_iiiPKbib,comdat
	.globl	_ZN12_GLOBAL__N_120softmax_warp_forwardIN3c108BFloat16ES2_fLi10ELb0ELb1ELi32EEEvPT0_PKT_iiiPKbib ; -- Begin function _ZN12_GLOBAL__N_120softmax_warp_forwardIN3c108BFloat16ES2_fLi10ELb0ELb1ELi32EEEvPT0_PKT_iiiPKbib
	.p2align	8
	.type	_ZN12_GLOBAL__N_120softmax_warp_forwardIN3c108BFloat16ES2_fLi10ELb0ELb1ELi32EEEvPT0_PKT_iiiPKbib,@function
_ZN12_GLOBAL__N_120softmax_warp_forwardIN3c108BFloat16ES2_fLi10ELb0ELb1ELi32EEEvPT0_PKT_iiiPKbib: ; @_ZN12_GLOBAL__N_120softmax_warp_forwardIN3c108BFloat16ES2_fLi10ELb0ELb1ELi32EEEvPT0_PKT_iiiPKbib
; %bb.0:
	s_clause 0x1
	s_load_dword s0, s[4:5], 0x3c
	s_load_dwordx4 s[40:43], s[4:5], 0x10
	s_waitcnt lgkmcnt(0)
	s_lshr_b32 s0, s0, 16
	v_mad_u64_u32 v[1:2], null, s6, s0, v[1:2]
	s_load_dwordx2 s[0:1], s[4:5], 0x28
	v_mul_lo_u32 v4, v1, s41
	v_add_nc_u32_e32 v2, v4, v0
	v_ashrrev_i32_e32 v3, 31, v2
	s_waitcnt lgkmcnt(0)
	s_bitcmp0_b32 s1, 0
	v_mov_b32_e32 v33, v3
	v_mov_b32_e32 v32, v2
	s_cbranch_scc1 .LBB765_2
; %bb.1:
	s_abs_i32 s1, s0
	v_sub_nc_u32_e32 v7, 0, v4
	v_cvt_f32_u32_e32 v5, s1
	s_sub_i32 s2, 0, s1
	v_max_i32_e32 v7, v4, v7
	v_rcp_iflag_f32_e32 v5, v5
	v_xor_b32_e32 v4, s0, v4
	v_ashrrev_i32_e32 v4, 31, v4
	v_mul_f32_e32 v5, 0x4f7ffffe, v5
	v_cvt_u32_f32_e32 v5, v5
	v_mul_lo_u32 v6, s2, v5
	v_mul_hi_u32 v6, v5, v6
	v_add_nc_u32_e32 v5, v5, v6
	v_mul_hi_u32 v5, v7, v5
	v_mul_lo_u32 v6, v5, s1
	v_sub_nc_u32_e32 v6, v7, v6
	v_add_nc_u32_e32 v7, 1, v5
	v_subrev_nc_u32_e32 v8, s1, v6
	v_cmp_le_u32_e32 vcc_lo, s1, v6
	v_cndmask_b32_e32 v5, v5, v7, vcc_lo
	v_cndmask_b32_e32 v6, v6, v8, vcc_lo
	v_add_nc_u32_e32 v7, 1, v5
	v_cmp_le_u32_e32 vcc_lo, s1, v6
	v_cndmask_b32_e32 v5, v5, v7, vcc_lo
	v_xor_b32_e32 v5, v5, v4
	v_sub_nc_u32_e32 v4, v5, v4
	v_mad_u64_u32 v[32:33], null, v4, s41, v[0:1]
	v_ashrrev_i32_e32 v33, 31, v32
.LBB765_2:
	s_load_dwordx4 s[36:39], s[4:5], 0x0
	v_lshlrev_b64 v[96:97], 1, v[2:3]
	v_sub_nc_u32_e32 v100, s40, v1
	v_cmp_gt_i32_e32 vcc_lo, s42, v0
	v_mov_b32_e32 v64, 0xff800000
	v_mov_b32_e32 v1, 0xff800000
	v_cmp_lt_i32_e64 s34, 0, v100
	s_and_b32 s67, s34, vcc_lo
	s_waitcnt lgkmcnt(0)
	v_add_co_u32 v34, s0, s38, v96
	v_add_co_ci_u32_e64 v35, null, s39, v97, s0
	s_and_saveexec_b32 s0, s67
	s_cbranch_execz .LBB765_4
; %bb.3:
	global_load_ushort v1, v[34:35], off
	s_waitcnt vmcnt(0)
	v_lshlrev_b32_e32 v1, 16, v1
.LBB765_4:
	s_or_b32 exec_lo, exec_lo, s0
	v_add_nc_u32_e32 v2, 32, v0
	v_cmp_gt_i32_e64 s33, s42, v2
	s_and_b32 s68, s34, s33
	s_and_saveexec_b32 s0, s68
	s_cbranch_execz .LBB765_6
; %bb.5:
	global_load_ushort v2, v[34:35], off offset:64
	s_waitcnt vmcnt(0)
	v_lshlrev_b32_e32 v64, 16, v2
.LBB765_6:
	s_or_b32 exec_lo, exec_lo, s0
	v_add_nc_u32_e32 v2, 64, v0
	v_mov_b32_e32 v3, 0xff800000
	v_cmp_gt_i32_e64 s31, s42, v2
	v_mov_b32_e32 v2, 0xff800000
	s_and_b32 s66, s34, s31
	s_and_saveexec_b32 s0, s66
	s_cbranch_execz .LBB765_8
; %bb.7:
	global_load_ushort v2, v[34:35], off offset:128
	s_waitcnt vmcnt(0)
	v_lshlrev_b32_e32 v2, 16, v2
.LBB765_8:
	s_or_b32 exec_lo, exec_lo, s0
	v_add_nc_u32_e32 v4, 0x60, v0
	v_cmp_gt_i32_e64 s30, s42, v4
	s_and_b32 s65, s34, s30
	s_and_saveexec_b32 s0, s65
	s_cbranch_execz .LBB765_10
; %bb.9:
	global_load_ushort v3, v[34:35], off offset:192
	s_waitcnt vmcnt(0)
	v_lshlrev_b32_e32 v3, 16, v3
.LBB765_10:
	s_or_b32 exec_lo, exec_lo, s0
	v_add_nc_u32_e32 v4, 0x80, v0
	v_mov_b32_e32 v5, 0xff800000
	v_cmp_gt_i32_e64 s29, s42, v4
	v_mov_b32_e32 v4, 0xff800000
	s_and_b32 s64, s34, s29
	s_and_saveexec_b32 s0, s64
	s_cbranch_execz .LBB765_12
; %bb.11:
	global_load_ushort v4, v[34:35], off offset:256
	s_waitcnt vmcnt(0)
	v_lshlrev_b32_e32 v4, 16, v4
.LBB765_12:
	;; [unrolled: 24-line block ×15, first 2 shown]
	s_or_b32 exec_lo, exec_lo, s0
	v_add_nc_u32_e32 v0, 0x3e0, v0
	v_cmp_gt_i32_e64 s0, s42, v0
	s_and_b32 s34, s34, s0
	s_and_saveexec_b32 s42, s34
	s_cbranch_execz .LBB765_66
; %bb.65:
	global_load_ushort v0, v[34:35], off offset:1984
	s_waitcnt vmcnt(0)
	v_lshlrev_b32_e32 v31, 16, v0
.LBB765_66:
	s_or_b32 exec_lo, exec_lo, s42
	s_load_dwordx2 s[4:5], s[4:5], 0x20
	s_waitcnt lgkmcnt(0)
	v_add_co_u32 v98, s4, s4, v32
	v_add_co_ci_u32_e64 v99, null, s5, v33, s4
	s_mov_b32 s5, 0
	s_and_saveexec_b32 s42, s67
	s_cbranch_execz .LBB765_128
; %bb.67:
	global_load_ubyte v0, v[98:99], off
	s_waitcnt vmcnt(0)
	v_and_b32_e32 v0, 1, v0
	v_cmp_eq_u32_e64 s4, 1, v0
	s_xor_b32 s4, s4, -1
	s_and_b32 s5, s4, exec_lo
	s_or_b32 exec_lo, exec_lo, s42
	v_mov_b32_e32 v0, v1
	s_and_saveexec_b32 s42, s68
	s_cbranch_execnz .LBB765_129
.LBB765_68:
	s_or_b32 exec_lo, exec_lo, s42
	s_and_saveexec_b32 s42, s66
	s_cbranch_execz .LBB765_132
.LBB765_69:
	global_load_ubyte v32, v[98:99], off offset:64
	s_waitcnt vmcnt(0)
	v_and_b32_e32 v32, 1, v32
	v_cmp_eq_u32_e64 s4, 1, v32
	s_xor_b32 s70, s4, -1
	s_mov_b32 s4, s5
	s_and_saveexec_b32 s69, s70
; %bb.70:
	v_cmp_gt_f32_e64 s4, v0, v2
	s_and_b32 s4, s5, s4
	v_cndmask_b32_e64 v0, v2, v0, s4
	s_or_b32 s4, s5, exec_lo
; %bb.71:
	s_or_b32 exec_lo, exec_lo, s69
	s_andn2_b32 s5, s5, exec_lo
	s_and_b32 s4, s4, exec_lo
	s_or_b32 s5, s5, s4
	s_or_b32 exec_lo, exec_lo, s42
	s_and_saveexec_b32 s42, s65
	s_cbranch_execnz .LBB765_133
.LBB765_72:
	s_or_b32 exec_lo, exec_lo, s42
	s_and_saveexec_b32 s42, s64
	s_cbranch_execz .LBB765_136
.LBB765_73:
	global_load_ubyte v32, v[98:99], off offset:128
	s_waitcnt vmcnt(0)
	v_and_b32_e32 v32, 1, v32
	v_cmp_eq_u32_e64 s4, 1, v32
	s_xor_b32 s70, s4, -1
	s_mov_b32 s4, s5
	s_and_saveexec_b32 s69, s70
; %bb.74:
	v_cmp_gt_f32_e64 s4, v0, v4
	s_and_b32 s4, s5, s4
	v_cndmask_b32_e64 v0, v4, v0, s4
	s_or_b32 s4, s5, exec_lo
; %bb.75:
	s_or_b32 exec_lo, exec_lo, s69
	s_andn2_b32 s5, s5, exec_lo
	s_and_b32 s4, s4, exec_lo
	s_or_b32 s5, s5, s4
	s_or_b32 exec_lo, exec_lo, s42
	s_and_saveexec_b32 s42, s63
	s_cbranch_execnz .LBB765_137
.LBB765_76:
	s_or_b32 exec_lo, exec_lo, s42
	s_and_saveexec_b32 s42, s62
	s_cbranch_execz .LBB765_140
.LBB765_77:
	global_load_ubyte v32, v[98:99], off offset:192
	s_waitcnt vmcnt(0)
	v_and_b32_e32 v32, 1, v32
	v_cmp_eq_u32_e64 s4, 1, v32
	s_xor_b32 s70, s4, -1
	s_mov_b32 s4, s5
	s_and_saveexec_b32 s69, s70
; %bb.78:
	v_cmp_gt_f32_e64 s4, v0, v6
	s_and_b32 s4, s5, s4
	v_cndmask_b32_e64 v0, v6, v0, s4
	s_or_b32 s4, s5, exec_lo
; %bb.79:
	s_or_b32 exec_lo, exec_lo, s69
	s_andn2_b32 s5, s5, exec_lo
	s_and_b32 s4, s4, exec_lo
	s_or_b32 s5, s5, s4
	s_or_b32 exec_lo, exec_lo, s42
	s_and_saveexec_b32 s42, s61
	s_cbranch_execnz .LBB765_141
.LBB765_80:
	s_or_b32 exec_lo, exec_lo, s42
	s_and_saveexec_b32 s42, s60
	s_cbranch_execz .LBB765_144
.LBB765_81:
	global_load_ubyte v32, v[98:99], off offset:256
	s_waitcnt vmcnt(0)
	v_and_b32_e32 v32, 1, v32
	v_cmp_eq_u32_e64 s4, 1, v32
	s_xor_b32 s70, s4, -1
	s_mov_b32 s4, s5
	s_and_saveexec_b32 s69, s70
; %bb.82:
	v_cmp_gt_f32_e64 s4, v0, v8
	s_and_b32 s4, s5, s4
	v_cndmask_b32_e64 v0, v8, v0, s4
	s_or_b32 s4, s5, exec_lo
; %bb.83:
	s_or_b32 exec_lo, exec_lo, s69
	s_andn2_b32 s5, s5, exec_lo
	s_and_b32 s4, s4, exec_lo
	s_or_b32 s5, s5, s4
	s_or_b32 exec_lo, exec_lo, s42
	s_and_saveexec_b32 s42, s59
	s_cbranch_execnz .LBB765_145
.LBB765_84:
	s_or_b32 exec_lo, exec_lo, s42
	s_and_saveexec_b32 s42, s58
	s_cbranch_execz .LBB765_148
.LBB765_85:
	global_load_ubyte v32, v[98:99], off offset:320
	s_waitcnt vmcnt(0)
	v_and_b32_e32 v32, 1, v32
	v_cmp_eq_u32_e64 s4, 1, v32
	s_xor_b32 s70, s4, -1
	s_mov_b32 s4, s5
	s_and_saveexec_b32 s69, s70
; %bb.86:
	v_cmp_gt_f32_e64 s4, v0, v10
	s_and_b32 s4, s5, s4
	v_cndmask_b32_e64 v0, v10, v0, s4
	s_or_b32 s4, s5, exec_lo
; %bb.87:
	s_or_b32 exec_lo, exec_lo, s69
	s_andn2_b32 s5, s5, exec_lo
	s_and_b32 s4, s4, exec_lo
	s_or_b32 s5, s5, s4
	s_or_b32 exec_lo, exec_lo, s42
	s_and_saveexec_b32 s42, s57
	s_cbranch_execnz .LBB765_149
.LBB765_88:
	s_or_b32 exec_lo, exec_lo, s42
	s_and_saveexec_b32 s42, s56
	s_cbranch_execz .LBB765_152
.LBB765_89:
	global_load_ubyte v32, v[98:99], off offset:384
	s_waitcnt vmcnt(0)
	v_and_b32_e32 v32, 1, v32
	v_cmp_eq_u32_e64 s4, 1, v32
	s_xor_b32 s70, s4, -1
	s_mov_b32 s4, s5
	s_and_saveexec_b32 s69, s70
; %bb.90:
	v_cmp_gt_f32_e64 s4, v0, v12
	s_and_b32 s4, s5, s4
	v_cndmask_b32_e64 v0, v12, v0, s4
	s_or_b32 s4, s5, exec_lo
; %bb.91:
	s_or_b32 exec_lo, exec_lo, s69
	s_andn2_b32 s5, s5, exec_lo
	s_and_b32 s4, s4, exec_lo
	s_or_b32 s5, s5, s4
	s_or_b32 exec_lo, exec_lo, s42
	s_and_saveexec_b32 s42, s55
	s_cbranch_execnz .LBB765_153
.LBB765_92:
	s_or_b32 exec_lo, exec_lo, s42
	s_and_saveexec_b32 s42, s54
	s_cbranch_execz .LBB765_156
.LBB765_93:
	global_load_ubyte v32, v[98:99], off offset:448
	s_waitcnt vmcnt(0)
	v_and_b32_e32 v32, 1, v32
	v_cmp_eq_u32_e64 s4, 1, v32
	s_xor_b32 s70, s4, -1
	s_mov_b32 s4, s5
	s_and_saveexec_b32 s69, s70
; %bb.94:
	v_cmp_gt_f32_e64 s4, v0, v14
	s_and_b32 s4, s5, s4
	v_cndmask_b32_e64 v0, v14, v0, s4
	s_or_b32 s4, s5, exec_lo
; %bb.95:
	s_or_b32 exec_lo, exec_lo, s69
	s_andn2_b32 s5, s5, exec_lo
	s_and_b32 s4, s4, exec_lo
	s_or_b32 s5, s5, s4
	s_or_b32 exec_lo, exec_lo, s42
	s_and_saveexec_b32 s42, s53
	s_cbranch_execnz .LBB765_157
.LBB765_96:
	s_or_b32 exec_lo, exec_lo, s42
	s_and_saveexec_b32 s42, s52
	s_cbranch_execz .LBB765_160
.LBB765_97:
	global_load_ubyte v32, v[98:99], off offset:512
	s_waitcnt vmcnt(0)
	v_and_b32_e32 v32, 1, v32
	v_cmp_eq_u32_e64 s4, 1, v32
	s_xor_b32 s70, s4, -1
	s_mov_b32 s4, s5
	s_and_saveexec_b32 s69, s70
; %bb.98:
	v_cmp_gt_f32_e64 s4, v0, v16
	s_and_b32 s4, s5, s4
	v_cndmask_b32_e64 v0, v16, v0, s4
	s_or_b32 s4, s5, exec_lo
; %bb.99:
	s_or_b32 exec_lo, exec_lo, s69
	s_andn2_b32 s5, s5, exec_lo
	s_and_b32 s4, s4, exec_lo
	s_or_b32 s5, s5, s4
	s_or_b32 exec_lo, exec_lo, s42
	s_and_saveexec_b32 s42, s51
	s_cbranch_execnz .LBB765_161
.LBB765_100:
	s_or_b32 exec_lo, exec_lo, s42
	s_and_saveexec_b32 s42, s50
	s_cbranch_execz .LBB765_164
.LBB765_101:
	global_load_ubyte v32, v[98:99], off offset:576
	s_waitcnt vmcnt(0)
	v_and_b32_e32 v32, 1, v32
	v_cmp_eq_u32_e64 s4, 1, v32
	s_xor_b32 s70, s4, -1
	s_mov_b32 s4, s5
	s_and_saveexec_b32 s69, s70
; %bb.102:
	v_cmp_gt_f32_e64 s4, v0, v18
	s_and_b32 s4, s5, s4
	v_cndmask_b32_e64 v0, v18, v0, s4
	s_or_b32 s4, s5, exec_lo
; %bb.103:
	s_or_b32 exec_lo, exec_lo, s69
	s_andn2_b32 s5, s5, exec_lo
	s_and_b32 s4, s4, exec_lo
	s_or_b32 s5, s5, s4
	s_or_b32 exec_lo, exec_lo, s42
	s_and_saveexec_b32 s42, s49
	s_cbranch_execnz .LBB765_165
.LBB765_104:
	s_or_b32 exec_lo, exec_lo, s42
	s_and_saveexec_b32 s42, s48
	s_cbranch_execz .LBB765_168
.LBB765_105:
	global_load_ubyte v32, v[98:99], off offset:640
	s_waitcnt vmcnt(0)
	v_and_b32_e32 v32, 1, v32
	v_cmp_eq_u32_e64 s4, 1, v32
	s_xor_b32 s70, s4, -1
	s_mov_b32 s4, s5
	s_and_saveexec_b32 s69, s70
; %bb.106:
	v_cmp_gt_f32_e64 s4, v0, v20
	s_and_b32 s4, s5, s4
	v_cndmask_b32_e64 v0, v20, v0, s4
	s_or_b32 s4, s5, exec_lo
; %bb.107:
	s_or_b32 exec_lo, exec_lo, s69
	s_andn2_b32 s5, s5, exec_lo
	s_and_b32 s4, s4, exec_lo
	s_or_b32 s5, s5, s4
	s_or_b32 exec_lo, exec_lo, s42
	s_and_saveexec_b32 s42, s47
	s_cbranch_execnz .LBB765_169
.LBB765_108:
	s_or_b32 exec_lo, exec_lo, s42
	s_and_saveexec_b32 s42, s46
	s_cbranch_execz .LBB765_172
.LBB765_109:
	global_load_ubyte v32, v[98:99], off offset:704
	s_waitcnt vmcnt(0)
	v_and_b32_e32 v32, 1, v32
	v_cmp_eq_u32_e64 s4, 1, v32
	s_xor_b32 s70, s4, -1
	s_mov_b32 s4, s5
	s_and_saveexec_b32 s69, s70
; %bb.110:
	v_cmp_gt_f32_e64 s4, v0, v22
	s_and_b32 s4, s5, s4
	v_cndmask_b32_e64 v0, v22, v0, s4
	s_or_b32 s4, s5, exec_lo
; %bb.111:
	s_or_b32 exec_lo, exec_lo, s69
	s_andn2_b32 s5, s5, exec_lo
	s_and_b32 s4, s4, exec_lo
	s_or_b32 s5, s5, s4
	s_or_b32 exec_lo, exec_lo, s42
	s_and_saveexec_b32 s42, s45
	s_cbranch_execnz .LBB765_173
.LBB765_112:
	s_or_b32 exec_lo, exec_lo, s42
	s_and_saveexec_b32 s42, s44
	s_cbranch_execz .LBB765_176
.LBB765_113:
	global_load_ubyte v32, v[98:99], off offset:768
	s_waitcnt vmcnt(0)
	v_and_b32_e32 v32, 1, v32
	v_cmp_eq_u32_e64 s4, 1, v32
	s_xor_b32 s70, s4, -1
	s_mov_b32 s4, s5
	s_and_saveexec_b32 s69, s70
; %bb.114:
	v_cmp_gt_f32_e64 s4, v0, v24
	s_and_b32 s4, s5, s4
	v_cndmask_b32_e64 v0, v24, v0, s4
	s_or_b32 s4, s5, exec_lo
; %bb.115:
	s_or_b32 exec_lo, exec_lo, s69
	s_andn2_b32 s5, s5, exec_lo
	s_and_b32 s4, s4, exec_lo
	s_or_b32 s5, s5, s4
	s_or_b32 exec_lo, exec_lo, s42
	s_and_saveexec_b32 s42, s43
	s_cbranch_execnz .LBB765_177
.LBB765_116:
	s_or_b32 exec_lo, exec_lo, s42
	s_and_saveexec_b32 s42, s41
	s_cbranch_execz .LBB765_180
.LBB765_117:
	global_load_ubyte v32, v[98:99], off offset:832
	s_waitcnt vmcnt(0)
	v_and_b32_e32 v32, 1, v32
	v_cmp_eq_u32_e64 s4, 1, v32
	s_xor_b32 s70, s4, -1
	s_mov_b32 s4, s5
	s_and_saveexec_b32 s69, s70
; %bb.118:
	v_cmp_gt_f32_e64 s4, v0, v26
	s_and_b32 s4, s5, s4
	v_cndmask_b32_e64 v0, v26, v0, s4
	s_or_b32 s4, s5, exec_lo
; %bb.119:
	s_or_b32 exec_lo, exec_lo, s69
	s_andn2_b32 s5, s5, exec_lo
	s_and_b32 s4, s4, exec_lo
	s_or_b32 s5, s5, s4
	s_or_b32 exec_lo, exec_lo, s42
	s_and_saveexec_b32 s42, s40
	s_cbranch_execnz .LBB765_181
.LBB765_120:
	s_or_b32 exec_lo, exec_lo, s42
	s_and_saveexec_b32 s42, s39
	s_cbranch_execz .LBB765_184
.LBB765_121:
	global_load_ubyte v32, v[98:99], off offset:896
	s_waitcnt vmcnt(0)
	v_and_b32_e32 v32, 1, v32
	v_cmp_eq_u32_e64 s4, 1, v32
	s_xor_b32 s70, s4, -1
	s_mov_b32 s4, s5
	s_and_saveexec_b32 s69, s70
; %bb.122:
	v_cmp_gt_f32_e64 s4, v0, v28
	s_and_b32 s4, s5, s4
	v_cndmask_b32_e64 v0, v28, v0, s4
	s_or_b32 s4, s5, exec_lo
; %bb.123:
	s_or_b32 exec_lo, exec_lo, s69
	s_andn2_b32 s5, s5, exec_lo
	s_and_b32 s4, s4, exec_lo
	s_or_b32 s5, s5, s4
	s_or_b32 exec_lo, exec_lo, s42
	s_and_saveexec_b32 s42, s38
	s_cbranch_execnz .LBB765_185
.LBB765_124:
	s_or_b32 exec_lo, exec_lo, s42
	s_and_saveexec_b32 s42, s35
	s_cbranch_execz .LBB765_188
.LBB765_125:
	global_load_ubyte v32, v[98:99], off offset:960
	s_waitcnt vmcnt(0)
	v_and_b32_e32 v32, 1, v32
	v_cmp_eq_u32_e64 s4, 1, v32
	s_xor_b32 s70, s4, -1
	s_mov_b32 s4, s5
	s_and_saveexec_b32 s69, s70
; %bb.126:
	v_cmp_gt_f32_e64 s4, v0, v30
	s_and_b32 s4, s5, s4
	v_cndmask_b32_e64 v0, v30, v0, s4
	s_or_b32 s4, s5, exec_lo
; %bb.127:
	s_or_b32 exec_lo, exec_lo, s69
	s_andn2_b32 s5, s5, exec_lo
	s_and_b32 s4, s4, exec_lo
	s_or_b32 s5, s5, s4
	s_or_b32 exec_lo, exec_lo, s42
	s_and_saveexec_b32 s42, s34
	s_cbranch_execz .LBB765_192
	s_branch .LBB765_189
.LBB765_128:
	s_or_b32 exec_lo, exec_lo, s42
	v_mov_b32_e32 v0, v1
	s_and_saveexec_b32 s42, s68
	s_cbranch_execz .LBB765_68
.LBB765_129:
	global_load_ubyte v0, v[98:99], off offset:32
	s_waitcnt vmcnt(0)
	v_and_b32_e32 v0, 1, v0
	v_cmp_eq_u32_e64 s4, 1, v0
	v_mov_b32_e32 v0, v1
	s_xor_b32 s70, s4, -1
	s_mov_b32 s4, s5
	s_and_saveexec_b32 s69, s70
; %bb.130:
	v_cmp_gt_f32_e64 s4, v1, v64
	s_and_b32 s4, s5, s4
	v_cndmask_b32_e64 v0, v64, v1, s4
	s_or_b32 s4, s5, exec_lo
; %bb.131:
	s_or_b32 exec_lo, exec_lo, s69
	s_andn2_b32 s5, s5, exec_lo
	s_and_b32 s4, s4, exec_lo
	s_or_b32 s5, s5, s4
	s_or_b32 exec_lo, exec_lo, s42
	s_and_saveexec_b32 s42, s66
	s_cbranch_execnz .LBB765_69
.LBB765_132:
	s_or_b32 exec_lo, exec_lo, s42
	s_and_saveexec_b32 s42, s65
	s_cbranch_execz .LBB765_72
.LBB765_133:
	global_load_ubyte v32, v[98:99], off offset:96
	s_waitcnt vmcnt(0)
	v_and_b32_e32 v32, 1, v32
	v_cmp_eq_u32_e64 s4, 1, v32
	s_xor_b32 s70, s4, -1
	s_mov_b32 s4, s5
	s_and_saveexec_b32 s69, s70
; %bb.134:
	v_cmp_gt_f32_e64 s4, v0, v3
	s_and_b32 s4, s5, s4
	v_cndmask_b32_e64 v0, v3, v0, s4
	s_or_b32 s4, s5, exec_lo
; %bb.135:
	s_or_b32 exec_lo, exec_lo, s69
	s_andn2_b32 s5, s5, exec_lo
	s_and_b32 s4, s4, exec_lo
	s_or_b32 s5, s5, s4
	s_or_b32 exec_lo, exec_lo, s42
	s_and_saveexec_b32 s42, s64
	s_cbranch_execnz .LBB765_73
.LBB765_136:
	s_or_b32 exec_lo, exec_lo, s42
	s_and_saveexec_b32 s42, s63
	s_cbranch_execz .LBB765_76
.LBB765_137:
	global_load_ubyte v32, v[98:99], off offset:160
	s_waitcnt vmcnt(0)
	v_and_b32_e32 v32, 1, v32
	v_cmp_eq_u32_e64 s4, 1, v32
	s_xor_b32 s70, s4, -1
	s_mov_b32 s4, s5
	s_and_saveexec_b32 s69, s70
; %bb.138:
	v_cmp_gt_f32_e64 s4, v0, v5
	s_and_b32 s4, s5, s4
	v_cndmask_b32_e64 v0, v5, v0, s4
	s_or_b32 s4, s5, exec_lo
; %bb.139:
	s_or_b32 exec_lo, exec_lo, s69
	s_andn2_b32 s5, s5, exec_lo
	s_and_b32 s4, s4, exec_lo
	s_or_b32 s5, s5, s4
	s_or_b32 exec_lo, exec_lo, s42
	s_and_saveexec_b32 s42, s62
	s_cbranch_execnz .LBB765_77
.LBB765_140:
	s_or_b32 exec_lo, exec_lo, s42
	s_and_saveexec_b32 s42, s61
	s_cbranch_execz .LBB765_80
.LBB765_141:
	global_load_ubyte v32, v[98:99], off offset:224
	s_waitcnt vmcnt(0)
	v_and_b32_e32 v32, 1, v32
	v_cmp_eq_u32_e64 s4, 1, v32
	s_xor_b32 s70, s4, -1
	s_mov_b32 s4, s5
	s_and_saveexec_b32 s69, s70
; %bb.142:
	v_cmp_gt_f32_e64 s4, v0, v7
	s_and_b32 s4, s5, s4
	v_cndmask_b32_e64 v0, v7, v0, s4
	s_or_b32 s4, s5, exec_lo
; %bb.143:
	s_or_b32 exec_lo, exec_lo, s69
	s_andn2_b32 s5, s5, exec_lo
	s_and_b32 s4, s4, exec_lo
	s_or_b32 s5, s5, s4
	s_or_b32 exec_lo, exec_lo, s42
	s_and_saveexec_b32 s42, s60
	s_cbranch_execnz .LBB765_81
.LBB765_144:
	s_or_b32 exec_lo, exec_lo, s42
	s_and_saveexec_b32 s42, s59
	s_cbranch_execz .LBB765_84
.LBB765_145:
	global_load_ubyte v32, v[98:99], off offset:288
	s_waitcnt vmcnt(0)
	v_and_b32_e32 v32, 1, v32
	v_cmp_eq_u32_e64 s4, 1, v32
	s_xor_b32 s70, s4, -1
	s_mov_b32 s4, s5
	s_and_saveexec_b32 s69, s70
; %bb.146:
	v_cmp_gt_f32_e64 s4, v0, v9
	s_and_b32 s4, s5, s4
	v_cndmask_b32_e64 v0, v9, v0, s4
	s_or_b32 s4, s5, exec_lo
; %bb.147:
	s_or_b32 exec_lo, exec_lo, s69
	s_andn2_b32 s5, s5, exec_lo
	s_and_b32 s4, s4, exec_lo
	s_or_b32 s5, s5, s4
	s_or_b32 exec_lo, exec_lo, s42
	s_and_saveexec_b32 s42, s58
	s_cbranch_execnz .LBB765_85
.LBB765_148:
	s_or_b32 exec_lo, exec_lo, s42
	s_and_saveexec_b32 s42, s57
	s_cbranch_execz .LBB765_88
.LBB765_149:
	global_load_ubyte v32, v[98:99], off offset:352
	s_waitcnt vmcnt(0)
	v_and_b32_e32 v32, 1, v32
	v_cmp_eq_u32_e64 s4, 1, v32
	s_xor_b32 s70, s4, -1
	s_mov_b32 s4, s5
	s_and_saveexec_b32 s69, s70
; %bb.150:
	v_cmp_gt_f32_e64 s4, v0, v11
	s_and_b32 s4, s5, s4
	v_cndmask_b32_e64 v0, v11, v0, s4
	s_or_b32 s4, s5, exec_lo
; %bb.151:
	s_or_b32 exec_lo, exec_lo, s69
	s_andn2_b32 s5, s5, exec_lo
	s_and_b32 s4, s4, exec_lo
	s_or_b32 s5, s5, s4
	s_or_b32 exec_lo, exec_lo, s42
	s_and_saveexec_b32 s42, s56
	s_cbranch_execnz .LBB765_89
.LBB765_152:
	s_or_b32 exec_lo, exec_lo, s42
	s_and_saveexec_b32 s42, s55
	s_cbranch_execz .LBB765_92
.LBB765_153:
	global_load_ubyte v32, v[98:99], off offset:416
	s_waitcnt vmcnt(0)
	v_and_b32_e32 v32, 1, v32
	v_cmp_eq_u32_e64 s4, 1, v32
	s_xor_b32 s70, s4, -1
	s_mov_b32 s4, s5
	s_and_saveexec_b32 s69, s70
; %bb.154:
	v_cmp_gt_f32_e64 s4, v0, v13
	s_and_b32 s4, s5, s4
	v_cndmask_b32_e64 v0, v13, v0, s4
	s_or_b32 s4, s5, exec_lo
; %bb.155:
	s_or_b32 exec_lo, exec_lo, s69
	s_andn2_b32 s5, s5, exec_lo
	s_and_b32 s4, s4, exec_lo
	s_or_b32 s5, s5, s4
	s_or_b32 exec_lo, exec_lo, s42
	s_and_saveexec_b32 s42, s54
	s_cbranch_execnz .LBB765_93
.LBB765_156:
	s_or_b32 exec_lo, exec_lo, s42
	s_and_saveexec_b32 s42, s53
	s_cbranch_execz .LBB765_96
.LBB765_157:
	global_load_ubyte v32, v[98:99], off offset:480
	s_waitcnt vmcnt(0)
	v_and_b32_e32 v32, 1, v32
	v_cmp_eq_u32_e64 s4, 1, v32
	s_xor_b32 s70, s4, -1
	s_mov_b32 s4, s5
	s_and_saveexec_b32 s69, s70
; %bb.158:
	v_cmp_gt_f32_e64 s4, v0, v15
	s_and_b32 s4, s5, s4
	v_cndmask_b32_e64 v0, v15, v0, s4
	s_or_b32 s4, s5, exec_lo
; %bb.159:
	s_or_b32 exec_lo, exec_lo, s69
	s_andn2_b32 s5, s5, exec_lo
	s_and_b32 s4, s4, exec_lo
	s_or_b32 s5, s5, s4
	s_or_b32 exec_lo, exec_lo, s42
	s_and_saveexec_b32 s42, s52
	s_cbranch_execnz .LBB765_97
.LBB765_160:
	s_or_b32 exec_lo, exec_lo, s42
	s_and_saveexec_b32 s42, s51
	s_cbranch_execz .LBB765_100
.LBB765_161:
	global_load_ubyte v32, v[98:99], off offset:544
	s_waitcnt vmcnt(0)
	v_and_b32_e32 v32, 1, v32
	v_cmp_eq_u32_e64 s4, 1, v32
	s_xor_b32 s70, s4, -1
	s_mov_b32 s4, s5
	s_and_saveexec_b32 s69, s70
; %bb.162:
	v_cmp_gt_f32_e64 s4, v0, v17
	s_and_b32 s4, s5, s4
	v_cndmask_b32_e64 v0, v17, v0, s4
	s_or_b32 s4, s5, exec_lo
; %bb.163:
	s_or_b32 exec_lo, exec_lo, s69
	s_andn2_b32 s5, s5, exec_lo
	s_and_b32 s4, s4, exec_lo
	s_or_b32 s5, s5, s4
	s_or_b32 exec_lo, exec_lo, s42
	s_and_saveexec_b32 s42, s50
	s_cbranch_execnz .LBB765_101
.LBB765_164:
	s_or_b32 exec_lo, exec_lo, s42
	s_and_saveexec_b32 s42, s49
	s_cbranch_execz .LBB765_104
.LBB765_165:
	global_load_ubyte v32, v[98:99], off offset:608
	s_waitcnt vmcnt(0)
	v_and_b32_e32 v32, 1, v32
	v_cmp_eq_u32_e64 s4, 1, v32
	s_xor_b32 s70, s4, -1
	s_mov_b32 s4, s5
	s_and_saveexec_b32 s69, s70
; %bb.166:
	v_cmp_gt_f32_e64 s4, v0, v19
	s_and_b32 s4, s5, s4
	v_cndmask_b32_e64 v0, v19, v0, s4
	s_or_b32 s4, s5, exec_lo
; %bb.167:
	s_or_b32 exec_lo, exec_lo, s69
	s_andn2_b32 s5, s5, exec_lo
	s_and_b32 s4, s4, exec_lo
	s_or_b32 s5, s5, s4
	s_or_b32 exec_lo, exec_lo, s42
	s_and_saveexec_b32 s42, s48
	s_cbranch_execnz .LBB765_105
.LBB765_168:
	s_or_b32 exec_lo, exec_lo, s42
	s_and_saveexec_b32 s42, s47
	s_cbranch_execz .LBB765_108
.LBB765_169:
	global_load_ubyte v32, v[98:99], off offset:672
	s_waitcnt vmcnt(0)
	v_and_b32_e32 v32, 1, v32
	v_cmp_eq_u32_e64 s4, 1, v32
	s_xor_b32 s70, s4, -1
	s_mov_b32 s4, s5
	s_and_saveexec_b32 s69, s70
; %bb.170:
	v_cmp_gt_f32_e64 s4, v0, v21
	s_and_b32 s4, s5, s4
	v_cndmask_b32_e64 v0, v21, v0, s4
	s_or_b32 s4, s5, exec_lo
; %bb.171:
	s_or_b32 exec_lo, exec_lo, s69
	s_andn2_b32 s5, s5, exec_lo
	s_and_b32 s4, s4, exec_lo
	s_or_b32 s5, s5, s4
	s_or_b32 exec_lo, exec_lo, s42
	s_and_saveexec_b32 s42, s46
	s_cbranch_execnz .LBB765_109
.LBB765_172:
	s_or_b32 exec_lo, exec_lo, s42
	s_and_saveexec_b32 s42, s45
	s_cbranch_execz .LBB765_112
.LBB765_173:
	global_load_ubyte v32, v[98:99], off offset:736
	s_waitcnt vmcnt(0)
	v_and_b32_e32 v32, 1, v32
	v_cmp_eq_u32_e64 s4, 1, v32
	s_xor_b32 s70, s4, -1
	s_mov_b32 s4, s5
	s_and_saveexec_b32 s69, s70
; %bb.174:
	v_cmp_gt_f32_e64 s4, v0, v23
	s_and_b32 s4, s5, s4
	v_cndmask_b32_e64 v0, v23, v0, s4
	s_or_b32 s4, s5, exec_lo
; %bb.175:
	s_or_b32 exec_lo, exec_lo, s69
	s_andn2_b32 s5, s5, exec_lo
	s_and_b32 s4, s4, exec_lo
	s_or_b32 s5, s5, s4
	s_or_b32 exec_lo, exec_lo, s42
	s_and_saveexec_b32 s42, s44
	s_cbranch_execnz .LBB765_113
.LBB765_176:
	s_or_b32 exec_lo, exec_lo, s42
	s_and_saveexec_b32 s42, s43
	s_cbranch_execz .LBB765_116
.LBB765_177:
	global_load_ubyte v32, v[98:99], off offset:800
	s_waitcnt vmcnt(0)
	v_and_b32_e32 v32, 1, v32
	v_cmp_eq_u32_e64 s4, 1, v32
	s_xor_b32 s70, s4, -1
	s_mov_b32 s4, s5
	s_and_saveexec_b32 s69, s70
; %bb.178:
	v_cmp_gt_f32_e64 s4, v0, v25
	s_and_b32 s4, s5, s4
	v_cndmask_b32_e64 v0, v25, v0, s4
	s_or_b32 s4, s5, exec_lo
; %bb.179:
	s_or_b32 exec_lo, exec_lo, s69
	s_andn2_b32 s5, s5, exec_lo
	s_and_b32 s4, s4, exec_lo
	s_or_b32 s5, s5, s4
	s_or_b32 exec_lo, exec_lo, s42
	s_and_saveexec_b32 s42, s41
	s_cbranch_execnz .LBB765_117
.LBB765_180:
	s_or_b32 exec_lo, exec_lo, s42
	s_and_saveexec_b32 s42, s40
	s_cbranch_execz .LBB765_120
.LBB765_181:
	global_load_ubyte v32, v[98:99], off offset:864
	s_waitcnt vmcnt(0)
	v_and_b32_e32 v32, 1, v32
	v_cmp_eq_u32_e64 s4, 1, v32
	s_xor_b32 s70, s4, -1
	s_mov_b32 s4, s5
	s_and_saveexec_b32 s69, s70
; %bb.182:
	v_cmp_gt_f32_e64 s4, v0, v27
	s_and_b32 s4, s5, s4
	v_cndmask_b32_e64 v0, v27, v0, s4
	s_or_b32 s4, s5, exec_lo
; %bb.183:
	s_or_b32 exec_lo, exec_lo, s69
	s_andn2_b32 s5, s5, exec_lo
	s_and_b32 s4, s4, exec_lo
	s_or_b32 s5, s5, s4
	s_or_b32 exec_lo, exec_lo, s42
	s_and_saveexec_b32 s42, s39
	s_cbranch_execnz .LBB765_121
.LBB765_184:
	s_or_b32 exec_lo, exec_lo, s42
	s_and_saveexec_b32 s42, s38
	s_cbranch_execz .LBB765_124
.LBB765_185:
	global_load_ubyte v32, v[98:99], off offset:928
	s_waitcnt vmcnt(0)
	v_and_b32_e32 v32, 1, v32
	v_cmp_eq_u32_e64 s4, 1, v32
	s_xor_b32 s70, s4, -1
	s_mov_b32 s4, s5
	s_and_saveexec_b32 s69, s70
; %bb.186:
	v_cmp_gt_f32_e64 s4, v0, v29
	s_and_b32 s4, s5, s4
	v_cndmask_b32_e64 v0, v29, v0, s4
	s_or_b32 s4, s5, exec_lo
; %bb.187:
	s_or_b32 exec_lo, exec_lo, s69
	s_andn2_b32 s5, s5, exec_lo
	s_and_b32 s4, s4, exec_lo
	s_or_b32 s5, s5, s4
	s_or_b32 exec_lo, exec_lo, s42
	s_and_saveexec_b32 s42, s35
	s_cbranch_execnz .LBB765_125
.LBB765_188:
	s_or_b32 exec_lo, exec_lo, s42
	s_and_saveexec_b32 s42, s34
	s_cbranch_execz .LBB765_192
.LBB765_189:
	global_load_ubyte v32, v[98:99], off offset:992
	s_waitcnt vmcnt(0)
	v_and_b32_e32 v32, 1, v32
	v_cmp_eq_u32_e64 s4, 1, v32
	s_xor_b32 s70, s4, -1
	s_mov_b32 s4, s5
	s_and_saveexec_b32 s69, s70
; %bb.190:
	v_cmp_gt_f32_e64 s4, v0, v31
	s_and_b32 s4, s5, s4
	v_cndmask_b32_e64 v0, v31, v0, s4
	s_or_b32 s4, s5, exec_lo
; %bb.191:
	s_or_b32 exec_lo, exec_lo, s69
	s_andn2_b32 s5, s5, exec_lo
	s_and_b32 s4, s4, exec_lo
	s_or_b32 s5, s5, s4
.LBB765_192:
	s_or_b32 exec_lo, exec_lo, s42
	v_mbcnt_lo_u32_b32 v32, -1, 0
	v_cndmask_b32_e64 v0, 0xff800000, v0, s5
	s_xor_b32 s5, s68, -1
	v_xor_b32_e32 v33, 16, v32
	v_xor_b32_e32 v34, 8, v32
	v_cmp_gt_i32_e64 s4, 32, v33
	v_cndmask_b32_e64 v33, v32, v33, s4
	v_cmp_gt_i32_e64 s4, 32, v34
	v_lshlrev_b32_e32 v101, 2, v33
	v_cndmask_b32_e64 v34, v32, v34, s4
	ds_bpermute_b32 v33, v101, v0
	v_lshlrev_b32_e32 v102, 2, v34
	v_xor_b32_e32 v34, 4, v32
	s_waitcnt lgkmcnt(0)
	v_cmp_lt_f32_e64 s4, v0, v33
	v_cndmask_b32_e64 v0, v0, v33, s4
	v_cmp_gt_i32_e64 s4, 32, v34
	ds_bpermute_b32 v33, v102, v0
	v_cndmask_b32_e64 v34, v32, v34, s4
	v_lshlrev_b32_e32 v103, 2, v34
	v_xor_b32_e32 v34, 2, v32
	s_waitcnt lgkmcnt(0)
	v_cmp_lt_f32_e64 s4, v0, v33
	v_cndmask_b32_e64 v0, v0, v33, s4
	v_cmp_gt_i32_e64 s4, 32, v34
	ds_bpermute_b32 v33, v103, v0
	v_cndmask_b32_e64 v34, v32, v34, s4
	;; [unrolled: 8-line block ×3, first 2 shown]
	v_lshlrev_b32_e32 v105, 2, v32
	s_waitcnt lgkmcnt(0)
	v_cmp_lt_f32_e64 s4, v0, v33
	v_cndmask_b32_e64 v0, v0, v33, s4
	ds_bpermute_b32 v32, v105, v0
	s_waitcnt lgkmcnt(0)
	v_cmp_lt_f32_e64 s4, v0, v32
	v_cndmask_b32_e64 v106, v0, v32, s4
	v_mov_b32_e32 v0, 0
	s_and_saveexec_b32 s42, s67
	s_cbranch_execz .LBB765_196
; %bb.193:
	global_load_ubyte v0, v[98:99], off
	s_waitcnt vmcnt(0)
	v_and_b32_e32 v0, 1, v0
	v_cmp_eq_u32_e64 s4, 1, v0
	v_mov_b32_e32 v0, 0
	s_xor_b32 s4, s4, -1
	s_and_saveexec_b32 s67, s4
	s_cbranch_execz .LBB765_195
; %bb.194:
	v_sub_f32_e32 v0, v1, v106
	v_mul_f32_e32 v1, 0x3fb8aa3b, v0
	v_cmp_ngt_f32_e64 s4, 0xc2ce8ed0, v0
	v_fma_f32 v32, 0x3fb8aa3b, v0, -v1
	v_rndne_f32_e32 v33, v1
	v_fmamk_f32 v32, v0, 0x32a5705f, v32
	v_sub_f32_e32 v1, v1, v33
	v_add_f32_e32 v1, v1, v32
	v_cvt_i32_f32_e32 v32, v33
	v_exp_f32_e32 v1, v1
	v_ldexp_f32 v1, v1, v32
	v_cndmask_b32_e64 v1, 0, v1, s4
	v_cmp_nlt_f32_e64 s4, 0x42b17218, v0
	v_cndmask_b32_e64 v0, 0x7f800000, v1, s4
.LBB765_195:
	s_or_b32 exec_lo, exec_lo, s67
.LBB765_196:
	s_or_b32 exec_lo, exec_lo, s42
                                        ; implicit-def: $vgpr32_vgpr33_vgpr34_vgpr35_vgpr36_vgpr37_vgpr38_vgpr39_vgpr40_vgpr41_vgpr42_vgpr43_vgpr44_vgpr45_vgpr46_vgpr47_vgpr48_vgpr49_vgpr50_vgpr51_vgpr52_vgpr53_vgpr54_vgpr55_vgpr56_vgpr57_vgpr58_vgpr59_vgpr60_vgpr61_vgpr62_vgpr63
	s_and_saveexec_b32 s4, s5
	s_xor_b32 s4, exec_lo, s4
	s_cbranch_execz .LBB765_258
; %bb.197:
	s_mov_b32 s5, 0
                                        ; implicit-def: $vgpr64
	v_mov_b32_e32 v1, s5
	v_mov_b32_e32 v63, v31
	;; [unrolled: 1-line block ×33, first 2 shown]
	s_or_saveexec_b32 s42, s4
	s_xor_b32 s5, s66, -1
	s_xor_b32 exec_lo, exec_lo, s42
	s_cbranch_execnz .LBB765_259
.LBB765_198:
	s_or_b32 exec_lo, exec_lo, s42
                                        ; implicit-def: $vgpr64_vgpr65_vgpr66_vgpr67_vgpr68_vgpr69_vgpr70_vgpr71_vgpr72_vgpr73_vgpr74_vgpr75_vgpr76_vgpr77_vgpr78_vgpr79_vgpr80_vgpr81_vgpr82_vgpr83_vgpr84_vgpr85_vgpr86_vgpr87_vgpr88_vgpr89_vgpr90_vgpr91_vgpr92_vgpr93_vgpr94_vgpr95
	s_and_saveexec_b32 s4, s5
	s_xor_b32 s4, exec_lo, s4
	s_cbranch_execz .LBB765_262
.LBB765_199:
	s_mov_b32 s5, 0
	v_mov_b32_e32 v34, s5
	v_mov_b32_e32 v95, v63
	;; [unrolled: 1-line block ×33, first 2 shown]
                                        ; implicit-def: $vgpr32_vgpr33_vgpr34_vgpr35_vgpr36_vgpr37_vgpr38_vgpr39_vgpr40_vgpr41_vgpr42_vgpr43_vgpr44_vgpr45_vgpr46_vgpr47_vgpr48_vgpr49_vgpr50_vgpr51_vgpr52_vgpr53_vgpr54_vgpr55_vgpr56_vgpr57_vgpr58_vgpr59_vgpr60_vgpr61_vgpr62_vgpr63
	s_or_saveexec_b32 s42, s4
	s_xor_b32 s5, s65, -1
	s_xor_b32 exec_lo, exec_lo, s42
	s_cbranch_execnz .LBB765_263
.LBB765_200:
	s_or_b32 exec_lo, exec_lo, s42
                                        ; implicit-def: $vgpr1_vgpr2_vgpr3_vgpr4_vgpr5_vgpr6_vgpr7_vgpr8_vgpr9_vgpr10_vgpr11_vgpr12_vgpr13_vgpr14_vgpr15_vgpr16_vgpr17_vgpr18_vgpr19_vgpr20_vgpr21_vgpr22_vgpr23_vgpr24_vgpr25_vgpr26_vgpr27_vgpr28_vgpr29_vgpr30_vgpr31_vgpr32
	s_and_saveexec_b32 s4, s5
	s_xor_b32 s4, exec_lo, s4
	s_cbranch_execz .LBB765_266
.LBB765_201:
	s_mov_b32 s5, 0
	v_mov_b32_e32 v67, s5
	v_mov_b32_e32 v1, v64
	;; [unrolled: 1-line block ×33, first 2 shown]
                                        ; implicit-def: $vgpr64_vgpr65_vgpr66_vgpr67_vgpr68_vgpr69_vgpr70_vgpr71_vgpr72_vgpr73_vgpr74_vgpr75_vgpr76_vgpr77_vgpr78_vgpr79_vgpr80_vgpr81_vgpr82_vgpr83_vgpr84_vgpr85_vgpr86_vgpr87_vgpr88_vgpr89_vgpr90_vgpr91_vgpr92_vgpr93_vgpr94_vgpr95
	s_or_saveexec_b32 s42, s4
	s_xor_b32 s5, s64, -1
	s_xor_b32 exec_lo, exec_lo, s42
	s_cbranch_execnz .LBB765_267
.LBB765_202:
	s_or_b32 exec_lo, exec_lo, s42
                                        ; implicit-def: $vgpr33_vgpr34_vgpr35_vgpr36_vgpr37_vgpr38_vgpr39_vgpr40_vgpr41_vgpr42_vgpr43_vgpr44_vgpr45_vgpr46_vgpr47_vgpr48_vgpr49_vgpr50_vgpr51_vgpr52_vgpr53_vgpr54_vgpr55_vgpr56_vgpr57_vgpr58_vgpr59_vgpr60_vgpr61_vgpr62_vgpr63_vgpr64
	s_and_saveexec_b32 s4, s5
	s_xor_b32 s4, exec_lo, s4
	s_cbranch_execz .LBB765_270
.LBB765_203:
	s_mov_b32 s5, 0
	v_mov_b32_e32 v5, s5
	v_mov_b32_e32 v64, v32
	;; [unrolled: 1-line block ×33, first 2 shown]
                                        ; implicit-def: $vgpr1_vgpr2_vgpr3_vgpr4_vgpr5_vgpr6_vgpr7_vgpr8_vgpr9_vgpr10_vgpr11_vgpr12_vgpr13_vgpr14_vgpr15_vgpr16_vgpr17_vgpr18_vgpr19_vgpr20_vgpr21_vgpr22_vgpr23_vgpr24_vgpr25_vgpr26_vgpr27_vgpr28_vgpr29_vgpr30_vgpr31_vgpr32
	s_or_saveexec_b32 s42, s4
	s_xor_b32 s5, s63, -1
	s_xor_b32 exec_lo, exec_lo, s42
	s_cbranch_execnz .LBB765_271
.LBB765_204:
	s_or_b32 exec_lo, exec_lo, s42
                                        ; implicit-def: $vgpr1_vgpr2_vgpr3_vgpr4_vgpr5_vgpr6_vgpr7_vgpr8_vgpr9_vgpr10_vgpr11_vgpr12_vgpr13_vgpr14_vgpr15_vgpr16_vgpr17_vgpr18_vgpr19_vgpr20_vgpr21_vgpr22_vgpr23_vgpr24_vgpr25_vgpr26_vgpr27_vgpr28_vgpr29_vgpr30_vgpr31_vgpr32
	s_and_saveexec_b32 s4, s5
	s_xor_b32 s4, exec_lo, s4
	s_cbranch_execz .LBB765_274
.LBB765_205:
	s_mov_b32 s5, 0
	v_mov_b32_e32 v38, s5
	v_mov_b32_e32 v1, v33
	;; [unrolled: 1-line block ×33, first 2 shown]
                                        ; implicit-def: $vgpr33_vgpr34_vgpr35_vgpr36_vgpr37_vgpr38_vgpr39_vgpr40_vgpr41_vgpr42_vgpr43_vgpr44_vgpr45_vgpr46_vgpr47_vgpr48_vgpr49_vgpr50_vgpr51_vgpr52_vgpr53_vgpr54_vgpr55_vgpr56_vgpr57_vgpr58_vgpr59_vgpr60_vgpr61_vgpr62_vgpr63_vgpr64
	s_or_saveexec_b32 s42, s4
	s_xor_b32 s5, s62, -1
	s_xor_b32 exec_lo, exec_lo, s42
	s_cbranch_execnz .LBB765_275
.LBB765_206:
	s_or_b32 exec_lo, exec_lo, s42
                                        ; implicit-def: $vgpr33_vgpr34_vgpr35_vgpr36_vgpr37_vgpr38_vgpr39_vgpr40_vgpr41_vgpr42_vgpr43_vgpr44_vgpr45_vgpr46_vgpr47_vgpr48_vgpr49_vgpr50_vgpr51_vgpr52_vgpr53_vgpr54_vgpr55_vgpr56_vgpr57_vgpr58_vgpr59_vgpr60_vgpr61_vgpr62_vgpr63_vgpr64
	s_and_saveexec_b32 s4, s5
	s_xor_b32 s4, exec_lo, s4
	s_cbranch_execz .LBB765_278
.LBB765_207:
	s_mov_b32 s5, 0
	v_mov_b32_e32 v7, s5
	v_mov_b32_e32 v64, v32
	;; [unrolled: 1-line block ×33, first 2 shown]
                                        ; implicit-def: $vgpr1_vgpr2_vgpr3_vgpr4_vgpr5_vgpr6_vgpr7_vgpr8_vgpr9_vgpr10_vgpr11_vgpr12_vgpr13_vgpr14_vgpr15_vgpr16_vgpr17_vgpr18_vgpr19_vgpr20_vgpr21_vgpr22_vgpr23_vgpr24_vgpr25_vgpr26_vgpr27_vgpr28_vgpr29_vgpr30_vgpr31_vgpr32
	s_or_saveexec_b32 s42, s4
	s_xor_b32 s5, s61, -1
	s_xor_b32 exec_lo, exec_lo, s42
	s_cbranch_execnz .LBB765_279
.LBB765_208:
	s_or_b32 exec_lo, exec_lo, s42
                                        ; implicit-def: $vgpr1_vgpr2_vgpr3_vgpr4_vgpr5_vgpr6_vgpr7_vgpr8_vgpr9_vgpr10_vgpr11_vgpr12_vgpr13_vgpr14_vgpr15_vgpr16_vgpr17_vgpr18_vgpr19_vgpr20_vgpr21_vgpr22_vgpr23_vgpr24_vgpr25_vgpr26_vgpr27_vgpr28_vgpr29_vgpr30_vgpr31_vgpr32
	s_and_saveexec_b32 s4, s5
	s_xor_b32 s4, exec_lo, s4
	s_cbranch_execz .LBB765_282
.LBB765_209:
	s_mov_b32 s5, 0
	v_mov_b32_e32 v40, s5
	v_mov_b32_e32 v1, v33
	;; [unrolled: 1-line block ×33, first 2 shown]
                                        ; implicit-def: $vgpr33_vgpr34_vgpr35_vgpr36_vgpr37_vgpr38_vgpr39_vgpr40_vgpr41_vgpr42_vgpr43_vgpr44_vgpr45_vgpr46_vgpr47_vgpr48_vgpr49_vgpr50_vgpr51_vgpr52_vgpr53_vgpr54_vgpr55_vgpr56_vgpr57_vgpr58_vgpr59_vgpr60_vgpr61_vgpr62_vgpr63_vgpr64
	s_or_saveexec_b32 s42, s4
	s_xor_b32 s5, s60, -1
	s_xor_b32 exec_lo, exec_lo, s42
	s_cbranch_execnz .LBB765_283
.LBB765_210:
	s_or_b32 exec_lo, exec_lo, s42
                                        ; implicit-def: $vgpr33_vgpr34_vgpr35_vgpr36_vgpr37_vgpr38_vgpr39_vgpr40_vgpr41_vgpr42_vgpr43_vgpr44_vgpr45_vgpr46_vgpr47_vgpr48_vgpr49_vgpr50_vgpr51_vgpr52_vgpr53_vgpr54_vgpr55_vgpr56_vgpr57_vgpr58_vgpr59_vgpr60_vgpr61_vgpr62_vgpr63_vgpr64
	s_and_saveexec_b32 s4, s5
	s_xor_b32 s4, exec_lo, s4
	s_cbranch_execz .LBB765_286
.LBB765_211:
	s_mov_b32 s5, 0
	v_mov_b32_e32 v9, s5
	v_mov_b32_e32 v64, v32
	;; [unrolled: 1-line block ×33, first 2 shown]
                                        ; implicit-def: $vgpr1_vgpr2_vgpr3_vgpr4_vgpr5_vgpr6_vgpr7_vgpr8_vgpr9_vgpr10_vgpr11_vgpr12_vgpr13_vgpr14_vgpr15_vgpr16_vgpr17_vgpr18_vgpr19_vgpr20_vgpr21_vgpr22_vgpr23_vgpr24_vgpr25_vgpr26_vgpr27_vgpr28_vgpr29_vgpr30_vgpr31_vgpr32
	s_or_saveexec_b32 s42, s4
	s_xor_b32 s5, s59, -1
	s_xor_b32 exec_lo, exec_lo, s42
	s_cbranch_execnz .LBB765_287
.LBB765_212:
	s_or_b32 exec_lo, exec_lo, s42
                                        ; implicit-def: $vgpr1_vgpr2_vgpr3_vgpr4_vgpr5_vgpr6_vgpr7_vgpr8_vgpr9_vgpr10_vgpr11_vgpr12_vgpr13_vgpr14_vgpr15_vgpr16_vgpr17_vgpr18_vgpr19_vgpr20_vgpr21_vgpr22_vgpr23_vgpr24_vgpr25_vgpr26_vgpr27_vgpr28_vgpr29_vgpr30_vgpr31_vgpr32
	s_and_saveexec_b32 s4, s5
	s_xor_b32 s4, exec_lo, s4
	s_cbranch_execz .LBB765_290
.LBB765_213:
	s_mov_b32 s5, 0
	v_mov_b32_e32 v42, s5
	v_mov_b32_e32 v1, v33
	v_mov_b32_e32 v2, v34
	v_mov_b32_e32 v3, v35
	v_mov_b32_e32 v4, v36
	v_mov_b32_e32 v5, v37
	v_mov_b32_e32 v6, v38
	v_mov_b32_e32 v7, v39
	v_mov_b32_e32 v8, v40
	v_mov_b32_e32 v9, v41
	v_mov_b32_e32 v10, v42
	v_mov_b32_e32 v11, v43
	v_mov_b32_e32 v12, v44
	v_mov_b32_e32 v13, v45
	v_mov_b32_e32 v14, v46
	v_mov_b32_e32 v15, v47
	v_mov_b32_e32 v16, v48
	v_mov_b32_e32 v17, v49
	v_mov_b32_e32 v18, v50
	v_mov_b32_e32 v19, v51
	v_mov_b32_e32 v20, v52
	v_mov_b32_e32 v21, v53
	v_mov_b32_e32 v22, v54
	v_mov_b32_e32 v23, v55
	v_mov_b32_e32 v24, v56
	v_mov_b32_e32 v25, v57
	v_mov_b32_e32 v26, v58
	v_mov_b32_e32 v27, v59
	v_mov_b32_e32 v28, v60
	v_mov_b32_e32 v29, v61
	v_mov_b32_e32 v30, v62
	v_mov_b32_e32 v31, v63
	v_mov_b32_e32 v32, v64
                                        ; implicit-def: $vgpr33_vgpr34_vgpr35_vgpr36_vgpr37_vgpr38_vgpr39_vgpr40_vgpr41_vgpr42_vgpr43_vgpr44_vgpr45_vgpr46_vgpr47_vgpr48_vgpr49_vgpr50_vgpr51_vgpr52_vgpr53_vgpr54_vgpr55_vgpr56_vgpr57_vgpr58_vgpr59_vgpr60_vgpr61_vgpr62_vgpr63_vgpr64
	s_or_saveexec_b32 s42, s4
	s_xor_b32 s5, s58, -1
	s_xor_b32 exec_lo, exec_lo, s42
	s_cbranch_execnz .LBB765_291
.LBB765_214:
	s_or_b32 exec_lo, exec_lo, s42
                                        ; implicit-def: $vgpr33_vgpr34_vgpr35_vgpr36_vgpr37_vgpr38_vgpr39_vgpr40_vgpr41_vgpr42_vgpr43_vgpr44_vgpr45_vgpr46_vgpr47_vgpr48_vgpr49_vgpr50_vgpr51_vgpr52_vgpr53_vgpr54_vgpr55_vgpr56_vgpr57_vgpr58_vgpr59_vgpr60_vgpr61_vgpr62_vgpr63_vgpr64
	s_and_saveexec_b32 s4, s5
	s_xor_b32 s4, exec_lo, s4
	s_cbranch_execz .LBB765_294
.LBB765_215:
	s_mov_b32 s5, 0
	v_mov_b32_e32 v11, s5
	v_mov_b32_e32 v64, v32
	v_mov_b32_e32 v63, v31
	v_mov_b32_e32 v62, v30
	v_mov_b32_e32 v61, v29
	v_mov_b32_e32 v60, v28
	v_mov_b32_e32 v59, v27
	v_mov_b32_e32 v58, v26
	v_mov_b32_e32 v57, v25
	v_mov_b32_e32 v56, v24
	v_mov_b32_e32 v55, v23
	v_mov_b32_e32 v54, v22
	v_mov_b32_e32 v53, v21
	v_mov_b32_e32 v52, v20
	v_mov_b32_e32 v51, v19
	v_mov_b32_e32 v50, v18
	v_mov_b32_e32 v49, v17
	v_mov_b32_e32 v48, v16
	v_mov_b32_e32 v47, v15
	v_mov_b32_e32 v46, v14
	v_mov_b32_e32 v45, v13
	v_mov_b32_e32 v44, v12
	v_mov_b32_e32 v43, v11
	v_mov_b32_e32 v42, v10
	v_mov_b32_e32 v41, v9
	v_mov_b32_e32 v40, v8
	v_mov_b32_e32 v39, v7
	v_mov_b32_e32 v38, v6
	v_mov_b32_e32 v37, v5
	v_mov_b32_e32 v36, v4
	v_mov_b32_e32 v35, v3
	v_mov_b32_e32 v34, v2
	v_mov_b32_e32 v33, v1
                                        ; implicit-def: $vgpr1_vgpr2_vgpr3_vgpr4_vgpr5_vgpr6_vgpr7_vgpr8_vgpr9_vgpr10_vgpr11_vgpr12_vgpr13_vgpr14_vgpr15_vgpr16_vgpr17_vgpr18_vgpr19_vgpr20_vgpr21_vgpr22_vgpr23_vgpr24_vgpr25_vgpr26_vgpr27_vgpr28_vgpr29_vgpr30_vgpr31_vgpr32
	s_or_saveexec_b32 s42, s4
	s_xor_b32 s5, s57, -1
	s_xor_b32 exec_lo, exec_lo, s42
	s_cbranch_execnz .LBB765_295
.LBB765_216:
	s_or_b32 exec_lo, exec_lo, s42
                                        ; implicit-def: $vgpr1_vgpr2_vgpr3_vgpr4_vgpr5_vgpr6_vgpr7_vgpr8_vgpr9_vgpr10_vgpr11_vgpr12_vgpr13_vgpr14_vgpr15_vgpr16_vgpr17_vgpr18_vgpr19_vgpr20_vgpr21_vgpr22_vgpr23_vgpr24_vgpr25_vgpr26_vgpr27_vgpr28_vgpr29_vgpr30_vgpr31_vgpr32
	s_and_saveexec_b32 s4, s5
	s_xor_b32 s4, exec_lo, s4
	s_cbranch_execz .LBB765_298
.LBB765_217:
	s_mov_b32 s5, 0
	v_mov_b32_e32 v44, s5
	v_mov_b32_e32 v1, v33
	;; [unrolled: 1-line block ×33, first 2 shown]
                                        ; implicit-def: $vgpr33_vgpr34_vgpr35_vgpr36_vgpr37_vgpr38_vgpr39_vgpr40_vgpr41_vgpr42_vgpr43_vgpr44_vgpr45_vgpr46_vgpr47_vgpr48_vgpr49_vgpr50_vgpr51_vgpr52_vgpr53_vgpr54_vgpr55_vgpr56_vgpr57_vgpr58_vgpr59_vgpr60_vgpr61_vgpr62_vgpr63_vgpr64
	s_or_saveexec_b32 s42, s4
	s_xor_b32 s5, s56, -1
	s_xor_b32 exec_lo, exec_lo, s42
	s_cbranch_execnz .LBB765_299
.LBB765_218:
	s_or_b32 exec_lo, exec_lo, s42
                                        ; implicit-def: $vgpr33_vgpr34_vgpr35_vgpr36_vgpr37_vgpr38_vgpr39_vgpr40_vgpr41_vgpr42_vgpr43_vgpr44_vgpr45_vgpr46_vgpr47_vgpr48_vgpr49_vgpr50_vgpr51_vgpr52_vgpr53_vgpr54_vgpr55_vgpr56_vgpr57_vgpr58_vgpr59_vgpr60_vgpr61_vgpr62_vgpr63_vgpr64
	s_and_saveexec_b32 s4, s5
	s_xor_b32 s4, exec_lo, s4
	s_cbranch_execz .LBB765_302
.LBB765_219:
	s_mov_b32 s5, 0
	v_mov_b32_e32 v13, s5
	v_mov_b32_e32 v64, v32
	;; [unrolled: 1-line block ×33, first 2 shown]
                                        ; implicit-def: $vgpr1_vgpr2_vgpr3_vgpr4_vgpr5_vgpr6_vgpr7_vgpr8_vgpr9_vgpr10_vgpr11_vgpr12_vgpr13_vgpr14_vgpr15_vgpr16_vgpr17_vgpr18_vgpr19_vgpr20_vgpr21_vgpr22_vgpr23_vgpr24_vgpr25_vgpr26_vgpr27_vgpr28_vgpr29_vgpr30_vgpr31_vgpr32
	s_or_saveexec_b32 s42, s4
	s_xor_b32 s5, s55, -1
	s_xor_b32 exec_lo, exec_lo, s42
	s_cbranch_execnz .LBB765_303
.LBB765_220:
	s_or_b32 exec_lo, exec_lo, s42
                                        ; implicit-def: $vgpr1_vgpr2_vgpr3_vgpr4_vgpr5_vgpr6_vgpr7_vgpr8_vgpr9_vgpr10_vgpr11_vgpr12_vgpr13_vgpr14_vgpr15_vgpr16_vgpr17_vgpr18_vgpr19_vgpr20_vgpr21_vgpr22_vgpr23_vgpr24_vgpr25_vgpr26_vgpr27_vgpr28_vgpr29_vgpr30_vgpr31_vgpr32
	s_and_saveexec_b32 s4, s5
	s_xor_b32 s4, exec_lo, s4
	s_cbranch_execz .LBB765_306
.LBB765_221:
	s_mov_b32 s5, 0
	v_mov_b32_e32 v46, s5
	v_mov_b32_e32 v1, v33
	;; [unrolled: 1-line block ×33, first 2 shown]
                                        ; implicit-def: $vgpr33_vgpr34_vgpr35_vgpr36_vgpr37_vgpr38_vgpr39_vgpr40_vgpr41_vgpr42_vgpr43_vgpr44_vgpr45_vgpr46_vgpr47_vgpr48_vgpr49_vgpr50_vgpr51_vgpr52_vgpr53_vgpr54_vgpr55_vgpr56_vgpr57_vgpr58_vgpr59_vgpr60_vgpr61_vgpr62_vgpr63_vgpr64
	s_or_saveexec_b32 s42, s4
	s_xor_b32 s5, s54, -1
	s_xor_b32 exec_lo, exec_lo, s42
	s_cbranch_execnz .LBB765_307
.LBB765_222:
	s_or_b32 exec_lo, exec_lo, s42
                                        ; implicit-def: $vgpr33_vgpr34_vgpr35_vgpr36_vgpr37_vgpr38_vgpr39_vgpr40_vgpr41_vgpr42_vgpr43_vgpr44_vgpr45_vgpr46_vgpr47_vgpr48_vgpr49_vgpr50_vgpr51_vgpr52_vgpr53_vgpr54_vgpr55_vgpr56_vgpr57_vgpr58_vgpr59_vgpr60_vgpr61_vgpr62_vgpr63_vgpr64
	s_and_saveexec_b32 s4, s5
	s_xor_b32 s4, exec_lo, s4
	s_cbranch_execz .LBB765_310
.LBB765_223:
	s_mov_b32 s5, 0
	v_mov_b32_e32 v15, s5
	v_mov_b32_e32 v64, v32
	;; [unrolled: 1-line block ×33, first 2 shown]
                                        ; implicit-def: $vgpr1_vgpr2_vgpr3_vgpr4_vgpr5_vgpr6_vgpr7_vgpr8_vgpr9_vgpr10_vgpr11_vgpr12_vgpr13_vgpr14_vgpr15_vgpr16_vgpr17_vgpr18_vgpr19_vgpr20_vgpr21_vgpr22_vgpr23_vgpr24_vgpr25_vgpr26_vgpr27_vgpr28_vgpr29_vgpr30_vgpr31_vgpr32
	s_or_saveexec_b32 s42, s4
	s_xor_b32 s5, s53, -1
	s_xor_b32 exec_lo, exec_lo, s42
	s_cbranch_execnz .LBB765_311
.LBB765_224:
	s_or_b32 exec_lo, exec_lo, s42
                                        ; implicit-def: $vgpr1_vgpr2_vgpr3_vgpr4_vgpr5_vgpr6_vgpr7_vgpr8_vgpr9_vgpr10_vgpr11_vgpr12_vgpr13_vgpr14_vgpr15_vgpr16_vgpr17_vgpr18_vgpr19_vgpr20_vgpr21_vgpr22_vgpr23_vgpr24_vgpr25_vgpr26_vgpr27_vgpr28_vgpr29_vgpr30_vgpr31_vgpr32
	s_and_saveexec_b32 s4, s5
	s_xor_b32 s4, exec_lo, s4
	s_cbranch_execz .LBB765_314
.LBB765_225:
	s_mov_b32 s5, 0
	v_mov_b32_e32 v48, s5
	v_mov_b32_e32 v1, v33
	;; [unrolled: 1-line block ×33, first 2 shown]
                                        ; implicit-def: $vgpr33_vgpr34_vgpr35_vgpr36_vgpr37_vgpr38_vgpr39_vgpr40_vgpr41_vgpr42_vgpr43_vgpr44_vgpr45_vgpr46_vgpr47_vgpr48_vgpr49_vgpr50_vgpr51_vgpr52_vgpr53_vgpr54_vgpr55_vgpr56_vgpr57_vgpr58_vgpr59_vgpr60_vgpr61_vgpr62_vgpr63_vgpr64
	s_or_saveexec_b32 s42, s4
	s_xor_b32 s5, s52, -1
	s_xor_b32 exec_lo, exec_lo, s42
	s_cbranch_execnz .LBB765_315
.LBB765_226:
	s_or_b32 exec_lo, exec_lo, s42
                                        ; implicit-def: $vgpr33_vgpr34_vgpr35_vgpr36_vgpr37_vgpr38_vgpr39_vgpr40_vgpr41_vgpr42_vgpr43_vgpr44_vgpr45_vgpr46_vgpr47_vgpr48_vgpr49_vgpr50_vgpr51_vgpr52_vgpr53_vgpr54_vgpr55_vgpr56_vgpr57_vgpr58_vgpr59_vgpr60_vgpr61_vgpr62_vgpr63_vgpr64
	s_and_saveexec_b32 s4, s5
	s_xor_b32 s4, exec_lo, s4
	s_cbranch_execz .LBB765_318
.LBB765_227:
	s_mov_b32 s5, 0
	v_mov_b32_e32 v17, s5
	v_mov_b32_e32 v64, v32
	;; [unrolled: 1-line block ×33, first 2 shown]
                                        ; implicit-def: $vgpr1_vgpr2_vgpr3_vgpr4_vgpr5_vgpr6_vgpr7_vgpr8_vgpr9_vgpr10_vgpr11_vgpr12_vgpr13_vgpr14_vgpr15_vgpr16_vgpr17_vgpr18_vgpr19_vgpr20_vgpr21_vgpr22_vgpr23_vgpr24_vgpr25_vgpr26_vgpr27_vgpr28_vgpr29_vgpr30_vgpr31_vgpr32
	s_or_saveexec_b32 s42, s4
	s_xor_b32 s5, s51, -1
	s_xor_b32 exec_lo, exec_lo, s42
	s_cbranch_execnz .LBB765_319
.LBB765_228:
	s_or_b32 exec_lo, exec_lo, s42
                                        ; implicit-def: $vgpr1_vgpr2_vgpr3_vgpr4_vgpr5_vgpr6_vgpr7_vgpr8_vgpr9_vgpr10_vgpr11_vgpr12_vgpr13_vgpr14_vgpr15_vgpr16_vgpr17_vgpr18_vgpr19_vgpr20_vgpr21_vgpr22_vgpr23_vgpr24_vgpr25_vgpr26_vgpr27_vgpr28_vgpr29_vgpr30_vgpr31_vgpr32
	s_and_saveexec_b32 s4, s5
	s_xor_b32 s4, exec_lo, s4
	s_cbranch_execz .LBB765_322
.LBB765_229:
	s_mov_b32 s5, 0
	v_mov_b32_e32 v50, s5
	v_mov_b32_e32 v1, v33
	;; [unrolled: 1-line block ×33, first 2 shown]
                                        ; implicit-def: $vgpr33_vgpr34_vgpr35_vgpr36_vgpr37_vgpr38_vgpr39_vgpr40_vgpr41_vgpr42_vgpr43_vgpr44_vgpr45_vgpr46_vgpr47_vgpr48_vgpr49_vgpr50_vgpr51_vgpr52_vgpr53_vgpr54_vgpr55_vgpr56_vgpr57_vgpr58_vgpr59_vgpr60_vgpr61_vgpr62_vgpr63_vgpr64
	s_or_saveexec_b32 s42, s4
	s_xor_b32 s5, s50, -1
	s_xor_b32 exec_lo, exec_lo, s42
	s_cbranch_execnz .LBB765_323
.LBB765_230:
	s_or_b32 exec_lo, exec_lo, s42
                                        ; implicit-def: $vgpr33_vgpr34_vgpr35_vgpr36_vgpr37_vgpr38_vgpr39_vgpr40_vgpr41_vgpr42_vgpr43_vgpr44_vgpr45_vgpr46_vgpr47_vgpr48_vgpr49_vgpr50_vgpr51_vgpr52_vgpr53_vgpr54_vgpr55_vgpr56_vgpr57_vgpr58_vgpr59_vgpr60_vgpr61_vgpr62_vgpr63_vgpr64
	s_and_saveexec_b32 s4, s5
	s_xor_b32 s4, exec_lo, s4
	s_cbranch_execz .LBB765_326
.LBB765_231:
	s_mov_b32 s5, 0
	v_mov_b32_e32 v19, s5
	v_mov_b32_e32 v64, v32
	;; [unrolled: 1-line block ×33, first 2 shown]
                                        ; implicit-def: $vgpr1_vgpr2_vgpr3_vgpr4_vgpr5_vgpr6_vgpr7_vgpr8_vgpr9_vgpr10_vgpr11_vgpr12_vgpr13_vgpr14_vgpr15_vgpr16_vgpr17_vgpr18_vgpr19_vgpr20_vgpr21_vgpr22_vgpr23_vgpr24_vgpr25_vgpr26_vgpr27_vgpr28_vgpr29_vgpr30_vgpr31_vgpr32
	s_or_saveexec_b32 s42, s4
	s_xor_b32 s5, s49, -1
	s_xor_b32 exec_lo, exec_lo, s42
	s_cbranch_execnz .LBB765_327
.LBB765_232:
	s_or_b32 exec_lo, exec_lo, s42
                                        ; implicit-def: $vgpr1_vgpr2_vgpr3_vgpr4_vgpr5_vgpr6_vgpr7_vgpr8_vgpr9_vgpr10_vgpr11_vgpr12_vgpr13_vgpr14_vgpr15_vgpr16_vgpr17_vgpr18_vgpr19_vgpr20_vgpr21_vgpr22_vgpr23_vgpr24_vgpr25_vgpr26_vgpr27_vgpr28_vgpr29_vgpr30_vgpr31_vgpr32
	s_and_saveexec_b32 s4, s5
	s_xor_b32 s4, exec_lo, s4
	s_cbranch_execz .LBB765_330
.LBB765_233:
	s_mov_b32 s5, 0
	v_mov_b32_e32 v52, s5
	v_mov_b32_e32 v1, v33
	;; [unrolled: 1-line block ×33, first 2 shown]
                                        ; implicit-def: $vgpr33_vgpr34_vgpr35_vgpr36_vgpr37_vgpr38_vgpr39_vgpr40_vgpr41_vgpr42_vgpr43_vgpr44_vgpr45_vgpr46_vgpr47_vgpr48_vgpr49_vgpr50_vgpr51_vgpr52_vgpr53_vgpr54_vgpr55_vgpr56_vgpr57_vgpr58_vgpr59_vgpr60_vgpr61_vgpr62_vgpr63_vgpr64
	s_or_saveexec_b32 s42, s4
	s_xor_b32 s5, s48, -1
	s_xor_b32 exec_lo, exec_lo, s42
	s_cbranch_execnz .LBB765_331
.LBB765_234:
	s_or_b32 exec_lo, exec_lo, s42
                                        ; implicit-def: $vgpr33_vgpr34_vgpr35_vgpr36_vgpr37_vgpr38_vgpr39_vgpr40_vgpr41_vgpr42_vgpr43_vgpr44_vgpr45_vgpr46_vgpr47_vgpr48_vgpr49_vgpr50_vgpr51_vgpr52_vgpr53_vgpr54_vgpr55_vgpr56_vgpr57_vgpr58_vgpr59_vgpr60_vgpr61_vgpr62_vgpr63_vgpr64
	s_and_saveexec_b32 s4, s5
	s_xor_b32 s4, exec_lo, s4
	s_cbranch_execz .LBB765_334
.LBB765_235:
	s_mov_b32 s5, 0
	v_mov_b32_e32 v21, s5
	v_mov_b32_e32 v64, v32
	;; [unrolled: 1-line block ×33, first 2 shown]
                                        ; implicit-def: $vgpr1_vgpr2_vgpr3_vgpr4_vgpr5_vgpr6_vgpr7_vgpr8_vgpr9_vgpr10_vgpr11_vgpr12_vgpr13_vgpr14_vgpr15_vgpr16_vgpr17_vgpr18_vgpr19_vgpr20_vgpr21_vgpr22_vgpr23_vgpr24_vgpr25_vgpr26_vgpr27_vgpr28_vgpr29_vgpr30_vgpr31_vgpr32
	s_or_saveexec_b32 s42, s4
	s_xor_b32 s5, s47, -1
	s_xor_b32 exec_lo, exec_lo, s42
	s_cbranch_execnz .LBB765_335
.LBB765_236:
	s_or_b32 exec_lo, exec_lo, s42
                                        ; implicit-def: $vgpr1_vgpr2_vgpr3_vgpr4_vgpr5_vgpr6_vgpr7_vgpr8_vgpr9_vgpr10_vgpr11_vgpr12_vgpr13_vgpr14_vgpr15_vgpr16_vgpr17_vgpr18_vgpr19_vgpr20_vgpr21_vgpr22_vgpr23_vgpr24_vgpr25_vgpr26_vgpr27_vgpr28_vgpr29_vgpr30_vgpr31_vgpr32
	s_and_saveexec_b32 s4, s5
	s_xor_b32 s4, exec_lo, s4
	s_cbranch_execz .LBB765_338
.LBB765_237:
	s_mov_b32 s5, 0
	v_mov_b32_e32 v54, s5
	v_mov_b32_e32 v1, v33
	;; [unrolled: 1-line block ×33, first 2 shown]
                                        ; implicit-def: $vgpr33_vgpr34_vgpr35_vgpr36_vgpr37_vgpr38_vgpr39_vgpr40_vgpr41_vgpr42_vgpr43_vgpr44_vgpr45_vgpr46_vgpr47_vgpr48_vgpr49_vgpr50_vgpr51_vgpr52_vgpr53_vgpr54_vgpr55_vgpr56_vgpr57_vgpr58_vgpr59_vgpr60_vgpr61_vgpr62_vgpr63_vgpr64
	s_or_saveexec_b32 s42, s4
	s_xor_b32 s5, s46, -1
	s_xor_b32 exec_lo, exec_lo, s42
	s_cbranch_execnz .LBB765_339
.LBB765_238:
	s_or_b32 exec_lo, exec_lo, s42
                                        ; implicit-def: $vgpr33_vgpr34_vgpr35_vgpr36_vgpr37_vgpr38_vgpr39_vgpr40_vgpr41_vgpr42_vgpr43_vgpr44_vgpr45_vgpr46_vgpr47_vgpr48_vgpr49_vgpr50_vgpr51_vgpr52_vgpr53_vgpr54_vgpr55_vgpr56_vgpr57_vgpr58_vgpr59_vgpr60_vgpr61_vgpr62_vgpr63_vgpr64
	s_and_saveexec_b32 s4, s5
	s_xor_b32 s4, exec_lo, s4
	s_cbranch_execz .LBB765_342
.LBB765_239:
	s_mov_b32 s5, 0
	v_mov_b32_e32 v23, s5
	v_mov_b32_e32 v64, v32
	v_mov_b32_e32 v63, v31
	v_mov_b32_e32 v62, v30
	v_mov_b32_e32 v61, v29
	v_mov_b32_e32 v60, v28
	v_mov_b32_e32 v59, v27
	v_mov_b32_e32 v58, v26
	v_mov_b32_e32 v57, v25
	v_mov_b32_e32 v56, v24
	v_mov_b32_e32 v55, v23
	v_mov_b32_e32 v54, v22
	v_mov_b32_e32 v53, v21
	v_mov_b32_e32 v52, v20
	v_mov_b32_e32 v51, v19
	v_mov_b32_e32 v50, v18
	v_mov_b32_e32 v49, v17
	v_mov_b32_e32 v48, v16
	v_mov_b32_e32 v47, v15
	v_mov_b32_e32 v46, v14
	v_mov_b32_e32 v45, v13
	v_mov_b32_e32 v44, v12
	v_mov_b32_e32 v43, v11
	v_mov_b32_e32 v42, v10
	v_mov_b32_e32 v41, v9
	v_mov_b32_e32 v40, v8
	v_mov_b32_e32 v39, v7
	v_mov_b32_e32 v38, v6
	v_mov_b32_e32 v37, v5
	v_mov_b32_e32 v36, v4
	v_mov_b32_e32 v35, v3
	v_mov_b32_e32 v34, v2
	v_mov_b32_e32 v33, v1
                                        ; implicit-def: $vgpr1_vgpr2_vgpr3_vgpr4_vgpr5_vgpr6_vgpr7_vgpr8_vgpr9_vgpr10_vgpr11_vgpr12_vgpr13_vgpr14_vgpr15_vgpr16_vgpr17_vgpr18_vgpr19_vgpr20_vgpr21_vgpr22_vgpr23_vgpr24_vgpr25_vgpr26_vgpr27_vgpr28_vgpr29_vgpr30_vgpr31_vgpr32
	s_or_saveexec_b32 s42, s4
	s_xor_b32 s5, s45, -1
	s_xor_b32 exec_lo, exec_lo, s42
	s_cbranch_execnz .LBB765_343
.LBB765_240:
	s_or_b32 exec_lo, exec_lo, s42
                                        ; implicit-def: $vgpr1_vgpr2_vgpr3_vgpr4_vgpr5_vgpr6_vgpr7_vgpr8_vgpr9_vgpr10_vgpr11_vgpr12_vgpr13_vgpr14_vgpr15_vgpr16_vgpr17_vgpr18_vgpr19_vgpr20_vgpr21_vgpr22_vgpr23_vgpr24_vgpr25_vgpr26_vgpr27_vgpr28_vgpr29_vgpr30_vgpr31_vgpr32
	s_and_saveexec_b32 s4, s5
	s_xor_b32 s4, exec_lo, s4
	s_cbranch_execz .LBB765_346
.LBB765_241:
	s_mov_b32 s5, 0
	v_mov_b32_e32 v56, s5
	v_mov_b32_e32 v1, v33
	;; [unrolled: 1-line block ×33, first 2 shown]
                                        ; implicit-def: $vgpr33_vgpr34_vgpr35_vgpr36_vgpr37_vgpr38_vgpr39_vgpr40_vgpr41_vgpr42_vgpr43_vgpr44_vgpr45_vgpr46_vgpr47_vgpr48_vgpr49_vgpr50_vgpr51_vgpr52_vgpr53_vgpr54_vgpr55_vgpr56_vgpr57_vgpr58_vgpr59_vgpr60_vgpr61_vgpr62_vgpr63_vgpr64
	s_or_saveexec_b32 s42, s4
	s_xor_b32 s5, s44, -1
	s_xor_b32 exec_lo, exec_lo, s42
	s_cbranch_execnz .LBB765_347
.LBB765_242:
	s_or_b32 exec_lo, exec_lo, s42
                                        ; implicit-def: $vgpr33_vgpr34_vgpr35_vgpr36_vgpr37_vgpr38_vgpr39_vgpr40_vgpr41_vgpr42_vgpr43_vgpr44_vgpr45_vgpr46_vgpr47_vgpr48_vgpr49_vgpr50_vgpr51_vgpr52_vgpr53_vgpr54_vgpr55_vgpr56_vgpr57_vgpr58_vgpr59_vgpr60_vgpr61_vgpr62_vgpr63_vgpr64
	s_and_saveexec_b32 s4, s5
	s_xor_b32 s4, exec_lo, s4
	s_cbranch_execz .LBB765_350
.LBB765_243:
	s_mov_b32 s5, 0
	v_mov_b32_e32 v25, s5
	v_mov_b32_e32 v64, v32
	;; [unrolled: 1-line block ×33, first 2 shown]
                                        ; implicit-def: $vgpr1_vgpr2_vgpr3_vgpr4_vgpr5_vgpr6_vgpr7_vgpr8_vgpr9_vgpr10_vgpr11_vgpr12_vgpr13_vgpr14_vgpr15_vgpr16_vgpr17_vgpr18_vgpr19_vgpr20_vgpr21_vgpr22_vgpr23_vgpr24_vgpr25_vgpr26_vgpr27_vgpr28_vgpr29_vgpr30_vgpr31_vgpr32
	s_or_saveexec_b32 s42, s4
	s_xor_b32 s5, s43, -1
	s_xor_b32 exec_lo, exec_lo, s42
	s_cbranch_execnz .LBB765_351
.LBB765_244:
	s_or_b32 exec_lo, exec_lo, s42
                                        ; implicit-def: $vgpr1_vgpr2_vgpr3_vgpr4_vgpr5_vgpr6_vgpr7_vgpr8_vgpr9_vgpr10_vgpr11_vgpr12_vgpr13_vgpr14_vgpr15_vgpr16_vgpr17_vgpr18_vgpr19_vgpr20_vgpr21_vgpr22_vgpr23_vgpr24_vgpr25_vgpr26_vgpr27_vgpr28_vgpr29_vgpr30_vgpr31_vgpr32
	s_and_saveexec_b32 s4, s5
	s_xor_b32 s4, exec_lo, s4
	s_cbranch_execz .LBB765_354
.LBB765_245:
	s_mov_b32 s5, 0
	v_mov_b32_e32 v58, s5
	v_mov_b32_e32 v1, v33
	;; [unrolled: 1-line block ×33, first 2 shown]
                                        ; implicit-def: $vgpr33_vgpr34_vgpr35_vgpr36_vgpr37_vgpr38_vgpr39_vgpr40_vgpr41_vgpr42_vgpr43_vgpr44_vgpr45_vgpr46_vgpr47_vgpr48_vgpr49_vgpr50_vgpr51_vgpr52_vgpr53_vgpr54_vgpr55_vgpr56_vgpr57_vgpr58_vgpr59_vgpr60_vgpr61_vgpr62_vgpr63_vgpr64
	s_or_saveexec_b32 s42, s4
	s_xor_b32 s5, s41, -1
	s_xor_b32 exec_lo, exec_lo, s42
	s_cbranch_execnz .LBB765_355
.LBB765_246:
	s_or_b32 exec_lo, exec_lo, s42
                                        ; implicit-def: $vgpr33_vgpr34_vgpr35_vgpr36_vgpr37_vgpr38_vgpr39_vgpr40_vgpr41_vgpr42_vgpr43_vgpr44_vgpr45_vgpr46_vgpr47_vgpr48_vgpr49_vgpr50_vgpr51_vgpr52_vgpr53_vgpr54_vgpr55_vgpr56_vgpr57_vgpr58_vgpr59_vgpr60_vgpr61_vgpr62_vgpr63_vgpr64
	s_and_saveexec_b32 s4, s5
	s_xor_b32 s4, exec_lo, s4
	s_cbranch_execz .LBB765_358
.LBB765_247:
	s_mov_b32 s5, 0
	v_mov_b32_e32 v27, s5
	v_mov_b32_e32 v64, v32
	;; [unrolled: 1-line block ×33, first 2 shown]
                                        ; implicit-def: $vgpr1_vgpr2_vgpr3_vgpr4_vgpr5_vgpr6_vgpr7_vgpr8_vgpr9_vgpr10_vgpr11_vgpr12_vgpr13_vgpr14_vgpr15_vgpr16_vgpr17_vgpr18_vgpr19_vgpr20_vgpr21_vgpr22_vgpr23_vgpr24_vgpr25_vgpr26_vgpr27_vgpr28_vgpr29_vgpr30_vgpr31_vgpr32
	s_or_saveexec_b32 s41, s4
	s_xor_b32 s5, s40, -1
	s_xor_b32 exec_lo, exec_lo, s41
	s_cbranch_execnz .LBB765_359
.LBB765_248:
	s_or_b32 exec_lo, exec_lo, s41
                                        ; implicit-def: $vgpr1_vgpr2_vgpr3_vgpr4_vgpr5_vgpr6_vgpr7_vgpr8_vgpr9_vgpr10_vgpr11_vgpr12_vgpr13_vgpr14_vgpr15_vgpr16_vgpr17_vgpr18_vgpr19_vgpr20_vgpr21_vgpr22_vgpr23_vgpr24_vgpr25_vgpr26_vgpr27_vgpr28_vgpr29_vgpr30_vgpr31_vgpr32
	s_and_saveexec_b32 s4, s5
	s_xor_b32 s4, exec_lo, s4
	s_cbranch_execz .LBB765_362
.LBB765_249:
	s_mov_b32 s5, 0
	v_mov_b32_e32 v60, s5
	v_mov_b32_e32 v1, v33
	;; [unrolled: 1-line block ×33, first 2 shown]
                                        ; implicit-def: $vgpr33_vgpr34_vgpr35_vgpr36_vgpr37_vgpr38_vgpr39_vgpr40_vgpr41_vgpr42_vgpr43_vgpr44_vgpr45_vgpr46_vgpr47_vgpr48_vgpr49_vgpr50_vgpr51_vgpr52_vgpr53_vgpr54_vgpr55_vgpr56_vgpr57_vgpr58_vgpr59_vgpr60_vgpr61_vgpr62_vgpr63_vgpr64
	s_or_saveexec_b32 s40, s4
	s_xor_b32 s5, s39, -1
	s_xor_b32 exec_lo, exec_lo, s40
	s_cbranch_execnz .LBB765_363
.LBB765_250:
	s_or_b32 exec_lo, exec_lo, s40
                                        ; implicit-def: $vgpr33_vgpr34_vgpr35_vgpr36_vgpr37_vgpr38_vgpr39_vgpr40_vgpr41_vgpr42_vgpr43_vgpr44_vgpr45_vgpr46_vgpr47_vgpr48_vgpr49_vgpr50_vgpr51_vgpr52_vgpr53_vgpr54_vgpr55_vgpr56_vgpr57_vgpr58_vgpr59_vgpr60_vgpr61_vgpr62_vgpr63_vgpr64
	s_and_saveexec_b32 s4, s5
	s_xor_b32 s4, exec_lo, s4
	s_cbranch_execz .LBB765_366
.LBB765_251:
	s_mov_b32 s5, 0
	v_mov_b32_e32 v29, s5
	v_mov_b32_e32 v64, v32
	;; [unrolled: 1-line block ×33, first 2 shown]
                                        ; implicit-def: $vgpr1_vgpr2_vgpr3_vgpr4_vgpr5_vgpr6_vgpr7_vgpr8_vgpr9_vgpr10_vgpr11_vgpr12_vgpr13_vgpr14_vgpr15_vgpr16_vgpr17_vgpr18_vgpr19_vgpr20_vgpr21_vgpr22_vgpr23_vgpr24_vgpr25_vgpr26_vgpr27_vgpr28_vgpr29_vgpr30_vgpr31_vgpr32
	s_or_saveexec_b32 s39, s4
	s_xor_b32 s5, s38, -1
	s_xor_b32 exec_lo, exec_lo, s39
	s_cbranch_execnz .LBB765_367
.LBB765_252:
	s_or_b32 exec_lo, exec_lo, s39
                                        ; implicit-def: $vgpr1_vgpr2_vgpr3_vgpr4_vgpr5_vgpr6_vgpr7_vgpr8_vgpr9_vgpr10_vgpr11_vgpr12_vgpr13_vgpr14_vgpr15_vgpr16_vgpr17_vgpr18_vgpr19_vgpr20_vgpr21_vgpr22_vgpr23_vgpr24_vgpr25_vgpr26_vgpr27_vgpr28_vgpr29_vgpr30_vgpr31_vgpr32
	s_and_saveexec_b32 s4, s5
	s_xor_b32 s4, exec_lo, s4
	s_cbranch_execz .LBB765_370
.LBB765_253:
	s_mov_b32 s5, 0
	v_mov_b32_e32 v62, s5
	v_mov_b32_e32 v1, v33
	;; [unrolled: 1-line block ×33, first 2 shown]
                                        ; implicit-def: $vgpr33_vgpr34_vgpr35_vgpr36_vgpr37_vgpr38_vgpr39_vgpr40_vgpr41_vgpr42_vgpr43_vgpr44_vgpr45_vgpr46_vgpr47_vgpr48_vgpr49_vgpr50_vgpr51_vgpr52_vgpr53_vgpr54_vgpr55_vgpr56_vgpr57_vgpr58_vgpr59_vgpr60_vgpr61_vgpr62_vgpr63_vgpr64
	s_or_saveexec_b32 s38, s4
	s_xor_b32 s5, s35, -1
	s_xor_b32 exec_lo, exec_lo, s38
	s_cbranch_execnz .LBB765_371
.LBB765_254:
	s_or_b32 exec_lo, exec_lo, s38
                                        ; implicit-def: $vgpr33_vgpr34_vgpr35_vgpr36_vgpr37_vgpr38_vgpr39_vgpr40_vgpr41_vgpr42_vgpr43_vgpr44_vgpr45_vgpr46_vgpr47_vgpr48_vgpr49_vgpr50_vgpr51_vgpr52_vgpr53_vgpr54_vgpr55_vgpr56_vgpr57_vgpr58_vgpr59_vgpr60_vgpr61_vgpr62_vgpr63_vgpr64
	s_and_saveexec_b32 s4, s5
	s_xor_b32 s4, exec_lo, s4
	s_cbranch_execz .LBB765_374
.LBB765_255:
	s_mov_b32 s5, 0
	v_mov_b32_e32 v31, s5
	v_mov_b32_e32 v64, v32
	;; [unrolled: 1-line block ×33, first 2 shown]
                                        ; implicit-def: $vgpr1_vgpr2_vgpr3_vgpr4_vgpr5_vgpr6_vgpr7_vgpr8_vgpr9_vgpr10_vgpr11_vgpr12_vgpr13_vgpr14_vgpr15_vgpr16_vgpr17_vgpr18_vgpr19_vgpr20_vgpr21_vgpr22_vgpr23_vgpr24_vgpr25_vgpr26_vgpr27_vgpr28_vgpr29_vgpr30_vgpr31_vgpr32
	s_or_saveexec_b32 s35, s4
	s_xor_b32 s5, s34, -1
	s_xor_b32 exec_lo, exec_lo, s35
	s_cbranch_execnz .LBB765_375
.LBB765_256:
	s_or_b32 exec_lo, exec_lo, s35
                                        ; implicit-def: $vgpr1_vgpr2_vgpr3_vgpr4_vgpr5_vgpr6_vgpr7_vgpr8_vgpr9_vgpr10_vgpr11_vgpr12_vgpr13_vgpr14_vgpr15_vgpr16_vgpr17_vgpr18_vgpr19_vgpr20_vgpr21_vgpr22_vgpr23_vgpr24_vgpr25_vgpr26_vgpr27_vgpr28_vgpr29_vgpr30_vgpr31_vgpr32
	s_and_saveexec_b32 s4, s5
	s_xor_b32 s4, exec_lo, s4
	s_cbranch_execz .LBB765_378
.LBB765_257:
	s_mov_b32 s5, 0
                                        ; implicit-def: $vgpr98_vgpr99
                                        ; implicit-def: $vgpr106
	v_mov_b32_e32 v64, s5
	v_mov_b32_e32 v1, v33
	;; [unrolled: 1-line block ×33, first 2 shown]
                                        ; implicit-def: $vgpr33_vgpr34_vgpr35_vgpr36_vgpr37_vgpr38_vgpr39_vgpr40_vgpr41_vgpr42_vgpr43_vgpr44_vgpr45_vgpr46_vgpr47_vgpr48_vgpr49_vgpr50_vgpr51_vgpr52_vgpr53_vgpr54_vgpr55_vgpr56_vgpr57_vgpr58_vgpr59_vgpr60_vgpr61_vgpr62_vgpr63_vgpr64
	s_andn2_saveexec_b32 s5, s4
	s_cbranch_execz .LBB765_382
	s_branch .LBB765_379
.LBB765_258:
	s_or_saveexec_b32 s42, s4
	s_xor_b32 s5, s66, -1
	s_xor_b32 exec_lo, exec_lo, s42
	s_cbranch_execz .LBB765_198
.LBB765_259:
	global_load_ubyte v32, v[98:99], off offset:32
	s_mov_b32 s66, 0
	s_waitcnt vmcnt(0)
	v_and_b32_e32 v32, 1, v32
	v_cmp_eq_u32_e64 s4, 1, v32
	v_mov_b32_e32 v63, v31
	v_mov_b32_e32 v33, v1
	;; [unrolled: 1-line block ×33, first 2 shown]
	s_xor_b32 s4, s4, -1
	s_and_saveexec_b32 s66, s4
	s_xor_b32 s66, exec_lo, s66
	s_cbranch_execz .LBB765_261
; %bb.260:
	v_sub_f32_e32 v1, v64, v106
	v_mul_f32_e32 v32, 0x3fb8aa3b, v1
	v_cmp_ngt_f32_e64 s4, 0xc2ce8ed0, v1
	v_fma_f32 v33, 0x3fb8aa3b, v1, -v32
	v_rndne_f32_e32 v34, v32
	v_fmamk_f32 v33, v1, 0x32a5705f, v33
	v_sub_f32_e32 v32, v32, v34
	v_add_f32_e32 v32, v32, v33
	v_cvt_i32_f32_e32 v33, v34
	v_exp_f32_e32 v32, v32
	v_ldexp_f32 v32, v32, v33
	v_cndmask_b32_e64 v32, 0, v32, s4
	v_cmp_nlt_f32_e64 s4, 0x42b17218, v1
	v_cndmask_b32_e64 v1, 0x7f800000, v32, s4
	v_mov_b32_e32 v63, v31
	v_mov_b32_e32 v62, v30
	;; [unrolled: 1-line block ×4, first 2 shown]
	v_add_f32_e32 v64, v0, v1
	v_mov_b32_e32 v59, v27
	v_mov_b32_e32 v58, v26
	;; [unrolled: 1-line block ×29, first 2 shown]
.LBB765_261:
	s_andn2_saveexec_b32 s4, s66
	s_or_b32 exec_lo, exec_lo, s4
	s_or_b32 exec_lo, exec_lo, s42
                                        ; implicit-def: $vgpr64_vgpr65_vgpr66_vgpr67_vgpr68_vgpr69_vgpr70_vgpr71_vgpr72_vgpr73_vgpr74_vgpr75_vgpr76_vgpr77_vgpr78_vgpr79_vgpr80_vgpr81_vgpr82_vgpr83_vgpr84_vgpr85_vgpr86_vgpr87_vgpr88_vgpr89_vgpr90_vgpr91_vgpr92_vgpr93_vgpr94_vgpr95
	s_and_saveexec_b32 s4, s5
	s_xor_b32 s4, exec_lo, s4
	s_cbranch_execnz .LBB765_199
.LBB765_262:
	s_or_saveexec_b32 s42, s4
	s_xor_b32 s5, s65, -1
	s_xor_b32 exec_lo, exec_lo, s42
	s_cbranch_execz .LBB765_200
.LBB765_263:
	global_load_ubyte v1, v[98:99], off offset:64
	s_mov_b32 s65, 0
	v_mov_b32_e32 v95, v63
	v_mov_b32_e32 v66, v34
	;; [unrolled: 1-line block ×33, first 2 shown]
	s_waitcnt vmcnt(0)
	v_and_b32_e32 v1, 1, v1
	v_cmp_eq_u32_e64 s4, 1, v1
	s_xor_b32 s4, s4, -1
	s_and_saveexec_b32 s65, s4
	s_xor_b32 s65, exec_lo, s65
	s_cbranch_execz .LBB765_265
; %bb.264:
	v_sub_f32_e32 v1, v34, v106
	v_mul_f32_e32 v2, 0x3fb8aa3b, v1
	v_cmp_ngt_f32_e64 s4, 0xc2ce8ed0, v1
	v_fma_f32 v3, 0x3fb8aa3b, v1, -v2
	v_rndne_f32_e32 v4, v2
	v_fmamk_f32 v3, v1, 0x32a5705f, v3
	v_sub_f32_e32 v2, v2, v4
	v_add_f32_e32 v2, v2, v3
	v_cvt_i32_f32_e32 v3, v4
	v_exp_f32_e32 v2, v2
	v_ldexp_f32 v2, v2, v3
	v_cndmask_b32_e64 v2, 0, v2, s4
	v_cmp_nlt_f32_e64 s4, 0x42b17218, v1
	v_cndmask_b32_e64 v34, 0x7f800000, v2, s4
	v_mov_b32_e32 v95, v63
	v_mov_b32_e32 v94, v62
	;; [unrolled: 1-line block ×4, first 2 shown]
	v_add_f32_e32 v0, v0, v34
	v_mov_b32_e32 v91, v59
	v_mov_b32_e32 v90, v58
	v_mov_b32_e32 v89, v57
	v_mov_b32_e32 v88, v56
	v_mov_b32_e32 v87, v55
	v_mov_b32_e32 v86, v54
	v_mov_b32_e32 v85, v53
	v_mov_b32_e32 v84, v52
	v_mov_b32_e32 v83, v51
	v_mov_b32_e32 v82, v50
	v_mov_b32_e32 v81, v49
	v_mov_b32_e32 v80, v48
	v_mov_b32_e32 v79, v47
	v_mov_b32_e32 v78, v46
	v_mov_b32_e32 v77, v45
	v_mov_b32_e32 v76, v44
	v_mov_b32_e32 v75, v43
	v_mov_b32_e32 v74, v42
	v_mov_b32_e32 v73, v41
	v_mov_b32_e32 v72, v40
	v_mov_b32_e32 v71, v39
	v_mov_b32_e32 v70, v38
	v_mov_b32_e32 v69, v37
	v_mov_b32_e32 v68, v36
	v_mov_b32_e32 v67, v35
	v_mov_b32_e32 v66, v34
	v_mov_b32_e32 v65, v33
	v_mov_b32_e32 v64, v32
.LBB765_265:
	s_andn2_saveexec_b32 s4, s65
	s_or_b32 exec_lo, exec_lo, s4
	s_or_b32 exec_lo, exec_lo, s42
                                        ; implicit-def: $vgpr1_vgpr2_vgpr3_vgpr4_vgpr5_vgpr6_vgpr7_vgpr8_vgpr9_vgpr10_vgpr11_vgpr12_vgpr13_vgpr14_vgpr15_vgpr16_vgpr17_vgpr18_vgpr19_vgpr20_vgpr21_vgpr22_vgpr23_vgpr24_vgpr25_vgpr26_vgpr27_vgpr28_vgpr29_vgpr30_vgpr31_vgpr32
	s_and_saveexec_b32 s4, s5
	s_xor_b32 s4, exec_lo, s4
	s_cbranch_execnz .LBB765_201
.LBB765_266:
	s_or_saveexec_b32 s42, s4
	s_xor_b32 s5, s64, -1
	s_xor_b32 exec_lo, exec_lo, s42
	s_cbranch_execz .LBB765_202
.LBB765_267:
	global_load_ubyte v1, v[98:99], off offset:96
	s_mov_b32 s64, 0
	s_waitcnt vmcnt(0)
	v_and_b32_e32 v1, 1, v1
	v_cmp_eq_u32_e64 s4, 1, v1
	v_mov_b32_e32 v1, v64
	v_mov_b32_e32 v4, v67
	;; [unrolled: 1-line block ×33, first 2 shown]
	s_xor_b32 s4, s4, -1
	s_and_saveexec_b32 s64, s4
	s_xor_b32 s64, exec_lo, s64
	s_cbranch_execz .LBB765_269
; %bb.268:
	v_sub_f32_e32 v1, v67, v106
	v_mul_f32_e32 v2, 0x3fb8aa3b, v1
	v_cmp_ngt_f32_e64 s4, 0xc2ce8ed0, v1
	v_fma_f32 v3, 0x3fb8aa3b, v1, -v2
	v_rndne_f32_e32 v4, v2
	v_fmamk_f32 v3, v1, 0x32a5705f, v3
	v_sub_f32_e32 v2, v2, v4
	v_add_f32_e32 v2, v2, v3
	v_cvt_i32_f32_e32 v3, v4
	v_exp_f32_e32 v2, v2
	v_ldexp_f32 v2, v2, v3
	v_cndmask_b32_e64 v2, 0, v2, s4
	v_cmp_nlt_f32_e64 s4, 0x42b17218, v1
	v_cndmask_b32_e64 v67, 0x7f800000, v2, s4
	v_mov_b32_e32 v1, v64
	v_mov_b32_e32 v2, v65
	;; [unrolled: 1-line block ×4, first 2 shown]
	v_add_f32_e32 v0, v0, v67
	v_mov_b32_e32 v4, v67
	v_mov_b32_e32 v6, v69
	;; [unrolled: 1-line block ×28, first 2 shown]
.LBB765_269:
	s_andn2_saveexec_b32 s4, s64
	s_or_b32 exec_lo, exec_lo, s4
	s_or_b32 exec_lo, exec_lo, s42
                                        ; implicit-def: $vgpr33_vgpr34_vgpr35_vgpr36_vgpr37_vgpr38_vgpr39_vgpr40_vgpr41_vgpr42_vgpr43_vgpr44_vgpr45_vgpr46_vgpr47_vgpr48_vgpr49_vgpr50_vgpr51_vgpr52_vgpr53_vgpr54_vgpr55_vgpr56_vgpr57_vgpr58_vgpr59_vgpr60_vgpr61_vgpr62_vgpr63_vgpr64
	s_and_saveexec_b32 s4, s5
	s_xor_b32 s4, exec_lo, s4
	s_cbranch_execnz .LBB765_203
.LBB765_270:
	s_or_saveexec_b32 s42, s4
	s_xor_b32 s5, s63, -1
	s_xor_b32 exec_lo, exec_lo, s42
	s_cbranch_execz .LBB765_204
.LBB765_271:
	global_load_ubyte v33, v[98:99], off offset:128
	s_mov_b32 s63, 0
	s_waitcnt vmcnt(0)
	v_and_b32_e32 v33, 1, v33
	v_cmp_eq_u32_e64 s4, 1, v33
	v_mov_b32_e32 v64, v32
	v_mov_b32_e32 v37, v5
	;; [unrolled: 1-line block ×33, first 2 shown]
	s_xor_b32 s4, s4, -1
	s_and_saveexec_b32 s63, s4
	s_xor_b32 s63, exec_lo, s63
	s_cbranch_execz .LBB765_273
; %bb.272:
	v_sub_f32_e32 v5, v5, v106
	v_mul_f32_e32 v33, 0x3fb8aa3b, v5
	v_cmp_ngt_f32_e64 s4, 0xc2ce8ed0, v5
	v_fma_f32 v34, 0x3fb8aa3b, v5, -v33
	v_rndne_f32_e32 v35, v33
	v_fmamk_f32 v34, v5, 0x32a5705f, v34
	v_sub_f32_e32 v33, v33, v35
	v_add_f32_e32 v33, v33, v34
	v_cvt_i32_f32_e32 v34, v35
	v_exp_f32_e32 v33, v33
	v_ldexp_f32 v33, v33, v34
	v_cndmask_b32_e64 v33, 0, v33, s4
	v_cmp_nlt_f32_e64 s4, 0x42b17218, v5
	v_cndmask_b32_e64 v5, 0x7f800000, v33, s4
	v_mov_b32_e32 v64, v32
	v_mov_b32_e32 v63, v31
	;; [unrolled: 1-line block ×4, first 2 shown]
	v_add_f32_e32 v0, v0, v5
	v_mov_b32_e32 v60, v28
	v_mov_b32_e32 v59, v27
	;; [unrolled: 1-line block ×28, first 2 shown]
.LBB765_273:
	s_andn2_saveexec_b32 s4, s63
	s_or_b32 exec_lo, exec_lo, s4
	s_or_b32 exec_lo, exec_lo, s42
                                        ; implicit-def: $vgpr1_vgpr2_vgpr3_vgpr4_vgpr5_vgpr6_vgpr7_vgpr8_vgpr9_vgpr10_vgpr11_vgpr12_vgpr13_vgpr14_vgpr15_vgpr16_vgpr17_vgpr18_vgpr19_vgpr20_vgpr21_vgpr22_vgpr23_vgpr24_vgpr25_vgpr26_vgpr27_vgpr28_vgpr29_vgpr30_vgpr31_vgpr32
	s_and_saveexec_b32 s4, s5
	s_xor_b32 s4, exec_lo, s4
	s_cbranch_execnz .LBB765_205
.LBB765_274:
	s_or_saveexec_b32 s42, s4
	s_xor_b32 s5, s62, -1
	s_xor_b32 exec_lo, exec_lo, s42
	s_cbranch_execz .LBB765_206
.LBB765_275:
	global_load_ubyte v1, v[98:99], off offset:160
	s_mov_b32 s62, 0
	s_waitcnt vmcnt(0)
	v_and_b32_e32 v1, 1, v1
	v_cmp_eq_u32_e64 s4, 1, v1
	v_mov_b32_e32 v1, v33
	v_mov_b32_e32 v6, v38
	;; [unrolled: 1-line block ×33, first 2 shown]
	s_xor_b32 s4, s4, -1
	s_and_saveexec_b32 s62, s4
	s_xor_b32 s62, exec_lo, s62
	s_cbranch_execz .LBB765_277
; %bb.276:
	v_sub_f32_e32 v1, v38, v106
	v_mul_f32_e32 v2, 0x3fb8aa3b, v1
	v_cmp_ngt_f32_e64 s4, 0xc2ce8ed0, v1
	v_fma_f32 v3, 0x3fb8aa3b, v1, -v2
	v_rndne_f32_e32 v4, v2
	v_fmamk_f32 v3, v1, 0x32a5705f, v3
	v_sub_f32_e32 v2, v2, v4
	v_add_f32_e32 v2, v2, v3
	v_cvt_i32_f32_e32 v3, v4
	v_exp_f32_e32 v2, v2
	v_ldexp_f32 v2, v2, v3
	v_cndmask_b32_e64 v2, 0, v2, s4
	v_cmp_nlt_f32_e64 s4, 0x42b17218, v1
	v_cndmask_b32_e64 v38, 0x7f800000, v2, s4
	v_mov_b32_e32 v1, v33
	v_mov_b32_e32 v2, v34
	;; [unrolled: 1-line block ×4, first 2 shown]
	v_add_f32_e32 v0, v0, v38
	v_mov_b32_e32 v5, v37
	v_mov_b32_e32 v6, v38
	;; [unrolled: 1-line block ×28, first 2 shown]
.LBB765_277:
	s_andn2_saveexec_b32 s4, s62
	s_or_b32 exec_lo, exec_lo, s4
	s_or_b32 exec_lo, exec_lo, s42
                                        ; implicit-def: $vgpr33_vgpr34_vgpr35_vgpr36_vgpr37_vgpr38_vgpr39_vgpr40_vgpr41_vgpr42_vgpr43_vgpr44_vgpr45_vgpr46_vgpr47_vgpr48_vgpr49_vgpr50_vgpr51_vgpr52_vgpr53_vgpr54_vgpr55_vgpr56_vgpr57_vgpr58_vgpr59_vgpr60_vgpr61_vgpr62_vgpr63_vgpr64
	s_and_saveexec_b32 s4, s5
	s_xor_b32 s4, exec_lo, s4
	s_cbranch_execnz .LBB765_207
.LBB765_278:
	s_or_saveexec_b32 s42, s4
	s_xor_b32 s5, s61, -1
	s_xor_b32 exec_lo, exec_lo, s42
	s_cbranch_execz .LBB765_208
.LBB765_279:
	global_load_ubyte v33, v[98:99], off offset:192
	s_mov_b32 s61, 0
	s_waitcnt vmcnt(0)
	v_and_b32_e32 v33, 1, v33
	v_cmp_eq_u32_e64 s4, 1, v33
	v_mov_b32_e32 v64, v32
	v_mov_b32_e32 v39, v7
	;; [unrolled: 1-line block ×33, first 2 shown]
	s_xor_b32 s4, s4, -1
	s_and_saveexec_b32 s61, s4
	s_xor_b32 s61, exec_lo, s61
	s_cbranch_execz .LBB765_281
; %bb.280:
	v_sub_f32_e32 v7, v7, v106
	v_mul_f32_e32 v33, 0x3fb8aa3b, v7
	v_cmp_ngt_f32_e64 s4, 0xc2ce8ed0, v7
	v_fma_f32 v34, 0x3fb8aa3b, v7, -v33
	v_rndne_f32_e32 v35, v33
	v_fmamk_f32 v34, v7, 0x32a5705f, v34
	v_sub_f32_e32 v33, v33, v35
	v_add_f32_e32 v33, v33, v34
	v_cvt_i32_f32_e32 v34, v35
	v_exp_f32_e32 v33, v33
	v_ldexp_f32 v33, v33, v34
	v_cndmask_b32_e64 v33, 0, v33, s4
	v_cmp_nlt_f32_e64 s4, 0x42b17218, v7
	v_cndmask_b32_e64 v7, 0x7f800000, v33, s4
	v_mov_b32_e32 v64, v32
	v_mov_b32_e32 v63, v31
	;; [unrolled: 1-line block ×4, first 2 shown]
	v_add_f32_e32 v0, v0, v7
	v_mov_b32_e32 v60, v28
	v_mov_b32_e32 v59, v27
	;; [unrolled: 1-line block ×28, first 2 shown]
.LBB765_281:
	s_andn2_saveexec_b32 s4, s61
	s_or_b32 exec_lo, exec_lo, s4
	s_or_b32 exec_lo, exec_lo, s42
                                        ; implicit-def: $vgpr1_vgpr2_vgpr3_vgpr4_vgpr5_vgpr6_vgpr7_vgpr8_vgpr9_vgpr10_vgpr11_vgpr12_vgpr13_vgpr14_vgpr15_vgpr16_vgpr17_vgpr18_vgpr19_vgpr20_vgpr21_vgpr22_vgpr23_vgpr24_vgpr25_vgpr26_vgpr27_vgpr28_vgpr29_vgpr30_vgpr31_vgpr32
	s_and_saveexec_b32 s4, s5
	s_xor_b32 s4, exec_lo, s4
	s_cbranch_execnz .LBB765_209
.LBB765_282:
	s_or_saveexec_b32 s42, s4
	s_xor_b32 s5, s60, -1
	s_xor_b32 exec_lo, exec_lo, s42
	s_cbranch_execz .LBB765_210
.LBB765_283:
	global_load_ubyte v1, v[98:99], off offset:224
	s_mov_b32 s60, 0
	s_waitcnt vmcnt(0)
	v_and_b32_e32 v1, 1, v1
	v_cmp_eq_u32_e64 s4, 1, v1
	v_mov_b32_e32 v1, v33
	v_mov_b32_e32 v8, v40
	;; [unrolled: 1-line block ×33, first 2 shown]
	s_xor_b32 s4, s4, -1
	s_and_saveexec_b32 s60, s4
	s_xor_b32 s60, exec_lo, s60
	s_cbranch_execz .LBB765_285
; %bb.284:
	v_sub_f32_e32 v1, v40, v106
	v_mul_f32_e32 v2, 0x3fb8aa3b, v1
	v_cmp_ngt_f32_e64 s4, 0xc2ce8ed0, v1
	v_fma_f32 v3, 0x3fb8aa3b, v1, -v2
	v_rndne_f32_e32 v4, v2
	v_fmamk_f32 v3, v1, 0x32a5705f, v3
	v_sub_f32_e32 v2, v2, v4
	v_add_f32_e32 v2, v2, v3
	v_cvt_i32_f32_e32 v3, v4
	v_exp_f32_e32 v2, v2
	v_ldexp_f32 v2, v2, v3
	v_cndmask_b32_e64 v2, 0, v2, s4
	v_cmp_nlt_f32_e64 s4, 0x42b17218, v1
	v_cndmask_b32_e64 v40, 0x7f800000, v2, s4
	v_mov_b32_e32 v1, v33
	v_mov_b32_e32 v2, v34
	;; [unrolled: 1-line block ×4, first 2 shown]
	v_add_f32_e32 v0, v0, v40
	v_mov_b32_e32 v5, v37
	v_mov_b32_e32 v6, v38
	;; [unrolled: 1-line block ×28, first 2 shown]
.LBB765_285:
	s_andn2_saveexec_b32 s4, s60
	s_or_b32 exec_lo, exec_lo, s4
	s_or_b32 exec_lo, exec_lo, s42
                                        ; implicit-def: $vgpr33_vgpr34_vgpr35_vgpr36_vgpr37_vgpr38_vgpr39_vgpr40_vgpr41_vgpr42_vgpr43_vgpr44_vgpr45_vgpr46_vgpr47_vgpr48_vgpr49_vgpr50_vgpr51_vgpr52_vgpr53_vgpr54_vgpr55_vgpr56_vgpr57_vgpr58_vgpr59_vgpr60_vgpr61_vgpr62_vgpr63_vgpr64
	s_and_saveexec_b32 s4, s5
	s_xor_b32 s4, exec_lo, s4
	s_cbranch_execnz .LBB765_211
.LBB765_286:
	s_or_saveexec_b32 s42, s4
	s_xor_b32 s5, s59, -1
	s_xor_b32 exec_lo, exec_lo, s42
	s_cbranch_execz .LBB765_212
.LBB765_287:
	global_load_ubyte v33, v[98:99], off offset:256
	s_mov_b32 s59, 0
	s_waitcnt vmcnt(0)
	v_and_b32_e32 v33, 1, v33
	v_cmp_eq_u32_e64 s4, 1, v33
	v_mov_b32_e32 v64, v32
	v_mov_b32_e32 v41, v9
	;; [unrolled: 1-line block ×33, first 2 shown]
	s_xor_b32 s4, s4, -1
	s_and_saveexec_b32 s59, s4
	s_xor_b32 s59, exec_lo, s59
	s_cbranch_execz .LBB765_289
; %bb.288:
	v_sub_f32_e32 v9, v9, v106
	v_mul_f32_e32 v33, 0x3fb8aa3b, v9
	v_cmp_ngt_f32_e64 s4, 0xc2ce8ed0, v9
	v_fma_f32 v34, 0x3fb8aa3b, v9, -v33
	v_rndne_f32_e32 v35, v33
	v_fmamk_f32 v34, v9, 0x32a5705f, v34
	v_sub_f32_e32 v33, v33, v35
	v_add_f32_e32 v33, v33, v34
	v_cvt_i32_f32_e32 v34, v35
	v_exp_f32_e32 v33, v33
	v_ldexp_f32 v33, v33, v34
	v_cndmask_b32_e64 v33, 0, v33, s4
	v_cmp_nlt_f32_e64 s4, 0x42b17218, v9
	v_cndmask_b32_e64 v9, 0x7f800000, v33, s4
	v_mov_b32_e32 v64, v32
	v_mov_b32_e32 v63, v31
	;; [unrolled: 1-line block ×4, first 2 shown]
	v_add_f32_e32 v0, v0, v9
	v_mov_b32_e32 v60, v28
	v_mov_b32_e32 v59, v27
	;; [unrolled: 1-line block ×28, first 2 shown]
.LBB765_289:
	s_andn2_saveexec_b32 s4, s59
	s_or_b32 exec_lo, exec_lo, s4
	s_or_b32 exec_lo, exec_lo, s42
                                        ; implicit-def: $vgpr1_vgpr2_vgpr3_vgpr4_vgpr5_vgpr6_vgpr7_vgpr8_vgpr9_vgpr10_vgpr11_vgpr12_vgpr13_vgpr14_vgpr15_vgpr16_vgpr17_vgpr18_vgpr19_vgpr20_vgpr21_vgpr22_vgpr23_vgpr24_vgpr25_vgpr26_vgpr27_vgpr28_vgpr29_vgpr30_vgpr31_vgpr32
	s_and_saveexec_b32 s4, s5
	s_xor_b32 s4, exec_lo, s4
	s_cbranch_execnz .LBB765_213
.LBB765_290:
	s_or_saveexec_b32 s42, s4
	s_xor_b32 s5, s58, -1
	s_xor_b32 exec_lo, exec_lo, s42
	s_cbranch_execz .LBB765_214
.LBB765_291:
	global_load_ubyte v1, v[98:99], off offset:288
	s_mov_b32 s58, 0
	s_waitcnt vmcnt(0)
	v_and_b32_e32 v1, 1, v1
	v_cmp_eq_u32_e64 s4, 1, v1
	v_mov_b32_e32 v1, v33
	v_mov_b32_e32 v10, v42
	;; [unrolled: 1-line block ×33, first 2 shown]
	s_xor_b32 s4, s4, -1
	s_and_saveexec_b32 s58, s4
	s_xor_b32 s58, exec_lo, s58
	s_cbranch_execz .LBB765_293
; %bb.292:
	v_sub_f32_e32 v1, v42, v106
	v_mul_f32_e32 v2, 0x3fb8aa3b, v1
	v_cmp_ngt_f32_e64 s4, 0xc2ce8ed0, v1
	v_fma_f32 v3, 0x3fb8aa3b, v1, -v2
	v_rndne_f32_e32 v4, v2
	v_fmamk_f32 v3, v1, 0x32a5705f, v3
	v_sub_f32_e32 v2, v2, v4
	v_add_f32_e32 v2, v2, v3
	v_cvt_i32_f32_e32 v3, v4
	v_exp_f32_e32 v2, v2
	v_ldexp_f32 v2, v2, v3
	v_cndmask_b32_e64 v2, 0, v2, s4
	v_cmp_nlt_f32_e64 s4, 0x42b17218, v1
	v_cndmask_b32_e64 v42, 0x7f800000, v2, s4
	v_mov_b32_e32 v1, v33
	v_mov_b32_e32 v2, v34
	v_mov_b32_e32 v3, v35
	v_mov_b32_e32 v4, v36
	v_add_f32_e32 v0, v0, v42
	v_mov_b32_e32 v5, v37
	v_mov_b32_e32 v6, v38
	;; [unrolled: 1-line block ×28, first 2 shown]
.LBB765_293:
	s_andn2_saveexec_b32 s4, s58
	s_or_b32 exec_lo, exec_lo, s4
	s_or_b32 exec_lo, exec_lo, s42
                                        ; implicit-def: $vgpr33_vgpr34_vgpr35_vgpr36_vgpr37_vgpr38_vgpr39_vgpr40_vgpr41_vgpr42_vgpr43_vgpr44_vgpr45_vgpr46_vgpr47_vgpr48_vgpr49_vgpr50_vgpr51_vgpr52_vgpr53_vgpr54_vgpr55_vgpr56_vgpr57_vgpr58_vgpr59_vgpr60_vgpr61_vgpr62_vgpr63_vgpr64
	s_and_saveexec_b32 s4, s5
	s_xor_b32 s4, exec_lo, s4
	s_cbranch_execnz .LBB765_215
.LBB765_294:
	s_or_saveexec_b32 s42, s4
	s_xor_b32 s5, s57, -1
	s_xor_b32 exec_lo, exec_lo, s42
	s_cbranch_execz .LBB765_216
.LBB765_295:
	global_load_ubyte v33, v[98:99], off offset:320
	s_mov_b32 s57, 0
	s_waitcnt vmcnt(0)
	v_and_b32_e32 v33, 1, v33
	v_cmp_eq_u32_e64 s4, 1, v33
	v_mov_b32_e32 v64, v32
	v_mov_b32_e32 v43, v11
	;; [unrolled: 1-line block ×33, first 2 shown]
	s_xor_b32 s4, s4, -1
	s_and_saveexec_b32 s57, s4
	s_xor_b32 s57, exec_lo, s57
	s_cbranch_execz .LBB765_297
; %bb.296:
	v_sub_f32_e32 v11, v11, v106
	v_mul_f32_e32 v33, 0x3fb8aa3b, v11
	v_cmp_ngt_f32_e64 s4, 0xc2ce8ed0, v11
	v_fma_f32 v34, 0x3fb8aa3b, v11, -v33
	v_rndne_f32_e32 v35, v33
	v_fmamk_f32 v34, v11, 0x32a5705f, v34
	v_sub_f32_e32 v33, v33, v35
	v_add_f32_e32 v33, v33, v34
	v_cvt_i32_f32_e32 v34, v35
	v_exp_f32_e32 v33, v33
	v_ldexp_f32 v33, v33, v34
	v_cndmask_b32_e64 v33, 0, v33, s4
	v_cmp_nlt_f32_e64 s4, 0x42b17218, v11
	v_cndmask_b32_e64 v11, 0x7f800000, v33, s4
	v_mov_b32_e32 v64, v32
	v_mov_b32_e32 v63, v31
	;; [unrolled: 1-line block ×4, first 2 shown]
	v_add_f32_e32 v0, v0, v11
	v_mov_b32_e32 v60, v28
	v_mov_b32_e32 v59, v27
	;; [unrolled: 1-line block ×28, first 2 shown]
.LBB765_297:
	s_andn2_saveexec_b32 s4, s57
	s_or_b32 exec_lo, exec_lo, s4
	s_or_b32 exec_lo, exec_lo, s42
                                        ; implicit-def: $vgpr1_vgpr2_vgpr3_vgpr4_vgpr5_vgpr6_vgpr7_vgpr8_vgpr9_vgpr10_vgpr11_vgpr12_vgpr13_vgpr14_vgpr15_vgpr16_vgpr17_vgpr18_vgpr19_vgpr20_vgpr21_vgpr22_vgpr23_vgpr24_vgpr25_vgpr26_vgpr27_vgpr28_vgpr29_vgpr30_vgpr31_vgpr32
	s_and_saveexec_b32 s4, s5
	s_xor_b32 s4, exec_lo, s4
	s_cbranch_execnz .LBB765_217
.LBB765_298:
	s_or_saveexec_b32 s42, s4
	s_xor_b32 s5, s56, -1
	s_xor_b32 exec_lo, exec_lo, s42
	s_cbranch_execz .LBB765_218
.LBB765_299:
	global_load_ubyte v1, v[98:99], off offset:352
	s_mov_b32 s56, 0
	s_waitcnt vmcnt(0)
	v_and_b32_e32 v1, 1, v1
	v_cmp_eq_u32_e64 s4, 1, v1
	v_mov_b32_e32 v1, v33
	v_mov_b32_e32 v12, v44
	;; [unrolled: 1-line block ×33, first 2 shown]
	s_xor_b32 s4, s4, -1
	s_and_saveexec_b32 s56, s4
	s_xor_b32 s56, exec_lo, s56
	s_cbranch_execz .LBB765_301
; %bb.300:
	v_sub_f32_e32 v1, v44, v106
	v_mul_f32_e32 v2, 0x3fb8aa3b, v1
	v_cmp_ngt_f32_e64 s4, 0xc2ce8ed0, v1
	v_fma_f32 v3, 0x3fb8aa3b, v1, -v2
	v_rndne_f32_e32 v4, v2
	v_fmamk_f32 v3, v1, 0x32a5705f, v3
	v_sub_f32_e32 v2, v2, v4
	v_add_f32_e32 v2, v2, v3
	v_cvt_i32_f32_e32 v3, v4
	v_exp_f32_e32 v2, v2
	v_ldexp_f32 v2, v2, v3
	v_cndmask_b32_e64 v2, 0, v2, s4
	v_cmp_nlt_f32_e64 s4, 0x42b17218, v1
	v_cndmask_b32_e64 v44, 0x7f800000, v2, s4
	v_mov_b32_e32 v1, v33
	v_mov_b32_e32 v2, v34
	;; [unrolled: 1-line block ×4, first 2 shown]
	v_add_f32_e32 v0, v0, v44
	v_mov_b32_e32 v5, v37
	v_mov_b32_e32 v6, v38
	;; [unrolled: 1-line block ×28, first 2 shown]
.LBB765_301:
	s_andn2_saveexec_b32 s4, s56
	s_or_b32 exec_lo, exec_lo, s4
	s_or_b32 exec_lo, exec_lo, s42
                                        ; implicit-def: $vgpr33_vgpr34_vgpr35_vgpr36_vgpr37_vgpr38_vgpr39_vgpr40_vgpr41_vgpr42_vgpr43_vgpr44_vgpr45_vgpr46_vgpr47_vgpr48_vgpr49_vgpr50_vgpr51_vgpr52_vgpr53_vgpr54_vgpr55_vgpr56_vgpr57_vgpr58_vgpr59_vgpr60_vgpr61_vgpr62_vgpr63_vgpr64
	s_and_saveexec_b32 s4, s5
	s_xor_b32 s4, exec_lo, s4
	s_cbranch_execnz .LBB765_219
.LBB765_302:
	s_or_saveexec_b32 s42, s4
	s_xor_b32 s5, s55, -1
	s_xor_b32 exec_lo, exec_lo, s42
	s_cbranch_execz .LBB765_220
.LBB765_303:
	global_load_ubyte v33, v[98:99], off offset:384
	s_mov_b32 s55, 0
	s_waitcnt vmcnt(0)
	v_and_b32_e32 v33, 1, v33
	v_cmp_eq_u32_e64 s4, 1, v33
	v_mov_b32_e32 v64, v32
	v_mov_b32_e32 v45, v13
	v_mov_b32_e32 v63, v31
	v_mov_b32_e32 v62, v30
	v_mov_b32_e32 v61, v29
	v_mov_b32_e32 v60, v28
	v_mov_b32_e32 v59, v27
	v_mov_b32_e32 v58, v26
	v_mov_b32_e32 v57, v25
	v_mov_b32_e32 v56, v24
	v_mov_b32_e32 v55, v23
	v_mov_b32_e32 v54, v22
	v_mov_b32_e32 v53, v21
	v_mov_b32_e32 v52, v20
	v_mov_b32_e32 v51, v19
	v_mov_b32_e32 v50, v18
	v_mov_b32_e32 v49, v17
	v_mov_b32_e32 v48, v16
	v_mov_b32_e32 v47, v15
	v_mov_b32_e32 v46, v14
	v_mov_b32_e32 v44, v12
	v_mov_b32_e32 v43, v11
	v_mov_b32_e32 v42, v10
	v_mov_b32_e32 v41, v9
	v_mov_b32_e32 v40, v8
	v_mov_b32_e32 v39, v7
	v_mov_b32_e32 v38, v6
	v_mov_b32_e32 v37, v5
	v_mov_b32_e32 v36, v4
	v_mov_b32_e32 v35, v3
	v_mov_b32_e32 v34, v2
	v_mov_b32_e32 v33, v1
	v_mov_b32_e32 v45, s55
	s_xor_b32 s4, s4, -1
	s_and_saveexec_b32 s55, s4
	s_xor_b32 s55, exec_lo, s55
	s_cbranch_execz .LBB765_305
; %bb.304:
	v_sub_f32_e32 v13, v13, v106
	v_mul_f32_e32 v33, 0x3fb8aa3b, v13
	v_cmp_ngt_f32_e64 s4, 0xc2ce8ed0, v13
	v_fma_f32 v34, 0x3fb8aa3b, v13, -v33
	v_rndne_f32_e32 v35, v33
	v_fmamk_f32 v34, v13, 0x32a5705f, v34
	v_sub_f32_e32 v33, v33, v35
	v_add_f32_e32 v33, v33, v34
	v_cvt_i32_f32_e32 v34, v35
	v_exp_f32_e32 v33, v33
	v_ldexp_f32 v33, v33, v34
	v_cndmask_b32_e64 v33, 0, v33, s4
	v_cmp_nlt_f32_e64 s4, 0x42b17218, v13
	v_cndmask_b32_e64 v13, 0x7f800000, v33, s4
	v_mov_b32_e32 v64, v32
	v_mov_b32_e32 v63, v31
	;; [unrolled: 1-line block ×4, first 2 shown]
	v_add_f32_e32 v0, v0, v13
	v_mov_b32_e32 v60, v28
	v_mov_b32_e32 v59, v27
	;; [unrolled: 1-line block ×28, first 2 shown]
.LBB765_305:
	s_andn2_saveexec_b32 s4, s55
	s_or_b32 exec_lo, exec_lo, s4
	s_or_b32 exec_lo, exec_lo, s42
                                        ; implicit-def: $vgpr1_vgpr2_vgpr3_vgpr4_vgpr5_vgpr6_vgpr7_vgpr8_vgpr9_vgpr10_vgpr11_vgpr12_vgpr13_vgpr14_vgpr15_vgpr16_vgpr17_vgpr18_vgpr19_vgpr20_vgpr21_vgpr22_vgpr23_vgpr24_vgpr25_vgpr26_vgpr27_vgpr28_vgpr29_vgpr30_vgpr31_vgpr32
	s_and_saveexec_b32 s4, s5
	s_xor_b32 s4, exec_lo, s4
	s_cbranch_execnz .LBB765_221
.LBB765_306:
	s_or_saveexec_b32 s42, s4
	s_xor_b32 s5, s54, -1
	s_xor_b32 exec_lo, exec_lo, s42
	s_cbranch_execz .LBB765_222
.LBB765_307:
	global_load_ubyte v1, v[98:99], off offset:416
	s_mov_b32 s54, 0
	s_waitcnt vmcnt(0)
	v_and_b32_e32 v1, 1, v1
	v_cmp_eq_u32_e64 s4, 1, v1
	v_mov_b32_e32 v1, v33
	v_mov_b32_e32 v14, v46
	;; [unrolled: 1-line block ×33, first 2 shown]
	s_xor_b32 s4, s4, -1
	s_and_saveexec_b32 s54, s4
	s_xor_b32 s54, exec_lo, s54
	s_cbranch_execz .LBB765_309
; %bb.308:
	v_sub_f32_e32 v1, v46, v106
	v_mul_f32_e32 v2, 0x3fb8aa3b, v1
	v_cmp_ngt_f32_e64 s4, 0xc2ce8ed0, v1
	v_fma_f32 v3, 0x3fb8aa3b, v1, -v2
	v_rndne_f32_e32 v4, v2
	v_fmamk_f32 v3, v1, 0x32a5705f, v3
	v_sub_f32_e32 v2, v2, v4
	v_add_f32_e32 v2, v2, v3
	v_cvt_i32_f32_e32 v3, v4
	v_exp_f32_e32 v2, v2
	v_ldexp_f32 v2, v2, v3
	v_cndmask_b32_e64 v2, 0, v2, s4
	v_cmp_nlt_f32_e64 s4, 0x42b17218, v1
	v_cndmask_b32_e64 v46, 0x7f800000, v2, s4
	v_mov_b32_e32 v1, v33
	v_mov_b32_e32 v2, v34
	;; [unrolled: 1-line block ×4, first 2 shown]
	v_add_f32_e32 v0, v0, v46
	v_mov_b32_e32 v5, v37
	v_mov_b32_e32 v6, v38
	;; [unrolled: 1-line block ×28, first 2 shown]
.LBB765_309:
	s_andn2_saveexec_b32 s4, s54
	s_or_b32 exec_lo, exec_lo, s4
	s_or_b32 exec_lo, exec_lo, s42
                                        ; implicit-def: $vgpr33_vgpr34_vgpr35_vgpr36_vgpr37_vgpr38_vgpr39_vgpr40_vgpr41_vgpr42_vgpr43_vgpr44_vgpr45_vgpr46_vgpr47_vgpr48_vgpr49_vgpr50_vgpr51_vgpr52_vgpr53_vgpr54_vgpr55_vgpr56_vgpr57_vgpr58_vgpr59_vgpr60_vgpr61_vgpr62_vgpr63_vgpr64
	s_and_saveexec_b32 s4, s5
	s_xor_b32 s4, exec_lo, s4
	s_cbranch_execnz .LBB765_223
.LBB765_310:
	s_or_saveexec_b32 s42, s4
	s_xor_b32 s5, s53, -1
	s_xor_b32 exec_lo, exec_lo, s42
	s_cbranch_execz .LBB765_224
.LBB765_311:
	global_load_ubyte v33, v[98:99], off offset:448
	s_mov_b32 s53, 0
	s_waitcnt vmcnt(0)
	v_and_b32_e32 v33, 1, v33
	v_cmp_eq_u32_e64 s4, 1, v33
	v_mov_b32_e32 v64, v32
	v_mov_b32_e32 v47, v15
	;; [unrolled: 1-line block ×33, first 2 shown]
	s_xor_b32 s4, s4, -1
	s_and_saveexec_b32 s53, s4
	s_xor_b32 s53, exec_lo, s53
	s_cbranch_execz .LBB765_313
; %bb.312:
	v_sub_f32_e32 v15, v15, v106
	v_mul_f32_e32 v33, 0x3fb8aa3b, v15
	v_cmp_ngt_f32_e64 s4, 0xc2ce8ed0, v15
	v_fma_f32 v34, 0x3fb8aa3b, v15, -v33
	v_rndne_f32_e32 v35, v33
	v_fmamk_f32 v34, v15, 0x32a5705f, v34
	v_sub_f32_e32 v33, v33, v35
	v_add_f32_e32 v33, v33, v34
	v_cvt_i32_f32_e32 v34, v35
	v_exp_f32_e32 v33, v33
	v_ldexp_f32 v33, v33, v34
	v_cndmask_b32_e64 v33, 0, v33, s4
	v_cmp_nlt_f32_e64 s4, 0x42b17218, v15
	v_cndmask_b32_e64 v15, 0x7f800000, v33, s4
	v_mov_b32_e32 v64, v32
	v_mov_b32_e32 v63, v31
	v_mov_b32_e32 v62, v30
	v_mov_b32_e32 v61, v29
	v_add_f32_e32 v0, v0, v15
	v_mov_b32_e32 v60, v28
	v_mov_b32_e32 v59, v27
	;; [unrolled: 1-line block ×28, first 2 shown]
.LBB765_313:
	s_andn2_saveexec_b32 s4, s53
	s_or_b32 exec_lo, exec_lo, s4
	s_or_b32 exec_lo, exec_lo, s42
                                        ; implicit-def: $vgpr1_vgpr2_vgpr3_vgpr4_vgpr5_vgpr6_vgpr7_vgpr8_vgpr9_vgpr10_vgpr11_vgpr12_vgpr13_vgpr14_vgpr15_vgpr16_vgpr17_vgpr18_vgpr19_vgpr20_vgpr21_vgpr22_vgpr23_vgpr24_vgpr25_vgpr26_vgpr27_vgpr28_vgpr29_vgpr30_vgpr31_vgpr32
	s_and_saveexec_b32 s4, s5
	s_xor_b32 s4, exec_lo, s4
	s_cbranch_execnz .LBB765_225
.LBB765_314:
	s_or_saveexec_b32 s42, s4
	s_xor_b32 s5, s52, -1
	s_xor_b32 exec_lo, exec_lo, s42
	s_cbranch_execz .LBB765_226
.LBB765_315:
	global_load_ubyte v1, v[98:99], off offset:480
	s_mov_b32 s52, 0
	s_waitcnt vmcnt(0)
	v_and_b32_e32 v1, 1, v1
	v_cmp_eq_u32_e64 s4, 1, v1
	v_mov_b32_e32 v1, v33
	v_mov_b32_e32 v16, v48
	;; [unrolled: 1-line block ×33, first 2 shown]
	s_xor_b32 s4, s4, -1
	s_and_saveexec_b32 s52, s4
	s_xor_b32 s52, exec_lo, s52
	s_cbranch_execz .LBB765_317
; %bb.316:
	v_sub_f32_e32 v1, v48, v106
	v_mul_f32_e32 v2, 0x3fb8aa3b, v1
	v_cmp_ngt_f32_e64 s4, 0xc2ce8ed0, v1
	v_fma_f32 v3, 0x3fb8aa3b, v1, -v2
	v_rndne_f32_e32 v4, v2
	v_fmamk_f32 v3, v1, 0x32a5705f, v3
	v_sub_f32_e32 v2, v2, v4
	v_add_f32_e32 v2, v2, v3
	v_cvt_i32_f32_e32 v3, v4
	v_exp_f32_e32 v2, v2
	v_ldexp_f32 v2, v2, v3
	v_cndmask_b32_e64 v2, 0, v2, s4
	v_cmp_nlt_f32_e64 s4, 0x42b17218, v1
	v_cndmask_b32_e64 v48, 0x7f800000, v2, s4
	v_mov_b32_e32 v1, v33
	v_mov_b32_e32 v2, v34
	;; [unrolled: 1-line block ×4, first 2 shown]
	v_add_f32_e32 v0, v0, v48
	v_mov_b32_e32 v5, v37
	v_mov_b32_e32 v6, v38
	;; [unrolled: 1-line block ×28, first 2 shown]
.LBB765_317:
	s_andn2_saveexec_b32 s4, s52
	s_or_b32 exec_lo, exec_lo, s4
	s_or_b32 exec_lo, exec_lo, s42
                                        ; implicit-def: $vgpr33_vgpr34_vgpr35_vgpr36_vgpr37_vgpr38_vgpr39_vgpr40_vgpr41_vgpr42_vgpr43_vgpr44_vgpr45_vgpr46_vgpr47_vgpr48_vgpr49_vgpr50_vgpr51_vgpr52_vgpr53_vgpr54_vgpr55_vgpr56_vgpr57_vgpr58_vgpr59_vgpr60_vgpr61_vgpr62_vgpr63_vgpr64
	s_and_saveexec_b32 s4, s5
	s_xor_b32 s4, exec_lo, s4
	s_cbranch_execnz .LBB765_227
.LBB765_318:
	s_or_saveexec_b32 s42, s4
	s_xor_b32 s5, s51, -1
	s_xor_b32 exec_lo, exec_lo, s42
	s_cbranch_execz .LBB765_228
.LBB765_319:
	global_load_ubyte v33, v[98:99], off offset:512
	s_mov_b32 s51, 0
	s_waitcnt vmcnt(0)
	v_and_b32_e32 v33, 1, v33
	v_cmp_eq_u32_e64 s4, 1, v33
	v_mov_b32_e32 v64, v32
	v_mov_b32_e32 v49, v17
	v_mov_b32_e32 v63, v31
	v_mov_b32_e32 v62, v30
	v_mov_b32_e32 v61, v29
	v_mov_b32_e32 v60, v28
	v_mov_b32_e32 v59, v27
	v_mov_b32_e32 v58, v26
	v_mov_b32_e32 v57, v25
	v_mov_b32_e32 v56, v24
	v_mov_b32_e32 v55, v23
	v_mov_b32_e32 v54, v22
	v_mov_b32_e32 v53, v21
	v_mov_b32_e32 v52, v20
	v_mov_b32_e32 v51, v19
	v_mov_b32_e32 v50, v18
	v_mov_b32_e32 v48, v16
	v_mov_b32_e32 v47, v15
	v_mov_b32_e32 v46, v14
	v_mov_b32_e32 v45, v13
	v_mov_b32_e32 v44, v12
	v_mov_b32_e32 v43, v11
	v_mov_b32_e32 v42, v10
	v_mov_b32_e32 v41, v9
	v_mov_b32_e32 v40, v8
	v_mov_b32_e32 v39, v7
	v_mov_b32_e32 v38, v6
	v_mov_b32_e32 v37, v5
	v_mov_b32_e32 v36, v4
	v_mov_b32_e32 v35, v3
	v_mov_b32_e32 v34, v2
	v_mov_b32_e32 v33, v1
	v_mov_b32_e32 v49, s51
	s_xor_b32 s4, s4, -1
	s_and_saveexec_b32 s51, s4
	s_xor_b32 s51, exec_lo, s51
	s_cbranch_execz .LBB765_321
; %bb.320:
	v_sub_f32_e32 v17, v17, v106
	v_mul_f32_e32 v33, 0x3fb8aa3b, v17
	v_cmp_ngt_f32_e64 s4, 0xc2ce8ed0, v17
	v_fma_f32 v34, 0x3fb8aa3b, v17, -v33
	v_rndne_f32_e32 v35, v33
	v_fmamk_f32 v34, v17, 0x32a5705f, v34
	v_sub_f32_e32 v33, v33, v35
	v_add_f32_e32 v33, v33, v34
	v_cvt_i32_f32_e32 v34, v35
	v_exp_f32_e32 v33, v33
	v_ldexp_f32 v33, v33, v34
	v_cndmask_b32_e64 v33, 0, v33, s4
	v_cmp_nlt_f32_e64 s4, 0x42b17218, v17
	v_cndmask_b32_e64 v17, 0x7f800000, v33, s4
	v_mov_b32_e32 v64, v32
	v_mov_b32_e32 v63, v31
	;; [unrolled: 1-line block ×4, first 2 shown]
	v_add_f32_e32 v0, v0, v17
	v_mov_b32_e32 v60, v28
	v_mov_b32_e32 v59, v27
	;; [unrolled: 1-line block ×28, first 2 shown]
.LBB765_321:
	s_andn2_saveexec_b32 s4, s51
	s_or_b32 exec_lo, exec_lo, s4
	s_or_b32 exec_lo, exec_lo, s42
                                        ; implicit-def: $vgpr1_vgpr2_vgpr3_vgpr4_vgpr5_vgpr6_vgpr7_vgpr8_vgpr9_vgpr10_vgpr11_vgpr12_vgpr13_vgpr14_vgpr15_vgpr16_vgpr17_vgpr18_vgpr19_vgpr20_vgpr21_vgpr22_vgpr23_vgpr24_vgpr25_vgpr26_vgpr27_vgpr28_vgpr29_vgpr30_vgpr31_vgpr32
	s_and_saveexec_b32 s4, s5
	s_xor_b32 s4, exec_lo, s4
	s_cbranch_execnz .LBB765_229
.LBB765_322:
	s_or_saveexec_b32 s42, s4
	s_xor_b32 s5, s50, -1
	s_xor_b32 exec_lo, exec_lo, s42
	s_cbranch_execz .LBB765_230
.LBB765_323:
	global_load_ubyte v1, v[98:99], off offset:544
	s_mov_b32 s50, 0
	s_waitcnt vmcnt(0)
	v_and_b32_e32 v1, 1, v1
	v_cmp_eq_u32_e64 s4, 1, v1
	v_mov_b32_e32 v1, v33
	v_mov_b32_e32 v18, v50
	;; [unrolled: 1-line block ×33, first 2 shown]
	s_xor_b32 s4, s4, -1
	s_and_saveexec_b32 s50, s4
	s_xor_b32 s50, exec_lo, s50
	s_cbranch_execz .LBB765_325
; %bb.324:
	v_sub_f32_e32 v1, v50, v106
	v_mul_f32_e32 v2, 0x3fb8aa3b, v1
	v_cmp_ngt_f32_e64 s4, 0xc2ce8ed0, v1
	v_fma_f32 v3, 0x3fb8aa3b, v1, -v2
	v_rndne_f32_e32 v4, v2
	v_fmamk_f32 v3, v1, 0x32a5705f, v3
	v_sub_f32_e32 v2, v2, v4
	v_add_f32_e32 v2, v2, v3
	v_cvt_i32_f32_e32 v3, v4
	v_exp_f32_e32 v2, v2
	v_ldexp_f32 v2, v2, v3
	v_cndmask_b32_e64 v2, 0, v2, s4
	v_cmp_nlt_f32_e64 s4, 0x42b17218, v1
	v_cndmask_b32_e64 v50, 0x7f800000, v2, s4
	v_mov_b32_e32 v1, v33
	v_mov_b32_e32 v2, v34
	;; [unrolled: 1-line block ×4, first 2 shown]
	v_add_f32_e32 v0, v0, v50
	v_mov_b32_e32 v5, v37
	v_mov_b32_e32 v6, v38
	;; [unrolled: 1-line block ×28, first 2 shown]
.LBB765_325:
	s_andn2_saveexec_b32 s4, s50
	s_or_b32 exec_lo, exec_lo, s4
	s_or_b32 exec_lo, exec_lo, s42
                                        ; implicit-def: $vgpr33_vgpr34_vgpr35_vgpr36_vgpr37_vgpr38_vgpr39_vgpr40_vgpr41_vgpr42_vgpr43_vgpr44_vgpr45_vgpr46_vgpr47_vgpr48_vgpr49_vgpr50_vgpr51_vgpr52_vgpr53_vgpr54_vgpr55_vgpr56_vgpr57_vgpr58_vgpr59_vgpr60_vgpr61_vgpr62_vgpr63_vgpr64
	s_and_saveexec_b32 s4, s5
	s_xor_b32 s4, exec_lo, s4
	s_cbranch_execnz .LBB765_231
.LBB765_326:
	s_or_saveexec_b32 s42, s4
	s_xor_b32 s5, s49, -1
	s_xor_b32 exec_lo, exec_lo, s42
	s_cbranch_execz .LBB765_232
.LBB765_327:
	global_load_ubyte v33, v[98:99], off offset:576
	s_mov_b32 s49, 0
	s_waitcnt vmcnt(0)
	v_and_b32_e32 v33, 1, v33
	v_cmp_eq_u32_e64 s4, 1, v33
	v_mov_b32_e32 v64, v32
	v_mov_b32_e32 v51, v19
	v_mov_b32_e32 v63, v31
	v_mov_b32_e32 v62, v30
	v_mov_b32_e32 v61, v29
	v_mov_b32_e32 v60, v28
	v_mov_b32_e32 v59, v27
	v_mov_b32_e32 v58, v26
	v_mov_b32_e32 v57, v25
	v_mov_b32_e32 v56, v24
	v_mov_b32_e32 v55, v23
	v_mov_b32_e32 v54, v22
	v_mov_b32_e32 v53, v21
	v_mov_b32_e32 v52, v20
	v_mov_b32_e32 v50, v18
	v_mov_b32_e32 v49, v17
	v_mov_b32_e32 v48, v16
	v_mov_b32_e32 v47, v15
	v_mov_b32_e32 v46, v14
	v_mov_b32_e32 v45, v13
	v_mov_b32_e32 v44, v12
	v_mov_b32_e32 v43, v11
	v_mov_b32_e32 v42, v10
	v_mov_b32_e32 v41, v9
	v_mov_b32_e32 v40, v8
	v_mov_b32_e32 v39, v7
	v_mov_b32_e32 v38, v6
	v_mov_b32_e32 v37, v5
	v_mov_b32_e32 v36, v4
	v_mov_b32_e32 v35, v3
	v_mov_b32_e32 v34, v2
	v_mov_b32_e32 v33, v1
	v_mov_b32_e32 v51, s49
	s_xor_b32 s4, s4, -1
	s_and_saveexec_b32 s49, s4
	s_xor_b32 s49, exec_lo, s49
	s_cbranch_execz .LBB765_329
; %bb.328:
	v_sub_f32_e32 v19, v19, v106
	v_mul_f32_e32 v33, 0x3fb8aa3b, v19
	v_cmp_ngt_f32_e64 s4, 0xc2ce8ed0, v19
	v_fma_f32 v34, 0x3fb8aa3b, v19, -v33
	v_rndne_f32_e32 v35, v33
	v_fmamk_f32 v34, v19, 0x32a5705f, v34
	v_sub_f32_e32 v33, v33, v35
	v_add_f32_e32 v33, v33, v34
	v_cvt_i32_f32_e32 v34, v35
	v_exp_f32_e32 v33, v33
	v_ldexp_f32 v33, v33, v34
	v_cndmask_b32_e64 v33, 0, v33, s4
	v_cmp_nlt_f32_e64 s4, 0x42b17218, v19
	v_cndmask_b32_e64 v19, 0x7f800000, v33, s4
	v_mov_b32_e32 v64, v32
	v_mov_b32_e32 v63, v31
	;; [unrolled: 1-line block ×4, first 2 shown]
	v_add_f32_e32 v0, v0, v19
	v_mov_b32_e32 v60, v28
	v_mov_b32_e32 v59, v27
	;; [unrolled: 1-line block ×28, first 2 shown]
.LBB765_329:
	s_andn2_saveexec_b32 s4, s49
	s_or_b32 exec_lo, exec_lo, s4
	s_or_b32 exec_lo, exec_lo, s42
                                        ; implicit-def: $vgpr1_vgpr2_vgpr3_vgpr4_vgpr5_vgpr6_vgpr7_vgpr8_vgpr9_vgpr10_vgpr11_vgpr12_vgpr13_vgpr14_vgpr15_vgpr16_vgpr17_vgpr18_vgpr19_vgpr20_vgpr21_vgpr22_vgpr23_vgpr24_vgpr25_vgpr26_vgpr27_vgpr28_vgpr29_vgpr30_vgpr31_vgpr32
	s_and_saveexec_b32 s4, s5
	s_xor_b32 s4, exec_lo, s4
	s_cbranch_execnz .LBB765_233
.LBB765_330:
	s_or_saveexec_b32 s42, s4
	s_xor_b32 s5, s48, -1
	s_xor_b32 exec_lo, exec_lo, s42
	s_cbranch_execz .LBB765_234
.LBB765_331:
	global_load_ubyte v1, v[98:99], off offset:608
	s_mov_b32 s48, 0
	s_waitcnt vmcnt(0)
	v_and_b32_e32 v1, 1, v1
	v_cmp_eq_u32_e64 s4, 1, v1
	v_mov_b32_e32 v1, v33
	v_mov_b32_e32 v20, v52
	;; [unrolled: 1-line block ×33, first 2 shown]
	s_xor_b32 s4, s4, -1
	s_and_saveexec_b32 s48, s4
	s_xor_b32 s48, exec_lo, s48
	s_cbranch_execz .LBB765_333
; %bb.332:
	v_sub_f32_e32 v1, v52, v106
	v_mul_f32_e32 v2, 0x3fb8aa3b, v1
	v_cmp_ngt_f32_e64 s4, 0xc2ce8ed0, v1
	v_fma_f32 v3, 0x3fb8aa3b, v1, -v2
	v_rndne_f32_e32 v4, v2
	v_fmamk_f32 v3, v1, 0x32a5705f, v3
	v_sub_f32_e32 v2, v2, v4
	v_add_f32_e32 v2, v2, v3
	v_cvt_i32_f32_e32 v3, v4
	v_exp_f32_e32 v2, v2
	v_ldexp_f32 v2, v2, v3
	v_cndmask_b32_e64 v2, 0, v2, s4
	v_cmp_nlt_f32_e64 s4, 0x42b17218, v1
	v_cndmask_b32_e64 v52, 0x7f800000, v2, s4
	v_mov_b32_e32 v1, v33
	v_mov_b32_e32 v2, v34
	;; [unrolled: 1-line block ×4, first 2 shown]
	v_add_f32_e32 v0, v0, v52
	v_mov_b32_e32 v5, v37
	v_mov_b32_e32 v6, v38
	;; [unrolled: 1-line block ×28, first 2 shown]
.LBB765_333:
	s_andn2_saveexec_b32 s4, s48
	s_or_b32 exec_lo, exec_lo, s4
	s_or_b32 exec_lo, exec_lo, s42
                                        ; implicit-def: $vgpr33_vgpr34_vgpr35_vgpr36_vgpr37_vgpr38_vgpr39_vgpr40_vgpr41_vgpr42_vgpr43_vgpr44_vgpr45_vgpr46_vgpr47_vgpr48_vgpr49_vgpr50_vgpr51_vgpr52_vgpr53_vgpr54_vgpr55_vgpr56_vgpr57_vgpr58_vgpr59_vgpr60_vgpr61_vgpr62_vgpr63_vgpr64
	s_and_saveexec_b32 s4, s5
	s_xor_b32 s4, exec_lo, s4
	s_cbranch_execnz .LBB765_235
.LBB765_334:
	s_or_saveexec_b32 s42, s4
	s_xor_b32 s5, s47, -1
	s_xor_b32 exec_lo, exec_lo, s42
	s_cbranch_execz .LBB765_236
.LBB765_335:
	global_load_ubyte v33, v[98:99], off offset:640
	s_mov_b32 s47, 0
	s_waitcnt vmcnt(0)
	v_and_b32_e32 v33, 1, v33
	v_cmp_eq_u32_e64 s4, 1, v33
	v_mov_b32_e32 v64, v32
	v_mov_b32_e32 v53, v21
	;; [unrolled: 1-line block ×33, first 2 shown]
	s_xor_b32 s4, s4, -1
	s_and_saveexec_b32 s47, s4
	s_xor_b32 s47, exec_lo, s47
	s_cbranch_execz .LBB765_337
; %bb.336:
	v_sub_f32_e32 v21, v21, v106
	v_mul_f32_e32 v33, 0x3fb8aa3b, v21
	v_cmp_ngt_f32_e64 s4, 0xc2ce8ed0, v21
	v_fma_f32 v34, 0x3fb8aa3b, v21, -v33
	v_rndne_f32_e32 v35, v33
	v_fmamk_f32 v34, v21, 0x32a5705f, v34
	v_sub_f32_e32 v33, v33, v35
	v_add_f32_e32 v33, v33, v34
	v_cvt_i32_f32_e32 v34, v35
	v_exp_f32_e32 v33, v33
	v_ldexp_f32 v33, v33, v34
	v_cndmask_b32_e64 v33, 0, v33, s4
	v_cmp_nlt_f32_e64 s4, 0x42b17218, v21
	v_cndmask_b32_e64 v21, 0x7f800000, v33, s4
	v_mov_b32_e32 v64, v32
	v_mov_b32_e32 v63, v31
	;; [unrolled: 1-line block ×4, first 2 shown]
	v_add_f32_e32 v0, v0, v21
	v_mov_b32_e32 v60, v28
	v_mov_b32_e32 v59, v27
	;; [unrolled: 1-line block ×28, first 2 shown]
.LBB765_337:
	s_andn2_saveexec_b32 s4, s47
	s_or_b32 exec_lo, exec_lo, s4
	s_or_b32 exec_lo, exec_lo, s42
                                        ; implicit-def: $vgpr1_vgpr2_vgpr3_vgpr4_vgpr5_vgpr6_vgpr7_vgpr8_vgpr9_vgpr10_vgpr11_vgpr12_vgpr13_vgpr14_vgpr15_vgpr16_vgpr17_vgpr18_vgpr19_vgpr20_vgpr21_vgpr22_vgpr23_vgpr24_vgpr25_vgpr26_vgpr27_vgpr28_vgpr29_vgpr30_vgpr31_vgpr32
	s_and_saveexec_b32 s4, s5
	s_xor_b32 s4, exec_lo, s4
	s_cbranch_execnz .LBB765_237
.LBB765_338:
	s_or_saveexec_b32 s42, s4
	s_xor_b32 s5, s46, -1
	s_xor_b32 exec_lo, exec_lo, s42
	s_cbranch_execz .LBB765_238
.LBB765_339:
	global_load_ubyte v1, v[98:99], off offset:672
	s_mov_b32 s46, 0
	s_waitcnt vmcnt(0)
	v_and_b32_e32 v1, 1, v1
	v_cmp_eq_u32_e64 s4, 1, v1
	v_mov_b32_e32 v1, v33
	v_mov_b32_e32 v22, v54
	;; [unrolled: 1-line block ×33, first 2 shown]
	s_xor_b32 s4, s4, -1
	s_and_saveexec_b32 s46, s4
	s_xor_b32 s46, exec_lo, s46
	s_cbranch_execz .LBB765_341
; %bb.340:
	v_sub_f32_e32 v1, v54, v106
	v_mul_f32_e32 v2, 0x3fb8aa3b, v1
	v_cmp_ngt_f32_e64 s4, 0xc2ce8ed0, v1
	v_fma_f32 v3, 0x3fb8aa3b, v1, -v2
	v_rndne_f32_e32 v4, v2
	v_fmamk_f32 v3, v1, 0x32a5705f, v3
	v_sub_f32_e32 v2, v2, v4
	v_add_f32_e32 v2, v2, v3
	v_cvt_i32_f32_e32 v3, v4
	v_exp_f32_e32 v2, v2
	v_ldexp_f32 v2, v2, v3
	v_cndmask_b32_e64 v2, 0, v2, s4
	v_cmp_nlt_f32_e64 s4, 0x42b17218, v1
	v_cndmask_b32_e64 v54, 0x7f800000, v2, s4
	v_mov_b32_e32 v1, v33
	v_mov_b32_e32 v2, v34
	v_mov_b32_e32 v3, v35
	v_mov_b32_e32 v4, v36
	v_add_f32_e32 v0, v0, v54
	v_mov_b32_e32 v5, v37
	v_mov_b32_e32 v6, v38
	;; [unrolled: 1-line block ×28, first 2 shown]
.LBB765_341:
	s_andn2_saveexec_b32 s4, s46
	s_or_b32 exec_lo, exec_lo, s4
	s_or_b32 exec_lo, exec_lo, s42
                                        ; implicit-def: $vgpr33_vgpr34_vgpr35_vgpr36_vgpr37_vgpr38_vgpr39_vgpr40_vgpr41_vgpr42_vgpr43_vgpr44_vgpr45_vgpr46_vgpr47_vgpr48_vgpr49_vgpr50_vgpr51_vgpr52_vgpr53_vgpr54_vgpr55_vgpr56_vgpr57_vgpr58_vgpr59_vgpr60_vgpr61_vgpr62_vgpr63_vgpr64
	s_and_saveexec_b32 s4, s5
	s_xor_b32 s4, exec_lo, s4
	s_cbranch_execnz .LBB765_239
.LBB765_342:
	s_or_saveexec_b32 s42, s4
	s_xor_b32 s5, s45, -1
	s_xor_b32 exec_lo, exec_lo, s42
	s_cbranch_execz .LBB765_240
.LBB765_343:
	global_load_ubyte v33, v[98:99], off offset:704
	s_mov_b32 s45, 0
	s_waitcnt vmcnt(0)
	v_and_b32_e32 v33, 1, v33
	v_cmp_eq_u32_e64 s4, 1, v33
	v_mov_b32_e32 v64, v32
	v_mov_b32_e32 v55, v23
	;; [unrolled: 1-line block ×33, first 2 shown]
	s_xor_b32 s4, s4, -1
	s_and_saveexec_b32 s45, s4
	s_xor_b32 s45, exec_lo, s45
	s_cbranch_execz .LBB765_345
; %bb.344:
	v_sub_f32_e32 v23, v23, v106
	v_mul_f32_e32 v33, 0x3fb8aa3b, v23
	v_cmp_ngt_f32_e64 s4, 0xc2ce8ed0, v23
	v_fma_f32 v34, 0x3fb8aa3b, v23, -v33
	v_rndne_f32_e32 v35, v33
	v_fmamk_f32 v34, v23, 0x32a5705f, v34
	v_sub_f32_e32 v33, v33, v35
	v_add_f32_e32 v33, v33, v34
	v_cvt_i32_f32_e32 v34, v35
	v_exp_f32_e32 v33, v33
	v_ldexp_f32 v33, v33, v34
	v_cndmask_b32_e64 v33, 0, v33, s4
	v_cmp_nlt_f32_e64 s4, 0x42b17218, v23
	v_cndmask_b32_e64 v23, 0x7f800000, v33, s4
	v_mov_b32_e32 v64, v32
	v_mov_b32_e32 v63, v31
	;; [unrolled: 1-line block ×4, first 2 shown]
	v_add_f32_e32 v0, v0, v23
	v_mov_b32_e32 v60, v28
	v_mov_b32_e32 v59, v27
	;; [unrolled: 1-line block ×28, first 2 shown]
.LBB765_345:
	s_andn2_saveexec_b32 s4, s45
	s_or_b32 exec_lo, exec_lo, s4
	s_or_b32 exec_lo, exec_lo, s42
                                        ; implicit-def: $vgpr1_vgpr2_vgpr3_vgpr4_vgpr5_vgpr6_vgpr7_vgpr8_vgpr9_vgpr10_vgpr11_vgpr12_vgpr13_vgpr14_vgpr15_vgpr16_vgpr17_vgpr18_vgpr19_vgpr20_vgpr21_vgpr22_vgpr23_vgpr24_vgpr25_vgpr26_vgpr27_vgpr28_vgpr29_vgpr30_vgpr31_vgpr32
	s_and_saveexec_b32 s4, s5
	s_xor_b32 s4, exec_lo, s4
	s_cbranch_execnz .LBB765_241
.LBB765_346:
	s_or_saveexec_b32 s42, s4
	s_xor_b32 s5, s44, -1
	s_xor_b32 exec_lo, exec_lo, s42
	s_cbranch_execz .LBB765_242
.LBB765_347:
	global_load_ubyte v1, v[98:99], off offset:736
	s_mov_b32 s44, 0
	s_waitcnt vmcnt(0)
	v_and_b32_e32 v1, 1, v1
	v_cmp_eq_u32_e64 s4, 1, v1
	v_mov_b32_e32 v1, v33
	v_mov_b32_e32 v24, v56
	;; [unrolled: 1-line block ×33, first 2 shown]
	s_xor_b32 s4, s4, -1
	s_and_saveexec_b32 s44, s4
	s_xor_b32 s44, exec_lo, s44
	s_cbranch_execz .LBB765_349
; %bb.348:
	v_sub_f32_e32 v1, v56, v106
	v_mul_f32_e32 v2, 0x3fb8aa3b, v1
	v_cmp_ngt_f32_e64 s4, 0xc2ce8ed0, v1
	v_fma_f32 v3, 0x3fb8aa3b, v1, -v2
	v_rndne_f32_e32 v4, v2
	v_fmamk_f32 v3, v1, 0x32a5705f, v3
	v_sub_f32_e32 v2, v2, v4
	v_add_f32_e32 v2, v2, v3
	v_cvt_i32_f32_e32 v3, v4
	v_exp_f32_e32 v2, v2
	v_ldexp_f32 v2, v2, v3
	v_cndmask_b32_e64 v2, 0, v2, s4
	v_cmp_nlt_f32_e64 s4, 0x42b17218, v1
	v_cndmask_b32_e64 v56, 0x7f800000, v2, s4
	v_mov_b32_e32 v1, v33
	v_mov_b32_e32 v2, v34
	;; [unrolled: 1-line block ×4, first 2 shown]
	v_add_f32_e32 v0, v0, v56
	v_mov_b32_e32 v5, v37
	v_mov_b32_e32 v6, v38
	;; [unrolled: 1-line block ×28, first 2 shown]
.LBB765_349:
	s_andn2_saveexec_b32 s4, s44
	s_or_b32 exec_lo, exec_lo, s4
	s_or_b32 exec_lo, exec_lo, s42
                                        ; implicit-def: $vgpr33_vgpr34_vgpr35_vgpr36_vgpr37_vgpr38_vgpr39_vgpr40_vgpr41_vgpr42_vgpr43_vgpr44_vgpr45_vgpr46_vgpr47_vgpr48_vgpr49_vgpr50_vgpr51_vgpr52_vgpr53_vgpr54_vgpr55_vgpr56_vgpr57_vgpr58_vgpr59_vgpr60_vgpr61_vgpr62_vgpr63_vgpr64
	s_and_saveexec_b32 s4, s5
	s_xor_b32 s4, exec_lo, s4
	s_cbranch_execnz .LBB765_243
.LBB765_350:
	s_or_saveexec_b32 s42, s4
	s_xor_b32 s5, s43, -1
	s_xor_b32 exec_lo, exec_lo, s42
	s_cbranch_execz .LBB765_244
.LBB765_351:
	global_load_ubyte v33, v[98:99], off offset:768
	s_mov_b32 s43, 0
	s_waitcnt vmcnt(0)
	v_and_b32_e32 v33, 1, v33
	v_cmp_eq_u32_e64 s4, 1, v33
	v_mov_b32_e32 v64, v32
	v_mov_b32_e32 v57, v25
	;; [unrolled: 1-line block ×33, first 2 shown]
	s_xor_b32 s4, s4, -1
	s_and_saveexec_b32 s43, s4
	s_xor_b32 s43, exec_lo, s43
	s_cbranch_execz .LBB765_353
; %bb.352:
	v_sub_f32_e32 v25, v25, v106
	v_mul_f32_e32 v33, 0x3fb8aa3b, v25
	v_cmp_ngt_f32_e64 s4, 0xc2ce8ed0, v25
	v_fma_f32 v34, 0x3fb8aa3b, v25, -v33
	v_rndne_f32_e32 v35, v33
	v_fmamk_f32 v34, v25, 0x32a5705f, v34
	v_sub_f32_e32 v33, v33, v35
	v_add_f32_e32 v33, v33, v34
	v_cvt_i32_f32_e32 v34, v35
	v_exp_f32_e32 v33, v33
	v_ldexp_f32 v33, v33, v34
	v_cndmask_b32_e64 v33, 0, v33, s4
	v_cmp_nlt_f32_e64 s4, 0x42b17218, v25
	v_cndmask_b32_e64 v25, 0x7f800000, v33, s4
	v_mov_b32_e32 v64, v32
	v_mov_b32_e32 v63, v31
	;; [unrolled: 1-line block ×4, first 2 shown]
	v_add_f32_e32 v0, v0, v25
	v_mov_b32_e32 v60, v28
	v_mov_b32_e32 v59, v27
	v_mov_b32_e32 v58, v26
	v_mov_b32_e32 v57, v25
	v_mov_b32_e32 v56, v24
	v_mov_b32_e32 v55, v23
	v_mov_b32_e32 v54, v22
	v_mov_b32_e32 v53, v21
	v_mov_b32_e32 v52, v20
	v_mov_b32_e32 v51, v19
	v_mov_b32_e32 v50, v18
	v_mov_b32_e32 v49, v17
	v_mov_b32_e32 v48, v16
	v_mov_b32_e32 v47, v15
	v_mov_b32_e32 v46, v14
	v_mov_b32_e32 v45, v13
	v_mov_b32_e32 v44, v12
	v_mov_b32_e32 v43, v11
	v_mov_b32_e32 v42, v10
	v_mov_b32_e32 v41, v9
	v_mov_b32_e32 v40, v8
	v_mov_b32_e32 v39, v7
	v_mov_b32_e32 v38, v6
	v_mov_b32_e32 v37, v5
	v_mov_b32_e32 v36, v4
	v_mov_b32_e32 v35, v3
	v_mov_b32_e32 v34, v2
	v_mov_b32_e32 v33, v1
.LBB765_353:
	s_andn2_saveexec_b32 s4, s43
	s_or_b32 exec_lo, exec_lo, s4
	s_or_b32 exec_lo, exec_lo, s42
                                        ; implicit-def: $vgpr1_vgpr2_vgpr3_vgpr4_vgpr5_vgpr6_vgpr7_vgpr8_vgpr9_vgpr10_vgpr11_vgpr12_vgpr13_vgpr14_vgpr15_vgpr16_vgpr17_vgpr18_vgpr19_vgpr20_vgpr21_vgpr22_vgpr23_vgpr24_vgpr25_vgpr26_vgpr27_vgpr28_vgpr29_vgpr30_vgpr31_vgpr32
	s_and_saveexec_b32 s4, s5
	s_xor_b32 s4, exec_lo, s4
	s_cbranch_execnz .LBB765_245
.LBB765_354:
	s_or_saveexec_b32 s42, s4
	s_xor_b32 s5, s41, -1
	s_xor_b32 exec_lo, exec_lo, s42
	s_cbranch_execz .LBB765_246
.LBB765_355:
	global_load_ubyte v1, v[98:99], off offset:800
	s_mov_b32 s41, 0
	s_waitcnt vmcnt(0)
	v_and_b32_e32 v1, 1, v1
	v_cmp_eq_u32_e64 s4, 1, v1
	v_mov_b32_e32 v1, v33
	v_mov_b32_e32 v26, v58
	;; [unrolled: 1-line block ×33, first 2 shown]
	s_xor_b32 s4, s4, -1
	s_and_saveexec_b32 s41, s4
	s_xor_b32 s41, exec_lo, s41
	s_cbranch_execz .LBB765_357
; %bb.356:
	v_sub_f32_e32 v1, v58, v106
	v_mul_f32_e32 v2, 0x3fb8aa3b, v1
	v_cmp_ngt_f32_e64 s4, 0xc2ce8ed0, v1
	v_fma_f32 v3, 0x3fb8aa3b, v1, -v2
	v_rndne_f32_e32 v4, v2
	v_fmamk_f32 v3, v1, 0x32a5705f, v3
	v_sub_f32_e32 v2, v2, v4
	v_add_f32_e32 v2, v2, v3
	v_cvt_i32_f32_e32 v3, v4
	v_exp_f32_e32 v2, v2
	v_ldexp_f32 v2, v2, v3
	v_cndmask_b32_e64 v2, 0, v2, s4
	v_cmp_nlt_f32_e64 s4, 0x42b17218, v1
	v_cndmask_b32_e64 v58, 0x7f800000, v2, s4
	v_mov_b32_e32 v1, v33
	v_mov_b32_e32 v2, v34
	;; [unrolled: 1-line block ×4, first 2 shown]
	v_add_f32_e32 v0, v0, v58
	v_mov_b32_e32 v5, v37
	v_mov_b32_e32 v6, v38
	;; [unrolled: 1-line block ×28, first 2 shown]
.LBB765_357:
	s_andn2_saveexec_b32 s4, s41
	s_or_b32 exec_lo, exec_lo, s4
	s_or_b32 exec_lo, exec_lo, s42
                                        ; implicit-def: $vgpr33_vgpr34_vgpr35_vgpr36_vgpr37_vgpr38_vgpr39_vgpr40_vgpr41_vgpr42_vgpr43_vgpr44_vgpr45_vgpr46_vgpr47_vgpr48_vgpr49_vgpr50_vgpr51_vgpr52_vgpr53_vgpr54_vgpr55_vgpr56_vgpr57_vgpr58_vgpr59_vgpr60_vgpr61_vgpr62_vgpr63_vgpr64
	s_and_saveexec_b32 s4, s5
	s_xor_b32 s4, exec_lo, s4
	s_cbranch_execnz .LBB765_247
.LBB765_358:
	s_or_saveexec_b32 s41, s4
	s_xor_b32 s5, s40, -1
	s_xor_b32 exec_lo, exec_lo, s41
	s_cbranch_execz .LBB765_248
.LBB765_359:
	global_load_ubyte v33, v[98:99], off offset:832
	s_mov_b32 s40, 0
	s_waitcnt vmcnt(0)
	v_and_b32_e32 v33, 1, v33
	v_cmp_eq_u32_e64 s4, 1, v33
	v_mov_b32_e32 v64, v32
	v_mov_b32_e32 v59, v27
	;; [unrolled: 1-line block ×33, first 2 shown]
	s_xor_b32 s4, s4, -1
	s_and_saveexec_b32 s40, s4
	s_xor_b32 s40, exec_lo, s40
	s_cbranch_execz .LBB765_361
; %bb.360:
	v_sub_f32_e32 v27, v27, v106
	v_mul_f32_e32 v33, 0x3fb8aa3b, v27
	v_cmp_ngt_f32_e64 s4, 0xc2ce8ed0, v27
	v_fma_f32 v34, 0x3fb8aa3b, v27, -v33
	v_rndne_f32_e32 v35, v33
	v_fmamk_f32 v34, v27, 0x32a5705f, v34
	v_sub_f32_e32 v33, v33, v35
	v_add_f32_e32 v33, v33, v34
	v_cvt_i32_f32_e32 v34, v35
	v_exp_f32_e32 v33, v33
	v_ldexp_f32 v33, v33, v34
	v_cndmask_b32_e64 v33, 0, v33, s4
	v_cmp_nlt_f32_e64 s4, 0x42b17218, v27
	v_cndmask_b32_e64 v27, 0x7f800000, v33, s4
	v_mov_b32_e32 v64, v32
	v_mov_b32_e32 v63, v31
	;; [unrolled: 1-line block ×4, first 2 shown]
	v_add_f32_e32 v0, v0, v27
	v_mov_b32_e32 v60, v28
	v_mov_b32_e32 v59, v27
	;; [unrolled: 1-line block ×28, first 2 shown]
.LBB765_361:
	s_andn2_saveexec_b32 s4, s40
	s_or_b32 exec_lo, exec_lo, s4
	s_or_b32 exec_lo, exec_lo, s41
                                        ; implicit-def: $vgpr1_vgpr2_vgpr3_vgpr4_vgpr5_vgpr6_vgpr7_vgpr8_vgpr9_vgpr10_vgpr11_vgpr12_vgpr13_vgpr14_vgpr15_vgpr16_vgpr17_vgpr18_vgpr19_vgpr20_vgpr21_vgpr22_vgpr23_vgpr24_vgpr25_vgpr26_vgpr27_vgpr28_vgpr29_vgpr30_vgpr31_vgpr32
	s_and_saveexec_b32 s4, s5
	s_xor_b32 s4, exec_lo, s4
	s_cbranch_execnz .LBB765_249
.LBB765_362:
	s_or_saveexec_b32 s40, s4
	s_xor_b32 s5, s39, -1
	s_xor_b32 exec_lo, exec_lo, s40
	s_cbranch_execz .LBB765_250
.LBB765_363:
	global_load_ubyte v1, v[98:99], off offset:864
	s_mov_b32 s39, 0
	s_waitcnt vmcnt(0)
	v_and_b32_e32 v1, 1, v1
	v_cmp_eq_u32_e64 s4, 1, v1
	v_mov_b32_e32 v1, v33
	v_mov_b32_e32 v28, v60
	v_mov_b32_e32 v2, v34
	v_mov_b32_e32 v3, v35
	v_mov_b32_e32 v4, v36
	v_mov_b32_e32 v5, v37
	v_mov_b32_e32 v6, v38
	v_mov_b32_e32 v7, v39
	v_mov_b32_e32 v8, v40
	v_mov_b32_e32 v9, v41
	v_mov_b32_e32 v10, v42
	v_mov_b32_e32 v11, v43
	v_mov_b32_e32 v12, v44
	v_mov_b32_e32 v13, v45
	v_mov_b32_e32 v14, v46
	v_mov_b32_e32 v15, v47
	v_mov_b32_e32 v16, v48
	v_mov_b32_e32 v17, v49
	v_mov_b32_e32 v18, v50
	v_mov_b32_e32 v19, v51
	v_mov_b32_e32 v20, v52
	v_mov_b32_e32 v21, v53
	v_mov_b32_e32 v22, v54
	v_mov_b32_e32 v23, v55
	v_mov_b32_e32 v24, v56
	v_mov_b32_e32 v25, v57
	v_mov_b32_e32 v26, v58
	v_mov_b32_e32 v27, v59
	v_mov_b32_e32 v29, v61
	v_mov_b32_e32 v30, v62
	v_mov_b32_e32 v31, v63
	v_mov_b32_e32 v32, v64
	v_mov_b32_e32 v28, s39
	s_xor_b32 s4, s4, -1
	s_and_saveexec_b32 s39, s4
	s_xor_b32 s39, exec_lo, s39
	s_cbranch_execz .LBB765_365
; %bb.364:
	v_sub_f32_e32 v1, v60, v106
	v_mul_f32_e32 v2, 0x3fb8aa3b, v1
	v_cmp_ngt_f32_e64 s4, 0xc2ce8ed0, v1
	v_fma_f32 v3, 0x3fb8aa3b, v1, -v2
	v_rndne_f32_e32 v4, v2
	v_fmamk_f32 v3, v1, 0x32a5705f, v3
	v_sub_f32_e32 v2, v2, v4
	v_add_f32_e32 v2, v2, v3
	v_cvt_i32_f32_e32 v3, v4
	v_exp_f32_e32 v2, v2
	v_ldexp_f32 v2, v2, v3
	v_cndmask_b32_e64 v2, 0, v2, s4
	v_cmp_nlt_f32_e64 s4, 0x42b17218, v1
	v_cndmask_b32_e64 v60, 0x7f800000, v2, s4
	v_mov_b32_e32 v1, v33
	v_mov_b32_e32 v2, v34
	;; [unrolled: 1-line block ×4, first 2 shown]
	v_add_f32_e32 v0, v0, v60
	v_mov_b32_e32 v5, v37
	v_mov_b32_e32 v6, v38
	;; [unrolled: 1-line block ×28, first 2 shown]
.LBB765_365:
	s_andn2_saveexec_b32 s4, s39
	s_or_b32 exec_lo, exec_lo, s4
	s_or_b32 exec_lo, exec_lo, s40
                                        ; implicit-def: $vgpr33_vgpr34_vgpr35_vgpr36_vgpr37_vgpr38_vgpr39_vgpr40_vgpr41_vgpr42_vgpr43_vgpr44_vgpr45_vgpr46_vgpr47_vgpr48_vgpr49_vgpr50_vgpr51_vgpr52_vgpr53_vgpr54_vgpr55_vgpr56_vgpr57_vgpr58_vgpr59_vgpr60_vgpr61_vgpr62_vgpr63_vgpr64
	s_and_saveexec_b32 s4, s5
	s_xor_b32 s4, exec_lo, s4
	s_cbranch_execnz .LBB765_251
.LBB765_366:
	s_or_saveexec_b32 s39, s4
	s_xor_b32 s5, s38, -1
	s_xor_b32 exec_lo, exec_lo, s39
	s_cbranch_execz .LBB765_252
.LBB765_367:
	global_load_ubyte v33, v[98:99], off offset:896
	s_mov_b32 s38, 0
	s_waitcnt vmcnt(0)
	v_and_b32_e32 v33, 1, v33
	v_cmp_eq_u32_e64 s4, 1, v33
	v_mov_b32_e32 v64, v32
	v_mov_b32_e32 v61, v29
	;; [unrolled: 1-line block ×33, first 2 shown]
	s_xor_b32 s4, s4, -1
	s_and_saveexec_b32 s38, s4
	s_xor_b32 s38, exec_lo, s38
	s_cbranch_execz .LBB765_369
; %bb.368:
	v_sub_f32_e32 v29, v29, v106
	v_mul_f32_e32 v33, 0x3fb8aa3b, v29
	v_cmp_ngt_f32_e64 s4, 0xc2ce8ed0, v29
	v_fma_f32 v34, 0x3fb8aa3b, v29, -v33
	v_rndne_f32_e32 v35, v33
	v_fmamk_f32 v34, v29, 0x32a5705f, v34
	v_sub_f32_e32 v33, v33, v35
	v_add_f32_e32 v33, v33, v34
	v_cvt_i32_f32_e32 v34, v35
	v_exp_f32_e32 v33, v33
	v_ldexp_f32 v33, v33, v34
	v_cndmask_b32_e64 v33, 0, v33, s4
	v_cmp_nlt_f32_e64 s4, 0x42b17218, v29
	v_cndmask_b32_e64 v29, 0x7f800000, v33, s4
	v_mov_b32_e32 v64, v32
	v_mov_b32_e32 v63, v31
	;; [unrolled: 1-line block ×4, first 2 shown]
	v_add_f32_e32 v0, v0, v29
	v_mov_b32_e32 v61, v29
	v_mov_b32_e32 v59, v27
	v_mov_b32_e32 v58, v26
	v_mov_b32_e32 v57, v25
	v_mov_b32_e32 v56, v24
	v_mov_b32_e32 v55, v23
	v_mov_b32_e32 v54, v22
	v_mov_b32_e32 v53, v21
	v_mov_b32_e32 v52, v20
	v_mov_b32_e32 v51, v19
	v_mov_b32_e32 v50, v18
	v_mov_b32_e32 v49, v17
	v_mov_b32_e32 v48, v16
	v_mov_b32_e32 v47, v15
	v_mov_b32_e32 v46, v14
	v_mov_b32_e32 v45, v13
	v_mov_b32_e32 v44, v12
	v_mov_b32_e32 v43, v11
	v_mov_b32_e32 v42, v10
	v_mov_b32_e32 v41, v9
	v_mov_b32_e32 v40, v8
	v_mov_b32_e32 v39, v7
	v_mov_b32_e32 v38, v6
	v_mov_b32_e32 v37, v5
	v_mov_b32_e32 v36, v4
	v_mov_b32_e32 v35, v3
	v_mov_b32_e32 v34, v2
	v_mov_b32_e32 v33, v1
.LBB765_369:
	s_andn2_saveexec_b32 s4, s38
	s_or_b32 exec_lo, exec_lo, s4
	s_or_b32 exec_lo, exec_lo, s39
                                        ; implicit-def: $vgpr1_vgpr2_vgpr3_vgpr4_vgpr5_vgpr6_vgpr7_vgpr8_vgpr9_vgpr10_vgpr11_vgpr12_vgpr13_vgpr14_vgpr15_vgpr16_vgpr17_vgpr18_vgpr19_vgpr20_vgpr21_vgpr22_vgpr23_vgpr24_vgpr25_vgpr26_vgpr27_vgpr28_vgpr29_vgpr30_vgpr31_vgpr32
	s_and_saveexec_b32 s4, s5
	s_xor_b32 s4, exec_lo, s4
	s_cbranch_execnz .LBB765_253
.LBB765_370:
	s_or_saveexec_b32 s38, s4
	s_xor_b32 s5, s35, -1
	s_xor_b32 exec_lo, exec_lo, s38
	s_cbranch_execz .LBB765_254
.LBB765_371:
	global_load_ubyte v1, v[98:99], off offset:928
	s_mov_b32 s35, 0
	s_waitcnt vmcnt(0)
	v_and_b32_e32 v1, 1, v1
	v_cmp_eq_u32_e64 s4, 1, v1
	v_mov_b32_e32 v1, v33
	v_mov_b32_e32 v30, v62
	;; [unrolled: 1-line block ×33, first 2 shown]
	s_xor_b32 s4, s4, -1
	s_and_saveexec_b32 s35, s4
	s_xor_b32 s35, exec_lo, s35
	s_cbranch_execz .LBB765_373
; %bb.372:
	v_sub_f32_e32 v1, v62, v106
	v_mul_f32_e32 v2, 0x3fb8aa3b, v1
	v_cmp_ngt_f32_e64 s4, 0xc2ce8ed0, v1
	v_fma_f32 v3, 0x3fb8aa3b, v1, -v2
	v_rndne_f32_e32 v4, v2
	v_fmamk_f32 v3, v1, 0x32a5705f, v3
	v_sub_f32_e32 v2, v2, v4
	v_add_f32_e32 v2, v2, v3
	v_cvt_i32_f32_e32 v3, v4
	v_exp_f32_e32 v2, v2
	v_ldexp_f32 v2, v2, v3
	v_cndmask_b32_e64 v2, 0, v2, s4
	v_cmp_nlt_f32_e64 s4, 0x42b17218, v1
	v_cndmask_b32_e64 v62, 0x7f800000, v2, s4
	v_mov_b32_e32 v1, v33
	v_mov_b32_e32 v2, v34
	;; [unrolled: 1-line block ×4, first 2 shown]
	v_add_f32_e32 v0, v0, v62
	v_mov_b32_e32 v5, v37
	v_mov_b32_e32 v6, v38
	;; [unrolled: 1-line block ×28, first 2 shown]
.LBB765_373:
	s_andn2_saveexec_b32 s4, s35
	s_or_b32 exec_lo, exec_lo, s4
	s_or_b32 exec_lo, exec_lo, s38
                                        ; implicit-def: $vgpr33_vgpr34_vgpr35_vgpr36_vgpr37_vgpr38_vgpr39_vgpr40_vgpr41_vgpr42_vgpr43_vgpr44_vgpr45_vgpr46_vgpr47_vgpr48_vgpr49_vgpr50_vgpr51_vgpr52_vgpr53_vgpr54_vgpr55_vgpr56_vgpr57_vgpr58_vgpr59_vgpr60_vgpr61_vgpr62_vgpr63_vgpr64
	s_and_saveexec_b32 s4, s5
	s_xor_b32 s4, exec_lo, s4
	s_cbranch_execnz .LBB765_255
.LBB765_374:
	s_or_saveexec_b32 s35, s4
	s_xor_b32 s5, s34, -1
	s_xor_b32 exec_lo, exec_lo, s35
	s_cbranch_execz .LBB765_256
.LBB765_375:
	global_load_ubyte v33, v[98:99], off offset:960
	s_mov_b32 s34, 0
	s_waitcnt vmcnt(0)
	v_and_b32_e32 v33, 1, v33
	v_cmp_eq_u32_e64 s4, 1, v33
	v_mov_b32_e32 v64, v32
	v_mov_b32_e32 v63, v31
	;; [unrolled: 1-line block ×33, first 2 shown]
	s_xor_b32 s4, s4, -1
	s_and_saveexec_b32 s34, s4
	s_xor_b32 s34, exec_lo, s34
	s_cbranch_execz .LBB765_377
; %bb.376:
	v_sub_f32_e32 v31, v31, v106
	v_mul_f32_e32 v33, 0x3fb8aa3b, v31
	v_cmp_ngt_f32_e64 s4, 0xc2ce8ed0, v31
	v_fma_f32 v34, 0x3fb8aa3b, v31, -v33
	v_rndne_f32_e32 v35, v33
	v_fmamk_f32 v34, v31, 0x32a5705f, v34
	v_sub_f32_e32 v33, v33, v35
	v_add_f32_e32 v33, v33, v34
	v_cvt_i32_f32_e32 v34, v35
	v_exp_f32_e32 v33, v33
	v_ldexp_f32 v33, v33, v34
	v_cndmask_b32_e64 v33, 0, v33, s4
	v_cmp_nlt_f32_e64 s4, 0x42b17218, v31
	v_cndmask_b32_e64 v31, 0x7f800000, v33, s4
	v_mov_b32_e32 v64, v32
	v_mov_b32_e32 v62, v30
	v_mov_b32_e32 v61, v29
	v_mov_b32_e32 v60, v28
	v_add_f32_e32 v0, v0, v31
	v_mov_b32_e32 v63, v31
	v_mov_b32_e32 v59, v27
	;; [unrolled: 1-line block ×28, first 2 shown]
.LBB765_377:
	s_andn2_saveexec_b32 s4, s34
	s_or_b32 exec_lo, exec_lo, s4
	s_or_b32 exec_lo, exec_lo, s35
                                        ; implicit-def: $vgpr1_vgpr2_vgpr3_vgpr4_vgpr5_vgpr6_vgpr7_vgpr8_vgpr9_vgpr10_vgpr11_vgpr12_vgpr13_vgpr14_vgpr15_vgpr16_vgpr17_vgpr18_vgpr19_vgpr20_vgpr21_vgpr22_vgpr23_vgpr24_vgpr25_vgpr26_vgpr27_vgpr28_vgpr29_vgpr30_vgpr31_vgpr32
	s_and_saveexec_b32 s4, s5
	s_xor_b32 s4, exec_lo, s4
	s_cbranch_execnz .LBB765_257
.LBB765_378:
	s_andn2_saveexec_b32 s5, s4
	s_cbranch_execz .LBB765_382
.LBB765_379:
	global_load_ubyte v1, v[98:99], off offset:992
	s_mov_b32 s34, 0
	s_waitcnt vmcnt(0)
	v_and_b32_e32 v1, 1, v1
	v_cmp_eq_u32_e64 s4, 1, v1
	v_mov_b32_e32 v1, v33
	v_mov_b32_e32 v32, v64
	;; [unrolled: 1-line block ×33, first 2 shown]
	s_xor_b32 s4, s4, -1
	s_and_saveexec_b32 s34, s4
	s_xor_b32 s34, exec_lo, s34
	s_cbranch_execz .LBB765_381
; %bb.380:
	v_sub_f32_e32 v1, v64, v106
	v_mul_f32_e32 v2, 0x3fb8aa3b, v1
	v_cmp_ngt_f32_e64 s4, 0xc2ce8ed0, v1
	v_fma_f32 v3, 0x3fb8aa3b, v1, -v2
	v_rndne_f32_e32 v4, v2
	v_fmamk_f32 v3, v1, 0x32a5705f, v3
	v_sub_f32_e32 v2, v2, v4
	v_add_f32_e32 v2, v2, v3
	v_cvt_i32_f32_e32 v3, v4
	v_exp_f32_e32 v2, v2
	v_ldexp_f32 v2, v2, v3
	v_cndmask_b32_e64 v2, 0, v2, s4
	v_cmp_nlt_f32_e64 s4, 0x42b17218, v1
	v_cndmask_b32_e64 v64, 0x7f800000, v2, s4
	v_mov_b32_e32 v1, v33
	v_mov_b32_e32 v2, v34
	;; [unrolled: 1-line block ×4, first 2 shown]
	v_add_f32_e32 v0, v0, v64
	v_mov_b32_e32 v5, v37
	v_mov_b32_e32 v6, v38
	;; [unrolled: 1-line block ×28, first 2 shown]
.LBB765_381:
	s_andn2_saveexec_b32 s4, s34
	s_or_b32 exec_lo, exec_lo, s4
.LBB765_382:
	s_or_b32 exec_lo, exec_lo, s5
	ds_bpermute_b32 v33, v101, v0
	s_mov_b32 s5, exec_lo
	s_waitcnt lgkmcnt(0)
	v_add_f32_e32 v0, v0, v33
	ds_bpermute_b32 v33, v102, v0
	s_waitcnt lgkmcnt(0)
	v_add_f32_e32 v0, v0, v33
	ds_bpermute_b32 v33, v103, v0
	s_waitcnt lgkmcnt(0)
	v_add_f32_e32 v0, v0, v33
	ds_bpermute_b32 v33, v104, v0
	s_waitcnt lgkmcnt(0)
	v_add_f32_e32 v0, v0, v33
	ds_bpermute_b32 v33, v105, v0
	v_cmpx_lt_i32_e32 0, v100
	s_cbranch_execz .LBB765_480
; %bb.383:
	s_and_b32 exec_lo, exec_lo, vcc_lo
	s_cbranch_execz .LBB765_480
; %bb.384:
	s_waitcnt lgkmcnt(0)
	v_add_f32_e32 v33, v0, v33
	v_mov_b32_e32 v34, 0x7fc0
	v_cmp_neq_f32_e64 s4, 0, v33
	s_and_saveexec_b32 s5, s4
	s_cbranch_execz .LBB765_386
; %bb.385:
	v_div_scale_f32 v0, null, v33, v33, v1
	v_div_scale_f32 v36, vcc_lo, v1, v33, v1
	v_rcp_f32_e32 v34, v0
	v_fma_f32 v35, -v0, v34, 1.0
	v_fmac_f32_e32 v34, v35, v34
	v_mul_f32_e32 v35, v36, v34
	v_fma_f32 v37, -v0, v35, v36
	v_fmac_f32_e32 v35, v37, v34
	v_fma_f32 v0, -v0, v35, v36
	v_div_fmas_f32 v0, v0, v34, v35
	v_div_fixup_f32 v0, v0, v33, v1
	v_bfe_u32 v1, v0, 16, 1
	v_cmp_o_f32_e32 vcc_lo, v0, v0
	v_add3_u32 v0, v0, v1, 0x7fff
	v_mov_b32_e32 v1, 0x7fc0
	v_cndmask_b32_sdwa v34, v1, v0, vcc_lo dst_sel:DWORD dst_unused:UNUSED_PAD src0_sel:DWORD src1_sel:WORD_1
.LBB765_386:
	s_or_b32 exec_lo, exec_lo, s5
	v_add_co_u32 v0, vcc_lo, s36, v96
	v_add_co_ci_u32_e64 v1, null, s37, v97, vcc_lo
	global_store_short v[0:1], v34, off
	s_and_b32 exec_lo, exec_lo, s33
	s_cbranch_execz .LBB765_480
; %bb.387:
	v_mov_b32_e32 v34, 0x7fc0
	s_and_saveexec_b32 s5, s4
	s_cbranch_execz .LBB765_389
; %bb.388:
	v_div_scale_f32 v34, null, v33, v33, v2
	v_div_scale_f32 v37, vcc_lo, v2, v33, v2
	v_rcp_f32_e32 v35, v34
	v_fma_f32 v36, -v34, v35, 1.0
	v_fmac_f32_e32 v35, v36, v35
	v_mul_f32_e32 v36, v37, v35
	v_fma_f32 v38, -v34, v36, v37
	v_fmac_f32_e32 v36, v38, v35
	v_fma_f32 v34, -v34, v36, v37
	v_div_fmas_f32 v34, v34, v35, v36
	v_div_fixup_f32 v2, v34, v33, v2
	v_bfe_u32 v34, v2, 16, 1
	v_cmp_o_f32_e32 vcc_lo, v2, v2
	v_add3_u32 v2, v2, v34, 0x7fff
	v_mov_b32_e32 v34, 0x7fc0
	v_cndmask_b32_sdwa v34, v34, v2, vcc_lo dst_sel:DWORD dst_unused:UNUSED_PAD src0_sel:DWORD src1_sel:WORD_1
.LBB765_389:
	s_or_b32 exec_lo, exec_lo, s5
	global_store_short v[0:1], v34, off offset:64
	s_and_b32 exec_lo, exec_lo, s31
	s_cbranch_execz .LBB765_480
; %bb.390:
	v_mov_b32_e32 v2, 0x7fc0
	s_and_saveexec_b32 s5, s4
	s_cbranch_execz .LBB765_392
; %bb.391:
	v_div_scale_f32 v2, null, v33, v33, v3
	v_div_scale_f32 v36, vcc_lo, v3, v33, v3
	v_rcp_f32_e32 v34, v2
	v_fma_f32 v35, -v2, v34, 1.0
	v_fmac_f32_e32 v34, v35, v34
	v_mul_f32_e32 v35, v36, v34
	v_fma_f32 v37, -v2, v35, v36
	v_fmac_f32_e32 v35, v37, v34
	v_fma_f32 v2, -v2, v35, v36
	v_div_fmas_f32 v2, v2, v34, v35
	v_div_fixup_f32 v2, v2, v33, v3
	v_bfe_u32 v3, v2, 16, 1
	v_cmp_o_f32_e32 vcc_lo, v2, v2
	v_add3_u32 v2, v2, v3, 0x7fff
	v_mov_b32_e32 v3, 0x7fc0
	v_cndmask_b32_sdwa v2, v3, v2, vcc_lo dst_sel:DWORD dst_unused:UNUSED_PAD src0_sel:DWORD src1_sel:WORD_1
.LBB765_392:
	s_or_b32 exec_lo, exec_lo, s5
	global_store_short v[0:1], v2, off offset:128
	;; [unrolled: 26-line block ×31, first 2 shown]
.LBB765_480:
	s_endpgm
	.section	.rodata,"a",@progbits
	.p2align	6, 0x0
	.amdhsa_kernel _ZN12_GLOBAL__N_120softmax_warp_forwardIN3c108BFloat16ES2_fLi10ELb0ELb1ELi32EEEvPT0_PKT_iiiPKbib
		.amdhsa_group_segment_fixed_size 0
		.amdhsa_private_segment_fixed_size 0
		.amdhsa_kernarg_size 304
		.amdhsa_user_sgpr_count 6
		.amdhsa_user_sgpr_private_segment_buffer 1
		.amdhsa_user_sgpr_dispatch_ptr 0
		.amdhsa_user_sgpr_queue_ptr 0
		.amdhsa_user_sgpr_kernarg_segment_ptr 1
		.amdhsa_user_sgpr_dispatch_id 0
		.amdhsa_user_sgpr_flat_scratch_init 0
		.amdhsa_user_sgpr_private_segment_size 0
		.amdhsa_wavefront_size32 1
		.amdhsa_uses_dynamic_stack 0
		.amdhsa_system_sgpr_private_segment_wavefront_offset 0
		.amdhsa_system_sgpr_workgroup_id_x 1
		.amdhsa_system_sgpr_workgroup_id_y 0
		.amdhsa_system_sgpr_workgroup_id_z 0
		.amdhsa_system_sgpr_workgroup_info 0
		.amdhsa_system_vgpr_workitem_id 1
		.amdhsa_next_free_vgpr 107
		.amdhsa_next_free_sgpr 71
		.amdhsa_reserve_vcc 1
		.amdhsa_reserve_flat_scratch 0
		.amdhsa_float_round_mode_32 0
		.amdhsa_float_round_mode_16_64 0
		.amdhsa_float_denorm_mode_32 3
		.amdhsa_float_denorm_mode_16_64 3
		.amdhsa_dx10_clamp 1
		.amdhsa_ieee_mode 1
		.amdhsa_fp16_overflow 0
		.amdhsa_workgroup_processor_mode 1
		.amdhsa_memory_ordered 1
		.amdhsa_forward_progress 1
		.amdhsa_shared_vgpr_count 0
		.amdhsa_exception_fp_ieee_invalid_op 0
		.amdhsa_exception_fp_denorm_src 0
		.amdhsa_exception_fp_ieee_div_zero 0
		.amdhsa_exception_fp_ieee_overflow 0
		.amdhsa_exception_fp_ieee_underflow 0
		.amdhsa_exception_fp_ieee_inexact 0
		.amdhsa_exception_int_div_zero 0
	.end_amdhsa_kernel
	.section	.text._ZN12_GLOBAL__N_120softmax_warp_forwardIN3c108BFloat16ES2_fLi10ELb0ELb1ELi32EEEvPT0_PKT_iiiPKbib,"axG",@progbits,_ZN12_GLOBAL__N_120softmax_warp_forwardIN3c108BFloat16ES2_fLi10ELb0ELb1ELi32EEEvPT0_PKT_iiiPKbib,comdat
.Lfunc_end765:
	.size	_ZN12_GLOBAL__N_120softmax_warp_forwardIN3c108BFloat16ES2_fLi10ELb0ELb1ELi32EEEvPT0_PKT_iiiPKbib, .Lfunc_end765-_ZN12_GLOBAL__N_120softmax_warp_forwardIN3c108BFloat16ES2_fLi10ELb0ELb1ELi32EEEvPT0_PKT_iiiPKbib
                                        ; -- End function
	.set _ZN12_GLOBAL__N_120softmax_warp_forwardIN3c108BFloat16ES2_fLi10ELb0ELb1ELi32EEEvPT0_PKT_iiiPKbib.num_vgpr, 107
	.set _ZN12_GLOBAL__N_120softmax_warp_forwardIN3c108BFloat16ES2_fLi10ELb0ELb1ELi32EEEvPT0_PKT_iiiPKbib.num_agpr, 0
	.set _ZN12_GLOBAL__N_120softmax_warp_forwardIN3c108BFloat16ES2_fLi10ELb0ELb1ELi32EEEvPT0_PKT_iiiPKbib.numbered_sgpr, 71
	.set _ZN12_GLOBAL__N_120softmax_warp_forwardIN3c108BFloat16ES2_fLi10ELb0ELb1ELi32EEEvPT0_PKT_iiiPKbib.num_named_barrier, 0
	.set _ZN12_GLOBAL__N_120softmax_warp_forwardIN3c108BFloat16ES2_fLi10ELb0ELb1ELi32EEEvPT0_PKT_iiiPKbib.private_seg_size, 0
	.set _ZN12_GLOBAL__N_120softmax_warp_forwardIN3c108BFloat16ES2_fLi10ELb0ELb1ELi32EEEvPT0_PKT_iiiPKbib.uses_vcc, 1
	.set _ZN12_GLOBAL__N_120softmax_warp_forwardIN3c108BFloat16ES2_fLi10ELb0ELb1ELi32EEEvPT0_PKT_iiiPKbib.uses_flat_scratch, 0
	.set _ZN12_GLOBAL__N_120softmax_warp_forwardIN3c108BFloat16ES2_fLi10ELb0ELb1ELi32EEEvPT0_PKT_iiiPKbib.has_dyn_sized_stack, 0
	.set _ZN12_GLOBAL__N_120softmax_warp_forwardIN3c108BFloat16ES2_fLi10ELb0ELb1ELi32EEEvPT0_PKT_iiiPKbib.has_recursion, 0
	.set _ZN12_GLOBAL__N_120softmax_warp_forwardIN3c108BFloat16ES2_fLi10ELb0ELb1ELi32EEEvPT0_PKT_iiiPKbib.has_indirect_call, 0
	.section	.AMDGPU.csdata,"",@progbits
; Kernel info:
; codeLenInByte = 29728
; TotalNumSgprs: 73
; NumVgprs: 107
; ScratchSize: 0
; MemoryBound: 0
; FloatMode: 240
; IeeeMode: 1
; LDSByteSize: 0 bytes/workgroup (compile time only)
; SGPRBlocks: 0
; VGPRBlocks: 13
; NumSGPRsForWavesPerEU: 73
; NumVGPRsForWavesPerEU: 107
; Occupancy: 9
; WaveLimiterHint : 0
; COMPUTE_PGM_RSRC2:SCRATCH_EN: 0
; COMPUTE_PGM_RSRC2:USER_SGPR: 6
; COMPUTE_PGM_RSRC2:TRAP_HANDLER: 0
; COMPUTE_PGM_RSRC2:TGID_X_EN: 1
; COMPUTE_PGM_RSRC2:TGID_Y_EN: 0
; COMPUTE_PGM_RSRC2:TGID_Z_EN: 0
; COMPUTE_PGM_RSRC2:TIDIG_COMP_CNT: 1
	.section	.text._ZN12_GLOBAL__N_120softmax_warp_forwardIN3c108BFloat16ES2_fLi11ELb0ELb1ELi64EEEvPT0_PKT_iiiPKbib,"axG",@progbits,_ZN12_GLOBAL__N_120softmax_warp_forwardIN3c108BFloat16ES2_fLi11ELb0ELb1ELi64EEEvPT0_PKT_iiiPKbib,comdat
	.globl	_ZN12_GLOBAL__N_120softmax_warp_forwardIN3c108BFloat16ES2_fLi11ELb0ELb1ELi64EEEvPT0_PKT_iiiPKbib ; -- Begin function _ZN12_GLOBAL__N_120softmax_warp_forwardIN3c108BFloat16ES2_fLi11ELb0ELb1ELi64EEEvPT0_PKT_iiiPKbib
	.p2align	8
	.type	_ZN12_GLOBAL__N_120softmax_warp_forwardIN3c108BFloat16ES2_fLi11ELb0ELb1ELi64EEEvPT0_PKT_iiiPKbib,@function
_ZN12_GLOBAL__N_120softmax_warp_forwardIN3c108BFloat16ES2_fLi11ELb0ELb1ELi64EEEvPT0_PKT_iiiPKbib: ; @_ZN12_GLOBAL__N_120softmax_warp_forwardIN3c108BFloat16ES2_fLi11ELb0ELb1ELi64EEEvPT0_PKT_iiiPKbib
; %bb.0:
	s_clause 0x1
	s_load_dword s0, s[4:5], 0x3c
	s_load_dwordx4 s[40:43], s[4:5], 0x10
	s_waitcnt lgkmcnt(0)
	s_lshr_b32 s0, s0, 16
	v_mad_u64_u32 v[1:2], null, s6, s0, v[1:2]
	s_load_dwordx2 s[0:1], s[4:5], 0x28
	v_mul_lo_u32 v4, v1, s41
	v_add_nc_u32_e32 v2, v4, v0
	v_ashrrev_i32_e32 v3, 31, v2
	s_waitcnt lgkmcnt(0)
	s_bitcmp0_b32 s1, 0
	v_mov_b32_e32 v33, v3
	v_mov_b32_e32 v32, v2
	s_cbranch_scc1 .LBB766_2
; %bb.1:
	s_abs_i32 s1, s0
	v_sub_nc_u32_e32 v7, 0, v4
	v_cvt_f32_u32_e32 v5, s1
	s_sub_i32 s2, 0, s1
	v_max_i32_e32 v7, v4, v7
	v_rcp_iflag_f32_e32 v5, v5
	v_xor_b32_e32 v4, s0, v4
	v_ashrrev_i32_e32 v4, 31, v4
	v_mul_f32_e32 v5, 0x4f7ffffe, v5
	v_cvt_u32_f32_e32 v5, v5
	v_mul_lo_u32 v6, s2, v5
	v_mul_hi_u32 v6, v5, v6
	v_add_nc_u32_e32 v5, v5, v6
	v_mul_hi_u32 v5, v7, v5
	v_mul_lo_u32 v6, v5, s1
	v_sub_nc_u32_e32 v6, v7, v6
	v_add_nc_u32_e32 v7, 1, v5
	v_subrev_nc_u32_e32 v8, s1, v6
	v_cmp_le_u32_e32 vcc_lo, s1, v6
	v_cndmask_b32_e32 v5, v5, v7, vcc_lo
	v_cndmask_b32_e32 v6, v6, v8, vcc_lo
	v_add_nc_u32_e32 v7, 1, v5
	v_cmp_le_u32_e32 vcc_lo, s1, v6
	v_cndmask_b32_e32 v5, v5, v7, vcc_lo
	v_xor_b32_e32 v5, v5, v4
	v_sub_nc_u32_e32 v4, v5, v4
	v_mad_u64_u32 v[32:33], null, v4, s41, v[0:1]
	v_ashrrev_i32_e32 v33, 31, v32
.LBB766_2:
	s_load_dwordx4 s[36:39], s[4:5], 0x0
	v_lshlrev_b64 v[96:97], 1, v[2:3]
	v_sub_nc_u32_e32 v100, s40, v1
	v_cmp_gt_i32_e32 vcc_lo, s42, v0
	v_mov_b32_e32 v64, 0xff800000
	v_mov_b32_e32 v1, 0xff800000
	v_cmp_lt_i32_e64 s34, 0, v100
	s_and_b32 s68, s34, vcc_lo
	s_waitcnt lgkmcnt(0)
	v_add_co_u32 v34, s0, s38, v96
	v_add_co_ci_u32_e64 v35, null, s39, v97, s0
	s_and_saveexec_b32 s0, s68
	s_cbranch_execz .LBB766_4
; %bb.3:
	global_load_ushort v1, v[34:35], off
	s_waitcnt vmcnt(0)
	v_lshlrev_b32_e32 v1, 16, v1
.LBB766_4:
	s_or_b32 exec_lo, exec_lo, s0
	v_add_nc_u32_e32 v2, 64, v0
	v_cmp_gt_i32_e64 s33, s42, v2
	s_and_b32 s69, s34, s33
	s_and_saveexec_b32 s0, s69
	s_cbranch_execz .LBB766_6
; %bb.5:
	global_load_ushort v2, v[34:35], off offset:128
	s_waitcnt vmcnt(0)
	v_lshlrev_b32_e32 v64, 16, v2
.LBB766_6:
	s_or_b32 exec_lo, exec_lo, s0
	v_add_nc_u32_e32 v2, 0x80, v0
	v_mov_b32_e32 v3, 0xff800000
	v_cmp_gt_i32_e64 s31, s42, v2
	v_mov_b32_e32 v2, 0xff800000
	s_and_b32 s67, s34, s31
	s_and_saveexec_b32 s0, s67
	s_cbranch_execz .LBB766_8
; %bb.7:
	global_load_ushort v2, v[34:35], off offset:256
	s_waitcnt vmcnt(0)
	v_lshlrev_b32_e32 v2, 16, v2
.LBB766_8:
	s_or_b32 exec_lo, exec_lo, s0
	v_add_nc_u32_e32 v4, 0xc0, v0
	v_cmp_gt_i32_e64 s30, s42, v4
	s_and_b32 s66, s34, s30
	s_and_saveexec_b32 s0, s66
	s_cbranch_execz .LBB766_10
; %bb.9:
	global_load_ushort v3, v[34:35], off offset:384
	s_waitcnt vmcnt(0)
	v_lshlrev_b32_e32 v3, 16, v3
.LBB766_10:
	s_or_b32 exec_lo, exec_lo, s0
	v_add_nc_u32_e32 v4, 0x100, v0
	v_mov_b32_e32 v5, 0xff800000
	v_cmp_gt_i32_e64 s29, s42, v4
	v_mov_b32_e32 v4, 0xff800000
	s_and_b32 s65, s34, s29
	s_and_saveexec_b32 s0, s65
	s_cbranch_execz .LBB766_12
; %bb.11:
	global_load_ushort v4, v[34:35], off offset:512
	s_waitcnt vmcnt(0)
	v_lshlrev_b32_e32 v4, 16, v4
.LBB766_12:
	;; [unrolled: 24-line block ×7, first 2 shown]
	s_or_b32 exec_lo, exec_lo, s0
	v_add_nc_u32_e32 v16, 0x3c0, v0
	v_cmp_gt_i32_e64 s18, s42, v16
	s_and_b32 s54, s34, s18
	s_and_saveexec_b32 s0, s54
	s_cbranch_execz .LBB766_34
; %bb.33:
	global_load_ushort v15, v[34:35], off offset:1920
	s_waitcnt vmcnt(0)
	v_lshlrev_b32_e32 v15, 16, v15
.LBB766_34:
	s_or_b32 exec_lo, exec_lo, s0
	v_or_b32_e32 v16, 0x400, v0
	v_mov_b32_e32 v17, 0xff800000
	v_cmp_gt_i32_e64 s17, s42, v16
	v_mov_b32_e32 v16, 0xff800000
	s_and_b32 s53, s34, s17
	s_and_saveexec_b32 s1, s53
	s_cbranch_execz .LBB766_36
; %bb.35:
	v_add_co_u32 v18, s0, 0x800, v34
	v_add_co_ci_u32_e64 v19, null, 0, v35, s0
	global_load_ushort v16, v[18:19], off
	s_waitcnt vmcnt(0)
	v_lshlrev_b32_e32 v16, 16, v16
.LBB766_36:
	s_or_b32 exec_lo, exec_lo, s1
	v_add_nc_u32_e32 v18, 0x440, v0
	v_cmp_gt_i32_e64 s16, s42, v18
	s_and_b32 s52, s34, s16
	s_and_saveexec_b32 s1, s52
	s_cbranch_execz .LBB766_38
; %bb.37:
	v_add_co_u32 v17, s0, 0x800, v34
	v_add_co_ci_u32_e64 v18, null, 0, v35, s0
	global_load_ushort v17, v[17:18], off offset:128
	s_waitcnt vmcnt(0)
	v_lshlrev_b32_e32 v17, 16, v17
.LBB766_38:
	s_or_b32 exec_lo, exec_lo, s1
	v_add_nc_u32_e32 v18, 0x480, v0
	v_mov_b32_e32 v19, 0xff800000
	v_cmp_gt_i32_e64 s15, s42, v18
	v_mov_b32_e32 v18, 0xff800000
	s_and_b32 s51, s34, s15
	s_and_saveexec_b32 s1, s51
	s_cbranch_execz .LBB766_40
; %bb.39:
	v_add_co_u32 v20, s0, 0x800, v34
	v_add_co_ci_u32_e64 v21, null, 0, v35, s0
	global_load_ushort v18, v[20:21], off offset:256
	s_waitcnt vmcnt(0)
	v_lshlrev_b32_e32 v18, 16, v18
.LBB766_40:
	s_or_b32 exec_lo, exec_lo, s1
	v_add_nc_u32_e32 v20, 0x4c0, v0
	v_cmp_gt_i32_e64 s14, s42, v20
	s_and_b32 s50, s34, s14
	s_and_saveexec_b32 s1, s50
	s_cbranch_execz .LBB766_42
; %bb.41:
	v_add_co_u32 v19, s0, 0x800, v34
	v_add_co_ci_u32_e64 v20, null, 0, v35, s0
	global_load_ushort v19, v[19:20], off offset:384
	s_waitcnt vmcnt(0)
	v_lshlrev_b32_e32 v19, 16, v19
.LBB766_42:
	s_or_b32 exec_lo, exec_lo, s1
	v_add_nc_u32_e32 v20, 0x500, v0
	v_mov_b32_e32 v21, 0xff800000
	v_cmp_gt_i32_e64 s13, s42, v20
	v_mov_b32_e32 v20, 0xff800000
	s_and_b32 s49, s34, s13
	s_and_saveexec_b32 s1, s49
	s_cbranch_execz .LBB766_44
; %bb.43:
	v_add_co_u32 v22, s0, 0x800, v34
	v_add_co_ci_u32_e64 v23, null, 0, v35, s0
	global_load_ushort v20, v[22:23], off offset:512
	s_waitcnt vmcnt(0)
	v_lshlrev_b32_e32 v20, 16, v20
.LBB766_44:
	;; [unrolled: 28-line block ×7, first 2 shown]
	s_or_b32 exec_lo, exec_lo, s35
	v_add_nc_u32_e32 v0, 0x7c0, v0
	v_cmp_gt_i32_e64 s0, s42, v0
	s_and_b32 s35, s34, s0
	s_and_saveexec_b32 s42, s35
	s_cbranch_execz .LBB766_66
; %bb.65:
	v_add_co_u32 v34, s34, 0x800, v34
	v_add_co_ci_u32_e64 v35, null, 0, v35, s34
	global_load_ushort v0, v[34:35], off offset:1920
	s_waitcnt vmcnt(0)
	v_lshlrev_b32_e32 v31, 16, v0
.LBB766_66:
	s_or_b32 exec_lo, exec_lo, s42
	s_load_dwordx2 s[4:5], s[4:5], 0x20
	s_waitcnt lgkmcnt(0)
	v_add_co_u32 v98, s4, s4, v32
	v_add_co_ci_u32_e64 v99, null, s5, v33, s4
	s_mov_b32 s5, 0
	s_and_saveexec_b32 s34, s68
	s_cbranch_execz .LBB766_128
; %bb.67:
	global_load_ubyte v0, v[98:99], off
	s_waitcnt vmcnt(0)
	v_and_b32_e32 v0, 1, v0
	v_cmp_eq_u32_e64 s4, 1, v0
	s_xor_b32 s4, s4, -1
	s_and_b32 s5, s4, exec_lo
	s_or_b32 exec_lo, exec_lo, s34
	v_mov_b32_e32 v0, v1
	s_and_saveexec_b32 s34, s69
	s_cbranch_execnz .LBB766_129
.LBB766_68:
	s_or_b32 exec_lo, exec_lo, s34
	s_and_saveexec_b32 s34, s67
	s_cbranch_execz .LBB766_132
.LBB766_69:
	global_load_ubyte v32, v[98:99], off offset:128
	s_waitcnt vmcnt(0)
	v_and_b32_e32 v32, 1, v32
	v_cmp_eq_u32_e64 s4, 1, v32
	s_xor_b32 s70, s4, -1
	s_mov_b32 s4, s5
	s_and_saveexec_b32 s42, s70
; %bb.70:
	v_cmp_gt_f32_e64 s4, v0, v2
	s_and_b32 s4, s5, s4
	v_cndmask_b32_e64 v0, v2, v0, s4
	s_or_b32 s4, s5, exec_lo
; %bb.71:
	s_or_b32 exec_lo, exec_lo, s42
	s_andn2_b32 s5, s5, exec_lo
	s_and_b32 s4, s4, exec_lo
	s_or_b32 s5, s5, s4
	s_or_b32 exec_lo, exec_lo, s34
	s_and_saveexec_b32 s34, s66
	s_cbranch_execnz .LBB766_133
.LBB766_72:
	s_or_b32 exec_lo, exec_lo, s34
	s_and_saveexec_b32 s34, s65
	s_cbranch_execz .LBB766_136
.LBB766_73:
	global_load_ubyte v32, v[98:99], off offset:256
	s_waitcnt vmcnt(0)
	v_and_b32_e32 v32, 1, v32
	v_cmp_eq_u32_e64 s4, 1, v32
	s_xor_b32 s70, s4, -1
	s_mov_b32 s4, s5
	s_and_saveexec_b32 s42, s70
; %bb.74:
	v_cmp_gt_f32_e64 s4, v0, v4
	s_and_b32 s4, s5, s4
	v_cndmask_b32_e64 v0, v4, v0, s4
	s_or_b32 s4, s5, exec_lo
; %bb.75:
	s_or_b32 exec_lo, exec_lo, s42
	s_andn2_b32 s5, s5, exec_lo
	s_and_b32 s4, s4, exec_lo
	s_or_b32 s5, s5, s4
	s_or_b32 exec_lo, exec_lo, s34
	s_and_saveexec_b32 s34, s64
	s_cbranch_execnz .LBB766_137
.LBB766_76:
	s_or_b32 exec_lo, exec_lo, s34
	s_and_saveexec_b32 s34, s63
	s_cbranch_execz .LBB766_140
.LBB766_77:
	global_load_ubyte v32, v[98:99], off offset:384
	s_waitcnt vmcnt(0)
	v_and_b32_e32 v32, 1, v32
	v_cmp_eq_u32_e64 s4, 1, v32
	s_xor_b32 s70, s4, -1
	s_mov_b32 s4, s5
	s_and_saveexec_b32 s42, s70
; %bb.78:
	v_cmp_gt_f32_e64 s4, v0, v6
	s_and_b32 s4, s5, s4
	v_cndmask_b32_e64 v0, v6, v0, s4
	s_or_b32 s4, s5, exec_lo
; %bb.79:
	s_or_b32 exec_lo, exec_lo, s42
	s_andn2_b32 s5, s5, exec_lo
	s_and_b32 s4, s4, exec_lo
	s_or_b32 s5, s5, s4
	s_or_b32 exec_lo, exec_lo, s34
	s_and_saveexec_b32 s34, s62
	s_cbranch_execnz .LBB766_141
.LBB766_80:
	s_or_b32 exec_lo, exec_lo, s34
	s_and_saveexec_b32 s34, s61
	s_cbranch_execz .LBB766_144
.LBB766_81:
	global_load_ubyte v32, v[98:99], off offset:512
	s_waitcnt vmcnt(0)
	v_and_b32_e32 v32, 1, v32
	v_cmp_eq_u32_e64 s4, 1, v32
	s_xor_b32 s70, s4, -1
	s_mov_b32 s4, s5
	s_and_saveexec_b32 s42, s70
; %bb.82:
	v_cmp_gt_f32_e64 s4, v0, v8
	s_and_b32 s4, s5, s4
	v_cndmask_b32_e64 v0, v8, v0, s4
	s_or_b32 s4, s5, exec_lo
; %bb.83:
	s_or_b32 exec_lo, exec_lo, s42
	s_andn2_b32 s5, s5, exec_lo
	s_and_b32 s4, s4, exec_lo
	s_or_b32 s5, s5, s4
	s_or_b32 exec_lo, exec_lo, s34
	s_and_saveexec_b32 s34, s60
	s_cbranch_execnz .LBB766_145
.LBB766_84:
	s_or_b32 exec_lo, exec_lo, s34
	s_and_saveexec_b32 s34, s59
	s_cbranch_execz .LBB766_148
.LBB766_85:
	global_load_ubyte v32, v[98:99], off offset:640
	s_waitcnt vmcnt(0)
	v_and_b32_e32 v32, 1, v32
	v_cmp_eq_u32_e64 s4, 1, v32
	s_xor_b32 s70, s4, -1
	s_mov_b32 s4, s5
	s_and_saveexec_b32 s42, s70
; %bb.86:
	v_cmp_gt_f32_e64 s4, v0, v10
	s_and_b32 s4, s5, s4
	v_cndmask_b32_e64 v0, v10, v0, s4
	s_or_b32 s4, s5, exec_lo
; %bb.87:
	s_or_b32 exec_lo, exec_lo, s42
	s_andn2_b32 s5, s5, exec_lo
	s_and_b32 s4, s4, exec_lo
	s_or_b32 s5, s5, s4
	s_or_b32 exec_lo, exec_lo, s34
	s_and_saveexec_b32 s34, s58
	s_cbranch_execnz .LBB766_149
.LBB766_88:
	s_or_b32 exec_lo, exec_lo, s34
	s_and_saveexec_b32 s34, s57
	s_cbranch_execz .LBB766_152
.LBB766_89:
	global_load_ubyte v32, v[98:99], off offset:768
	s_waitcnt vmcnt(0)
	v_and_b32_e32 v32, 1, v32
	v_cmp_eq_u32_e64 s4, 1, v32
	s_xor_b32 s70, s4, -1
	s_mov_b32 s4, s5
	s_and_saveexec_b32 s42, s70
; %bb.90:
	v_cmp_gt_f32_e64 s4, v0, v12
	s_and_b32 s4, s5, s4
	v_cndmask_b32_e64 v0, v12, v0, s4
	s_or_b32 s4, s5, exec_lo
; %bb.91:
	s_or_b32 exec_lo, exec_lo, s42
	s_andn2_b32 s5, s5, exec_lo
	s_and_b32 s4, s4, exec_lo
	s_or_b32 s5, s5, s4
	s_or_b32 exec_lo, exec_lo, s34
	s_and_saveexec_b32 s34, s56
	s_cbranch_execnz .LBB766_153
.LBB766_92:
	s_or_b32 exec_lo, exec_lo, s34
	s_and_saveexec_b32 s34, s55
	s_cbranch_execz .LBB766_156
.LBB766_93:
	global_load_ubyte v32, v[98:99], off offset:896
	s_waitcnt vmcnt(0)
	v_and_b32_e32 v32, 1, v32
	v_cmp_eq_u32_e64 s4, 1, v32
	s_xor_b32 s70, s4, -1
	s_mov_b32 s4, s5
	s_and_saveexec_b32 s42, s70
; %bb.94:
	v_cmp_gt_f32_e64 s4, v0, v14
	s_and_b32 s4, s5, s4
	v_cndmask_b32_e64 v0, v14, v0, s4
	s_or_b32 s4, s5, exec_lo
; %bb.95:
	s_or_b32 exec_lo, exec_lo, s42
	s_andn2_b32 s5, s5, exec_lo
	s_and_b32 s4, s4, exec_lo
	s_or_b32 s5, s5, s4
	s_or_b32 exec_lo, exec_lo, s34
	s_and_saveexec_b32 s34, s54
	s_cbranch_execnz .LBB766_157
.LBB766_96:
	s_or_b32 exec_lo, exec_lo, s34
	s_and_saveexec_b32 s34, s53
	s_cbranch_execz .LBB766_160
.LBB766_97:
	global_load_ubyte v32, v[98:99], off offset:1024
	s_waitcnt vmcnt(0)
	v_and_b32_e32 v32, 1, v32
	v_cmp_eq_u32_e64 s4, 1, v32
	s_xor_b32 s70, s4, -1
	s_mov_b32 s4, s5
	s_and_saveexec_b32 s42, s70
; %bb.98:
	v_cmp_gt_f32_e64 s4, v0, v16
	s_and_b32 s4, s5, s4
	v_cndmask_b32_e64 v0, v16, v0, s4
	s_or_b32 s4, s5, exec_lo
; %bb.99:
	s_or_b32 exec_lo, exec_lo, s42
	s_andn2_b32 s5, s5, exec_lo
	s_and_b32 s4, s4, exec_lo
	s_or_b32 s5, s5, s4
	s_or_b32 exec_lo, exec_lo, s34
	s_and_saveexec_b32 s34, s52
	s_cbranch_execnz .LBB766_161
.LBB766_100:
	s_or_b32 exec_lo, exec_lo, s34
	s_and_saveexec_b32 s34, s51
	s_cbranch_execz .LBB766_164
.LBB766_101:
	global_load_ubyte v32, v[98:99], off offset:1152
	s_waitcnt vmcnt(0)
	v_and_b32_e32 v32, 1, v32
	v_cmp_eq_u32_e64 s4, 1, v32
	s_xor_b32 s70, s4, -1
	s_mov_b32 s4, s5
	s_and_saveexec_b32 s42, s70
; %bb.102:
	v_cmp_gt_f32_e64 s4, v0, v18
	s_and_b32 s4, s5, s4
	v_cndmask_b32_e64 v0, v18, v0, s4
	s_or_b32 s4, s5, exec_lo
; %bb.103:
	s_or_b32 exec_lo, exec_lo, s42
	s_andn2_b32 s5, s5, exec_lo
	s_and_b32 s4, s4, exec_lo
	s_or_b32 s5, s5, s4
	s_or_b32 exec_lo, exec_lo, s34
	s_and_saveexec_b32 s34, s50
	s_cbranch_execnz .LBB766_165
.LBB766_104:
	s_or_b32 exec_lo, exec_lo, s34
	s_and_saveexec_b32 s34, s49
	s_cbranch_execz .LBB766_168
.LBB766_105:
	global_load_ubyte v32, v[98:99], off offset:1280
	s_waitcnt vmcnt(0)
	v_and_b32_e32 v32, 1, v32
	v_cmp_eq_u32_e64 s4, 1, v32
	s_xor_b32 s70, s4, -1
	s_mov_b32 s4, s5
	s_and_saveexec_b32 s42, s70
; %bb.106:
	v_cmp_gt_f32_e64 s4, v0, v20
	s_and_b32 s4, s5, s4
	v_cndmask_b32_e64 v0, v20, v0, s4
	s_or_b32 s4, s5, exec_lo
; %bb.107:
	s_or_b32 exec_lo, exec_lo, s42
	s_andn2_b32 s5, s5, exec_lo
	s_and_b32 s4, s4, exec_lo
	s_or_b32 s5, s5, s4
	s_or_b32 exec_lo, exec_lo, s34
	s_and_saveexec_b32 s34, s48
	s_cbranch_execnz .LBB766_169
.LBB766_108:
	s_or_b32 exec_lo, exec_lo, s34
	s_and_saveexec_b32 s34, s47
	s_cbranch_execz .LBB766_172
.LBB766_109:
	global_load_ubyte v32, v[98:99], off offset:1408
	s_waitcnt vmcnt(0)
	v_and_b32_e32 v32, 1, v32
	v_cmp_eq_u32_e64 s4, 1, v32
	s_xor_b32 s70, s4, -1
	s_mov_b32 s4, s5
	s_and_saveexec_b32 s42, s70
; %bb.110:
	v_cmp_gt_f32_e64 s4, v0, v22
	s_and_b32 s4, s5, s4
	v_cndmask_b32_e64 v0, v22, v0, s4
	s_or_b32 s4, s5, exec_lo
; %bb.111:
	s_or_b32 exec_lo, exec_lo, s42
	s_andn2_b32 s5, s5, exec_lo
	s_and_b32 s4, s4, exec_lo
	s_or_b32 s5, s5, s4
	s_or_b32 exec_lo, exec_lo, s34
	s_and_saveexec_b32 s34, s46
	s_cbranch_execnz .LBB766_173
.LBB766_112:
	s_or_b32 exec_lo, exec_lo, s34
	s_and_saveexec_b32 s34, s45
	s_cbranch_execz .LBB766_176
.LBB766_113:
	global_load_ubyte v32, v[98:99], off offset:1536
	s_waitcnt vmcnt(0)
	v_and_b32_e32 v32, 1, v32
	v_cmp_eq_u32_e64 s4, 1, v32
	s_xor_b32 s70, s4, -1
	s_mov_b32 s4, s5
	s_and_saveexec_b32 s42, s70
; %bb.114:
	v_cmp_gt_f32_e64 s4, v0, v24
	s_and_b32 s4, s5, s4
	v_cndmask_b32_e64 v0, v24, v0, s4
	s_or_b32 s4, s5, exec_lo
; %bb.115:
	s_or_b32 exec_lo, exec_lo, s42
	s_andn2_b32 s5, s5, exec_lo
	s_and_b32 s4, s4, exec_lo
	s_or_b32 s5, s5, s4
	s_or_b32 exec_lo, exec_lo, s34
	s_and_saveexec_b32 s34, s44
	s_cbranch_execnz .LBB766_177
.LBB766_116:
	s_or_b32 exec_lo, exec_lo, s34
	s_and_saveexec_b32 s34, s43
	s_cbranch_execz .LBB766_180
.LBB766_117:
	global_load_ubyte v32, v[98:99], off offset:1664
	s_waitcnt vmcnt(0)
	v_and_b32_e32 v32, 1, v32
	v_cmp_eq_u32_e64 s4, 1, v32
	s_xor_b32 s70, s4, -1
	s_mov_b32 s4, s5
	s_and_saveexec_b32 s42, s70
; %bb.118:
	v_cmp_gt_f32_e64 s4, v0, v26
	s_and_b32 s4, s5, s4
	v_cndmask_b32_e64 v0, v26, v0, s4
	s_or_b32 s4, s5, exec_lo
; %bb.119:
	s_or_b32 exec_lo, exec_lo, s42
	s_andn2_b32 s5, s5, exec_lo
	s_and_b32 s4, s4, exec_lo
	s_or_b32 s5, s5, s4
	s_or_b32 exec_lo, exec_lo, s34
	s_and_saveexec_b32 s34, s41
	s_cbranch_execnz .LBB766_181
.LBB766_120:
	s_or_b32 exec_lo, exec_lo, s34
	s_and_saveexec_b32 s34, s40
	s_cbranch_execz .LBB766_184
.LBB766_121:
	global_load_ubyte v32, v[98:99], off offset:1792
	s_waitcnt vmcnt(0)
	v_and_b32_e32 v32, 1, v32
	v_cmp_eq_u32_e64 s4, 1, v32
	s_xor_b32 s70, s4, -1
	s_mov_b32 s4, s5
	s_and_saveexec_b32 s42, s70
; %bb.122:
	v_cmp_gt_f32_e64 s4, v0, v28
	s_and_b32 s4, s5, s4
	v_cndmask_b32_e64 v0, v28, v0, s4
	s_or_b32 s4, s5, exec_lo
; %bb.123:
	s_or_b32 exec_lo, exec_lo, s42
	s_andn2_b32 s5, s5, exec_lo
	s_and_b32 s4, s4, exec_lo
	s_or_b32 s5, s5, s4
	s_or_b32 exec_lo, exec_lo, s34
	s_and_saveexec_b32 s34, s39
	s_cbranch_execnz .LBB766_185
.LBB766_124:
	s_or_b32 exec_lo, exec_lo, s34
	s_and_saveexec_b32 s34, s38
	s_cbranch_execz .LBB766_188
.LBB766_125:
	global_load_ubyte v32, v[98:99], off offset:1920
	s_waitcnt vmcnt(0)
	v_and_b32_e32 v32, 1, v32
	v_cmp_eq_u32_e64 s4, 1, v32
	s_xor_b32 s70, s4, -1
	s_mov_b32 s4, s5
	s_and_saveexec_b32 s42, s70
; %bb.126:
	v_cmp_gt_f32_e64 s4, v0, v30
	s_and_b32 s4, s5, s4
	v_cndmask_b32_e64 v0, v30, v0, s4
	s_or_b32 s4, s5, exec_lo
; %bb.127:
	s_or_b32 exec_lo, exec_lo, s42
	s_andn2_b32 s5, s5, exec_lo
	s_and_b32 s4, s4, exec_lo
	s_or_b32 s5, s5, s4
	s_or_b32 exec_lo, exec_lo, s34
	s_and_saveexec_b32 s34, s35
	s_cbranch_execz .LBB766_192
	s_branch .LBB766_189
.LBB766_128:
	s_or_b32 exec_lo, exec_lo, s34
	v_mov_b32_e32 v0, v1
	s_and_saveexec_b32 s34, s69
	s_cbranch_execz .LBB766_68
.LBB766_129:
	global_load_ubyte v0, v[98:99], off offset:64
	s_waitcnt vmcnt(0)
	v_and_b32_e32 v0, 1, v0
	v_cmp_eq_u32_e64 s4, 1, v0
	v_mov_b32_e32 v0, v1
	s_xor_b32 s70, s4, -1
	s_mov_b32 s4, s5
	s_and_saveexec_b32 s42, s70
; %bb.130:
	v_cmp_gt_f32_e64 s4, v1, v64
	s_and_b32 s4, s5, s4
	v_cndmask_b32_e64 v0, v64, v1, s4
	s_or_b32 s4, s5, exec_lo
; %bb.131:
	s_or_b32 exec_lo, exec_lo, s42
	s_andn2_b32 s5, s5, exec_lo
	s_and_b32 s4, s4, exec_lo
	s_or_b32 s5, s5, s4
	s_or_b32 exec_lo, exec_lo, s34
	s_and_saveexec_b32 s34, s67
	s_cbranch_execnz .LBB766_69
.LBB766_132:
	s_or_b32 exec_lo, exec_lo, s34
	s_and_saveexec_b32 s34, s66
	s_cbranch_execz .LBB766_72
.LBB766_133:
	global_load_ubyte v32, v[98:99], off offset:192
	s_waitcnt vmcnt(0)
	v_and_b32_e32 v32, 1, v32
	v_cmp_eq_u32_e64 s4, 1, v32
	s_xor_b32 s70, s4, -1
	s_mov_b32 s4, s5
	s_and_saveexec_b32 s42, s70
; %bb.134:
	v_cmp_gt_f32_e64 s4, v0, v3
	s_and_b32 s4, s5, s4
	v_cndmask_b32_e64 v0, v3, v0, s4
	s_or_b32 s4, s5, exec_lo
; %bb.135:
	s_or_b32 exec_lo, exec_lo, s42
	s_andn2_b32 s5, s5, exec_lo
	s_and_b32 s4, s4, exec_lo
	s_or_b32 s5, s5, s4
	s_or_b32 exec_lo, exec_lo, s34
	s_and_saveexec_b32 s34, s65
	s_cbranch_execnz .LBB766_73
.LBB766_136:
	s_or_b32 exec_lo, exec_lo, s34
	s_and_saveexec_b32 s34, s64
	s_cbranch_execz .LBB766_76
.LBB766_137:
	global_load_ubyte v32, v[98:99], off offset:320
	s_waitcnt vmcnt(0)
	v_and_b32_e32 v32, 1, v32
	v_cmp_eq_u32_e64 s4, 1, v32
	s_xor_b32 s70, s4, -1
	s_mov_b32 s4, s5
	s_and_saveexec_b32 s42, s70
; %bb.138:
	v_cmp_gt_f32_e64 s4, v0, v5
	s_and_b32 s4, s5, s4
	v_cndmask_b32_e64 v0, v5, v0, s4
	s_or_b32 s4, s5, exec_lo
; %bb.139:
	s_or_b32 exec_lo, exec_lo, s42
	s_andn2_b32 s5, s5, exec_lo
	s_and_b32 s4, s4, exec_lo
	s_or_b32 s5, s5, s4
	s_or_b32 exec_lo, exec_lo, s34
	s_and_saveexec_b32 s34, s63
	s_cbranch_execnz .LBB766_77
.LBB766_140:
	s_or_b32 exec_lo, exec_lo, s34
	s_and_saveexec_b32 s34, s62
	s_cbranch_execz .LBB766_80
.LBB766_141:
	global_load_ubyte v32, v[98:99], off offset:448
	s_waitcnt vmcnt(0)
	v_and_b32_e32 v32, 1, v32
	v_cmp_eq_u32_e64 s4, 1, v32
	s_xor_b32 s70, s4, -1
	s_mov_b32 s4, s5
	s_and_saveexec_b32 s42, s70
; %bb.142:
	v_cmp_gt_f32_e64 s4, v0, v7
	s_and_b32 s4, s5, s4
	v_cndmask_b32_e64 v0, v7, v0, s4
	s_or_b32 s4, s5, exec_lo
; %bb.143:
	s_or_b32 exec_lo, exec_lo, s42
	s_andn2_b32 s5, s5, exec_lo
	s_and_b32 s4, s4, exec_lo
	s_or_b32 s5, s5, s4
	s_or_b32 exec_lo, exec_lo, s34
	s_and_saveexec_b32 s34, s61
	s_cbranch_execnz .LBB766_81
.LBB766_144:
	s_or_b32 exec_lo, exec_lo, s34
	s_and_saveexec_b32 s34, s60
	s_cbranch_execz .LBB766_84
.LBB766_145:
	global_load_ubyte v32, v[98:99], off offset:576
	s_waitcnt vmcnt(0)
	v_and_b32_e32 v32, 1, v32
	v_cmp_eq_u32_e64 s4, 1, v32
	s_xor_b32 s70, s4, -1
	s_mov_b32 s4, s5
	s_and_saveexec_b32 s42, s70
; %bb.146:
	v_cmp_gt_f32_e64 s4, v0, v9
	s_and_b32 s4, s5, s4
	v_cndmask_b32_e64 v0, v9, v0, s4
	s_or_b32 s4, s5, exec_lo
; %bb.147:
	s_or_b32 exec_lo, exec_lo, s42
	s_andn2_b32 s5, s5, exec_lo
	s_and_b32 s4, s4, exec_lo
	s_or_b32 s5, s5, s4
	s_or_b32 exec_lo, exec_lo, s34
	s_and_saveexec_b32 s34, s59
	s_cbranch_execnz .LBB766_85
.LBB766_148:
	s_or_b32 exec_lo, exec_lo, s34
	s_and_saveexec_b32 s34, s58
	s_cbranch_execz .LBB766_88
.LBB766_149:
	global_load_ubyte v32, v[98:99], off offset:704
	s_waitcnt vmcnt(0)
	v_and_b32_e32 v32, 1, v32
	v_cmp_eq_u32_e64 s4, 1, v32
	s_xor_b32 s70, s4, -1
	s_mov_b32 s4, s5
	s_and_saveexec_b32 s42, s70
; %bb.150:
	v_cmp_gt_f32_e64 s4, v0, v11
	s_and_b32 s4, s5, s4
	v_cndmask_b32_e64 v0, v11, v0, s4
	s_or_b32 s4, s5, exec_lo
; %bb.151:
	s_or_b32 exec_lo, exec_lo, s42
	s_andn2_b32 s5, s5, exec_lo
	s_and_b32 s4, s4, exec_lo
	s_or_b32 s5, s5, s4
	s_or_b32 exec_lo, exec_lo, s34
	s_and_saveexec_b32 s34, s57
	s_cbranch_execnz .LBB766_89
.LBB766_152:
	s_or_b32 exec_lo, exec_lo, s34
	s_and_saveexec_b32 s34, s56
	s_cbranch_execz .LBB766_92
.LBB766_153:
	global_load_ubyte v32, v[98:99], off offset:832
	s_waitcnt vmcnt(0)
	v_and_b32_e32 v32, 1, v32
	v_cmp_eq_u32_e64 s4, 1, v32
	s_xor_b32 s70, s4, -1
	s_mov_b32 s4, s5
	s_and_saveexec_b32 s42, s70
; %bb.154:
	v_cmp_gt_f32_e64 s4, v0, v13
	s_and_b32 s4, s5, s4
	v_cndmask_b32_e64 v0, v13, v0, s4
	s_or_b32 s4, s5, exec_lo
; %bb.155:
	s_or_b32 exec_lo, exec_lo, s42
	s_andn2_b32 s5, s5, exec_lo
	s_and_b32 s4, s4, exec_lo
	s_or_b32 s5, s5, s4
	s_or_b32 exec_lo, exec_lo, s34
	s_and_saveexec_b32 s34, s55
	s_cbranch_execnz .LBB766_93
.LBB766_156:
	s_or_b32 exec_lo, exec_lo, s34
	s_and_saveexec_b32 s34, s54
	s_cbranch_execz .LBB766_96
.LBB766_157:
	global_load_ubyte v32, v[98:99], off offset:960
	s_waitcnt vmcnt(0)
	v_and_b32_e32 v32, 1, v32
	v_cmp_eq_u32_e64 s4, 1, v32
	s_xor_b32 s70, s4, -1
	s_mov_b32 s4, s5
	s_and_saveexec_b32 s42, s70
; %bb.158:
	v_cmp_gt_f32_e64 s4, v0, v15
	s_and_b32 s4, s5, s4
	v_cndmask_b32_e64 v0, v15, v0, s4
	s_or_b32 s4, s5, exec_lo
; %bb.159:
	s_or_b32 exec_lo, exec_lo, s42
	s_andn2_b32 s5, s5, exec_lo
	s_and_b32 s4, s4, exec_lo
	s_or_b32 s5, s5, s4
	s_or_b32 exec_lo, exec_lo, s34
	s_and_saveexec_b32 s34, s53
	s_cbranch_execnz .LBB766_97
.LBB766_160:
	s_or_b32 exec_lo, exec_lo, s34
	s_and_saveexec_b32 s34, s52
	s_cbranch_execz .LBB766_100
.LBB766_161:
	global_load_ubyte v32, v[98:99], off offset:1088
	s_waitcnt vmcnt(0)
	v_and_b32_e32 v32, 1, v32
	v_cmp_eq_u32_e64 s4, 1, v32
	s_xor_b32 s70, s4, -1
	s_mov_b32 s4, s5
	s_and_saveexec_b32 s42, s70
; %bb.162:
	v_cmp_gt_f32_e64 s4, v0, v17
	s_and_b32 s4, s5, s4
	v_cndmask_b32_e64 v0, v17, v0, s4
	s_or_b32 s4, s5, exec_lo
; %bb.163:
	s_or_b32 exec_lo, exec_lo, s42
	s_andn2_b32 s5, s5, exec_lo
	s_and_b32 s4, s4, exec_lo
	s_or_b32 s5, s5, s4
	s_or_b32 exec_lo, exec_lo, s34
	s_and_saveexec_b32 s34, s51
	s_cbranch_execnz .LBB766_101
.LBB766_164:
	s_or_b32 exec_lo, exec_lo, s34
	s_and_saveexec_b32 s34, s50
	s_cbranch_execz .LBB766_104
.LBB766_165:
	global_load_ubyte v32, v[98:99], off offset:1216
	s_waitcnt vmcnt(0)
	v_and_b32_e32 v32, 1, v32
	v_cmp_eq_u32_e64 s4, 1, v32
	s_xor_b32 s70, s4, -1
	s_mov_b32 s4, s5
	s_and_saveexec_b32 s42, s70
; %bb.166:
	v_cmp_gt_f32_e64 s4, v0, v19
	s_and_b32 s4, s5, s4
	v_cndmask_b32_e64 v0, v19, v0, s4
	s_or_b32 s4, s5, exec_lo
; %bb.167:
	s_or_b32 exec_lo, exec_lo, s42
	s_andn2_b32 s5, s5, exec_lo
	s_and_b32 s4, s4, exec_lo
	s_or_b32 s5, s5, s4
	s_or_b32 exec_lo, exec_lo, s34
	s_and_saveexec_b32 s34, s49
	s_cbranch_execnz .LBB766_105
.LBB766_168:
	s_or_b32 exec_lo, exec_lo, s34
	s_and_saveexec_b32 s34, s48
	s_cbranch_execz .LBB766_108
.LBB766_169:
	global_load_ubyte v32, v[98:99], off offset:1344
	s_waitcnt vmcnt(0)
	v_and_b32_e32 v32, 1, v32
	v_cmp_eq_u32_e64 s4, 1, v32
	s_xor_b32 s70, s4, -1
	s_mov_b32 s4, s5
	s_and_saveexec_b32 s42, s70
; %bb.170:
	v_cmp_gt_f32_e64 s4, v0, v21
	s_and_b32 s4, s5, s4
	v_cndmask_b32_e64 v0, v21, v0, s4
	s_or_b32 s4, s5, exec_lo
; %bb.171:
	s_or_b32 exec_lo, exec_lo, s42
	s_andn2_b32 s5, s5, exec_lo
	s_and_b32 s4, s4, exec_lo
	s_or_b32 s5, s5, s4
	s_or_b32 exec_lo, exec_lo, s34
	s_and_saveexec_b32 s34, s47
	s_cbranch_execnz .LBB766_109
.LBB766_172:
	s_or_b32 exec_lo, exec_lo, s34
	s_and_saveexec_b32 s34, s46
	s_cbranch_execz .LBB766_112
.LBB766_173:
	global_load_ubyte v32, v[98:99], off offset:1472
	s_waitcnt vmcnt(0)
	v_and_b32_e32 v32, 1, v32
	v_cmp_eq_u32_e64 s4, 1, v32
	s_xor_b32 s70, s4, -1
	s_mov_b32 s4, s5
	s_and_saveexec_b32 s42, s70
; %bb.174:
	v_cmp_gt_f32_e64 s4, v0, v23
	s_and_b32 s4, s5, s4
	v_cndmask_b32_e64 v0, v23, v0, s4
	s_or_b32 s4, s5, exec_lo
; %bb.175:
	s_or_b32 exec_lo, exec_lo, s42
	s_andn2_b32 s5, s5, exec_lo
	s_and_b32 s4, s4, exec_lo
	s_or_b32 s5, s5, s4
	s_or_b32 exec_lo, exec_lo, s34
	s_and_saveexec_b32 s34, s45
	s_cbranch_execnz .LBB766_113
.LBB766_176:
	s_or_b32 exec_lo, exec_lo, s34
	s_and_saveexec_b32 s34, s44
	s_cbranch_execz .LBB766_116
.LBB766_177:
	global_load_ubyte v32, v[98:99], off offset:1600
	s_waitcnt vmcnt(0)
	v_and_b32_e32 v32, 1, v32
	v_cmp_eq_u32_e64 s4, 1, v32
	s_xor_b32 s70, s4, -1
	s_mov_b32 s4, s5
	s_and_saveexec_b32 s42, s70
; %bb.178:
	v_cmp_gt_f32_e64 s4, v0, v25
	s_and_b32 s4, s5, s4
	v_cndmask_b32_e64 v0, v25, v0, s4
	s_or_b32 s4, s5, exec_lo
; %bb.179:
	s_or_b32 exec_lo, exec_lo, s42
	s_andn2_b32 s5, s5, exec_lo
	s_and_b32 s4, s4, exec_lo
	s_or_b32 s5, s5, s4
	s_or_b32 exec_lo, exec_lo, s34
	s_and_saveexec_b32 s34, s43
	s_cbranch_execnz .LBB766_117
.LBB766_180:
	s_or_b32 exec_lo, exec_lo, s34
	s_and_saveexec_b32 s34, s41
	s_cbranch_execz .LBB766_120
.LBB766_181:
	global_load_ubyte v32, v[98:99], off offset:1728
	s_waitcnt vmcnt(0)
	v_and_b32_e32 v32, 1, v32
	v_cmp_eq_u32_e64 s4, 1, v32
	s_xor_b32 s70, s4, -1
	s_mov_b32 s4, s5
	s_and_saveexec_b32 s42, s70
; %bb.182:
	v_cmp_gt_f32_e64 s4, v0, v27
	s_and_b32 s4, s5, s4
	v_cndmask_b32_e64 v0, v27, v0, s4
	s_or_b32 s4, s5, exec_lo
; %bb.183:
	s_or_b32 exec_lo, exec_lo, s42
	s_andn2_b32 s5, s5, exec_lo
	s_and_b32 s4, s4, exec_lo
	s_or_b32 s5, s5, s4
	s_or_b32 exec_lo, exec_lo, s34
	s_and_saveexec_b32 s34, s40
	s_cbranch_execnz .LBB766_121
.LBB766_184:
	s_or_b32 exec_lo, exec_lo, s34
	s_and_saveexec_b32 s34, s39
	s_cbranch_execz .LBB766_124
.LBB766_185:
	global_load_ubyte v32, v[98:99], off offset:1856
	s_waitcnt vmcnt(0)
	v_and_b32_e32 v32, 1, v32
	v_cmp_eq_u32_e64 s4, 1, v32
	s_xor_b32 s70, s4, -1
	s_mov_b32 s4, s5
	s_and_saveexec_b32 s42, s70
; %bb.186:
	v_cmp_gt_f32_e64 s4, v0, v29
	s_and_b32 s4, s5, s4
	v_cndmask_b32_e64 v0, v29, v0, s4
	s_or_b32 s4, s5, exec_lo
; %bb.187:
	s_or_b32 exec_lo, exec_lo, s42
	s_andn2_b32 s5, s5, exec_lo
	s_and_b32 s4, s4, exec_lo
	s_or_b32 s5, s5, s4
	s_or_b32 exec_lo, exec_lo, s34
	s_and_saveexec_b32 s34, s38
	s_cbranch_execnz .LBB766_125
.LBB766_188:
	s_or_b32 exec_lo, exec_lo, s34
	s_and_saveexec_b32 s34, s35
	s_cbranch_execz .LBB766_192
.LBB766_189:
	global_load_ubyte v32, v[98:99], off offset:1984
	s_waitcnt vmcnt(0)
	v_and_b32_e32 v32, 1, v32
	v_cmp_eq_u32_e64 s4, 1, v32
	s_xor_b32 s70, s4, -1
	s_mov_b32 s4, s5
	s_and_saveexec_b32 s42, s70
; %bb.190:
	v_cmp_gt_f32_e64 s4, v0, v31
	s_and_b32 s4, s5, s4
	v_cndmask_b32_e64 v0, v31, v0, s4
	s_or_b32 s4, s5, exec_lo
; %bb.191:
	s_or_b32 exec_lo, exec_lo, s42
	s_andn2_b32 s5, s5, exec_lo
	s_and_b32 s4, s4, exec_lo
	s_or_b32 s5, s5, s4
.LBB766_192:
	s_or_b32 exec_lo, exec_lo, s34
	v_mbcnt_lo_u32_b32 v32, -1, 0
	v_cndmask_b32_e64 v0, 0xff800000, v0, s5
	s_xor_b32 s5, s69, -1
	v_or_b32_e32 v33, 32, v32
	v_xor_b32_e32 v34, 16, v32
	v_cmp_gt_i32_e64 s4, 64, v33
	v_cndmask_b32_e64 v33, v32, v33, s4
	v_cmp_gt_i32_e64 s4, 64, v34
	v_lshlrev_b32_e32 v101, 2, v33
	v_cndmask_b32_e64 v34, v32, v34, s4
	ds_bpermute_b32 v33, v101, v0
	v_lshlrev_b32_e32 v102, 2, v34
	v_xor_b32_e32 v34, 8, v32
	s_waitcnt lgkmcnt(0)
	v_cmp_lt_f32_e64 s4, v0, v33
	v_cndmask_b32_e64 v0, v0, v33, s4
	v_cmp_gt_i32_e64 s4, 64, v34
	ds_bpermute_b32 v33, v102, v0
	v_cndmask_b32_e64 v34, v32, v34, s4
	v_lshlrev_b32_e32 v103, 2, v34
	v_xor_b32_e32 v34, 4, v32
	s_waitcnt lgkmcnt(0)
	v_cmp_lt_f32_e64 s4, v0, v33
	v_cndmask_b32_e64 v0, v0, v33, s4
	v_cmp_gt_i32_e64 s4, 64, v34
	ds_bpermute_b32 v33, v103, v0
	v_cndmask_b32_e64 v34, v32, v34, s4
	;; [unrolled: 8-line block ×4, first 2 shown]
	v_lshlrev_b32_e32 v106, 2, v32
	s_waitcnt lgkmcnt(0)
	v_cmp_lt_f32_e64 s4, v0, v33
	v_cndmask_b32_e64 v0, v0, v33, s4
	ds_bpermute_b32 v32, v106, v0
	s_waitcnt lgkmcnt(0)
	v_cmp_lt_f32_e64 s4, v0, v32
	v_cndmask_b32_e64 v107, v0, v32, s4
	v_mov_b32_e32 v0, 0
	s_and_saveexec_b32 s34, s68
	s_cbranch_execz .LBB766_196
; %bb.193:
	global_load_ubyte v0, v[98:99], off
	s_waitcnt vmcnt(0)
	v_and_b32_e32 v0, 1, v0
	v_cmp_eq_u32_e64 s4, 1, v0
	v_mov_b32_e32 v0, 0
	s_xor_b32 s4, s4, -1
	s_and_saveexec_b32 s42, s4
	s_cbranch_execz .LBB766_195
; %bb.194:
	v_sub_f32_e32 v0, v1, v107
	v_mul_f32_e32 v1, 0x3fb8aa3b, v0
	v_cmp_ngt_f32_e64 s4, 0xc2ce8ed0, v0
	v_fma_f32 v32, 0x3fb8aa3b, v0, -v1
	v_rndne_f32_e32 v33, v1
	v_fmamk_f32 v32, v0, 0x32a5705f, v32
	v_sub_f32_e32 v1, v1, v33
	v_add_f32_e32 v1, v1, v32
	v_cvt_i32_f32_e32 v32, v33
	v_exp_f32_e32 v1, v1
	v_ldexp_f32 v1, v1, v32
	v_cndmask_b32_e64 v1, 0, v1, s4
	v_cmp_nlt_f32_e64 s4, 0x42b17218, v0
	v_cndmask_b32_e64 v0, 0x7f800000, v1, s4
.LBB766_195:
	s_or_b32 exec_lo, exec_lo, s42
.LBB766_196:
	s_or_b32 exec_lo, exec_lo, s34
                                        ; implicit-def: $vgpr32_vgpr33_vgpr34_vgpr35_vgpr36_vgpr37_vgpr38_vgpr39_vgpr40_vgpr41_vgpr42_vgpr43_vgpr44_vgpr45_vgpr46_vgpr47_vgpr48_vgpr49_vgpr50_vgpr51_vgpr52_vgpr53_vgpr54_vgpr55_vgpr56_vgpr57_vgpr58_vgpr59_vgpr60_vgpr61_vgpr62_vgpr63
	s_and_saveexec_b32 s4, s5
	s_xor_b32 s4, exec_lo, s4
	s_cbranch_execz .LBB766_258
; %bb.197:
	s_mov_b32 s5, 0
                                        ; implicit-def: $vgpr64
	v_mov_b32_e32 v1, s5
	v_mov_b32_e32 v63, v31
	;; [unrolled: 1-line block ×33, first 2 shown]
	s_or_saveexec_b32 s34, s4
	s_xor_b32 s5, s67, -1
	s_xor_b32 exec_lo, exec_lo, s34
	s_cbranch_execnz .LBB766_259
.LBB766_198:
	s_or_b32 exec_lo, exec_lo, s34
                                        ; implicit-def: $vgpr64_vgpr65_vgpr66_vgpr67_vgpr68_vgpr69_vgpr70_vgpr71_vgpr72_vgpr73_vgpr74_vgpr75_vgpr76_vgpr77_vgpr78_vgpr79_vgpr80_vgpr81_vgpr82_vgpr83_vgpr84_vgpr85_vgpr86_vgpr87_vgpr88_vgpr89_vgpr90_vgpr91_vgpr92_vgpr93_vgpr94_vgpr95
	s_and_saveexec_b32 s4, s5
	s_xor_b32 s4, exec_lo, s4
	s_cbranch_execz .LBB766_262
.LBB766_199:
	s_mov_b32 s5, 0
	v_mov_b32_e32 v34, s5
	v_mov_b32_e32 v95, v63
	;; [unrolled: 1-line block ×33, first 2 shown]
                                        ; implicit-def: $vgpr32_vgpr33_vgpr34_vgpr35_vgpr36_vgpr37_vgpr38_vgpr39_vgpr40_vgpr41_vgpr42_vgpr43_vgpr44_vgpr45_vgpr46_vgpr47_vgpr48_vgpr49_vgpr50_vgpr51_vgpr52_vgpr53_vgpr54_vgpr55_vgpr56_vgpr57_vgpr58_vgpr59_vgpr60_vgpr61_vgpr62_vgpr63
	s_or_saveexec_b32 s34, s4
	s_xor_b32 s5, s66, -1
	s_xor_b32 exec_lo, exec_lo, s34
	s_cbranch_execnz .LBB766_263
.LBB766_200:
	s_or_b32 exec_lo, exec_lo, s34
                                        ; implicit-def: $vgpr1_vgpr2_vgpr3_vgpr4_vgpr5_vgpr6_vgpr7_vgpr8_vgpr9_vgpr10_vgpr11_vgpr12_vgpr13_vgpr14_vgpr15_vgpr16_vgpr17_vgpr18_vgpr19_vgpr20_vgpr21_vgpr22_vgpr23_vgpr24_vgpr25_vgpr26_vgpr27_vgpr28_vgpr29_vgpr30_vgpr31_vgpr32
	s_and_saveexec_b32 s4, s5
	s_xor_b32 s4, exec_lo, s4
	s_cbranch_execz .LBB766_266
.LBB766_201:
	s_mov_b32 s5, 0
	v_mov_b32_e32 v67, s5
	v_mov_b32_e32 v1, v64
	;; [unrolled: 1-line block ×33, first 2 shown]
                                        ; implicit-def: $vgpr64_vgpr65_vgpr66_vgpr67_vgpr68_vgpr69_vgpr70_vgpr71_vgpr72_vgpr73_vgpr74_vgpr75_vgpr76_vgpr77_vgpr78_vgpr79_vgpr80_vgpr81_vgpr82_vgpr83_vgpr84_vgpr85_vgpr86_vgpr87_vgpr88_vgpr89_vgpr90_vgpr91_vgpr92_vgpr93_vgpr94_vgpr95
	s_or_saveexec_b32 s34, s4
	s_xor_b32 s5, s65, -1
	s_xor_b32 exec_lo, exec_lo, s34
	s_cbranch_execnz .LBB766_267
.LBB766_202:
	s_or_b32 exec_lo, exec_lo, s34
                                        ; implicit-def: $vgpr33_vgpr34_vgpr35_vgpr36_vgpr37_vgpr38_vgpr39_vgpr40_vgpr41_vgpr42_vgpr43_vgpr44_vgpr45_vgpr46_vgpr47_vgpr48_vgpr49_vgpr50_vgpr51_vgpr52_vgpr53_vgpr54_vgpr55_vgpr56_vgpr57_vgpr58_vgpr59_vgpr60_vgpr61_vgpr62_vgpr63_vgpr64
	s_and_saveexec_b32 s4, s5
	s_xor_b32 s4, exec_lo, s4
	s_cbranch_execz .LBB766_270
.LBB766_203:
	s_mov_b32 s5, 0
	v_mov_b32_e32 v5, s5
	v_mov_b32_e32 v64, v32
	;; [unrolled: 1-line block ×33, first 2 shown]
                                        ; implicit-def: $vgpr1_vgpr2_vgpr3_vgpr4_vgpr5_vgpr6_vgpr7_vgpr8_vgpr9_vgpr10_vgpr11_vgpr12_vgpr13_vgpr14_vgpr15_vgpr16_vgpr17_vgpr18_vgpr19_vgpr20_vgpr21_vgpr22_vgpr23_vgpr24_vgpr25_vgpr26_vgpr27_vgpr28_vgpr29_vgpr30_vgpr31_vgpr32
	s_or_saveexec_b32 s34, s4
	s_xor_b32 s5, s64, -1
	s_xor_b32 exec_lo, exec_lo, s34
	s_cbranch_execnz .LBB766_271
.LBB766_204:
	s_or_b32 exec_lo, exec_lo, s34
                                        ; implicit-def: $vgpr1_vgpr2_vgpr3_vgpr4_vgpr5_vgpr6_vgpr7_vgpr8_vgpr9_vgpr10_vgpr11_vgpr12_vgpr13_vgpr14_vgpr15_vgpr16_vgpr17_vgpr18_vgpr19_vgpr20_vgpr21_vgpr22_vgpr23_vgpr24_vgpr25_vgpr26_vgpr27_vgpr28_vgpr29_vgpr30_vgpr31_vgpr32
	s_and_saveexec_b32 s4, s5
	s_xor_b32 s4, exec_lo, s4
	s_cbranch_execz .LBB766_274
.LBB766_205:
	s_mov_b32 s5, 0
	v_mov_b32_e32 v38, s5
	v_mov_b32_e32 v1, v33
	;; [unrolled: 1-line block ×33, first 2 shown]
                                        ; implicit-def: $vgpr33_vgpr34_vgpr35_vgpr36_vgpr37_vgpr38_vgpr39_vgpr40_vgpr41_vgpr42_vgpr43_vgpr44_vgpr45_vgpr46_vgpr47_vgpr48_vgpr49_vgpr50_vgpr51_vgpr52_vgpr53_vgpr54_vgpr55_vgpr56_vgpr57_vgpr58_vgpr59_vgpr60_vgpr61_vgpr62_vgpr63_vgpr64
	s_or_saveexec_b32 s34, s4
	s_xor_b32 s5, s63, -1
	s_xor_b32 exec_lo, exec_lo, s34
	s_cbranch_execnz .LBB766_275
.LBB766_206:
	s_or_b32 exec_lo, exec_lo, s34
                                        ; implicit-def: $vgpr33_vgpr34_vgpr35_vgpr36_vgpr37_vgpr38_vgpr39_vgpr40_vgpr41_vgpr42_vgpr43_vgpr44_vgpr45_vgpr46_vgpr47_vgpr48_vgpr49_vgpr50_vgpr51_vgpr52_vgpr53_vgpr54_vgpr55_vgpr56_vgpr57_vgpr58_vgpr59_vgpr60_vgpr61_vgpr62_vgpr63_vgpr64
	s_and_saveexec_b32 s4, s5
	s_xor_b32 s4, exec_lo, s4
	s_cbranch_execz .LBB766_278
.LBB766_207:
	s_mov_b32 s5, 0
	v_mov_b32_e32 v7, s5
	v_mov_b32_e32 v64, v32
	;; [unrolled: 1-line block ×33, first 2 shown]
                                        ; implicit-def: $vgpr1_vgpr2_vgpr3_vgpr4_vgpr5_vgpr6_vgpr7_vgpr8_vgpr9_vgpr10_vgpr11_vgpr12_vgpr13_vgpr14_vgpr15_vgpr16_vgpr17_vgpr18_vgpr19_vgpr20_vgpr21_vgpr22_vgpr23_vgpr24_vgpr25_vgpr26_vgpr27_vgpr28_vgpr29_vgpr30_vgpr31_vgpr32
	s_or_saveexec_b32 s34, s4
	s_xor_b32 s5, s62, -1
	s_xor_b32 exec_lo, exec_lo, s34
	s_cbranch_execnz .LBB766_279
.LBB766_208:
	s_or_b32 exec_lo, exec_lo, s34
                                        ; implicit-def: $vgpr1_vgpr2_vgpr3_vgpr4_vgpr5_vgpr6_vgpr7_vgpr8_vgpr9_vgpr10_vgpr11_vgpr12_vgpr13_vgpr14_vgpr15_vgpr16_vgpr17_vgpr18_vgpr19_vgpr20_vgpr21_vgpr22_vgpr23_vgpr24_vgpr25_vgpr26_vgpr27_vgpr28_vgpr29_vgpr30_vgpr31_vgpr32
	s_and_saveexec_b32 s4, s5
	s_xor_b32 s4, exec_lo, s4
	s_cbranch_execz .LBB766_282
.LBB766_209:
	s_mov_b32 s5, 0
	v_mov_b32_e32 v40, s5
	v_mov_b32_e32 v1, v33
	;; [unrolled: 1-line block ×33, first 2 shown]
                                        ; implicit-def: $vgpr33_vgpr34_vgpr35_vgpr36_vgpr37_vgpr38_vgpr39_vgpr40_vgpr41_vgpr42_vgpr43_vgpr44_vgpr45_vgpr46_vgpr47_vgpr48_vgpr49_vgpr50_vgpr51_vgpr52_vgpr53_vgpr54_vgpr55_vgpr56_vgpr57_vgpr58_vgpr59_vgpr60_vgpr61_vgpr62_vgpr63_vgpr64
	s_or_saveexec_b32 s34, s4
	s_xor_b32 s5, s61, -1
	s_xor_b32 exec_lo, exec_lo, s34
	s_cbranch_execnz .LBB766_283
.LBB766_210:
	s_or_b32 exec_lo, exec_lo, s34
                                        ; implicit-def: $vgpr33_vgpr34_vgpr35_vgpr36_vgpr37_vgpr38_vgpr39_vgpr40_vgpr41_vgpr42_vgpr43_vgpr44_vgpr45_vgpr46_vgpr47_vgpr48_vgpr49_vgpr50_vgpr51_vgpr52_vgpr53_vgpr54_vgpr55_vgpr56_vgpr57_vgpr58_vgpr59_vgpr60_vgpr61_vgpr62_vgpr63_vgpr64
	s_and_saveexec_b32 s4, s5
	s_xor_b32 s4, exec_lo, s4
	s_cbranch_execz .LBB766_286
.LBB766_211:
	s_mov_b32 s5, 0
	v_mov_b32_e32 v9, s5
	v_mov_b32_e32 v64, v32
	v_mov_b32_e32 v63, v31
	v_mov_b32_e32 v62, v30
	v_mov_b32_e32 v61, v29
	v_mov_b32_e32 v60, v28
	v_mov_b32_e32 v59, v27
	v_mov_b32_e32 v58, v26
	v_mov_b32_e32 v57, v25
	v_mov_b32_e32 v56, v24
	v_mov_b32_e32 v55, v23
	v_mov_b32_e32 v54, v22
	v_mov_b32_e32 v53, v21
	v_mov_b32_e32 v52, v20
	v_mov_b32_e32 v51, v19
	v_mov_b32_e32 v50, v18
	v_mov_b32_e32 v49, v17
	v_mov_b32_e32 v48, v16
	v_mov_b32_e32 v47, v15
	v_mov_b32_e32 v46, v14
	v_mov_b32_e32 v45, v13
	v_mov_b32_e32 v44, v12
	v_mov_b32_e32 v43, v11
	v_mov_b32_e32 v42, v10
	v_mov_b32_e32 v41, v9
	v_mov_b32_e32 v40, v8
	v_mov_b32_e32 v39, v7
	v_mov_b32_e32 v38, v6
	v_mov_b32_e32 v37, v5
	v_mov_b32_e32 v36, v4
	v_mov_b32_e32 v35, v3
	v_mov_b32_e32 v34, v2
	v_mov_b32_e32 v33, v1
                                        ; implicit-def: $vgpr1_vgpr2_vgpr3_vgpr4_vgpr5_vgpr6_vgpr7_vgpr8_vgpr9_vgpr10_vgpr11_vgpr12_vgpr13_vgpr14_vgpr15_vgpr16_vgpr17_vgpr18_vgpr19_vgpr20_vgpr21_vgpr22_vgpr23_vgpr24_vgpr25_vgpr26_vgpr27_vgpr28_vgpr29_vgpr30_vgpr31_vgpr32
	s_or_saveexec_b32 s34, s4
	s_xor_b32 s5, s60, -1
	s_xor_b32 exec_lo, exec_lo, s34
	s_cbranch_execnz .LBB766_287
.LBB766_212:
	s_or_b32 exec_lo, exec_lo, s34
                                        ; implicit-def: $vgpr1_vgpr2_vgpr3_vgpr4_vgpr5_vgpr6_vgpr7_vgpr8_vgpr9_vgpr10_vgpr11_vgpr12_vgpr13_vgpr14_vgpr15_vgpr16_vgpr17_vgpr18_vgpr19_vgpr20_vgpr21_vgpr22_vgpr23_vgpr24_vgpr25_vgpr26_vgpr27_vgpr28_vgpr29_vgpr30_vgpr31_vgpr32
	s_and_saveexec_b32 s4, s5
	s_xor_b32 s4, exec_lo, s4
	s_cbranch_execz .LBB766_290
.LBB766_213:
	s_mov_b32 s5, 0
	v_mov_b32_e32 v42, s5
	v_mov_b32_e32 v1, v33
	;; [unrolled: 1-line block ×33, first 2 shown]
                                        ; implicit-def: $vgpr33_vgpr34_vgpr35_vgpr36_vgpr37_vgpr38_vgpr39_vgpr40_vgpr41_vgpr42_vgpr43_vgpr44_vgpr45_vgpr46_vgpr47_vgpr48_vgpr49_vgpr50_vgpr51_vgpr52_vgpr53_vgpr54_vgpr55_vgpr56_vgpr57_vgpr58_vgpr59_vgpr60_vgpr61_vgpr62_vgpr63_vgpr64
	s_or_saveexec_b32 s34, s4
	s_xor_b32 s5, s59, -1
	s_xor_b32 exec_lo, exec_lo, s34
	s_cbranch_execnz .LBB766_291
.LBB766_214:
	s_or_b32 exec_lo, exec_lo, s34
                                        ; implicit-def: $vgpr33_vgpr34_vgpr35_vgpr36_vgpr37_vgpr38_vgpr39_vgpr40_vgpr41_vgpr42_vgpr43_vgpr44_vgpr45_vgpr46_vgpr47_vgpr48_vgpr49_vgpr50_vgpr51_vgpr52_vgpr53_vgpr54_vgpr55_vgpr56_vgpr57_vgpr58_vgpr59_vgpr60_vgpr61_vgpr62_vgpr63_vgpr64
	s_and_saveexec_b32 s4, s5
	s_xor_b32 s4, exec_lo, s4
	s_cbranch_execz .LBB766_294
.LBB766_215:
	s_mov_b32 s5, 0
	v_mov_b32_e32 v11, s5
	v_mov_b32_e32 v64, v32
	;; [unrolled: 1-line block ×33, first 2 shown]
                                        ; implicit-def: $vgpr1_vgpr2_vgpr3_vgpr4_vgpr5_vgpr6_vgpr7_vgpr8_vgpr9_vgpr10_vgpr11_vgpr12_vgpr13_vgpr14_vgpr15_vgpr16_vgpr17_vgpr18_vgpr19_vgpr20_vgpr21_vgpr22_vgpr23_vgpr24_vgpr25_vgpr26_vgpr27_vgpr28_vgpr29_vgpr30_vgpr31_vgpr32
	s_or_saveexec_b32 s34, s4
	s_xor_b32 s5, s58, -1
	s_xor_b32 exec_lo, exec_lo, s34
	s_cbranch_execnz .LBB766_295
.LBB766_216:
	s_or_b32 exec_lo, exec_lo, s34
                                        ; implicit-def: $vgpr1_vgpr2_vgpr3_vgpr4_vgpr5_vgpr6_vgpr7_vgpr8_vgpr9_vgpr10_vgpr11_vgpr12_vgpr13_vgpr14_vgpr15_vgpr16_vgpr17_vgpr18_vgpr19_vgpr20_vgpr21_vgpr22_vgpr23_vgpr24_vgpr25_vgpr26_vgpr27_vgpr28_vgpr29_vgpr30_vgpr31_vgpr32
	s_and_saveexec_b32 s4, s5
	s_xor_b32 s4, exec_lo, s4
	s_cbranch_execz .LBB766_298
.LBB766_217:
	s_mov_b32 s5, 0
	v_mov_b32_e32 v44, s5
	v_mov_b32_e32 v1, v33
	;; [unrolled: 1-line block ×33, first 2 shown]
                                        ; implicit-def: $vgpr33_vgpr34_vgpr35_vgpr36_vgpr37_vgpr38_vgpr39_vgpr40_vgpr41_vgpr42_vgpr43_vgpr44_vgpr45_vgpr46_vgpr47_vgpr48_vgpr49_vgpr50_vgpr51_vgpr52_vgpr53_vgpr54_vgpr55_vgpr56_vgpr57_vgpr58_vgpr59_vgpr60_vgpr61_vgpr62_vgpr63_vgpr64
	s_or_saveexec_b32 s34, s4
	s_xor_b32 s5, s57, -1
	s_xor_b32 exec_lo, exec_lo, s34
	s_cbranch_execnz .LBB766_299
.LBB766_218:
	s_or_b32 exec_lo, exec_lo, s34
                                        ; implicit-def: $vgpr33_vgpr34_vgpr35_vgpr36_vgpr37_vgpr38_vgpr39_vgpr40_vgpr41_vgpr42_vgpr43_vgpr44_vgpr45_vgpr46_vgpr47_vgpr48_vgpr49_vgpr50_vgpr51_vgpr52_vgpr53_vgpr54_vgpr55_vgpr56_vgpr57_vgpr58_vgpr59_vgpr60_vgpr61_vgpr62_vgpr63_vgpr64
	s_and_saveexec_b32 s4, s5
	s_xor_b32 s4, exec_lo, s4
	s_cbranch_execz .LBB766_302
.LBB766_219:
	s_mov_b32 s5, 0
	v_mov_b32_e32 v13, s5
	v_mov_b32_e32 v64, v32
	;; [unrolled: 1-line block ×33, first 2 shown]
                                        ; implicit-def: $vgpr1_vgpr2_vgpr3_vgpr4_vgpr5_vgpr6_vgpr7_vgpr8_vgpr9_vgpr10_vgpr11_vgpr12_vgpr13_vgpr14_vgpr15_vgpr16_vgpr17_vgpr18_vgpr19_vgpr20_vgpr21_vgpr22_vgpr23_vgpr24_vgpr25_vgpr26_vgpr27_vgpr28_vgpr29_vgpr30_vgpr31_vgpr32
	s_or_saveexec_b32 s34, s4
	s_xor_b32 s5, s56, -1
	s_xor_b32 exec_lo, exec_lo, s34
	s_cbranch_execnz .LBB766_303
.LBB766_220:
	s_or_b32 exec_lo, exec_lo, s34
                                        ; implicit-def: $vgpr1_vgpr2_vgpr3_vgpr4_vgpr5_vgpr6_vgpr7_vgpr8_vgpr9_vgpr10_vgpr11_vgpr12_vgpr13_vgpr14_vgpr15_vgpr16_vgpr17_vgpr18_vgpr19_vgpr20_vgpr21_vgpr22_vgpr23_vgpr24_vgpr25_vgpr26_vgpr27_vgpr28_vgpr29_vgpr30_vgpr31_vgpr32
	s_and_saveexec_b32 s4, s5
	s_xor_b32 s4, exec_lo, s4
	s_cbranch_execz .LBB766_306
.LBB766_221:
	s_mov_b32 s5, 0
	v_mov_b32_e32 v46, s5
	v_mov_b32_e32 v1, v33
	;; [unrolled: 1-line block ×33, first 2 shown]
                                        ; implicit-def: $vgpr33_vgpr34_vgpr35_vgpr36_vgpr37_vgpr38_vgpr39_vgpr40_vgpr41_vgpr42_vgpr43_vgpr44_vgpr45_vgpr46_vgpr47_vgpr48_vgpr49_vgpr50_vgpr51_vgpr52_vgpr53_vgpr54_vgpr55_vgpr56_vgpr57_vgpr58_vgpr59_vgpr60_vgpr61_vgpr62_vgpr63_vgpr64
	s_or_saveexec_b32 s34, s4
	s_xor_b32 s5, s55, -1
	s_xor_b32 exec_lo, exec_lo, s34
	s_cbranch_execnz .LBB766_307
.LBB766_222:
	s_or_b32 exec_lo, exec_lo, s34
                                        ; implicit-def: $vgpr33_vgpr34_vgpr35_vgpr36_vgpr37_vgpr38_vgpr39_vgpr40_vgpr41_vgpr42_vgpr43_vgpr44_vgpr45_vgpr46_vgpr47_vgpr48_vgpr49_vgpr50_vgpr51_vgpr52_vgpr53_vgpr54_vgpr55_vgpr56_vgpr57_vgpr58_vgpr59_vgpr60_vgpr61_vgpr62_vgpr63_vgpr64
	s_and_saveexec_b32 s4, s5
	s_xor_b32 s4, exec_lo, s4
	s_cbranch_execz .LBB766_310
.LBB766_223:
	s_mov_b32 s5, 0
	v_mov_b32_e32 v15, s5
	v_mov_b32_e32 v64, v32
	;; [unrolled: 1-line block ×33, first 2 shown]
                                        ; implicit-def: $vgpr1_vgpr2_vgpr3_vgpr4_vgpr5_vgpr6_vgpr7_vgpr8_vgpr9_vgpr10_vgpr11_vgpr12_vgpr13_vgpr14_vgpr15_vgpr16_vgpr17_vgpr18_vgpr19_vgpr20_vgpr21_vgpr22_vgpr23_vgpr24_vgpr25_vgpr26_vgpr27_vgpr28_vgpr29_vgpr30_vgpr31_vgpr32
	s_or_saveexec_b32 s34, s4
	s_xor_b32 s5, s54, -1
	s_xor_b32 exec_lo, exec_lo, s34
	s_cbranch_execnz .LBB766_311
.LBB766_224:
	s_or_b32 exec_lo, exec_lo, s34
                                        ; implicit-def: $vgpr1_vgpr2_vgpr3_vgpr4_vgpr5_vgpr6_vgpr7_vgpr8_vgpr9_vgpr10_vgpr11_vgpr12_vgpr13_vgpr14_vgpr15_vgpr16_vgpr17_vgpr18_vgpr19_vgpr20_vgpr21_vgpr22_vgpr23_vgpr24_vgpr25_vgpr26_vgpr27_vgpr28_vgpr29_vgpr30_vgpr31_vgpr32
	s_and_saveexec_b32 s4, s5
	s_xor_b32 s4, exec_lo, s4
	s_cbranch_execz .LBB766_314
.LBB766_225:
	s_mov_b32 s5, 0
	v_mov_b32_e32 v48, s5
	v_mov_b32_e32 v1, v33
	;; [unrolled: 1-line block ×33, first 2 shown]
                                        ; implicit-def: $vgpr33_vgpr34_vgpr35_vgpr36_vgpr37_vgpr38_vgpr39_vgpr40_vgpr41_vgpr42_vgpr43_vgpr44_vgpr45_vgpr46_vgpr47_vgpr48_vgpr49_vgpr50_vgpr51_vgpr52_vgpr53_vgpr54_vgpr55_vgpr56_vgpr57_vgpr58_vgpr59_vgpr60_vgpr61_vgpr62_vgpr63_vgpr64
	s_or_saveexec_b32 s34, s4
	s_xor_b32 s5, s53, -1
	s_xor_b32 exec_lo, exec_lo, s34
	s_cbranch_execnz .LBB766_315
.LBB766_226:
	s_or_b32 exec_lo, exec_lo, s34
                                        ; implicit-def: $vgpr33_vgpr34_vgpr35_vgpr36_vgpr37_vgpr38_vgpr39_vgpr40_vgpr41_vgpr42_vgpr43_vgpr44_vgpr45_vgpr46_vgpr47_vgpr48_vgpr49_vgpr50_vgpr51_vgpr52_vgpr53_vgpr54_vgpr55_vgpr56_vgpr57_vgpr58_vgpr59_vgpr60_vgpr61_vgpr62_vgpr63_vgpr64
	s_and_saveexec_b32 s4, s5
	s_xor_b32 s4, exec_lo, s4
	s_cbranch_execz .LBB766_318
.LBB766_227:
	s_mov_b32 s5, 0
	v_mov_b32_e32 v17, s5
	v_mov_b32_e32 v64, v32
	;; [unrolled: 1-line block ×33, first 2 shown]
                                        ; implicit-def: $vgpr1_vgpr2_vgpr3_vgpr4_vgpr5_vgpr6_vgpr7_vgpr8_vgpr9_vgpr10_vgpr11_vgpr12_vgpr13_vgpr14_vgpr15_vgpr16_vgpr17_vgpr18_vgpr19_vgpr20_vgpr21_vgpr22_vgpr23_vgpr24_vgpr25_vgpr26_vgpr27_vgpr28_vgpr29_vgpr30_vgpr31_vgpr32
	s_or_saveexec_b32 s34, s4
	s_xor_b32 s5, s52, -1
	s_xor_b32 exec_lo, exec_lo, s34
	s_cbranch_execnz .LBB766_319
.LBB766_228:
	s_or_b32 exec_lo, exec_lo, s34
                                        ; implicit-def: $vgpr1_vgpr2_vgpr3_vgpr4_vgpr5_vgpr6_vgpr7_vgpr8_vgpr9_vgpr10_vgpr11_vgpr12_vgpr13_vgpr14_vgpr15_vgpr16_vgpr17_vgpr18_vgpr19_vgpr20_vgpr21_vgpr22_vgpr23_vgpr24_vgpr25_vgpr26_vgpr27_vgpr28_vgpr29_vgpr30_vgpr31_vgpr32
	s_and_saveexec_b32 s4, s5
	s_xor_b32 s4, exec_lo, s4
	s_cbranch_execz .LBB766_322
.LBB766_229:
	s_mov_b32 s5, 0
	v_mov_b32_e32 v50, s5
	v_mov_b32_e32 v1, v33
	;; [unrolled: 1-line block ×33, first 2 shown]
                                        ; implicit-def: $vgpr33_vgpr34_vgpr35_vgpr36_vgpr37_vgpr38_vgpr39_vgpr40_vgpr41_vgpr42_vgpr43_vgpr44_vgpr45_vgpr46_vgpr47_vgpr48_vgpr49_vgpr50_vgpr51_vgpr52_vgpr53_vgpr54_vgpr55_vgpr56_vgpr57_vgpr58_vgpr59_vgpr60_vgpr61_vgpr62_vgpr63_vgpr64
	s_or_saveexec_b32 s34, s4
	s_xor_b32 s5, s51, -1
	s_xor_b32 exec_lo, exec_lo, s34
	s_cbranch_execnz .LBB766_323
.LBB766_230:
	s_or_b32 exec_lo, exec_lo, s34
                                        ; implicit-def: $vgpr33_vgpr34_vgpr35_vgpr36_vgpr37_vgpr38_vgpr39_vgpr40_vgpr41_vgpr42_vgpr43_vgpr44_vgpr45_vgpr46_vgpr47_vgpr48_vgpr49_vgpr50_vgpr51_vgpr52_vgpr53_vgpr54_vgpr55_vgpr56_vgpr57_vgpr58_vgpr59_vgpr60_vgpr61_vgpr62_vgpr63_vgpr64
	s_and_saveexec_b32 s4, s5
	s_xor_b32 s4, exec_lo, s4
	s_cbranch_execz .LBB766_326
.LBB766_231:
	s_mov_b32 s5, 0
	v_mov_b32_e32 v19, s5
	v_mov_b32_e32 v64, v32
	;; [unrolled: 1-line block ×33, first 2 shown]
                                        ; implicit-def: $vgpr1_vgpr2_vgpr3_vgpr4_vgpr5_vgpr6_vgpr7_vgpr8_vgpr9_vgpr10_vgpr11_vgpr12_vgpr13_vgpr14_vgpr15_vgpr16_vgpr17_vgpr18_vgpr19_vgpr20_vgpr21_vgpr22_vgpr23_vgpr24_vgpr25_vgpr26_vgpr27_vgpr28_vgpr29_vgpr30_vgpr31_vgpr32
	s_or_saveexec_b32 s34, s4
	s_xor_b32 s5, s50, -1
	s_xor_b32 exec_lo, exec_lo, s34
	s_cbranch_execnz .LBB766_327
.LBB766_232:
	s_or_b32 exec_lo, exec_lo, s34
                                        ; implicit-def: $vgpr1_vgpr2_vgpr3_vgpr4_vgpr5_vgpr6_vgpr7_vgpr8_vgpr9_vgpr10_vgpr11_vgpr12_vgpr13_vgpr14_vgpr15_vgpr16_vgpr17_vgpr18_vgpr19_vgpr20_vgpr21_vgpr22_vgpr23_vgpr24_vgpr25_vgpr26_vgpr27_vgpr28_vgpr29_vgpr30_vgpr31_vgpr32
	s_and_saveexec_b32 s4, s5
	s_xor_b32 s4, exec_lo, s4
	s_cbranch_execz .LBB766_330
.LBB766_233:
	s_mov_b32 s5, 0
	v_mov_b32_e32 v52, s5
	v_mov_b32_e32 v1, v33
	;; [unrolled: 1-line block ×33, first 2 shown]
                                        ; implicit-def: $vgpr33_vgpr34_vgpr35_vgpr36_vgpr37_vgpr38_vgpr39_vgpr40_vgpr41_vgpr42_vgpr43_vgpr44_vgpr45_vgpr46_vgpr47_vgpr48_vgpr49_vgpr50_vgpr51_vgpr52_vgpr53_vgpr54_vgpr55_vgpr56_vgpr57_vgpr58_vgpr59_vgpr60_vgpr61_vgpr62_vgpr63_vgpr64
	s_or_saveexec_b32 s34, s4
	s_xor_b32 s5, s49, -1
	s_xor_b32 exec_lo, exec_lo, s34
	s_cbranch_execnz .LBB766_331
.LBB766_234:
	s_or_b32 exec_lo, exec_lo, s34
                                        ; implicit-def: $vgpr33_vgpr34_vgpr35_vgpr36_vgpr37_vgpr38_vgpr39_vgpr40_vgpr41_vgpr42_vgpr43_vgpr44_vgpr45_vgpr46_vgpr47_vgpr48_vgpr49_vgpr50_vgpr51_vgpr52_vgpr53_vgpr54_vgpr55_vgpr56_vgpr57_vgpr58_vgpr59_vgpr60_vgpr61_vgpr62_vgpr63_vgpr64
	s_and_saveexec_b32 s4, s5
	s_xor_b32 s4, exec_lo, s4
	s_cbranch_execz .LBB766_334
.LBB766_235:
	s_mov_b32 s5, 0
	v_mov_b32_e32 v21, s5
	v_mov_b32_e32 v64, v32
	;; [unrolled: 1-line block ×33, first 2 shown]
                                        ; implicit-def: $vgpr1_vgpr2_vgpr3_vgpr4_vgpr5_vgpr6_vgpr7_vgpr8_vgpr9_vgpr10_vgpr11_vgpr12_vgpr13_vgpr14_vgpr15_vgpr16_vgpr17_vgpr18_vgpr19_vgpr20_vgpr21_vgpr22_vgpr23_vgpr24_vgpr25_vgpr26_vgpr27_vgpr28_vgpr29_vgpr30_vgpr31_vgpr32
	s_or_saveexec_b32 s34, s4
	s_xor_b32 s5, s48, -1
	s_xor_b32 exec_lo, exec_lo, s34
	s_cbranch_execnz .LBB766_335
.LBB766_236:
	s_or_b32 exec_lo, exec_lo, s34
                                        ; implicit-def: $vgpr1_vgpr2_vgpr3_vgpr4_vgpr5_vgpr6_vgpr7_vgpr8_vgpr9_vgpr10_vgpr11_vgpr12_vgpr13_vgpr14_vgpr15_vgpr16_vgpr17_vgpr18_vgpr19_vgpr20_vgpr21_vgpr22_vgpr23_vgpr24_vgpr25_vgpr26_vgpr27_vgpr28_vgpr29_vgpr30_vgpr31_vgpr32
	s_and_saveexec_b32 s4, s5
	s_xor_b32 s4, exec_lo, s4
	s_cbranch_execz .LBB766_338
.LBB766_237:
	s_mov_b32 s5, 0
	v_mov_b32_e32 v54, s5
	v_mov_b32_e32 v1, v33
	;; [unrolled: 1-line block ×33, first 2 shown]
                                        ; implicit-def: $vgpr33_vgpr34_vgpr35_vgpr36_vgpr37_vgpr38_vgpr39_vgpr40_vgpr41_vgpr42_vgpr43_vgpr44_vgpr45_vgpr46_vgpr47_vgpr48_vgpr49_vgpr50_vgpr51_vgpr52_vgpr53_vgpr54_vgpr55_vgpr56_vgpr57_vgpr58_vgpr59_vgpr60_vgpr61_vgpr62_vgpr63_vgpr64
	s_or_saveexec_b32 s34, s4
	s_xor_b32 s5, s47, -1
	s_xor_b32 exec_lo, exec_lo, s34
	s_cbranch_execnz .LBB766_339
.LBB766_238:
	s_or_b32 exec_lo, exec_lo, s34
                                        ; implicit-def: $vgpr33_vgpr34_vgpr35_vgpr36_vgpr37_vgpr38_vgpr39_vgpr40_vgpr41_vgpr42_vgpr43_vgpr44_vgpr45_vgpr46_vgpr47_vgpr48_vgpr49_vgpr50_vgpr51_vgpr52_vgpr53_vgpr54_vgpr55_vgpr56_vgpr57_vgpr58_vgpr59_vgpr60_vgpr61_vgpr62_vgpr63_vgpr64
	s_and_saveexec_b32 s4, s5
	s_xor_b32 s4, exec_lo, s4
	s_cbranch_execz .LBB766_342
.LBB766_239:
	s_mov_b32 s5, 0
	v_mov_b32_e32 v23, s5
	v_mov_b32_e32 v64, v32
	;; [unrolled: 1-line block ×33, first 2 shown]
                                        ; implicit-def: $vgpr1_vgpr2_vgpr3_vgpr4_vgpr5_vgpr6_vgpr7_vgpr8_vgpr9_vgpr10_vgpr11_vgpr12_vgpr13_vgpr14_vgpr15_vgpr16_vgpr17_vgpr18_vgpr19_vgpr20_vgpr21_vgpr22_vgpr23_vgpr24_vgpr25_vgpr26_vgpr27_vgpr28_vgpr29_vgpr30_vgpr31_vgpr32
	s_or_saveexec_b32 s34, s4
	s_xor_b32 s5, s46, -1
	s_xor_b32 exec_lo, exec_lo, s34
	s_cbranch_execnz .LBB766_343
.LBB766_240:
	s_or_b32 exec_lo, exec_lo, s34
                                        ; implicit-def: $vgpr1_vgpr2_vgpr3_vgpr4_vgpr5_vgpr6_vgpr7_vgpr8_vgpr9_vgpr10_vgpr11_vgpr12_vgpr13_vgpr14_vgpr15_vgpr16_vgpr17_vgpr18_vgpr19_vgpr20_vgpr21_vgpr22_vgpr23_vgpr24_vgpr25_vgpr26_vgpr27_vgpr28_vgpr29_vgpr30_vgpr31_vgpr32
	s_and_saveexec_b32 s4, s5
	s_xor_b32 s4, exec_lo, s4
	s_cbranch_execz .LBB766_346
.LBB766_241:
	s_mov_b32 s5, 0
	v_mov_b32_e32 v56, s5
	v_mov_b32_e32 v1, v33
	;; [unrolled: 1-line block ×33, first 2 shown]
                                        ; implicit-def: $vgpr33_vgpr34_vgpr35_vgpr36_vgpr37_vgpr38_vgpr39_vgpr40_vgpr41_vgpr42_vgpr43_vgpr44_vgpr45_vgpr46_vgpr47_vgpr48_vgpr49_vgpr50_vgpr51_vgpr52_vgpr53_vgpr54_vgpr55_vgpr56_vgpr57_vgpr58_vgpr59_vgpr60_vgpr61_vgpr62_vgpr63_vgpr64
	s_or_saveexec_b32 s34, s4
	s_xor_b32 s5, s45, -1
	s_xor_b32 exec_lo, exec_lo, s34
	s_cbranch_execnz .LBB766_347
.LBB766_242:
	s_or_b32 exec_lo, exec_lo, s34
                                        ; implicit-def: $vgpr33_vgpr34_vgpr35_vgpr36_vgpr37_vgpr38_vgpr39_vgpr40_vgpr41_vgpr42_vgpr43_vgpr44_vgpr45_vgpr46_vgpr47_vgpr48_vgpr49_vgpr50_vgpr51_vgpr52_vgpr53_vgpr54_vgpr55_vgpr56_vgpr57_vgpr58_vgpr59_vgpr60_vgpr61_vgpr62_vgpr63_vgpr64
	s_and_saveexec_b32 s4, s5
	s_xor_b32 s4, exec_lo, s4
	s_cbranch_execz .LBB766_350
.LBB766_243:
	s_mov_b32 s5, 0
	v_mov_b32_e32 v25, s5
	v_mov_b32_e32 v64, v32
	;; [unrolled: 1-line block ×33, first 2 shown]
                                        ; implicit-def: $vgpr1_vgpr2_vgpr3_vgpr4_vgpr5_vgpr6_vgpr7_vgpr8_vgpr9_vgpr10_vgpr11_vgpr12_vgpr13_vgpr14_vgpr15_vgpr16_vgpr17_vgpr18_vgpr19_vgpr20_vgpr21_vgpr22_vgpr23_vgpr24_vgpr25_vgpr26_vgpr27_vgpr28_vgpr29_vgpr30_vgpr31_vgpr32
	s_or_saveexec_b32 s34, s4
	s_xor_b32 s5, s44, -1
	s_xor_b32 exec_lo, exec_lo, s34
	s_cbranch_execnz .LBB766_351
.LBB766_244:
	s_or_b32 exec_lo, exec_lo, s34
                                        ; implicit-def: $vgpr1_vgpr2_vgpr3_vgpr4_vgpr5_vgpr6_vgpr7_vgpr8_vgpr9_vgpr10_vgpr11_vgpr12_vgpr13_vgpr14_vgpr15_vgpr16_vgpr17_vgpr18_vgpr19_vgpr20_vgpr21_vgpr22_vgpr23_vgpr24_vgpr25_vgpr26_vgpr27_vgpr28_vgpr29_vgpr30_vgpr31_vgpr32
	s_and_saveexec_b32 s4, s5
	s_xor_b32 s4, exec_lo, s4
	s_cbranch_execz .LBB766_354
.LBB766_245:
	s_mov_b32 s5, 0
	v_mov_b32_e32 v58, s5
	v_mov_b32_e32 v1, v33
	v_mov_b32_e32 v2, v34
	v_mov_b32_e32 v3, v35
	v_mov_b32_e32 v4, v36
	v_mov_b32_e32 v5, v37
	v_mov_b32_e32 v6, v38
	v_mov_b32_e32 v7, v39
	v_mov_b32_e32 v8, v40
	v_mov_b32_e32 v9, v41
	v_mov_b32_e32 v10, v42
	v_mov_b32_e32 v11, v43
	v_mov_b32_e32 v12, v44
	v_mov_b32_e32 v13, v45
	v_mov_b32_e32 v14, v46
	v_mov_b32_e32 v15, v47
	v_mov_b32_e32 v16, v48
	v_mov_b32_e32 v17, v49
	v_mov_b32_e32 v18, v50
	v_mov_b32_e32 v19, v51
	v_mov_b32_e32 v20, v52
	v_mov_b32_e32 v21, v53
	v_mov_b32_e32 v22, v54
	v_mov_b32_e32 v23, v55
	v_mov_b32_e32 v24, v56
	v_mov_b32_e32 v25, v57
	v_mov_b32_e32 v26, v58
	v_mov_b32_e32 v27, v59
	v_mov_b32_e32 v28, v60
	v_mov_b32_e32 v29, v61
	v_mov_b32_e32 v30, v62
	v_mov_b32_e32 v31, v63
	v_mov_b32_e32 v32, v64
                                        ; implicit-def: $vgpr33_vgpr34_vgpr35_vgpr36_vgpr37_vgpr38_vgpr39_vgpr40_vgpr41_vgpr42_vgpr43_vgpr44_vgpr45_vgpr46_vgpr47_vgpr48_vgpr49_vgpr50_vgpr51_vgpr52_vgpr53_vgpr54_vgpr55_vgpr56_vgpr57_vgpr58_vgpr59_vgpr60_vgpr61_vgpr62_vgpr63_vgpr64
	s_or_saveexec_b32 s34, s4
	s_xor_b32 s5, s43, -1
	s_xor_b32 exec_lo, exec_lo, s34
	s_cbranch_execnz .LBB766_355
.LBB766_246:
	s_or_b32 exec_lo, exec_lo, s34
                                        ; implicit-def: $vgpr33_vgpr34_vgpr35_vgpr36_vgpr37_vgpr38_vgpr39_vgpr40_vgpr41_vgpr42_vgpr43_vgpr44_vgpr45_vgpr46_vgpr47_vgpr48_vgpr49_vgpr50_vgpr51_vgpr52_vgpr53_vgpr54_vgpr55_vgpr56_vgpr57_vgpr58_vgpr59_vgpr60_vgpr61_vgpr62_vgpr63_vgpr64
	s_and_saveexec_b32 s4, s5
	s_xor_b32 s4, exec_lo, s4
	s_cbranch_execz .LBB766_358
.LBB766_247:
	s_mov_b32 s5, 0
	v_mov_b32_e32 v27, s5
	v_mov_b32_e32 v64, v32
	v_mov_b32_e32 v63, v31
	v_mov_b32_e32 v62, v30
	v_mov_b32_e32 v61, v29
	v_mov_b32_e32 v60, v28
	v_mov_b32_e32 v59, v27
	v_mov_b32_e32 v58, v26
	v_mov_b32_e32 v57, v25
	v_mov_b32_e32 v56, v24
	v_mov_b32_e32 v55, v23
	v_mov_b32_e32 v54, v22
	v_mov_b32_e32 v53, v21
	v_mov_b32_e32 v52, v20
	v_mov_b32_e32 v51, v19
	v_mov_b32_e32 v50, v18
	v_mov_b32_e32 v49, v17
	v_mov_b32_e32 v48, v16
	v_mov_b32_e32 v47, v15
	v_mov_b32_e32 v46, v14
	v_mov_b32_e32 v45, v13
	v_mov_b32_e32 v44, v12
	v_mov_b32_e32 v43, v11
	v_mov_b32_e32 v42, v10
	v_mov_b32_e32 v41, v9
	v_mov_b32_e32 v40, v8
	v_mov_b32_e32 v39, v7
	v_mov_b32_e32 v38, v6
	v_mov_b32_e32 v37, v5
	v_mov_b32_e32 v36, v4
	v_mov_b32_e32 v35, v3
	v_mov_b32_e32 v34, v2
	v_mov_b32_e32 v33, v1
                                        ; implicit-def: $vgpr1_vgpr2_vgpr3_vgpr4_vgpr5_vgpr6_vgpr7_vgpr8_vgpr9_vgpr10_vgpr11_vgpr12_vgpr13_vgpr14_vgpr15_vgpr16_vgpr17_vgpr18_vgpr19_vgpr20_vgpr21_vgpr22_vgpr23_vgpr24_vgpr25_vgpr26_vgpr27_vgpr28_vgpr29_vgpr30_vgpr31_vgpr32
	s_or_saveexec_b32 s34, s4
	s_xor_b32 s5, s41, -1
	s_xor_b32 exec_lo, exec_lo, s34
	s_cbranch_execnz .LBB766_359
.LBB766_248:
	s_or_b32 exec_lo, exec_lo, s34
                                        ; implicit-def: $vgpr1_vgpr2_vgpr3_vgpr4_vgpr5_vgpr6_vgpr7_vgpr8_vgpr9_vgpr10_vgpr11_vgpr12_vgpr13_vgpr14_vgpr15_vgpr16_vgpr17_vgpr18_vgpr19_vgpr20_vgpr21_vgpr22_vgpr23_vgpr24_vgpr25_vgpr26_vgpr27_vgpr28_vgpr29_vgpr30_vgpr31_vgpr32
	s_and_saveexec_b32 s4, s5
	s_xor_b32 s4, exec_lo, s4
	s_cbranch_execz .LBB766_362
.LBB766_249:
	s_mov_b32 s5, 0
	v_mov_b32_e32 v60, s5
	v_mov_b32_e32 v1, v33
	;; [unrolled: 1-line block ×33, first 2 shown]
                                        ; implicit-def: $vgpr33_vgpr34_vgpr35_vgpr36_vgpr37_vgpr38_vgpr39_vgpr40_vgpr41_vgpr42_vgpr43_vgpr44_vgpr45_vgpr46_vgpr47_vgpr48_vgpr49_vgpr50_vgpr51_vgpr52_vgpr53_vgpr54_vgpr55_vgpr56_vgpr57_vgpr58_vgpr59_vgpr60_vgpr61_vgpr62_vgpr63_vgpr64
	s_or_saveexec_b32 s34, s4
	s_xor_b32 s5, s40, -1
	s_xor_b32 exec_lo, exec_lo, s34
	s_cbranch_execnz .LBB766_363
.LBB766_250:
	s_or_b32 exec_lo, exec_lo, s34
                                        ; implicit-def: $vgpr33_vgpr34_vgpr35_vgpr36_vgpr37_vgpr38_vgpr39_vgpr40_vgpr41_vgpr42_vgpr43_vgpr44_vgpr45_vgpr46_vgpr47_vgpr48_vgpr49_vgpr50_vgpr51_vgpr52_vgpr53_vgpr54_vgpr55_vgpr56_vgpr57_vgpr58_vgpr59_vgpr60_vgpr61_vgpr62_vgpr63_vgpr64
	s_and_saveexec_b32 s4, s5
	s_xor_b32 s4, exec_lo, s4
	s_cbranch_execz .LBB766_366
.LBB766_251:
	s_mov_b32 s5, 0
	v_mov_b32_e32 v29, s5
	v_mov_b32_e32 v64, v32
	v_mov_b32_e32 v63, v31
	v_mov_b32_e32 v62, v30
	v_mov_b32_e32 v60, v28
	v_mov_b32_e32 v61, v29
	v_mov_b32_e32 v59, v27
	v_mov_b32_e32 v58, v26
	v_mov_b32_e32 v57, v25
	v_mov_b32_e32 v56, v24
	v_mov_b32_e32 v55, v23
	v_mov_b32_e32 v54, v22
	v_mov_b32_e32 v53, v21
	v_mov_b32_e32 v52, v20
	v_mov_b32_e32 v51, v19
	v_mov_b32_e32 v50, v18
	v_mov_b32_e32 v49, v17
	v_mov_b32_e32 v48, v16
	v_mov_b32_e32 v47, v15
	v_mov_b32_e32 v46, v14
	v_mov_b32_e32 v45, v13
	v_mov_b32_e32 v44, v12
	v_mov_b32_e32 v43, v11
	v_mov_b32_e32 v42, v10
	v_mov_b32_e32 v41, v9
	v_mov_b32_e32 v40, v8
	v_mov_b32_e32 v39, v7
	v_mov_b32_e32 v38, v6
	v_mov_b32_e32 v37, v5
	v_mov_b32_e32 v36, v4
	v_mov_b32_e32 v35, v3
	v_mov_b32_e32 v34, v2
	v_mov_b32_e32 v33, v1
                                        ; implicit-def: $vgpr1_vgpr2_vgpr3_vgpr4_vgpr5_vgpr6_vgpr7_vgpr8_vgpr9_vgpr10_vgpr11_vgpr12_vgpr13_vgpr14_vgpr15_vgpr16_vgpr17_vgpr18_vgpr19_vgpr20_vgpr21_vgpr22_vgpr23_vgpr24_vgpr25_vgpr26_vgpr27_vgpr28_vgpr29_vgpr30_vgpr31_vgpr32
	s_or_saveexec_b32 s34, s4
	s_xor_b32 s5, s39, -1
	s_xor_b32 exec_lo, exec_lo, s34
	s_cbranch_execnz .LBB766_367
.LBB766_252:
	s_or_b32 exec_lo, exec_lo, s34
                                        ; implicit-def: $vgpr1_vgpr2_vgpr3_vgpr4_vgpr5_vgpr6_vgpr7_vgpr8_vgpr9_vgpr10_vgpr11_vgpr12_vgpr13_vgpr14_vgpr15_vgpr16_vgpr17_vgpr18_vgpr19_vgpr20_vgpr21_vgpr22_vgpr23_vgpr24_vgpr25_vgpr26_vgpr27_vgpr28_vgpr29_vgpr30_vgpr31_vgpr32
	s_and_saveexec_b32 s4, s5
	s_xor_b32 s4, exec_lo, s4
	s_cbranch_execz .LBB766_370
.LBB766_253:
	s_mov_b32 s5, 0
	v_mov_b32_e32 v62, s5
	v_mov_b32_e32 v1, v33
	;; [unrolled: 1-line block ×33, first 2 shown]
                                        ; implicit-def: $vgpr33_vgpr34_vgpr35_vgpr36_vgpr37_vgpr38_vgpr39_vgpr40_vgpr41_vgpr42_vgpr43_vgpr44_vgpr45_vgpr46_vgpr47_vgpr48_vgpr49_vgpr50_vgpr51_vgpr52_vgpr53_vgpr54_vgpr55_vgpr56_vgpr57_vgpr58_vgpr59_vgpr60_vgpr61_vgpr62_vgpr63_vgpr64
	s_or_saveexec_b32 s34, s4
	s_xor_b32 s5, s38, -1
	s_xor_b32 exec_lo, exec_lo, s34
	s_cbranch_execnz .LBB766_371
.LBB766_254:
	s_or_b32 exec_lo, exec_lo, s34
                                        ; implicit-def: $vgpr33_vgpr34_vgpr35_vgpr36_vgpr37_vgpr38_vgpr39_vgpr40_vgpr41_vgpr42_vgpr43_vgpr44_vgpr45_vgpr46_vgpr47_vgpr48_vgpr49_vgpr50_vgpr51_vgpr52_vgpr53_vgpr54_vgpr55_vgpr56_vgpr57_vgpr58_vgpr59_vgpr60_vgpr61_vgpr62_vgpr63_vgpr64
	s_and_saveexec_b32 s4, s5
	s_xor_b32 s4, exec_lo, s4
	s_cbranch_execz .LBB766_374
.LBB766_255:
	s_mov_b32 s5, 0
	v_mov_b32_e32 v31, s5
	v_mov_b32_e32 v64, v32
	;; [unrolled: 1-line block ×33, first 2 shown]
                                        ; implicit-def: $vgpr1_vgpr2_vgpr3_vgpr4_vgpr5_vgpr6_vgpr7_vgpr8_vgpr9_vgpr10_vgpr11_vgpr12_vgpr13_vgpr14_vgpr15_vgpr16_vgpr17_vgpr18_vgpr19_vgpr20_vgpr21_vgpr22_vgpr23_vgpr24_vgpr25_vgpr26_vgpr27_vgpr28_vgpr29_vgpr30_vgpr31_vgpr32
	s_or_saveexec_b32 s34, s4
	s_xor_b32 s5, s35, -1
	s_xor_b32 exec_lo, exec_lo, s34
	s_cbranch_execnz .LBB766_375
.LBB766_256:
	s_or_b32 exec_lo, exec_lo, s34
                                        ; implicit-def: $vgpr1_vgpr2_vgpr3_vgpr4_vgpr5_vgpr6_vgpr7_vgpr8_vgpr9_vgpr10_vgpr11_vgpr12_vgpr13_vgpr14_vgpr15_vgpr16_vgpr17_vgpr18_vgpr19_vgpr20_vgpr21_vgpr22_vgpr23_vgpr24_vgpr25_vgpr26_vgpr27_vgpr28_vgpr29_vgpr30_vgpr31_vgpr32
	s_and_saveexec_b32 s4, s5
	s_xor_b32 s4, exec_lo, s4
	s_cbranch_execz .LBB766_378
.LBB766_257:
	s_mov_b32 s5, 0
                                        ; implicit-def: $vgpr98_vgpr99
                                        ; implicit-def: $vgpr107
	v_mov_b32_e32 v64, s5
	v_mov_b32_e32 v1, v33
	;; [unrolled: 1-line block ×33, first 2 shown]
                                        ; implicit-def: $vgpr33_vgpr34_vgpr35_vgpr36_vgpr37_vgpr38_vgpr39_vgpr40_vgpr41_vgpr42_vgpr43_vgpr44_vgpr45_vgpr46_vgpr47_vgpr48_vgpr49_vgpr50_vgpr51_vgpr52_vgpr53_vgpr54_vgpr55_vgpr56_vgpr57_vgpr58_vgpr59_vgpr60_vgpr61_vgpr62_vgpr63_vgpr64
	s_andn2_saveexec_b32 s5, s4
	s_cbranch_execz .LBB766_382
	s_branch .LBB766_379
.LBB766_258:
	s_or_saveexec_b32 s34, s4
	s_xor_b32 s5, s67, -1
	s_xor_b32 exec_lo, exec_lo, s34
	s_cbranch_execz .LBB766_198
.LBB766_259:
	global_load_ubyte v32, v[98:99], off offset:64
	s_mov_b32 s42, 0
	s_waitcnt vmcnt(0)
	v_and_b32_e32 v32, 1, v32
	v_cmp_eq_u32_e64 s4, 1, v32
	v_mov_b32_e32 v63, v31
	v_mov_b32_e32 v33, v1
	;; [unrolled: 1-line block ×33, first 2 shown]
	s_xor_b32 s4, s4, -1
	s_and_saveexec_b32 s42, s4
	s_xor_b32 s42, exec_lo, s42
	s_cbranch_execz .LBB766_261
; %bb.260:
	v_sub_f32_e32 v1, v64, v107
	v_mul_f32_e32 v32, 0x3fb8aa3b, v1
	v_cmp_ngt_f32_e64 s4, 0xc2ce8ed0, v1
	v_fma_f32 v33, 0x3fb8aa3b, v1, -v32
	v_rndne_f32_e32 v34, v32
	v_fmamk_f32 v33, v1, 0x32a5705f, v33
	v_sub_f32_e32 v32, v32, v34
	v_add_f32_e32 v32, v32, v33
	v_cvt_i32_f32_e32 v33, v34
	v_exp_f32_e32 v32, v32
	v_ldexp_f32 v32, v32, v33
	v_cndmask_b32_e64 v32, 0, v32, s4
	v_cmp_nlt_f32_e64 s4, 0x42b17218, v1
	v_cndmask_b32_e64 v1, 0x7f800000, v32, s4
	v_mov_b32_e32 v63, v31
	v_mov_b32_e32 v62, v30
	;; [unrolled: 1-line block ×4, first 2 shown]
	v_add_f32_e32 v64, v0, v1
	v_mov_b32_e32 v59, v27
	v_mov_b32_e32 v58, v26
	;; [unrolled: 1-line block ×29, first 2 shown]
.LBB766_261:
	s_andn2_saveexec_b32 s4, s42
	s_or_b32 exec_lo, exec_lo, s4
	s_or_b32 exec_lo, exec_lo, s34
                                        ; implicit-def: $vgpr64_vgpr65_vgpr66_vgpr67_vgpr68_vgpr69_vgpr70_vgpr71_vgpr72_vgpr73_vgpr74_vgpr75_vgpr76_vgpr77_vgpr78_vgpr79_vgpr80_vgpr81_vgpr82_vgpr83_vgpr84_vgpr85_vgpr86_vgpr87_vgpr88_vgpr89_vgpr90_vgpr91_vgpr92_vgpr93_vgpr94_vgpr95
	s_and_saveexec_b32 s4, s5
	s_xor_b32 s4, exec_lo, s4
	s_cbranch_execnz .LBB766_199
.LBB766_262:
	s_or_saveexec_b32 s34, s4
	s_xor_b32 s5, s66, -1
	s_xor_b32 exec_lo, exec_lo, s34
	s_cbranch_execz .LBB766_200
.LBB766_263:
	global_load_ubyte v1, v[98:99], off offset:128
	s_mov_b32 s42, 0
	v_mov_b32_e32 v95, v63
	v_mov_b32_e32 v66, v34
	;; [unrolled: 1-line block ×33, first 2 shown]
	s_waitcnt vmcnt(0)
	v_and_b32_e32 v1, 1, v1
	v_cmp_eq_u32_e64 s4, 1, v1
	s_xor_b32 s4, s4, -1
	s_and_saveexec_b32 s42, s4
	s_xor_b32 s42, exec_lo, s42
	s_cbranch_execz .LBB766_265
; %bb.264:
	v_sub_f32_e32 v1, v34, v107
	v_mul_f32_e32 v2, 0x3fb8aa3b, v1
	v_cmp_ngt_f32_e64 s4, 0xc2ce8ed0, v1
	v_fma_f32 v3, 0x3fb8aa3b, v1, -v2
	v_rndne_f32_e32 v4, v2
	v_fmamk_f32 v3, v1, 0x32a5705f, v3
	v_sub_f32_e32 v2, v2, v4
	v_add_f32_e32 v2, v2, v3
	v_cvt_i32_f32_e32 v3, v4
	v_exp_f32_e32 v2, v2
	v_ldexp_f32 v2, v2, v3
	v_cndmask_b32_e64 v2, 0, v2, s4
	v_cmp_nlt_f32_e64 s4, 0x42b17218, v1
	v_cndmask_b32_e64 v34, 0x7f800000, v2, s4
	v_mov_b32_e32 v95, v63
	v_mov_b32_e32 v94, v62
	;; [unrolled: 1-line block ×4, first 2 shown]
	v_add_f32_e32 v0, v0, v34
	v_mov_b32_e32 v91, v59
	v_mov_b32_e32 v90, v58
	;; [unrolled: 1-line block ×28, first 2 shown]
.LBB766_265:
	s_andn2_saveexec_b32 s4, s42
	s_or_b32 exec_lo, exec_lo, s4
	s_or_b32 exec_lo, exec_lo, s34
                                        ; implicit-def: $vgpr1_vgpr2_vgpr3_vgpr4_vgpr5_vgpr6_vgpr7_vgpr8_vgpr9_vgpr10_vgpr11_vgpr12_vgpr13_vgpr14_vgpr15_vgpr16_vgpr17_vgpr18_vgpr19_vgpr20_vgpr21_vgpr22_vgpr23_vgpr24_vgpr25_vgpr26_vgpr27_vgpr28_vgpr29_vgpr30_vgpr31_vgpr32
	s_and_saveexec_b32 s4, s5
	s_xor_b32 s4, exec_lo, s4
	s_cbranch_execnz .LBB766_201
.LBB766_266:
	s_or_saveexec_b32 s34, s4
	s_xor_b32 s5, s65, -1
	s_xor_b32 exec_lo, exec_lo, s34
	s_cbranch_execz .LBB766_202
.LBB766_267:
	global_load_ubyte v1, v[98:99], off offset:192
	s_mov_b32 s42, 0
	s_waitcnt vmcnt(0)
	v_and_b32_e32 v1, 1, v1
	v_cmp_eq_u32_e64 s4, 1, v1
	v_mov_b32_e32 v1, v64
	v_mov_b32_e32 v4, v67
	;; [unrolled: 1-line block ×33, first 2 shown]
	s_xor_b32 s4, s4, -1
	s_and_saveexec_b32 s42, s4
	s_xor_b32 s42, exec_lo, s42
	s_cbranch_execz .LBB766_269
; %bb.268:
	v_sub_f32_e32 v1, v67, v107
	v_mul_f32_e32 v2, 0x3fb8aa3b, v1
	v_cmp_ngt_f32_e64 s4, 0xc2ce8ed0, v1
	v_fma_f32 v3, 0x3fb8aa3b, v1, -v2
	v_rndne_f32_e32 v4, v2
	v_fmamk_f32 v3, v1, 0x32a5705f, v3
	v_sub_f32_e32 v2, v2, v4
	v_add_f32_e32 v2, v2, v3
	v_cvt_i32_f32_e32 v3, v4
	v_exp_f32_e32 v2, v2
	v_ldexp_f32 v2, v2, v3
	v_cndmask_b32_e64 v2, 0, v2, s4
	v_cmp_nlt_f32_e64 s4, 0x42b17218, v1
	v_cndmask_b32_e64 v67, 0x7f800000, v2, s4
	v_mov_b32_e32 v1, v64
	v_mov_b32_e32 v2, v65
	;; [unrolled: 1-line block ×4, first 2 shown]
	v_add_f32_e32 v0, v0, v67
	v_mov_b32_e32 v4, v67
	v_mov_b32_e32 v6, v69
	;; [unrolled: 1-line block ×28, first 2 shown]
.LBB766_269:
	s_andn2_saveexec_b32 s4, s42
	s_or_b32 exec_lo, exec_lo, s4
	s_or_b32 exec_lo, exec_lo, s34
                                        ; implicit-def: $vgpr33_vgpr34_vgpr35_vgpr36_vgpr37_vgpr38_vgpr39_vgpr40_vgpr41_vgpr42_vgpr43_vgpr44_vgpr45_vgpr46_vgpr47_vgpr48_vgpr49_vgpr50_vgpr51_vgpr52_vgpr53_vgpr54_vgpr55_vgpr56_vgpr57_vgpr58_vgpr59_vgpr60_vgpr61_vgpr62_vgpr63_vgpr64
	s_and_saveexec_b32 s4, s5
	s_xor_b32 s4, exec_lo, s4
	s_cbranch_execnz .LBB766_203
.LBB766_270:
	s_or_saveexec_b32 s34, s4
	s_xor_b32 s5, s64, -1
	s_xor_b32 exec_lo, exec_lo, s34
	s_cbranch_execz .LBB766_204
.LBB766_271:
	global_load_ubyte v33, v[98:99], off offset:256
	s_mov_b32 s42, 0
	s_waitcnt vmcnt(0)
	v_and_b32_e32 v33, 1, v33
	v_cmp_eq_u32_e64 s4, 1, v33
	v_mov_b32_e32 v64, v32
	v_mov_b32_e32 v37, v5
	;; [unrolled: 1-line block ×33, first 2 shown]
	s_xor_b32 s4, s4, -1
	s_and_saveexec_b32 s42, s4
	s_xor_b32 s42, exec_lo, s42
	s_cbranch_execz .LBB766_273
; %bb.272:
	v_sub_f32_e32 v5, v5, v107
	v_mul_f32_e32 v33, 0x3fb8aa3b, v5
	v_cmp_ngt_f32_e64 s4, 0xc2ce8ed0, v5
	v_fma_f32 v34, 0x3fb8aa3b, v5, -v33
	v_rndne_f32_e32 v35, v33
	v_fmamk_f32 v34, v5, 0x32a5705f, v34
	v_sub_f32_e32 v33, v33, v35
	v_add_f32_e32 v33, v33, v34
	v_cvt_i32_f32_e32 v34, v35
	v_exp_f32_e32 v33, v33
	v_ldexp_f32 v33, v33, v34
	v_cndmask_b32_e64 v33, 0, v33, s4
	v_cmp_nlt_f32_e64 s4, 0x42b17218, v5
	v_cndmask_b32_e64 v5, 0x7f800000, v33, s4
	v_mov_b32_e32 v64, v32
	v_mov_b32_e32 v63, v31
	;; [unrolled: 1-line block ×4, first 2 shown]
	v_add_f32_e32 v0, v0, v5
	v_mov_b32_e32 v60, v28
	v_mov_b32_e32 v59, v27
	;; [unrolled: 1-line block ×28, first 2 shown]
.LBB766_273:
	s_andn2_saveexec_b32 s4, s42
	s_or_b32 exec_lo, exec_lo, s4
	s_or_b32 exec_lo, exec_lo, s34
                                        ; implicit-def: $vgpr1_vgpr2_vgpr3_vgpr4_vgpr5_vgpr6_vgpr7_vgpr8_vgpr9_vgpr10_vgpr11_vgpr12_vgpr13_vgpr14_vgpr15_vgpr16_vgpr17_vgpr18_vgpr19_vgpr20_vgpr21_vgpr22_vgpr23_vgpr24_vgpr25_vgpr26_vgpr27_vgpr28_vgpr29_vgpr30_vgpr31_vgpr32
	s_and_saveexec_b32 s4, s5
	s_xor_b32 s4, exec_lo, s4
	s_cbranch_execnz .LBB766_205
.LBB766_274:
	s_or_saveexec_b32 s34, s4
	s_xor_b32 s5, s63, -1
	s_xor_b32 exec_lo, exec_lo, s34
	s_cbranch_execz .LBB766_206
.LBB766_275:
	global_load_ubyte v1, v[98:99], off offset:320
	s_mov_b32 s42, 0
	s_waitcnt vmcnt(0)
	v_and_b32_e32 v1, 1, v1
	v_cmp_eq_u32_e64 s4, 1, v1
	v_mov_b32_e32 v1, v33
	v_mov_b32_e32 v6, v38
	;; [unrolled: 1-line block ×33, first 2 shown]
	s_xor_b32 s4, s4, -1
	s_and_saveexec_b32 s42, s4
	s_xor_b32 s42, exec_lo, s42
	s_cbranch_execz .LBB766_277
; %bb.276:
	v_sub_f32_e32 v1, v38, v107
	v_mul_f32_e32 v2, 0x3fb8aa3b, v1
	v_cmp_ngt_f32_e64 s4, 0xc2ce8ed0, v1
	v_fma_f32 v3, 0x3fb8aa3b, v1, -v2
	v_rndne_f32_e32 v4, v2
	v_fmamk_f32 v3, v1, 0x32a5705f, v3
	v_sub_f32_e32 v2, v2, v4
	v_add_f32_e32 v2, v2, v3
	v_cvt_i32_f32_e32 v3, v4
	v_exp_f32_e32 v2, v2
	v_ldexp_f32 v2, v2, v3
	v_cndmask_b32_e64 v2, 0, v2, s4
	v_cmp_nlt_f32_e64 s4, 0x42b17218, v1
	v_cndmask_b32_e64 v38, 0x7f800000, v2, s4
	v_mov_b32_e32 v1, v33
	v_mov_b32_e32 v2, v34
	;; [unrolled: 1-line block ×4, first 2 shown]
	v_add_f32_e32 v0, v0, v38
	v_mov_b32_e32 v5, v37
	v_mov_b32_e32 v6, v38
	;; [unrolled: 1-line block ×28, first 2 shown]
.LBB766_277:
	s_andn2_saveexec_b32 s4, s42
	s_or_b32 exec_lo, exec_lo, s4
	s_or_b32 exec_lo, exec_lo, s34
                                        ; implicit-def: $vgpr33_vgpr34_vgpr35_vgpr36_vgpr37_vgpr38_vgpr39_vgpr40_vgpr41_vgpr42_vgpr43_vgpr44_vgpr45_vgpr46_vgpr47_vgpr48_vgpr49_vgpr50_vgpr51_vgpr52_vgpr53_vgpr54_vgpr55_vgpr56_vgpr57_vgpr58_vgpr59_vgpr60_vgpr61_vgpr62_vgpr63_vgpr64
	s_and_saveexec_b32 s4, s5
	s_xor_b32 s4, exec_lo, s4
	s_cbranch_execnz .LBB766_207
.LBB766_278:
	s_or_saveexec_b32 s34, s4
	s_xor_b32 s5, s62, -1
	s_xor_b32 exec_lo, exec_lo, s34
	s_cbranch_execz .LBB766_208
.LBB766_279:
	global_load_ubyte v33, v[98:99], off offset:384
	s_mov_b32 s42, 0
	s_waitcnt vmcnt(0)
	v_and_b32_e32 v33, 1, v33
	v_cmp_eq_u32_e64 s4, 1, v33
	v_mov_b32_e32 v64, v32
	v_mov_b32_e32 v39, v7
	v_mov_b32_e32 v63, v31
	v_mov_b32_e32 v62, v30
	v_mov_b32_e32 v61, v29
	v_mov_b32_e32 v60, v28
	v_mov_b32_e32 v59, v27
	v_mov_b32_e32 v58, v26
	v_mov_b32_e32 v57, v25
	v_mov_b32_e32 v56, v24
	v_mov_b32_e32 v55, v23
	v_mov_b32_e32 v54, v22
	v_mov_b32_e32 v53, v21
	v_mov_b32_e32 v52, v20
	v_mov_b32_e32 v51, v19
	v_mov_b32_e32 v50, v18
	v_mov_b32_e32 v49, v17
	v_mov_b32_e32 v48, v16
	v_mov_b32_e32 v47, v15
	v_mov_b32_e32 v46, v14
	v_mov_b32_e32 v45, v13
	v_mov_b32_e32 v44, v12
	v_mov_b32_e32 v43, v11
	v_mov_b32_e32 v42, v10
	v_mov_b32_e32 v41, v9
	v_mov_b32_e32 v40, v8
	v_mov_b32_e32 v38, v6
	v_mov_b32_e32 v37, v5
	v_mov_b32_e32 v36, v4
	v_mov_b32_e32 v35, v3
	v_mov_b32_e32 v34, v2
	v_mov_b32_e32 v33, v1
	v_mov_b32_e32 v39, s42
	s_xor_b32 s4, s4, -1
	s_and_saveexec_b32 s42, s4
	s_xor_b32 s42, exec_lo, s42
	s_cbranch_execz .LBB766_281
; %bb.280:
	v_sub_f32_e32 v7, v7, v107
	v_mul_f32_e32 v33, 0x3fb8aa3b, v7
	v_cmp_ngt_f32_e64 s4, 0xc2ce8ed0, v7
	v_fma_f32 v34, 0x3fb8aa3b, v7, -v33
	v_rndne_f32_e32 v35, v33
	v_fmamk_f32 v34, v7, 0x32a5705f, v34
	v_sub_f32_e32 v33, v33, v35
	v_add_f32_e32 v33, v33, v34
	v_cvt_i32_f32_e32 v34, v35
	v_exp_f32_e32 v33, v33
	v_ldexp_f32 v33, v33, v34
	v_cndmask_b32_e64 v33, 0, v33, s4
	v_cmp_nlt_f32_e64 s4, 0x42b17218, v7
	v_cndmask_b32_e64 v7, 0x7f800000, v33, s4
	v_mov_b32_e32 v64, v32
	v_mov_b32_e32 v63, v31
	;; [unrolled: 1-line block ×4, first 2 shown]
	v_add_f32_e32 v0, v0, v7
	v_mov_b32_e32 v60, v28
	v_mov_b32_e32 v59, v27
	;; [unrolled: 1-line block ×28, first 2 shown]
.LBB766_281:
	s_andn2_saveexec_b32 s4, s42
	s_or_b32 exec_lo, exec_lo, s4
	s_or_b32 exec_lo, exec_lo, s34
                                        ; implicit-def: $vgpr1_vgpr2_vgpr3_vgpr4_vgpr5_vgpr6_vgpr7_vgpr8_vgpr9_vgpr10_vgpr11_vgpr12_vgpr13_vgpr14_vgpr15_vgpr16_vgpr17_vgpr18_vgpr19_vgpr20_vgpr21_vgpr22_vgpr23_vgpr24_vgpr25_vgpr26_vgpr27_vgpr28_vgpr29_vgpr30_vgpr31_vgpr32
	s_and_saveexec_b32 s4, s5
	s_xor_b32 s4, exec_lo, s4
	s_cbranch_execnz .LBB766_209
.LBB766_282:
	s_or_saveexec_b32 s34, s4
	s_xor_b32 s5, s61, -1
	s_xor_b32 exec_lo, exec_lo, s34
	s_cbranch_execz .LBB766_210
.LBB766_283:
	global_load_ubyte v1, v[98:99], off offset:448
	s_mov_b32 s42, 0
	s_waitcnt vmcnt(0)
	v_and_b32_e32 v1, 1, v1
	v_cmp_eq_u32_e64 s4, 1, v1
	v_mov_b32_e32 v1, v33
	v_mov_b32_e32 v8, v40
	;; [unrolled: 1-line block ×33, first 2 shown]
	s_xor_b32 s4, s4, -1
	s_and_saveexec_b32 s42, s4
	s_xor_b32 s42, exec_lo, s42
	s_cbranch_execz .LBB766_285
; %bb.284:
	v_sub_f32_e32 v1, v40, v107
	v_mul_f32_e32 v2, 0x3fb8aa3b, v1
	v_cmp_ngt_f32_e64 s4, 0xc2ce8ed0, v1
	v_fma_f32 v3, 0x3fb8aa3b, v1, -v2
	v_rndne_f32_e32 v4, v2
	v_fmamk_f32 v3, v1, 0x32a5705f, v3
	v_sub_f32_e32 v2, v2, v4
	v_add_f32_e32 v2, v2, v3
	v_cvt_i32_f32_e32 v3, v4
	v_exp_f32_e32 v2, v2
	v_ldexp_f32 v2, v2, v3
	v_cndmask_b32_e64 v2, 0, v2, s4
	v_cmp_nlt_f32_e64 s4, 0x42b17218, v1
	v_cndmask_b32_e64 v40, 0x7f800000, v2, s4
	v_mov_b32_e32 v1, v33
	v_mov_b32_e32 v2, v34
	;; [unrolled: 1-line block ×4, first 2 shown]
	v_add_f32_e32 v0, v0, v40
	v_mov_b32_e32 v5, v37
	v_mov_b32_e32 v6, v38
	;; [unrolled: 1-line block ×28, first 2 shown]
.LBB766_285:
	s_andn2_saveexec_b32 s4, s42
	s_or_b32 exec_lo, exec_lo, s4
	s_or_b32 exec_lo, exec_lo, s34
                                        ; implicit-def: $vgpr33_vgpr34_vgpr35_vgpr36_vgpr37_vgpr38_vgpr39_vgpr40_vgpr41_vgpr42_vgpr43_vgpr44_vgpr45_vgpr46_vgpr47_vgpr48_vgpr49_vgpr50_vgpr51_vgpr52_vgpr53_vgpr54_vgpr55_vgpr56_vgpr57_vgpr58_vgpr59_vgpr60_vgpr61_vgpr62_vgpr63_vgpr64
	s_and_saveexec_b32 s4, s5
	s_xor_b32 s4, exec_lo, s4
	s_cbranch_execnz .LBB766_211
.LBB766_286:
	s_or_saveexec_b32 s34, s4
	s_xor_b32 s5, s60, -1
	s_xor_b32 exec_lo, exec_lo, s34
	s_cbranch_execz .LBB766_212
.LBB766_287:
	global_load_ubyte v33, v[98:99], off offset:512
	s_mov_b32 s42, 0
	s_waitcnt vmcnt(0)
	v_and_b32_e32 v33, 1, v33
	v_cmp_eq_u32_e64 s4, 1, v33
	v_mov_b32_e32 v64, v32
	v_mov_b32_e32 v41, v9
	;; [unrolled: 1-line block ×33, first 2 shown]
	s_xor_b32 s4, s4, -1
	s_and_saveexec_b32 s42, s4
	s_xor_b32 s42, exec_lo, s42
	s_cbranch_execz .LBB766_289
; %bb.288:
	v_sub_f32_e32 v9, v9, v107
	v_mul_f32_e32 v33, 0x3fb8aa3b, v9
	v_cmp_ngt_f32_e64 s4, 0xc2ce8ed0, v9
	v_fma_f32 v34, 0x3fb8aa3b, v9, -v33
	v_rndne_f32_e32 v35, v33
	v_fmamk_f32 v34, v9, 0x32a5705f, v34
	v_sub_f32_e32 v33, v33, v35
	v_add_f32_e32 v33, v33, v34
	v_cvt_i32_f32_e32 v34, v35
	v_exp_f32_e32 v33, v33
	v_ldexp_f32 v33, v33, v34
	v_cndmask_b32_e64 v33, 0, v33, s4
	v_cmp_nlt_f32_e64 s4, 0x42b17218, v9
	v_cndmask_b32_e64 v9, 0x7f800000, v33, s4
	v_mov_b32_e32 v64, v32
	v_mov_b32_e32 v63, v31
	;; [unrolled: 1-line block ×4, first 2 shown]
	v_add_f32_e32 v0, v0, v9
	v_mov_b32_e32 v60, v28
	v_mov_b32_e32 v59, v27
	;; [unrolled: 1-line block ×28, first 2 shown]
.LBB766_289:
	s_andn2_saveexec_b32 s4, s42
	s_or_b32 exec_lo, exec_lo, s4
	s_or_b32 exec_lo, exec_lo, s34
                                        ; implicit-def: $vgpr1_vgpr2_vgpr3_vgpr4_vgpr5_vgpr6_vgpr7_vgpr8_vgpr9_vgpr10_vgpr11_vgpr12_vgpr13_vgpr14_vgpr15_vgpr16_vgpr17_vgpr18_vgpr19_vgpr20_vgpr21_vgpr22_vgpr23_vgpr24_vgpr25_vgpr26_vgpr27_vgpr28_vgpr29_vgpr30_vgpr31_vgpr32
	s_and_saveexec_b32 s4, s5
	s_xor_b32 s4, exec_lo, s4
	s_cbranch_execnz .LBB766_213
.LBB766_290:
	s_or_saveexec_b32 s34, s4
	s_xor_b32 s5, s59, -1
	s_xor_b32 exec_lo, exec_lo, s34
	s_cbranch_execz .LBB766_214
.LBB766_291:
	global_load_ubyte v1, v[98:99], off offset:576
	s_mov_b32 s42, 0
	s_waitcnt vmcnt(0)
	v_and_b32_e32 v1, 1, v1
	v_cmp_eq_u32_e64 s4, 1, v1
	v_mov_b32_e32 v1, v33
	v_mov_b32_e32 v10, v42
	;; [unrolled: 1-line block ×33, first 2 shown]
	s_xor_b32 s4, s4, -1
	s_and_saveexec_b32 s42, s4
	s_xor_b32 s42, exec_lo, s42
	s_cbranch_execz .LBB766_293
; %bb.292:
	v_sub_f32_e32 v1, v42, v107
	v_mul_f32_e32 v2, 0x3fb8aa3b, v1
	v_cmp_ngt_f32_e64 s4, 0xc2ce8ed0, v1
	v_fma_f32 v3, 0x3fb8aa3b, v1, -v2
	v_rndne_f32_e32 v4, v2
	v_fmamk_f32 v3, v1, 0x32a5705f, v3
	v_sub_f32_e32 v2, v2, v4
	v_add_f32_e32 v2, v2, v3
	v_cvt_i32_f32_e32 v3, v4
	v_exp_f32_e32 v2, v2
	v_ldexp_f32 v2, v2, v3
	v_cndmask_b32_e64 v2, 0, v2, s4
	v_cmp_nlt_f32_e64 s4, 0x42b17218, v1
	v_cndmask_b32_e64 v42, 0x7f800000, v2, s4
	v_mov_b32_e32 v1, v33
	v_mov_b32_e32 v2, v34
	;; [unrolled: 1-line block ×4, first 2 shown]
	v_add_f32_e32 v0, v0, v42
	v_mov_b32_e32 v5, v37
	v_mov_b32_e32 v6, v38
	v_mov_b32_e32 v7, v39
	v_mov_b32_e32 v8, v40
	v_mov_b32_e32 v9, v41
	v_mov_b32_e32 v10, v42
	v_mov_b32_e32 v11, v43
	v_mov_b32_e32 v12, v44
	v_mov_b32_e32 v13, v45
	v_mov_b32_e32 v14, v46
	v_mov_b32_e32 v15, v47
	v_mov_b32_e32 v16, v48
	v_mov_b32_e32 v17, v49
	v_mov_b32_e32 v18, v50
	v_mov_b32_e32 v19, v51
	v_mov_b32_e32 v20, v52
	v_mov_b32_e32 v21, v53
	v_mov_b32_e32 v22, v54
	v_mov_b32_e32 v23, v55
	v_mov_b32_e32 v24, v56
	v_mov_b32_e32 v25, v57
	v_mov_b32_e32 v26, v58
	v_mov_b32_e32 v27, v59
	v_mov_b32_e32 v28, v60
	v_mov_b32_e32 v29, v61
	v_mov_b32_e32 v30, v62
	v_mov_b32_e32 v31, v63
	v_mov_b32_e32 v32, v64
.LBB766_293:
	s_andn2_saveexec_b32 s4, s42
	s_or_b32 exec_lo, exec_lo, s4
	s_or_b32 exec_lo, exec_lo, s34
                                        ; implicit-def: $vgpr33_vgpr34_vgpr35_vgpr36_vgpr37_vgpr38_vgpr39_vgpr40_vgpr41_vgpr42_vgpr43_vgpr44_vgpr45_vgpr46_vgpr47_vgpr48_vgpr49_vgpr50_vgpr51_vgpr52_vgpr53_vgpr54_vgpr55_vgpr56_vgpr57_vgpr58_vgpr59_vgpr60_vgpr61_vgpr62_vgpr63_vgpr64
	s_and_saveexec_b32 s4, s5
	s_xor_b32 s4, exec_lo, s4
	s_cbranch_execnz .LBB766_215
.LBB766_294:
	s_or_saveexec_b32 s34, s4
	s_xor_b32 s5, s58, -1
	s_xor_b32 exec_lo, exec_lo, s34
	s_cbranch_execz .LBB766_216
.LBB766_295:
	global_load_ubyte v33, v[98:99], off offset:640
	s_mov_b32 s42, 0
	s_waitcnt vmcnt(0)
	v_and_b32_e32 v33, 1, v33
	v_cmp_eq_u32_e64 s4, 1, v33
	v_mov_b32_e32 v64, v32
	v_mov_b32_e32 v43, v11
	;; [unrolled: 1-line block ×33, first 2 shown]
	s_xor_b32 s4, s4, -1
	s_and_saveexec_b32 s42, s4
	s_xor_b32 s42, exec_lo, s42
	s_cbranch_execz .LBB766_297
; %bb.296:
	v_sub_f32_e32 v11, v11, v107
	v_mul_f32_e32 v33, 0x3fb8aa3b, v11
	v_cmp_ngt_f32_e64 s4, 0xc2ce8ed0, v11
	v_fma_f32 v34, 0x3fb8aa3b, v11, -v33
	v_rndne_f32_e32 v35, v33
	v_fmamk_f32 v34, v11, 0x32a5705f, v34
	v_sub_f32_e32 v33, v33, v35
	v_add_f32_e32 v33, v33, v34
	v_cvt_i32_f32_e32 v34, v35
	v_exp_f32_e32 v33, v33
	v_ldexp_f32 v33, v33, v34
	v_cndmask_b32_e64 v33, 0, v33, s4
	v_cmp_nlt_f32_e64 s4, 0x42b17218, v11
	v_cndmask_b32_e64 v11, 0x7f800000, v33, s4
	v_mov_b32_e32 v64, v32
	v_mov_b32_e32 v63, v31
	;; [unrolled: 1-line block ×4, first 2 shown]
	v_add_f32_e32 v0, v0, v11
	v_mov_b32_e32 v60, v28
	v_mov_b32_e32 v59, v27
	;; [unrolled: 1-line block ×28, first 2 shown]
.LBB766_297:
	s_andn2_saveexec_b32 s4, s42
	s_or_b32 exec_lo, exec_lo, s4
	s_or_b32 exec_lo, exec_lo, s34
                                        ; implicit-def: $vgpr1_vgpr2_vgpr3_vgpr4_vgpr5_vgpr6_vgpr7_vgpr8_vgpr9_vgpr10_vgpr11_vgpr12_vgpr13_vgpr14_vgpr15_vgpr16_vgpr17_vgpr18_vgpr19_vgpr20_vgpr21_vgpr22_vgpr23_vgpr24_vgpr25_vgpr26_vgpr27_vgpr28_vgpr29_vgpr30_vgpr31_vgpr32
	s_and_saveexec_b32 s4, s5
	s_xor_b32 s4, exec_lo, s4
	s_cbranch_execnz .LBB766_217
.LBB766_298:
	s_or_saveexec_b32 s34, s4
	s_xor_b32 s5, s57, -1
	s_xor_b32 exec_lo, exec_lo, s34
	s_cbranch_execz .LBB766_218
.LBB766_299:
	global_load_ubyte v1, v[98:99], off offset:704
	s_mov_b32 s42, 0
	s_waitcnt vmcnt(0)
	v_and_b32_e32 v1, 1, v1
	v_cmp_eq_u32_e64 s4, 1, v1
	v_mov_b32_e32 v1, v33
	v_mov_b32_e32 v12, v44
	v_mov_b32_e32 v2, v34
	v_mov_b32_e32 v3, v35
	v_mov_b32_e32 v4, v36
	v_mov_b32_e32 v5, v37
	v_mov_b32_e32 v6, v38
	v_mov_b32_e32 v7, v39
	v_mov_b32_e32 v8, v40
	v_mov_b32_e32 v9, v41
	v_mov_b32_e32 v10, v42
	v_mov_b32_e32 v11, v43
	v_mov_b32_e32 v13, v45
	v_mov_b32_e32 v14, v46
	v_mov_b32_e32 v15, v47
	v_mov_b32_e32 v16, v48
	v_mov_b32_e32 v17, v49
	v_mov_b32_e32 v18, v50
	v_mov_b32_e32 v19, v51
	v_mov_b32_e32 v20, v52
	v_mov_b32_e32 v21, v53
	v_mov_b32_e32 v22, v54
	v_mov_b32_e32 v23, v55
	v_mov_b32_e32 v24, v56
	v_mov_b32_e32 v25, v57
	v_mov_b32_e32 v26, v58
	v_mov_b32_e32 v27, v59
	v_mov_b32_e32 v28, v60
	v_mov_b32_e32 v29, v61
	v_mov_b32_e32 v30, v62
	v_mov_b32_e32 v31, v63
	v_mov_b32_e32 v32, v64
	v_mov_b32_e32 v12, s42
	s_xor_b32 s4, s4, -1
	s_and_saveexec_b32 s42, s4
	s_xor_b32 s42, exec_lo, s42
	s_cbranch_execz .LBB766_301
; %bb.300:
	v_sub_f32_e32 v1, v44, v107
	v_mul_f32_e32 v2, 0x3fb8aa3b, v1
	v_cmp_ngt_f32_e64 s4, 0xc2ce8ed0, v1
	v_fma_f32 v3, 0x3fb8aa3b, v1, -v2
	v_rndne_f32_e32 v4, v2
	v_fmamk_f32 v3, v1, 0x32a5705f, v3
	v_sub_f32_e32 v2, v2, v4
	v_add_f32_e32 v2, v2, v3
	v_cvt_i32_f32_e32 v3, v4
	v_exp_f32_e32 v2, v2
	v_ldexp_f32 v2, v2, v3
	v_cndmask_b32_e64 v2, 0, v2, s4
	v_cmp_nlt_f32_e64 s4, 0x42b17218, v1
	v_cndmask_b32_e64 v44, 0x7f800000, v2, s4
	v_mov_b32_e32 v1, v33
	v_mov_b32_e32 v2, v34
	;; [unrolled: 1-line block ×4, first 2 shown]
	v_add_f32_e32 v0, v0, v44
	v_mov_b32_e32 v5, v37
	v_mov_b32_e32 v6, v38
	v_mov_b32_e32 v7, v39
	v_mov_b32_e32 v8, v40
	v_mov_b32_e32 v9, v41
	v_mov_b32_e32 v10, v42
	v_mov_b32_e32 v11, v43
	v_mov_b32_e32 v12, v44
	v_mov_b32_e32 v13, v45
	v_mov_b32_e32 v14, v46
	v_mov_b32_e32 v15, v47
	v_mov_b32_e32 v16, v48
	v_mov_b32_e32 v17, v49
	v_mov_b32_e32 v18, v50
	v_mov_b32_e32 v19, v51
	v_mov_b32_e32 v20, v52
	v_mov_b32_e32 v21, v53
	v_mov_b32_e32 v22, v54
	v_mov_b32_e32 v23, v55
	v_mov_b32_e32 v24, v56
	v_mov_b32_e32 v25, v57
	v_mov_b32_e32 v26, v58
	v_mov_b32_e32 v27, v59
	v_mov_b32_e32 v28, v60
	v_mov_b32_e32 v29, v61
	v_mov_b32_e32 v30, v62
	v_mov_b32_e32 v31, v63
	v_mov_b32_e32 v32, v64
.LBB766_301:
	s_andn2_saveexec_b32 s4, s42
	s_or_b32 exec_lo, exec_lo, s4
	s_or_b32 exec_lo, exec_lo, s34
                                        ; implicit-def: $vgpr33_vgpr34_vgpr35_vgpr36_vgpr37_vgpr38_vgpr39_vgpr40_vgpr41_vgpr42_vgpr43_vgpr44_vgpr45_vgpr46_vgpr47_vgpr48_vgpr49_vgpr50_vgpr51_vgpr52_vgpr53_vgpr54_vgpr55_vgpr56_vgpr57_vgpr58_vgpr59_vgpr60_vgpr61_vgpr62_vgpr63_vgpr64
	s_and_saveexec_b32 s4, s5
	s_xor_b32 s4, exec_lo, s4
	s_cbranch_execnz .LBB766_219
.LBB766_302:
	s_or_saveexec_b32 s34, s4
	s_xor_b32 s5, s56, -1
	s_xor_b32 exec_lo, exec_lo, s34
	s_cbranch_execz .LBB766_220
.LBB766_303:
	global_load_ubyte v33, v[98:99], off offset:768
	s_mov_b32 s42, 0
	s_waitcnt vmcnt(0)
	v_and_b32_e32 v33, 1, v33
	v_cmp_eq_u32_e64 s4, 1, v33
	v_mov_b32_e32 v64, v32
	v_mov_b32_e32 v45, v13
	;; [unrolled: 1-line block ×33, first 2 shown]
	s_xor_b32 s4, s4, -1
	s_and_saveexec_b32 s42, s4
	s_xor_b32 s42, exec_lo, s42
	s_cbranch_execz .LBB766_305
; %bb.304:
	v_sub_f32_e32 v13, v13, v107
	v_mul_f32_e32 v33, 0x3fb8aa3b, v13
	v_cmp_ngt_f32_e64 s4, 0xc2ce8ed0, v13
	v_fma_f32 v34, 0x3fb8aa3b, v13, -v33
	v_rndne_f32_e32 v35, v33
	v_fmamk_f32 v34, v13, 0x32a5705f, v34
	v_sub_f32_e32 v33, v33, v35
	v_add_f32_e32 v33, v33, v34
	v_cvt_i32_f32_e32 v34, v35
	v_exp_f32_e32 v33, v33
	v_ldexp_f32 v33, v33, v34
	v_cndmask_b32_e64 v33, 0, v33, s4
	v_cmp_nlt_f32_e64 s4, 0x42b17218, v13
	v_cndmask_b32_e64 v13, 0x7f800000, v33, s4
	v_mov_b32_e32 v64, v32
	v_mov_b32_e32 v63, v31
	;; [unrolled: 1-line block ×4, first 2 shown]
	v_add_f32_e32 v0, v0, v13
	v_mov_b32_e32 v60, v28
	v_mov_b32_e32 v59, v27
	;; [unrolled: 1-line block ×28, first 2 shown]
.LBB766_305:
	s_andn2_saveexec_b32 s4, s42
	s_or_b32 exec_lo, exec_lo, s4
	s_or_b32 exec_lo, exec_lo, s34
                                        ; implicit-def: $vgpr1_vgpr2_vgpr3_vgpr4_vgpr5_vgpr6_vgpr7_vgpr8_vgpr9_vgpr10_vgpr11_vgpr12_vgpr13_vgpr14_vgpr15_vgpr16_vgpr17_vgpr18_vgpr19_vgpr20_vgpr21_vgpr22_vgpr23_vgpr24_vgpr25_vgpr26_vgpr27_vgpr28_vgpr29_vgpr30_vgpr31_vgpr32
	s_and_saveexec_b32 s4, s5
	s_xor_b32 s4, exec_lo, s4
	s_cbranch_execnz .LBB766_221
.LBB766_306:
	s_or_saveexec_b32 s34, s4
	s_xor_b32 s5, s55, -1
	s_xor_b32 exec_lo, exec_lo, s34
	s_cbranch_execz .LBB766_222
.LBB766_307:
	global_load_ubyte v1, v[98:99], off offset:832
	s_mov_b32 s42, 0
	s_waitcnt vmcnt(0)
	v_and_b32_e32 v1, 1, v1
	v_cmp_eq_u32_e64 s4, 1, v1
	v_mov_b32_e32 v1, v33
	v_mov_b32_e32 v14, v46
	;; [unrolled: 1-line block ×33, first 2 shown]
	s_xor_b32 s4, s4, -1
	s_and_saveexec_b32 s42, s4
	s_xor_b32 s42, exec_lo, s42
	s_cbranch_execz .LBB766_309
; %bb.308:
	v_sub_f32_e32 v1, v46, v107
	v_mul_f32_e32 v2, 0x3fb8aa3b, v1
	v_cmp_ngt_f32_e64 s4, 0xc2ce8ed0, v1
	v_fma_f32 v3, 0x3fb8aa3b, v1, -v2
	v_rndne_f32_e32 v4, v2
	v_fmamk_f32 v3, v1, 0x32a5705f, v3
	v_sub_f32_e32 v2, v2, v4
	v_add_f32_e32 v2, v2, v3
	v_cvt_i32_f32_e32 v3, v4
	v_exp_f32_e32 v2, v2
	v_ldexp_f32 v2, v2, v3
	v_cndmask_b32_e64 v2, 0, v2, s4
	v_cmp_nlt_f32_e64 s4, 0x42b17218, v1
	v_cndmask_b32_e64 v46, 0x7f800000, v2, s4
	v_mov_b32_e32 v1, v33
	v_mov_b32_e32 v2, v34
	;; [unrolled: 1-line block ×4, first 2 shown]
	v_add_f32_e32 v0, v0, v46
	v_mov_b32_e32 v5, v37
	v_mov_b32_e32 v6, v38
	;; [unrolled: 1-line block ×28, first 2 shown]
.LBB766_309:
	s_andn2_saveexec_b32 s4, s42
	s_or_b32 exec_lo, exec_lo, s4
	s_or_b32 exec_lo, exec_lo, s34
                                        ; implicit-def: $vgpr33_vgpr34_vgpr35_vgpr36_vgpr37_vgpr38_vgpr39_vgpr40_vgpr41_vgpr42_vgpr43_vgpr44_vgpr45_vgpr46_vgpr47_vgpr48_vgpr49_vgpr50_vgpr51_vgpr52_vgpr53_vgpr54_vgpr55_vgpr56_vgpr57_vgpr58_vgpr59_vgpr60_vgpr61_vgpr62_vgpr63_vgpr64
	s_and_saveexec_b32 s4, s5
	s_xor_b32 s4, exec_lo, s4
	s_cbranch_execnz .LBB766_223
.LBB766_310:
	s_or_saveexec_b32 s34, s4
	s_xor_b32 s5, s54, -1
	s_xor_b32 exec_lo, exec_lo, s34
	s_cbranch_execz .LBB766_224
.LBB766_311:
	global_load_ubyte v33, v[98:99], off offset:896
	s_mov_b32 s42, 0
	s_waitcnt vmcnt(0)
	v_and_b32_e32 v33, 1, v33
	v_cmp_eq_u32_e64 s4, 1, v33
	v_mov_b32_e32 v64, v32
	v_mov_b32_e32 v47, v15
	;; [unrolled: 1-line block ×33, first 2 shown]
	s_xor_b32 s4, s4, -1
	s_and_saveexec_b32 s42, s4
	s_xor_b32 s42, exec_lo, s42
	s_cbranch_execz .LBB766_313
; %bb.312:
	v_sub_f32_e32 v15, v15, v107
	v_mul_f32_e32 v33, 0x3fb8aa3b, v15
	v_cmp_ngt_f32_e64 s4, 0xc2ce8ed0, v15
	v_fma_f32 v34, 0x3fb8aa3b, v15, -v33
	v_rndne_f32_e32 v35, v33
	v_fmamk_f32 v34, v15, 0x32a5705f, v34
	v_sub_f32_e32 v33, v33, v35
	v_add_f32_e32 v33, v33, v34
	v_cvt_i32_f32_e32 v34, v35
	v_exp_f32_e32 v33, v33
	v_ldexp_f32 v33, v33, v34
	v_cndmask_b32_e64 v33, 0, v33, s4
	v_cmp_nlt_f32_e64 s4, 0x42b17218, v15
	v_cndmask_b32_e64 v15, 0x7f800000, v33, s4
	v_mov_b32_e32 v64, v32
	v_mov_b32_e32 v63, v31
	;; [unrolled: 1-line block ×4, first 2 shown]
	v_add_f32_e32 v0, v0, v15
	v_mov_b32_e32 v60, v28
	v_mov_b32_e32 v59, v27
	;; [unrolled: 1-line block ×28, first 2 shown]
.LBB766_313:
	s_andn2_saveexec_b32 s4, s42
	s_or_b32 exec_lo, exec_lo, s4
	s_or_b32 exec_lo, exec_lo, s34
                                        ; implicit-def: $vgpr1_vgpr2_vgpr3_vgpr4_vgpr5_vgpr6_vgpr7_vgpr8_vgpr9_vgpr10_vgpr11_vgpr12_vgpr13_vgpr14_vgpr15_vgpr16_vgpr17_vgpr18_vgpr19_vgpr20_vgpr21_vgpr22_vgpr23_vgpr24_vgpr25_vgpr26_vgpr27_vgpr28_vgpr29_vgpr30_vgpr31_vgpr32
	s_and_saveexec_b32 s4, s5
	s_xor_b32 s4, exec_lo, s4
	s_cbranch_execnz .LBB766_225
.LBB766_314:
	s_or_saveexec_b32 s34, s4
	s_xor_b32 s5, s53, -1
	s_xor_b32 exec_lo, exec_lo, s34
	s_cbranch_execz .LBB766_226
.LBB766_315:
	global_load_ubyte v1, v[98:99], off offset:960
	s_mov_b32 s42, 0
	s_waitcnt vmcnt(0)
	v_and_b32_e32 v1, 1, v1
	v_cmp_eq_u32_e64 s4, 1, v1
	v_mov_b32_e32 v1, v33
	v_mov_b32_e32 v16, v48
	;; [unrolled: 1-line block ×33, first 2 shown]
	s_xor_b32 s4, s4, -1
	s_and_saveexec_b32 s42, s4
	s_xor_b32 s42, exec_lo, s42
	s_cbranch_execz .LBB766_317
; %bb.316:
	v_sub_f32_e32 v1, v48, v107
	v_mul_f32_e32 v2, 0x3fb8aa3b, v1
	v_cmp_ngt_f32_e64 s4, 0xc2ce8ed0, v1
	v_fma_f32 v3, 0x3fb8aa3b, v1, -v2
	v_rndne_f32_e32 v4, v2
	v_fmamk_f32 v3, v1, 0x32a5705f, v3
	v_sub_f32_e32 v2, v2, v4
	v_add_f32_e32 v2, v2, v3
	v_cvt_i32_f32_e32 v3, v4
	v_exp_f32_e32 v2, v2
	v_ldexp_f32 v2, v2, v3
	v_cndmask_b32_e64 v2, 0, v2, s4
	v_cmp_nlt_f32_e64 s4, 0x42b17218, v1
	v_cndmask_b32_e64 v48, 0x7f800000, v2, s4
	v_mov_b32_e32 v1, v33
	v_mov_b32_e32 v2, v34
	;; [unrolled: 1-line block ×4, first 2 shown]
	v_add_f32_e32 v0, v0, v48
	v_mov_b32_e32 v5, v37
	v_mov_b32_e32 v6, v38
	;; [unrolled: 1-line block ×28, first 2 shown]
.LBB766_317:
	s_andn2_saveexec_b32 s4, s42
	s_or_b32 exec_lo, exec_lo, s4
	s_or_b32 exec_lo, exec_lo, s34
                                        ; implicit-def: $vgpr33_vgpr34_vgpr35_vgpr36_vgpr37_vgpr38_vgpr39_vgpr40_vgpr41_vgpr42_vgpr43_vgpr44_vgpr45_vgpr46_vgpr47_vgpr48_vgpr49_vgpr50_vgpr51_vgpr52_vgpr53_vgpr54_vgpr55_vgpr56_vgpr57_vgpr58_vgpr59_vgpr60_vgpr61_vgpr62_vgpr63_vgpr64
	s_and_saveexec_b32 s4, s5
	s_xor_b32 s4, exec_lo, s4
	s_cbranch_execnz .LBB766_227
.LBB766_318:
	s_or_saveexec_b32 s34, s4
	s_xor_b32 s5, s52, -1
	s_xor_b32 exec_lo, exec_lo, s34
	s_cbranch_execz .LBB766_228
.LBB766_319:
	global_load_ubyte v33, v[98:99], off offset:1024
	s_mov_b32 s42, 0
	s_waitcnt vmcnt(0)
	v_and_b32_e32 v33, 1, v33
	v_cmp_eq_u32_e64 s4, 1, v33
	v_mov_b32_e32 v64, v32
	v_mov_b32_e32 v49, v17
	;; [unrolled: 1-line block ×33, first 2 shown]
	s_xor_b32 s4, s4, -1
	s_and_saveexec_b32 s42, s4
	s_xor_b32 s42, exec_lo, s42
	s_cbranch_execz .LBB766_321
; %bb.320:
	v_sub_f32_e32 v17, v17, v107
	v_mul_f32_e32 v33, 0x3fb8aa3b, v17
	v_cmp_ngt_f32_e64 s4, 0xc2ce8ed0, v17
	v_fma_f32 v34, 0x3fb8aa3b, v17, -v33
	v_rndne_f32_e32 v35, v33
	v_fmamk_f32 v34, v17, 0x32a5705f, v34
	v_sub_f32_e32 v33, v33, v35
	v_add_f32_e32 v33, v33, v34
	v_cvt_i32_f32_e32 v34, v35
	v_exp_f32_e32 v33, v33
	v_ldexp_f32 v33, v33, v34
	v_cndmask_b32_e64 v33, 0, v33, s4
	v_cmp_nlt_f32_e64 s4, 0x42b17218, v17
	v_cndmask_b32_e64 v17, 0x7f800000, v33, s4
	v_mov_b32_e32 v64, v32
	v_mov_b32_e32 v63, v31
	;; [unrolled: 1-line block ×4, first 2 shown]
	v_add_f32_e32 v0, v0, v17
	v_mov_b32_e32 v60, v28
	v_mov_b32_e32 v59, v27
	;; [unrolled: 1-line block ×28, first 2 shown]
.LBB766_321:
	s_andn2_saveexec_b32 s4, s42
	s_or_b32 exec_lo, exec_lo, s4
	s_or_b32 exec_lo, exec_lo, s34
                                        ; implicit-def: $vgpr1_vgpr2_vgpr3_vgpr4_vgpr5_vgpr6_vgpr7_vgpr8_vgpr9_vgpr10_vgpr11_vgpr12_vgpr13_vgpr14_vgpr15_vgpr16_vgpr17_vgpr18_vgpr19_vgpr20_vgpr21_vgpr22_vgpr23_vgpr24_vgpr25_vgpr26_vgpr27_vgpr28_vgpr29_vgpr30_vgpr31_vgpr32
	s_and_saveexec_b32 s4, s5
	s_xor_b32 s4, exec_lo, s4
	s_cbranch_execnz .LBB766_229
.LBB766_322:
	s_or_saveexec_b32 s34, s4
	s_xor_b32 s5, s51, -1
	s_xor_b32 exec_lo, exec_lo, s34
	s_cbranch_execz .LBB766_230
.LBB766_323:
	global_load_ubyte v1, v[98:99], off offset:1088
	s_mov_b32 s42, 0
	s_waitcnt vmcnt(0)
	v_and_b32_e32 v1, 1, v1
	v_cmp_eq_u32_e64 s4, 1, v1
	v_mov_b32_e32 v1, v33
	v_mov_b32_e32 v18, v50
	v_mov_b32_e32 v2, v34
	v_mov_b32_e32 v3, v35
	v_mov_b32_e32 v4, v36
	v_mov_b32_e32 v5, v37
	v_mov_b32_e32 v6, v38
	v_mov_b32_e32 v7, v39
	v_mov_b32_e32 v8, v40
	v_mov_b32_e32 v9, v41
	v_mov_b32_e32 v10, v42
	v_mov_b32_e32 v11, v43
	v_mov_b32_e32 v12, v44
	v_mov_b32_e32 v13, v45
	v_mov_b32_e32 v14, v46
	v_mov_b32_e32 v15, v47
	v_mov_b32_e32 v16, v48
	v_mov_b32_e32 v17, v49
	v_mov_b32_e32 v19, v51
	v_mov_b32_e32 v20, v52
	v_mov_b32_e32 v21, v53
	v_mov_b32_e32 v22, v54
	v_mov_b32_e32 v23, v55
	v_mov_b32_e32 v24, v56
	v_mov_b32_e32 v25, v57
	v_mov_b32_e32 v26, v58
	v_mov_b32_e32 v27, v59
	v_mov_b32_e32 v28, v60
	v_mov_b32_e32 v29, v61
	v_mov_b32_e32 v30, v62
	v_mov_b32_e32 v31, v63
	v_mov_b32_e32 v32, v64
	v_mov_b32_e32 v18, s42
	s_xor_b32 s4, s4, -1
	s_and_saveexec_b32 s42, s4
	s_xor_b32 s42, exec_lo, s42
	s_cbranch_execz .LBB766_325
; %bb.324:
	v_sub_f32_e32 v1, v50, v107
	v_mul_f32_e32 v2, 0x3fb8aa3b, v1
	v_cmp_ngt_f32_e64 s4, 0xc2ce8ed0, v1
	v_fma_f32 v3, 0x3fb8aa3b, v1, -v2
	v_rndne_f32_e32 v4, v2
	v_fmamk_f32 v3, v1, 0x32a5705f, v3
	v_sub_f32_e32 v2, v2, v4
	v_add_f32_e32 v2, v2, v3
	v_cvt_i32_f32_e32 v3, v4
	v_exp_f32_e32 v2, v2
	v_ldexp_f32 v2, v2, v3
	v_cndmask_b32_e64 v2, 0, v2, s4
	v_cmp_nlt_f32_e64 s4, 0x42b17218, v1
	v_cndmask_b32_e64 v50, 0x7f800000, v2, s4
	v_mov_b32_e32 v1, v33
	v_mov_b32_e32 v2, v34
	;; [unrolled: 1-line block ×4, first 2 shown]
	v_add_f32_e32 v0, v0, v50
	v_mov_b32_e32 v5, v37
	v_mov_b32_e32 v6, v38
	;; [unrolled: 1-line block ×28, first 2 shown]
.LBB766_325:
	s_andn2_saveexec_b32 s4, s42
	s_or_b32 exec_lo, exec_lo, s4
	s_or_b32 exec_lo, exec_lo, s34
                                        ; implicit-def: $vgpr33_vgpr34_vgpr35_vgpr36_vgpr37_vgpr38_vgpr39_vgpr40_vgpr41_vgpr42_vgpr43_vgpr44_vgpr45_vgpr46_vgpr47_vgpr48_vgpr49_vgpr50_vgpr51_vgpr52_vgpr53_vgpr54_vgpr55_vgpr56_vgpr57_vgpr58_vgpr59_vgpr60_vgpr61_vgpr62_vgpr63_vgpr64
	s_and_saveexec_b32 s4, s5
	s_xor_b32 s4, exec_lo, s4
	s_cbranch_execnz .LBB766_231
.LBB766_326:
	s_or_saveexec_b32 s34, s4
	s_xor_b32 s5, s50, -1
	s_xor_b32 exec_lo, exec_lo, s34
	s_cbranch_execz .LBB766_232
.LBB766_327:
	global_load_ubyte v33, v[98:99], off offset:1152
	s_mov_b32 s42, 0
	s_waitcnt vmcnt(0)
	v_and_b32_e32 v33, 1, v33
	v_cmp_eq_u32_e64 s4, 1, v33
	v_mov_b32_e32 v64, v32
	v_mov_b32_e32 v51, v19
	;; [unrolled: 1-line block ×33, first 2 shown]
	s_xor_b32 s4, s4, -1
	s_and_saveexec_b32 s42, s4
	s_xor_b32 s42, exec_lo, s42
	s_cbranch_execz .LBB766_329
; %bb.328:
	v_sub_f32_e32 v19, v19, v107
	v_mul_f32_e32 v33, 0x3fb8aa3b, v19
	v_cmp_ngt_f32_e64 s4, 0xc2ce8ed0, v19
	v_fma_f32 v34, 0x3fb8aa3b, v19, -v33
	v_rndne_f32_e32 v35, v33
	v_fmamk_f32 v34, v19, 0x32a5705f, v34
	v_sub_f32_e32 v33, v33, v35
	v_add_f32_e32 v33, v33, v34
	v_cvt_i32_f32_e32 v34, v35
	v_exp_f32_e32 v33, v33
	v_ldexp_f32 v33, v33, v34
	v_cndmask_b32_e64 v33, 0, v33, s4
	v_cmp_nlt_f32_e64 s4, 0x42b17218, v19
	v_cndmask_b32_e64 v19, 0x7f800000, v33, s4
	v_mov_b32_e32 v64, v32
	v_mov_b32_e32 v63, v31
	;; [unrolled: 1-line block ×4, first 2 shown]
	v_add_f32_e32 v0, v0, v19
	v_mov_b32_e32 v60, v28
	v_mov_b32_e32 v59, v27
	;; [unrolled: 1-line block ×28, first 2 shown]
.LBB766_329:
	s_andn2_saveexec_b32 s4, s42
	s_or_b32 exec_lo, exec_lo, s4
	s_or_b32 exec_lo, exec_lo, s34
                                        ; implicit-def: $vgpr1_vgpr2_vgpr3_vgpr4_vgpr5_vgpr6_vgpr7_vgpr8_vgpr9_vgpr10_vgpr11_vgpr12_vgpr13_vgpr14_vgpr15_vgpr16_vgpr17_vgpr18_vgpr19_vgpr20_vgpr21_vgpr22_vgpr23_vgpr24_vgpr25_vgpr26_vgpr27_vgpr28_vgpr29_vgpr30_vgpr31_vgpr32
	s_and_saveexec_b32 s4, s5
	s_xor_b32 s4, exec_lo, s4
	s_cbranch_execnz .LBB766_233
.LBB766_330:
	s_or_saveexec_b32 s34, s4
	s_xor_b32 s5, s49, -1
	s_xor_b32 exec_lo, exec_lo, s34
	s_cbranch_execz .LBB766_234
.LBB766_331:
	global_load_ubyte v1, v[98:99], off offset:1216
	s_mov_b32 s42, 0
	s_waitcnt vmcnt(0)
	v_and_b32_e32 v1, 1, v1
	v_cmp_eq_u32_e64 s4, 1, v1
	v_mov_b32_e32 v1, v33
	v_mov_b32_e32 v20, v52
	v_mov_b32_e32 v2, v34
	v_mov_b32_e32 v3, v35
	v_mov_b32_e32 v4, v36
	v_mov_b32_e32 v5, v37
	v_mov_b32_e32 v6, v38
	v_mov_b32_e32 v7, v39
	v_mov_b32_e32 v8, v40
	v_mov_b32_e32 v9, v41
	v_mov_b32_e32 v10, v42
	v_mov_b32_e32 v11, v43
	v_mov_b32_e32 v12, v44
	v_mov_b32_e32 v13, v45
	v_mov_b32_e32 v14, v46
	v_mov_b32_e32 v15, v47
	v_mov_b32_e32 v16, v48
	v_mov_b32_e32 v17, v49
	v_mov_b32_e32 v18, v50
	v_mov_b32_e32 v19, v51
	v_mov_b32_e32 v21, v53
	v_mov_b32_e32 v22, v54
	v_mov_b32_e32 v23, v55
	v_mov_b32_e32 v24, v56
	v_mov_b32_e32 v25, v57
	v_mov_b32_e32 v26, v58
	v_mov_b32_e32 v27, v59
	v_mov_b32_e32 v28, v60
	v_mov_b32_e32 v29, v61
	v_mov_b32_e32 v30, v62
	v_mov_b32_e32 v31, v63
	v_mov_b32_e32 v32, v64
	v_mov_b32_e32 v20, s42
	s_xor_b32 s4, s4, -1
	s_and_saveexec_b32 s42, s4
	s_xor_b32 s42, exec_lo, s42
	s_cbranch_execz .LBB766_333
; %bb.332:
	v_sub_f32_e32 v1, v52, v107
	v_mul_f32_e32 v2, 0x3fb8aa3b, v1
	v_cmp_ngt_f32_e64 s4, 0xc2ce8ed0, v1
	v_fma_f32 v3, 0x3fb8aa3b, v1, -v2
	v_rndne_f32_e32 v4, v2
	v_fmamk_f32 v3, v1, 0x32a5705f, v3
	v_sub_f32_e32 v2, v2, v4
	v_add_f32_e32 v2, v2, v3
	v_cvt_i32_f32_e32 v3, v4
	v_exp_f32_e32 v2, v2
	v_ldexp_f32 v2, v2, v3
	v_cndmask_b32_e64 v2, 0, v2, s4
	v_cmp_nlt_f32_e64 s4, 0x42b17218, v1
	v_cndmask_b32_e64 v52, 0x7f800000, v2, s4
	v_mov_b32_e32 v1, v33
	v_mov_b32_e32 v2, v34
	;; [unrolled: 1-line block ×4, first 2 shown]
	v_add_f32_e32 v0, v0, v52
	v_mov_b32_e32 v5, v37
	v_mov_b32_e32 v6, v38
	;; [unrolled: 1-line block ×28, first 2 shown]
.LBB766_333:
	s_andn2_saveexec_b32 s4, s42
	s_or_b32 exec_lo, exec_lo, s4
	s_or_b32 exec_lo, exec_lo, s34
                                        ; implicit-def: $vgpr33_vgpr34_vgpr35_vgpr36_vgpr37_vgpr38_vgpr39_vgpr40_vgpr41_vgpr42_vgpr43_vgpr44_vgpr45_vgpr46_vgpr47_vgpr48_vgpr49_vgpr50_vgpr51_vgpr52_vgpr53_vgpr54_vgpr55_vgpr56_vgpr57_vgpr58_vgpr59_vgpr60_vgpr61_vgpr62_vgpr63_vgpr64
	s_and_saveexec_b32 s4, s5
	s_xor_b32 s4, exec_lo, s4
	s_cbranch_execnz .LBB766_235
.LBB766_334:
	s_or_saveexec_b32 s34, s4
	s_xor_b32 s5, s48, -1
	s_xor_b32 exec_lo, exec_lo, s34
	s_cbranch_execz .LBB766_236
.LBB766_335:
	global_load_ubyte v33, v[98:99], off offset:1280
	s_mov_b32 s42, 0
	s_waitcnt vmcnt(0)
	v_and_b32_e32 v33, 1, v33
	v_cmp_eq_u32_e64 s4, 1, v33
	v_mov_b32_e32 v64, v32
	v_mov_b32_e32 v53, v21
	;; [unrolled: 1-line block ×33, first 2 shown]
	s_xor_b32 s4, s4, -1
	s_and_saveexec_b32 s42, s4
	s_xor_b32 s42, exec_lo, s42
	s_cbranch_execz .LBB766_337
; %bb.336:
	v_sub_f32_e32 v21, v21, v107
	v_mul_f32_e32 v33, 0x3fb8aa3b, v21
	v_cmp_ngt_f32_e64 s4, 0xc2ce8ed0, v21
	v_fma_f32 v34, 0x3fb8aa3b, v21, -v33
	v_rndne_f32_e32 v35, v33
	v_fmamk_f32 v34, v21, 0x32a5705f, v34
	v_sub_f32_e32 v33, v33, v35
	v_add_f32_e32 v33, v33, v34
	v_cvt_i32_f32_e32 v34, v35
	v_exp_f32_e32 v33, v33
	v_ldexp_f32 v33, v33, v34
	v_cndmask_b32_e64 v33, 0, v33, s4
	v_cmp_nlt_f32_e64 s4, 0x42b17218, v21
	v_cndmask_b32_e64 v21, 0x7f800000, v33, s4
	v_mov_b32_e32 v64, v32
	v_mov_b32_e32 v63, v31
	;; [unrolled: 1-line block ×4, first 2 shown]
	v_add_f32_e32 v0, v0, v21
	v_mov_b32_e32 v60, v28
	v_mov_b32_e32 v59, v27
	;; [unrolled: 1-line block ×28, first 2 shown]
.LBB766_337:
	s_andn2_saveexec_b32 s4, s42
	s_or_b32 exec_lo, exec_lo, s4
	s_or_b32 exec_lo, exec_lo, s34
                                        ; implicit-def: $vgpr1_vgpr2_vgpr3_vgpr4_vgpr5_vgpr6_vgpr7_vgpr8_vgpr9_vgpr10_vgpr11_vgpr12_vgpr13_vgpr14_vgpr15_vgpr16_vgpr17_vgpr18_vgpr19_vgpr20_vgpr21_vgpr22_vgpr23_vgpr24_vgpr25_vgpr26_vgpr27_vgpr28_vgpr29_vgpr30_vgpr31_vgpr32
	s_and_saveexec_b32 s4, s5
	s_xor_b32 s4, exec_lo, s4
	s_cbranch_execnz .LBB766_237
.LBB766_338:
	s_or_saveexec_b32 s34, s4
	s_xor_b32 s5, s47, -1
	s_xor_b32 exec_lo, exec_lo, s34
	s_cbranch_execz .LBB766_238
.LBB766_339:
	global_load_ubyte v1, v[98:99], off offset:1344
	s_mov_b32 s42, 0
	s_waitcnt vmcnt(0)
	v_and_b32_e32 v1, 1, v1
	v_cmp_eq_u32_e64 s4, 1, v1
	v_mov_b32_e32 v1, v33
	v_mov_b32_e32 v22, v54
	;; [unrolled: 1-line block ×33, first 2 shown]
	s_xor_b32 s4, s4, -1
	s_and_saveexec_b32 s42, s4
	s_xor_b32 s42, exec_lo, s42
	s_cbranch_execz .LBB766_341
; %bb.340:
	v_sub_f32_e32 v1, v54, v107
	v_mul_f32_e32 v2, 0x3fb8aa3b, v1
	v_cmp_ngt_f32_e64 s4, 0xc2ce8ed0, v1
	v_fma_f32 v3, 0x3fb8aa3b, v1, -v2
	v_rndne_f32_e32 v4, v2
	v_fmamk_f32 v3, v1, 0x32a5705f, v3
	v_sub_f32_e32 v2, v2, v4
	v_add_f32_e32 v2, v2, v3
	v_cvt_i32_f32_e32 v3, v4
	v_exp_f32_e32 v2, v2
	v_ldexp_f32 v2, v2, v3
	v_cndmask_b32_e64 v2, 0, v2, s4
	v_cmp_nlt_f32_e64 s4, 0x42b17218, v1
	v_cndmask_b32_e64 v54, 0x7f800000, v2, s4
	v_mov_b32_e32 v1, v33
	v_mov_b32_e32 v2, v34
	;; [unrolled: 1-line block ×4, first 2 shown]
	v_add_f32_e32 v0, v0, v54
	v_mov_b32_e32 v5, v37
	v_mov_b32_e32 v6, v38
	;; [unrolled: 1-line block ×28, first 2 shown]
.LBB766_341:
	s_andn2_saveexec_b32 s4, s42
	s_or_b32 exec_lo, exec_lo, s4
	s_or_b32 exec_lo, exec_lo, s34
                                        ; implicit-def: $vgpr33_vgpr34_vgpr35_vgpr36_vgpr37_vgpr38_vgpr39_vgpr40_vgpr41_vgpr42_vgpr43_vgpr44_vgpr45_vgpr46_vgpr47_vgpr48_vgpr49_vgpr50_vgpr51_vgpr52_vgpr53_vgpr54_vgpr55_vgpr56_vgpr57_vgpr58_vgpr59_vgpr60_vgpr61_vgpr62_vgpr63_vgpr64
	s_and_saveexec_b32 s4, s5
	s_xor_b32 s4, exec_lo, s4
	s_cbranch_execnz .LBB766_239
.LBB766_342:
	s_or_saveexec_b32 s34, s4
	s_xor_b32 s5, s46, -1
	s_xor_b32 exec_lo, exec_lo, s34
	s_cbranch_execz .LBB766_240
.LBB766_343:
	global_load_ubyte v33, v[98:99], off offset:1408
	s_mov_b32 s42, 0
	s_waitcnt vmcnt(0)
	v_and_b32_e32 v33, 1, v33
	v_cmp_eq_u32_e64 s4, 1, v33
	v_mov_b32_e32 v64, v32
	v_mov_b32_e32 v55, v23
	;; [unrolled: 1-line block ×33, first 2 shown]
	s_xor_b32 s4, s4, -1
	s_and_saveexec_b32 s42, s4
	s_xor_b32 s42, exec_lo, s42
	s_cbranch_execz .LBB766_345
; %bb.344:
	v_sub_f32_e32 v23, v23, v107
	v_mul_f32_e32 v33, 0x3fb8aa3b, v23
	v_cmp_ngt_f32_e64 s4, 0xc2ce8ed0, v23
	v_fma_f32 v34, 0x3fb8aa3b, v23, -v33
	v_rndne_f32_e32 v35, v33
	v_fmamk_f32 v34, v23, 0x32a5705f, v34
	v_sub_f32_e32 v33, v33, v35
	v_add_f32_e32 v33, v33, v34
	v_cvt_i32_f32_e32 v34, v35
	v_exp_f32_e32 v33, v33
	v_ldexp_f32 v33, v33, v34
	v_cndmask_b32_e64 v33, 0, v33, s4
	v_cmp_nlt_f32_e64 s4, 0x42b17218, v23
	v_cndmask_b32_e64 v23, 0x7f800000, v33, s4
	v_mov_b32_e32 v64, v32
	v_mov_b32_e32 v63, v31
	;; [unrolled: 1-line block ×4, first 2 shown]
	v_add_f32_e32 v0, v0, v23
	v_mov_b32_e32 v60, v28
	v_mov_b32_e32 v59, v27
	;; [unrolled: 1-line block ×28, first 2 shown]
.LBB766_345:
	s_andn2_saveexec_b32 s4, s42
	s_or_b32 exec_lo, exec_lo, s4
	s_or_b32 exec_lo, exec_lo, s34
                                        ; implicit-def: $vgpr1_vgpr2_vgpr3_vgpr4_vgpr5_vgpr6_vgpr7_vgpr8_vgpr9_vgpr10_vgpr11_vgpr12_vgpr13_vgpr14_vgpr15_vgpr16_vgpr17_vgpr18_vgpr19_vgpr20_vgpr21_vgpr22_vgpr23_vgpr24_vgpr25_vgpr26_vgpr27_vgpr28_vgpr29_vgpr30_vgpr31_vgpr32
	s_and_saveexec_b32 s4, s5
	s_xor_b32 s4, exec_lo, s4
	s_cbranch_execnz .LBB766_241
.LBB766_346:
	s_or_saveexec_b32 s34, s4
	s_xor_b32 s5, s45, -1
	s_xor_b32 exec_lo, exec_lo, s34
	s_cbranch_execz .LBB766_242
.LBB766_347:
	global_load_ubyte v1, v[98:99], off offset:1472
	s_mov_b32 s42, 0
	s_waitcnt vmcnt(0)
	v_and_b32_e32 v1, 1, v1
	v_cmp_eq_u32_e64 s4, 1, v1
	v_mov_b32_e32 v1, v33
	v_mov_b32_e32 v24, v56
	;; [unrolled: 1-line block ×33, first 2 shown]
	s_xor_b32 s4, s4, -1
	s_and_saveexec_b32 s42, s4
	s_xor_b32 s42, exec_lo, s42
	s_cbranch_execz .LBB766_349
; %bb.348:
	v_sub_f32_e32 v1, v56, v107
	v_mul_f32_e32 v2, 0x3fb8aa3b, v1
	v_cmp_ngt_f32_e64 s4, 0xc2ce8ed0, v1
	v_fma_f32 v3, 0x3fb8aa3b, v1, -v2
	v_rndne_f32_e32 v4, v2
	v_fmamk_f32 v3, v1, 0x32a5705f, v3
	v_sub_f32_e32 v2, v2, v4
	v_add_f32_e32 v2, v2, v3
	v_cvt_i32_f32_e32 v3, v4
	v_exp_f32_e32 v2, v2
	v_ldexp_f32 v2, v2, v3
	v_cndmask_b32_e64 v2, 0, v2, s4
	v_cmp_nlt_f32_e64 s4, 0x42b17218, v1
	v_cndmask_b32_e64 v56, 0x7f800000, v2, s4
	v_mov_b32_e32 v1, v33
	v_mov_b32_e32 v2, v34
	;; [unrolled: 1-line block ×4, first 2 shown]
	v_add_f32_e32 v0, v0, v56
	v_mov_b32_e32 v5, v37
	v_mov_b32_e32 v6, v38
	;; [unrolled: 1-line block ×28, first 2 shown]
.LBB766_349:
	s_andn2_saveexec_b32 s4, s42
	s_or_b32 exec_lo, exec_lo, s4
	s_or_b32 exec_lo, exec_lo, s34
                                        ; implicit-def: $vgpr33_vgpr34_vgpr35_vgpr36_vgpr37_vgpr38_vgpr39_vgpr40_vgpr41_vgpr42_vgpr43_vgpr44_vgpr45_vgpr46_vgpr47_vgpr48_vgpr49_vgpr50_vgpr51_vgpr52_vgpr53_vgpr54_vgpr55_vgpr56_vgpr57_vgpr58_vgpr59_vgpr60_vgpr61_vgpr62_vgpr63_vgpr64
	s_and_saveexec_b32 s4, s5
	s_xor_b32 s4, exec_lo, s4
	s_cbranch_execnz .LBB766_243
.LBB766_350:
	s_or_saveexec_b32 s34, s4
	s_xor_b32 s5, s44, -1
	s_xor_b32 exec_lo, exec_lo, s34
	s_cbranch_execz .LBB766_244
.LBB766_351:
	global_load_ubyte v33, v[98:99], off offset:1536
	s_mov_b32 s42, 0
	s_waitcnt vmcnt(0)
	v_and_b32_e32 v33, 1, v33
	v_cmp_eq_u32_e64 s4, 1, v33
	v_mov_b32_e32 v64, v32
	v_mov_b32_e32 v57, v25
	;; [unrolled: 1-line block ×33, first 2 shown]
	s_xor_b32 s4, s4, -1
	s_and_saveexec_b32 s42, s4
	s_xor_b32 s42, exec_lo, s42
	s_cbranch_execz .LBB766_353
; %bb.352:
	v_sub_f32_e32 v25, v25, v107
	v_mul_f32_e32 v33, 0x3fb8aa3b, v25
	v_cmp_ngt_f32_e64 s4, 0xc2ce8ed0, v25
	v_fma_f32 v34, 0x3fb8aa3b, v25, -v33
	v_rndne_f32_e32 v35, v33
	v_fmamk_f32 v34, v25, 0x32a5705f, v34
	v_sub_f32_e32 v33, v33, v35
	v_add_f32_e32 v33, v33, v34
	v_cvt_i32_f32_e32 v34, v35
	v_exp_f32_e32 v33, v33
	v_ldexp_f32 v33, v33, v34
	v_cndmask_b32_e64 v33, 0, v33, s4
	v_cmp_nlt_f32_e64 s4, 0x42b17218, v25
	v_cndmask_b32_e64 v25, 0x7f800000, v33, s4
	v_mov_b32_e32 v64, v32
	v_mov_b32_e32 v63, v31
	;; [unrolled: 1-line block ×4, first 2 shown]
	v_add_f32_e32 v0, v0, v25
	v_mov_b32_e32 v60, v28
	v_mov_b32_e32 v59, v27
	;; [unrolled: 1-line block ×28, first 2 shown]
.LBB766_353:
	s_andn2_saveexec_b32 s4, s42
	s_or_b32 exec_lo, exec_lo, s4
	s_or_b32 exec_lo, exec_lo, s34
                                        ; implicit-def: $vgpr1_vgpr2_vgpr3_vgpr4_vgpr5_vgpr6_vgpr7_vgpr8_vgpr9_vgpr10_vgpr11_vgpr12_vgpr13_vgpr14_vgpr15_vgpr16_vgpr17_vgpr18_vgpr19_vgpr20_vgpr21_vgpr22_vgpr23_vgpr24_vgpr25_vgpr26_vgpr27_vgpr28_vgpr29_vgpr30_vgpr31_vgpr32
	s_and_saveexec_b32 s4, s5
	s_xor_b32 s4, exec_lo, s4
	s_cbranch_execnz .LBB766_245
.LBB766_354:
	s_or_saveexec_b32 s34, s4
	s_xor_b32 s5, s43, -1
	s_xor_b32 exec_lo, exec_lo, s34
	s_cbranch_execz .LBB766_246
.LBB766_355:
	global_load_ubyte v1, v[98:99], off offset:1600
	s_mov_b32 s42, 0
	s_waitcnt vmcnt(0)
	v_and_b32_e32 v1, 1, v1
	v_cmp_eq_u32_e64 s4, 1, v1
	v_mov_b32_e32 v1, v33
	v_mov_b32_e32 v26, v58
	;; [unrolled: 1-line block ×33, first 2 shown]
	s_xor_b32 s4, s4, -1
	s_and_saveexec_b32 s42, s4
	s_xor_b32 s42, exec_lo, s42
	s_cbranch_execz .LBB766_357
; %bb.356:
	v_sub_f32_e32 v1, v58, v107
	v_mul_f32_e32 v2, 0x3fb8aa3b, v1
	v_cmp_ngt_f32_e64 s4, 0xc2ce8ed0, v1
	v_fma_f32 v3, 0x3fb8aa3b, v1, -v2
	v_rndne_f32_e32 v4, v2
	v_fmamk_f32 v3, v1, 0x32a5705f, v3
	v_sub_f32_e32 v2, v2, v4
	v_add_f32_e32 v2, v2, v3
	v_cvt_i32_f32_e32 v3, v4
	v_exp_f32_e32 v2, v2
	v_ldexp_f32 v2, v2, v3
	v_cndmask_b32_e64 v2, 0, v2, s4
	v_cmp_nlt_f32_e64 s4, 0x42b17218, v1
	v_cndmask_b32_e64 v58, 0x7f800000, v2, s4
	v_mov_b32_e32 v1, v33
	v_mov_b32_e32 v2, v34
	;; [unrolled: 1-line block ×4, first 2 shown]
	v_add_f32_e32 v0, v0, v58
	v_mov_b32_e32 v5, v37
	v_mov_b32_e32 v6, v38
	;; [unrolled: 1-line block ×28, first 2 shown]
.LBB766_357:
	s_andn2_saveexec_b32 s4, s42
	s_or_b32 exec_lo, exec_lo, s4
	s_or_b32 exec_lo, exec_lo, s34
                                        ; implicit-def: $vgpr33_vgpr34_vgpr35_vgpr36_vgpr37_vgpr38_vgpr39_vgpr40_vgpr41_vgpr42_vgpr43_vgpr44_vgpr45_vgpr46_vgpr47_vgpr48_vgpr49_vgpr50_vgpr51_vgpr52_vgpr53_vgpr54_vgpr55_vgpr56_vgpr57_vgpr58_vgpr59_vgpr60_vgpr61_vgpr62_vgpr63_vgpr64
	s_and_saveexec_b32 s4, s5
	s_xor_b32 s4, exec_lo, s4
	s_cbranch_execnz .LBB766_247
.LBB766_358:
	s_or_saveexec_b32 s34, s4
	s_xor_b32 s5, s41, -1
	s_xor_b32 exec_lo, exec_lo, s34
	s_cbranch_execz .LBB766_248
.LBB766_359:
	global_load_ubyte v33, v[98:99], off offset:1664
	s_mov_b32 s41, 0
	s_waitcnt vmcnt(0)
	v_and_b32_e32 v33, 1, v33
	v_cmp_eq_u32_e64 s4, 1, v33
	v_mov_b32_e32 v64, v32
	v_mov_b32_e32 v59, v27
	;; [unrolled: 1-line block ×33, first 2 shown]
	s_xor_b32 s4, s4, -1
	s_and_saveexec_b32 s41, s4
	s_xor_b32 s41, exec_lo, s41
	s_cbranch_execz .LBB766_361
; %bb.360:
	v_sub_f32_e32 v27, v27, v107
	v_mul_f32_e32 v33, 0x3fb8aa3b, v27
	v_cmp_ngt_f32_e64 s4, 0xc2ce8ed0, v27
	v_fma_f32 v34, 0x3fb8aa3b, v27, -v33
	v_rndne_f32_e32 v35, v33
	v_fmamk_f32 v34, v27, 0x32a5705f, v34
	v_sub_f32_e32 v33, v33, v35
	v_add_f32_e32 v33, v33, v34
	v_cvt_i32_f32_e32 v34, v35
	v_exp_f32_e32 v33, v33
	v_ldexp_f32 v33, v33, v34
	v_cndmask_b32_e64 v33, 0, v33, s4
	v_cmp_nlt_f32_e64 s4, 0x42b17218, v27
	v_cndmask_b32_e64 v27, 0x7f800000, v33, s4
	v_mov_b32_e32 v64, v32
	v_mov_b32_e32 v63, v31
	;; [unrolled: 1-line block ×4, first 2 shown]
	v_add_f32_e32 v0, v0, v27
	v_mov_b32_e32 v60, v28
	v_mov_b32_e32 v59, v27
	;; [unrolled: 1-line block ×28, first 2 shown]
.LBB766_361:
	s_andn2_saveexec_b32 s4, s41
	s_or_b32 exec_lo, exec_lo, s4
	s_or_b32 exec_lo, exec_lo, s34
                                        ; implicit-def: $vgpr1_vgpr2_vgpr3_vgpr4_vgpr5_vgpr6_vgpr7_vgpr8_vgpr9_vgpr10_vgpr11_vgpr12_vgpr13_vgpr14_vgpr15_vgpr16_vgpr17_vgpr18_vgpr19_vgpr20_vgpr21_vgpr22_vgpr23_vgpr24_vgpr25_vgpr26_vgpr27_vgpr28_vgpr29_vgpr30_vgpr31_vgpr32
	s_and_saveexec_b32 s4, s5
	s_xor_b32 s4, exec_lo, s4
	s_cbranch_execnz .LBB766_249
.LBB766_362:
	s_or_saveexec_b32 s34, s4
	s_xor_b32 s5, s40, -1
	s_xor_b32 exec_lo, exec_lo, s34
	s_cbranch_execz .LBB766_250
.LBB766_363:
	global_load_ubyte v1, v[98:99], off offset:1728
	s_mov_b32 s40, 0
	s_waitcnt vmcnt(0)
	v_and_b32_e32 v1, 1, v1
	v_cmp_eq_u32_e64 s4, 1, v1
	v_mov_b32_e32 v1, v33
	v_mov_b32_e32 v28, v60
	;; [unrolled: 1-line block ×33, first 2 shown]
	s_xor_b32 s4, s4, -1
	s_and_saveexec_b32 s40, s4
	s_xor_b32 s40, exec_lo, s40
	s_cbranch_execz .LBB766_365
; %bb.364:
	v_sub_f32_e32 v1, v60, v107
	v_mul_f32_e32 v2, 0x3fb8aa3b, v1
	v_cmp_ngt_f32_e64 s4, 0xc2ce8ed0, v1
	v_fma_f32 v3, 0x3fb8aa3b, v1, -v2
	v_rndne_f32_e32 v4, v2
	v_fmamk_f32 v3, v1, 0x32a5705f, v3
	v_sub_f32_e32 v2, v2, v4
	v_add_f32_e32 v2, v2, v3
	v_cvt_i32_f32_e32 v3, v4
	v_exp_f32_e32 v2, v2
	v_ldexp_f32 v2, v2, v3
	v_cndmask_b32_e64 v2, 0, v2, s4
	v_cmp_nlt_f32_e64 s4, 0x42b17218, v1
	v_cndmask_b32_e64 v60, 0x7f800000, v2, s4
	v_mov_b32_e32 v1, v33
	v_mov_b32_e32 v2, v34
	;; [unrolled: 1-line block ×4, first 2 shown]
	v_add_f32_e32 v0, v0, v60
	v_mov_b32_e32 v5, v37
	v_mov_b32_e32 v6, v38
	;; [unrolled: 1-line block ×28, first 2 shown]
.LBB766_365:
	s_andn2_saveexec_b32 s4, s40
	s_or_b32 exec_lo, exec_lo, s4
	s_or_b32 exec_lo, exec_lo, s34
                                        ; implicit-def: $vgpr33_vgpr34_vgpr35_vgpr36_vgpr37_vgpr38_vgpr39_vgpr40_vgpr41_vgpr42_vgpr43_vgpr44_vgpr45_vgpr46_vgpr47_vgpr48_vgpr49_vgpr50_vgpr51_vgpr52_vgpr53_vgpr54_vgpr55_vgpr56_vgpr57_vgpr58_vgpr59_vgpr60_vgpr61_vgpr62_vgpr63_vgpr64
	s_and_saveexec_b32 s4, s5
	s_xor_b32 s4, exec_lo, s4
	s_cbranch_execnz .LBB766_251
.LBB766_366:
	s_or_saveexec_b32 s34, s4
	s_xor_b32 s5, s39, -1
	s_xor_b32 exec_lo, exec_lo, s34
	s_cbranch_execz .LBB766_252
.LBB766_367:
	global_load_ubyte v33, v[98:99], off offset:1792
	s_mov_b32 s39, 0
	s_waitcnt vmcnt(0)
	v_and_b32_e32 v33, 1, v33
	v_cmp_eq_u32_e64 s4, 1, v33
	v_mov_b32_e32 v64, v32
	v_mov_b32_e32 v61, v29
	;; [unrolled: 1-line block ×33, first 2 shown]
	s_xor_b32 s4, s4, -1
	s_and_saveexec_b32 s39, s4
	s_xor_b32 s39, exec_lo, s39
	s_cbranch_execz .LBB766_369
; %bb.368:
	v_sub_f32_e32 v29, v29, v107
	v_mul_f32_e32 v33, 0x3fb8aa3b, v29
	v_cmp_ngt_f32_e64 s4, 0xc2ce8ed0, v29
	v_fma_f32 v34, 0x3fb8aa3b, v29, -v33
	v_rndne_f32_e32 v35, v33
	v_fmamk_f32 v34, v29, 0x32a5705f, v34
	v_sub_f32_e32 v33, v33, v35
	v_add_f32_e32 v33, v33, v34
	v_cvt_i32_f32_e32 v34, v35
	v_exp_f32_e32 v33, v33
	v_ldexp_f32 v33, v33, v34
	v_cndmask_b32_e64 v33, 0, v33, s4
	v_cmp_nlt_f32_e64 s4, 0x42b17218, v29
	v_cndmask_b32_e64 v29, 0x7f800000, v33, s4
	v_mov_b32_e32 v64, v32
	v_mov_b32_e32 v63, v31
	;; [unrolled: 1-line block ×4, first 2 shown]
	v_add_f32_e32 v0, v0, v29
	v_mov_b32_e32 v61, v29
	v_mov_b32_e32 v59, v27
	;; [unrolled: 1-line block ×28, first 2 shown]
.LBB766_369:
	s_andn2_saveexec_b32 s4, s39
	s_or_b32 exec_lo, exec_lo, s4
	s_or_b32 exec_lo, exec_lo, s34
                                        ; implicit-def: $vgpr1_vgpr2_vgpr3_vgpr4_vgpr5_vgpr6_vgpr7_vgpr8_vgpr9_vgpr10_vgpr11_vgpr12_vgpr13_vgpr14_vgpr15_vgpr16_vgpr17_vgpr18_vgpr19_vgpr20_vgpr21_vgpr22_vgpr23_vgpr24_vgpr25_vgpr26_vgpr27_vgpr28_vgpr29_vgpr30_vgpr31_vgpr32
	s_and_saveexec_b32 s4, s5
	s_xor_b32 s4, exec_lo, s4
	s_cbranch_execnz .LBB766_253
.LBB766_370:
	s_or_saveexec_b32 s34, s4
	s_xor_b32 s5, s38, -1
	s_xor_b32 exec_lo, exec_lo, s34
	s_cbranch_execz .LBB766_254
.LBB766_371:
	global_load_ubyte v1, v[98:99], off offset:1856
	s_mov_b32 s38, 0
	s_waitcnt vmcnt(0)
	v_and_b32_e32 v1, 1, v1
	v_cmp_eq_u32_e64 s4, 1, v1
	v_mov_b32_e32 v1, v33
	v_mov_b32_e32 v30, v62
	v_mov_b32_e32 v2, v34
	v_mov_b32_e32 v3, v35
	v_mov_b32_e32 v4, v36
	v_mov_b32_e32 v5, v37
	v_mov_b32_e32 v6, v38
	v_mov_b32_e32 v7, v39
	v_mov_b32_e32 v8, v40
	v_mov_b32_e32 v9, v41
	v_mov_b32_e32 v10, v42
	v_mov_b32_e32 v11, v43
	v_mov_b32_e32 v12, v44
	v_mov_b32_e32 v13, v45
	v_mov_b32_e32 v14, v46
	v_mov_b32_e32 v15, v47
	v_mov_b32_e32 v16, v48
	v_mov_b32_e32 v17, v49
	v_mov_b32_e32 v18, v50
	v_mov_b32_e32 v19, v51
	v_mov_b32_e32 v20, v52
	v_mov_b32_e32 v21, v53
	v_mov_b32_e32 v22, v54
	v_mov_b32_e32 v23, v55
	v_mov_b32_e32 v24, v56
	v_mov_b32_e32 v25, v57
	v_mov_b32_e32 v26, v58
	v_mov_b32_e32 v27, v59
	v_mov_b32_e32 v28, v60
	v_mov_b32_e32 v29, v61
	v_mov_b32_e32 v31, v63
	v_mov_b32_e32 v32, v64
	v_mov_b32_e32 v30, s38
	s_xor_b32 s4, s4, -1
	s_and_saveexec_b32 s38, s4
	s_xor_b32 s38, exec_lo, s38
	s_cbranch_execz .LBB766_373
; %bb.372:
	v_sub_f32_e32 v1, v62, v107
	v_mul_f32_e32 v2, 0x3fb8aa3b, v1
	v_cmp_ngt_f32_e64 s4, 0xc2ce8ed0, v1
	v_fma_f32 v3, 0x3fb8aa3b, v1, -v2
	v_rndne_f32_e32 v4, v2
	v_fmamk_f32 v3, v1, 0x32a5705f, v3
	v_sub_f32_e32 v2, v2, v4
	v_add_f32_e32 v2, v2, v3
	v_cvt_i32_f32_e32 v3, v4
	v_exp_f32_e32 v2, v2
	v_ldexp_f32 v2, v2, v3
	v_cndmask_b32_e64 v2, 0, v2, s4
	v_cmp_nlt_f32_e64 s4, 0x42b17218, v1
	v_cndmask_b32_e64 v62, 0x7f800000, v2, s4
	v_mov_b32_e32 v1, v33
	v_mov_b32_e32 v2, v34
	;; [unrolled: 1-line block ×4, first 2 shown]
	v_add_f32_e32 v0, v0, v62
	v_mov_b32_e32 v5, v37
	v_mov_b32_e32 v6, v38
	;; [unrolled: 1-line block ×28, first 2 shown]
.LBB766_373:
	s_andn2_saveexec_b32 s4, s38
	s_or_b32 exec_lo, exec_lo, s4
	s_or_b32 exec_lo, exec_lo, s34
                                        ; implicit-def: $vgpr33_vgpr34_vgpr35_vgpr36_vgpr37_vgpr38_vgpr39_vgpr40_vgpr41_vgpr42_vgpr43_vgpr44_vgpr45_vgpr46_vgpr47_vgpr48_vgpr49_vgpr50_vgpr51_vgpr52_vgpr53_vgpr54_vgpr55_vgpr56_vgpr57_vgpr58_vgpr59_vgpr60_vgpr61_vgpr62_vgpr63_vgpr64
	s_and_saveexec_b32 s4, s5
	s_xor_b32 s4, exec_lo, s4
	s_cbranch_execnz .LBB766_255
.LBB766_374:
	s_or_saveexec_b32 s34, s4
	s_xor_b32 s5, s35, -1
	s_xor_b32 exec_lo, exec_lo, s34
	s_cbranch_execz .LBB766_256
.LBB766_375:
	global_load_ubyte v33, v[98:99], off offset:1920
	s_mov_b32 s35, 0
	s_waitcnt vmcnt(0)
	v_and_b32_e32 v33, 1, v33
	v_cmp_eq_u32_e64 s4, 1, v33
	v_mov_b32_e32 v64, v32
	v_mov_b32_e32 v63, v31
	;; [unrolled: 1-line block ×33, first 2 shown]
	s_xor_b32 s4, s4, -1
	s_and_saveexec_b32 s35, s4
	s_xor_b32 s35, exec_lo, s35
	s_cbranch_execz .LBB766_377
; %bb.376:
	v_sub_f32_e32 v31, v31, v107
	v_mul_f32_e32 v33, 0x3fb8aa3b, v31
	v_cmp_ngt_f32_e64 s4, 0xc2ce8ed0, v31
	v_fma_f32 v34, 0x3fb8aa3b, v31, -v33
	v_rndne_f32_e32 v35, v33
	v_fmamk_f32 v34, v31, 0x32a5705f, v34
	v_sub_f32_e32 v33, v33, v35
	v_add_f32_e32 v33, v33, v34
	v_cvt_i32_f32_e32 v34, v35
	v_exp_f32_e32 v33, v33
	v_ldexp_f32 v33, v33, v34
	v_cndmask_b32_e64 v33, 0, v33, s4
	v_cmp_nlt_f32_e64 s4, 0x42b17218, v31
	v_cndmask_b32_e64 v31, 0x7f800000, v33, s4
	v_mov_b32_e32 v64, v32
	v_mov_b32_e32 v62, v30
	;; [unrolled: 1-line block ×4, first 2 shown]
	v_add_f32_e32 v0, v0, v31
	v_mov_b32_e32 v63, v31
	v_mov_b32_e32 v59, v27
	;; [unrolled: 1-line block ×28, first 2 shown]
.LBB766_377:
	s_andn2_saveexec_b32 s4, s35
	s_or_b32 exec_lo, exec_lo, s4
	s_or_b32 exec_lo, exec_lo, s34
                                        ; implicit-def: $vgpr1_vgpr2_vgpr3_vgpr4_vgpr5_vgpr6_vgpr7_vgpr8_vgpr9_vgpr10_vgpr11_vgpr12_vgpr13_vgpr14_vgpr15_vgpr16_vgpr17_vgpr18_vgpr19_vgpr20_vgpr21_vgpr22_vgpr23_vgpr24_vgpr25_vgpr26_vgpr27_vgpr28_vgpr29_vgpr30_vgpr31_vgpr32
	s_and_saveexec_b32 s4, s5
	s_xor_b32 s4, exec_lo, s4
	s_cbranch_execnz .LBB766_257
.LBB766_378:
	s_andn2_saveexec_b32 s5, s4
	s_cbranch_execz .LBB766_382
.LBB766_379:
	global_load_ubyte v1, v[98:99], off offset:1984
	s_mov_b32 s34, 0
	s_waitcnt vmcnt(0)
	v_and_b32_e32 v1, 1, v1
	v_cmp_eq_u32_e64 s4, 1, v1
	v_mov_b32_e32 v1, v33
	v_mov_b32_e32 v32, v64
	;; [unrolled: 1-line block ×33, first 2 shown]
	s_xor_b32 s4, s4, -1
	s_and_saveexec_b32 s34, s4
	s_xor_b32 s34, exec_lo, s34
	s_cbranch_execz .LBB766_381
; %bb.380:
	v_sub_f32_e32 v1, v64, v107
	v_mul_f32_e32 v2, 0x3fb8aa3b, v1
	v_cmp_ngt_f32_e64 s4, 0xc2ce8ed0, v1
	v_fma_f32 v3, 0x3fb8aa3b, v1, -v2
	v_rndne_f32_e32 v4, v2
	v_fmamk_f32 v3, v1, 0x32a5705f, v3
	v_sub_f32_e32 v2, v2, v4
	v_add_f32_e32 v2, v2, v3
	v_cvt_i32_f32_e32 v3, v4
	v_exp_f32_e32 v2, v2
	v_ldexp_f32 v2, v2, v3
	v_cndmask_b32_e64 v2, 0, v2, s4
	v_cmp_nlt_f32_e64 s4, 0x42b17218, v1
	v_cndmask_b32_e64 v64, 0x7f800000, v2, s4
	v_mov_b32_e32 v1, v33
	v_mov_b32_e32 v2, v34
	;; [unrolled: 1-line block ×4, first 2 shown]
	v_add_f32_e32 v0, v0, v64
	v_mov_b32_e32 v5, v37
	v_mov_b32_e32 v6, v38
	;; [unrolled: 1-line block ×28, first 2 shown]
.LBB766_381:
	s_andn2_saveexec_b32 s4, s34
	s_or_b32 exec_lo, exec_lo, s4
.LBB766_382:
	s_or_b32 exec_lo, exec_lo, s5
	ds_bpermute_b32 v33, v101, v0
	s_mov_b32 s5, exec_lo
	s_waitcnt lgkmcnt(0)
	v_add_f32_e32 v0, v0, v33
	ds_bpermute_b32 v33, v102, v0
	s_waitcnt lgkmcnt(0)
	v_add_f32_e32 v0, v0, v33
	ds_bpermute_b32 v33, v103, v0
	;; [unrolled: 3-line block ×5, first 2 shown]
	v_cmpx_lt_i32_e32 0, v100
	s_cbranch_execz .LBB766_480
; %bb.383:
	s_and_b32 exec_lo, exec_lo, vcc_lo
	s_cbranch_execz .LBB766_480
; %bb.384:
	s_waitcnt lgkmcnt(0)
	v_add_f32_e32 v33, v0, v33
	v_mov_b32_e32 v34, 0x7fc0
	v_cmp_neq_f32_e64 s4, 0, v33
	s_and_saveexec_b32 s5, s4
	s_cbranch_execz .LBB766_386
; %bb.385:
	v_div_scale_f32 v0, null, v33, v33, v1
	v_div_scale_f32 v36, vcc_lo, v1, v33, v1
	v_rcp_f32_e32 v34, v0
	v_fma_f32 v35, -v0, v34, 1.0
	v_fmac_f32_e32 v34, v35, v34
	v_mul_f32_e32 v35, v36, v34
	v_fma_f32 v37, -v0, v35, v36
	v_fmac_f32_e32 v35, v37, v34
	v_fma_f32 v0, -v0, v35, v36
	v_div_fmas_f32 v0, v0, v34, v35
	v_div_fixup_f32 v0, v0, v33, v1
	v_bfe_u32 v1, v0, 16, 1
	v_cmp_o_f32_e32 vcc_lo, v0, v0
	v_add3_u32 v0, v0, v1, 0x7fff
	v_mov_b32_e32 v1, 0x7fc0
	v_cndmask_b32_sdwa v34, v1, v0, vcc_lo dst_sel:DWORD dst_unused:UNUSED_PAD src0_sel:DWORD src1_sel:WORD_1
.LBB766_386:
	s_or_b32 exec_lo, exec_lo, s5
	v_add_co_u32 v0, vcc_lo, s36, v96
	v_add_co_ci_u32_e64 v1, null, s37, v97, vcc_lo
	global_store_short v[0:1], v34, off
	s_and_b32 exec_lo, exec_lo, s33
	s_cbranch_execz .LBB766_480
; %bb.387:
	v_mov_b32_e32 v34, 0x7fc0
	s_and_saveexec_b32 s5, s4
	s_cbranch_execz .LBB766_389
; %bb.388:
	v_div_scale_f32 v34, null, v33, v33, v2
	v_div_scale_f32 v37, vcc_lo, v2, v33, v2
	v_rcp_f32_e32 v35, v34
	v_fma_f32 v36, -v34, v35, 1.0
	v_fmac_f32_e32 v35, v36, v35
	v_mul_f32_e32 v36, v37, v35
	v_fma_f32 v38, -v34, v36, v37
	v_fmac_f32_e32 v36, v38, v35
	v_fma_f32 v34, -v34, v36, v37
	v_div_fmas_f32 v34, v34, v35, v36
	v_div_fixup_f32 v2, v34, v33, v2
	v_bfe_u32 v34, v2, 16, 1
	v_cmp_o_f32_e32 vcc_lo, v2, v2
	v_add3_u32 v2, v2, v34, 0x7fff
	v_mov_b32_e32 v34, 0x7fc0
	v_cndmask_b32_sdwa v34, v34, v2, vcc_lo dst_sel:DWORD dst_unused:UNUSED_PAD src0_sel:DWORD src1_sel:WORD_1
.LBB766_389:
	s_or_b32 exec_lo, exec_lo, s5
	global_store_short v[0:1], v34, off offset:128
	s_and_b32 exec_lo, exec_lo, s31
	s_cbranch_execz .LBB766_480
; %bb.390:
	v_mov_b32_e32 v2, 0x7fc0
	s_and_saveexec_b32 s5, s4
	s_cbranch_execz .LBB766_392
; %bb.391:
	v_div_scale_f32 v2, null, v33, v33, v3
	v_div_scale_f32 v36, vcc_lo, v3, v33, v3
	v_rcp_f32_e32 v34, v2
	v_fma_f32 v35, -v2, v34, 1.0
	v_fmac_f32_e32 v34, v35, v34
	v_mul_f32_e32 v35, v36, v34
	v_fma_f32 v37, -v2, v35, v36
	v_fmac_f32_e32 v35, v37, v34
	v_fma_f32 v2, -v2, v35, v36
	v_div_fmas_f32 v2, v2, v34, v35
	v_div_fixup_f32 v2, v2, v33, v3
	v_bfe_u32 v3, v2, 16, 1
	v_cmp_o_f32_e32 vcc_lo, v2, v2
	v_add3_u32 v2, v2, v3, 0x7fff
	v_mov_b32_e32 v3, 0x7fc0
	v_cndmask_b32_sdwa v2, v3, v2, vcc_lo dst_sel:DWORD dst_unused:UNUSED_PAD src0_sel:DWORD src1_sel:WORD_1
.LBB766_392:
	s_or_b32 exec_lo, exec_lo, s5
	global_store_short v[0:1], v2, off offset:256
	s_and_b32 exec_lo, exec_lo, s30
	s_cbranch_execz .LBB766_480
; %bb.393:
	v_mov_b32_e32 v2, 0x7fc0
	s_and_saveexec_b32 s5, s4
	s_cbranch_execz .LBB766_395
; %bb.394:
	v_div_scale_f32 v2, null, v33, v33, v4
	v_div_scale_f32 v35, vcc_lo, v4, v33, v4
	v_rcp_f32_e32 v3, v2
	v_fma_f32 v34, -v2, v3, 1.0
	v_fmac_f32_e32 v3, v34, v3
	v_mul_f32_e32 v34, v35, v3
	v_fma_f32 v36, -v2, v34, v35
	v_fmac_f32_e32 v34, v36, v3
	v_fma_f32 v2, -v2, v34, v35
	v_div_fmas_f32 v2, v2, v3, v34
	v_div_fixup_f32 v2, v2, v33, v4
	v_bfe_u32 v3, v2, 16, 1
	v_cmp_o_f32_e32 vcc_lo, v2, v2
	v_add3_u32 v2, v2, v3, 0x7fff
	v_mov_b32_e32 v3, 0x7fc0
	v_cndmask_b32_sdwa v2, v3, v2, vcc_lo dst_sel:DWORD dst_unused:UNUSED_PAD src0_sel:DWORD src1_sel:WORD_1
.LBB766_395:
	s_or_b32 exec_lo, exec_lo, s5
	global_store_short v[0:1], v2, off offset:384
	s_and_b32 exec_lo, exec_lo, s29
	s_cbranch_execz .LBB766_480
; %bb.396:
	v_mov_b32_e32 v2, 0x7fc0
	s_and_saveexec_b32 s5, s4
	s_cbranch_execz .LBB766_398
; %bb.397:
	v_div_scale_f32 v2, null, v33, v33, v5
	v_div_scale_f32 v34, vcc_lo, v5, v33, v5
	v_rcp_f32_e32 v3, v2
	v_fma_f32 v4, -v2, v3, 1.0
	v_fmac_f32_e32 v3, v4, v3
	v_mul_f32_e32 v4, v34, v3
	v_fma_f32 v35, -v2, v4, v34
	v_fmac_f32_e32 v4, v35, v3
	v_fma_f32 v2, -v2, v4, v34
	v_div_fmas_f32 v2, v2, v3, v4
	v_div_fixup_f32 v2, v2, v33, v5
	v_bfe_u32 v3, v2, 16, 1
	v_cmp_o_f32_e32 vcc_lo, v2, v2
	v_add3_u32 v2, v2, v3, 0x7fff
	v_mov_b32_e32 v3, 0x7fc0
	v_cndmask_b32_sdwa v2, v3, v2, vcc_lo dst_sel:DWORD dst_unused:UNUSED_PAD src0_sel:DWORD src1_sel:WORD_1
.LBB766_398:
	s_or_b32 exec_lo, exec_lo, s5
	global_store_short v[0:1], v2, off offset:512
	s_and_b32 exec_lo, exec_lo, s28
	s_cbranch_execz .LBB766_480
; %bb.399:
	v_mov_b32_e32 v2, 0x7fc0
	s_and_saveexec_b32 s5, s4
	s_cbranch_execz .LBB766_401
; %bb.400:
	v_div_scale_f32 v2, null, v33, v33, v6
	v_div_scale_f32 v5, vcc_lo, v6, v33, v6
	v_rcp_f32_e32 v3, v2
	v_fma_f32 v4, -v2, v3, 1.0
	v_fmac_f32_e32 v3, v4, v3
	v_mul_f32_e32 v4, v5, v3
	v_fma_f32 v34, -v2, v4, v5
	v_fmac_f32_e32 v4, v34, v3
	v_fma_f32 v2, -v2, v4, v5
	v_div_fmas_f32 v2, v2, v3, v4
	v_div_fixup_f32 v2, v2, v33, v6
	v_bfe_u32 v3, v2, 16, 1
	v_cmp_o_f32_e32 vcc_lo, v2, v2
	v_add3_u32 v2, v2, v3, 0x7fff
	v_mov_b32_e32 v3, 0x7fc0
	v_cndmask_b32_sdwa v2, v3, v2, vcc_lo dst_sel:DWORD dst_unused:UNUSED_PAD src0_sel:DWORD src1_sel:WORD_1
.LBB766_401:
	s_or_b32 exec_lo, exec_lo, s5
	global_store_short v[0:1], v2, off offset:640
	s_and_b32 exec_lo, exec_lo, s27
	s_cbranch_execz .LBB766_480
; %bb.402:
	v_mov_b32_e32 v2, 0x7fc0
	s_and_saveexec_b32 s5, s4
	s_cbranch_execz .LBB766_404
; %bb.403:
	v_div_scale_f32 v2, null, v33, v33, v7
	v_div_scale_f32 v5, vcc_lo, v7, v33, v7
	v_rcp_f32_e32 v3, v2
	v_fma_f32 v4, -v2, v3, 1.0
	v_fmac_f32_e32 v3, v4, v3
	v_mul_f32_e32 v4, v5, v3
	v_fma_f32 v6, -v2, v4, v5
	v_fmac_f32_e32 v4, v6, v3
	v_fma_f32 v2, -v2, v4, v5
	v_div_fmas_f32 v2, v2, v3, v4
	v_div_fixup_f32 v2, v2, v33, v7
	v_bfe_u32 v3, v2, 16, 1
	v_cmp_o_f32_e32 vcc_lo, v2, v2
	v_add3_u32 v2, v2, v3, 0x7fff
	v_mov_b32_e32 v3, 0x7fc0
	v_cndmask_b32_sdwa v2, v3, v2, vcc_lo dst_sel:DWORD dst_unused:UNUSED_PAD src0_sel:DWORD src1_sel:WORD_1
.LBB766_404:
	s_or_b32 exec_lo, exec_lo, s5
	global_store_short v[0:1], v2, off offset:768
	s_and_b32 exec_lo, exec_lo, s26
	s_cbranch_execz .LBB766_480
; %bb.405:
	v_mov_b32_e32 v2, 0x7fc0
	s_and_saveexec_b32 s5, s4
	s_cbranch_execz .LBB766_407
; %bb.406:
	v_div_scale_f32 v2, null, v33, v33, v8
	v_div_scale_f32 v5, vcc_lo, v8, v33, v8
	v_rcp_f32_e32 v3, v2
	v_fma_f32 v4, -v2, v3, 1.0
	v_fmac_f32_e32 v3, v4, v3
	v_mul_f32_e32 v4, v5, v3
	v_fma_f32 v6, -v2, v4, v5
	v_fmac_f32_e32 v4, v6, v3
	v_fma_f32 v2, -v2, v4, v5
	v_div_fmas_f32 v2, v2, v3, v4
	v_div_fixup_f32 v2, v2, v33, v8
	v_bfe_u32 v3, v2, 16, 1
	v_cmp_o_f32_e32 vcc_lo, v2, v2
	v_add3_u32 v2, v2, v3, 0x7fff
	v_mov_b32_e32 v3, 0x7fc0
	v_cndmask_b32_sdwa v2, v3, v2, vcc_lo dst_sel:DWORD dst_unused:UNUSED_PAD src0_sel:DWORD src1_sel:WORD_1
.LBB766_407:
	s_or_b32 exec_lo, exec_lo, s5
	global_store_short v[0:1], v2, off offset:896
	s_and_b32 exec_lo, exec_lo, s25
	s_cbranch_execz .LBB766_480
; %bb.408:
	v_mov_b32_e32 v2, 0x7fc0
	s_and_saveexec_b32 s5, s4
	s_cbranch_execz .LBB766_410
; %bb.409:
	v_div_scale_f32 v2, null, v33, v33, v9
	v_div_scale_f32 v5, vcc_lo, v9, v33, v9
	v_rcp_f32_e32 v3, v2
	v_fma_f32 v4, -v2, v3, 1.0
	v_fmac_f32_e32 v3, v4, v3
	v_mul_f32_e32 v4, v5, v3
	v_fma_f32 v6, -v2, v4, v5
	v_fmac_f32_e32 v4, v6, v3
	v_fma_f32 v2, -v2, v4, v5
	v_div_fmas_f32 v2, v2, v3, v4
	v_div_fixup_f32 v2, v2, v33, v9
	v_bfe_u32 v3, v2, 16, 1
	v_cmp_o_f32_e32 vcc_lo, v2, v2
	v_add3_u32 v2, v2, v3, 0x7fff
	v_mov_b32_e32 v3, 0x7fc0
	v_cndmask_b32_sdwa v2, v3, v2, vcc_lo dst_sel:DWORD dst_unused:UNUSED_PAD src0_sel:DWORD src1_sel:WORD_1
.LBB766_410:
	s_or_b32 exec_lo, exec_lo, s5
	global_store_short v[0:1], v2, off offset:1024
	s_and_b32 exec_lo, exec_lo, s24
	s_cbranch_execz .LBB766_480
; %bb.411:
	v_mov_b32_e32 v2, 0x7fc0
	s_and_saveexec_b32 s5, s4
	s_cbranch_execz .LBB766_413
; %bb.412:
	v_div_scale_f32 v2, null, v33, v33, v10
	v_div_scale_f32 v5, vcc_lo, v10, v33, v10
	v_rcp_f32_e32 v3, v2
	v_fma_f32 v4, -v2, v3, 1.0
	v_fmac_f32_e32 v3, v4, v3
	v_mul_f32_e32 v4, v5, v3
	v_fma_f32 v6, -v2, v4, v5
	v_fmac_f32_e32 v4, v6, v3
	v_fma_f32 v2, -v2, v4, v5
	v_div_fmas_f32 v2, v2, v3, v4
	v_div_fixup_f32 v2, v2, v33, v10
	v_bfe_u32 v3, v2, 16, 1
	v_cmp_o_f32_e32 vcc_lo, v2, v2
	v_add3_u32 v2, v2, v3, 0x7fff
	v_mov_b32_e32 v3, 0x7fc0
	v_cndmask_b32_sdwa v2, v3, v2, vcc_lo dst_sel:DWORD dst_unused:UNUSED_PAD src0_sel:DWORD src1_sel:WORD_1
.LBB766_413:
	s_or_b32 exec_lo, exec_lo, s5
	global_store_short v[0:1], v2, off offset:1152
	s_and_b32 exec_lo, exec_lo, s23
	s_cbranch_execz .LBB766_480
; %bb.414:
	v_mov_b32_e32 v2, 0x7fc0
	s_and_saveexec_b32 s5, s4
	s_cbranch_execz .LBB766_416
; %bb.415:
	v_div_scale_f32 v2, null, v33, v33, v11
	v_div_scale_f32 v5, vcc_lo, v11, v33, v11
	v_rcp_f32_e32 v3, v2
	v_fma_f32 v4, -v2, v3, 1.0
	v_fmac_f32_e32 v3, v4, v3
	v_mul_f32_e32 v4, v5, v3
	v_fma_f32 v6, -v2, v4, v5
	v_fmac_f32_e32 v4, v6, v3
	v_fma_f32 v2, -v2, v4, v5
	v_div_fmas_f32 v2, v2, v3, v4
	v_div_fixup_f32 v2, v2, v33, v11
	v_bfe_u32 v3, v2, 16, 1
	v_cmp_o_f32_e32 vcc_lo, v2, v2
	v_add3_u32 v2, v2, v3, 0x7fff
	v_mov_b32_e32 v3, 0x7fc0
	v_cndmask_b32_sdwa v2, v3, v2, vcc_lo dst_sel:DWORD dst_unused:UNUSED_PAD src0_sel:DWORD src1_sel:WORD_1
.LBB766_416:
	s_or_b32 exec_lo, exec_lo, s5
	global_store_short v[0:1], v2, off offset:1280
	s_and_b32 exec_lo, exec_lo, s22
	s_cbranch_execz .LBB766_480
; %bb.417:
	v_mov_b32_e32 v2, 0x7fc0
	s_and_saveexec_b32 s5, s4
	s_cbranch_execz .LBB766_419
; %bb.418:
	v_div_scale_f32 v2, null, v33, v33, v12
	v_div_scale_f32 v5, vcc_lo, v12, v33, v12
	v_rcp_f32_e32 v3, v2
	v_fma_f32 v4, -v2, v3, 1.0
	v_fmac_f32_e32 v3, v4, v3
	v_mul_f32_e32 v4, v5, v3
	v_fma_f32 v6, -v2, v4, v5
	v_fmac_f32_e32 v4, v6, v3
	v_fma_f32 v2, -v2, v4, v5
	v_div_fmas_f32 v2, v2, v3, v4
	v_div_fixup_f32 v2, v2, v33, v12
	v_bfe_u32 v3, v2, 16, 1
	v_cmp_o_f32_e32 vcc_lo, v2, v2
	v_add3_u32 v2, v2, v3, 0x7fff
	v_mov_b32_e32 v3, 0x7fc0
	v_cndmask_b32_sdwa v2, v3, v2, vcc_lo dst_sel:DWORD dst_unused:UNUSED_PAD src0_sel:DWORD src1_sel:WORD_1
.LBB766_419:
	s_or_b32 exec_lo, exec_lo, s5
	global_store_short v[0:1], v2, off offset:1408
	s_and_b32 exec_lo, exec_lo, s21
	s_cbranch_execz .LBB766_480
; %bb.420:
	v_mov_b32_e32 v2, 0x7fc0
	s_and_saveexec_b32 s5, s4
	s_cbranch_execz .LBB766_422
; %bb.421:
	v_div_scale_f32 v2, null, v33, v33, v13
	v_div_scale_f32 v5, vcc_lo, v13, v33, v13
	v_rcp_f32_e32 v3, v2
	v_fma_f32 v4, -v2, v3, 1.0
	v_fmac_f32_e32 v3, v4, v3
	v_mul_f32_e32 v4, v5, v3
	v_fma_f32 v6, -v2, v4, v5
	v_fmac_f32_e32 v4, v6, v3
	v_fma_f32 v2, -v2, v4, v5
	v_div_fmas_f32 v2, v2, v3, v4
	v_div_fixup_f32 v2, v2, v33, v13
	v_bfe_u32 v3, v2, 16, 1
	v_cmp_o_f32_e32 vcc_lo, v2, v2
	v_add3_u32 v2, v2, v3, 0x7fff
	v_mov_b32_e32 v3, 0x7fc0
	v_cndmask_b32_sdwa v2, v3, v2, vcc_lo dst_sel:DWORD dst_unused:UNUSED_PAD src0_sel:DWORD src1_sel:WORD_1
.LBB766_422:
	s_or_b32 exec_lo, exec_lo, s5
	global_store_short v[0:1], v2, off offset:1536
	s_and_b32 exec_lo, exec_lo, s20
	s_cbranch_execz .LBB766_480
; %bb.423:
	v_mov_b32_e32 v2, 0x7fc0
	s_and_saveexec_b32 s5, s4
	s_cbranch_execz .LBB766_425
; %bb.424:
	v_div_scale_f32 v2, null, v33, v33, v14
	v_div_scale_f32 v5, vcc_lo, v14, v33, v14
	v_rcp_f32_e32 v3, v2
	v_fma_f32 v4, -v2, v3, 1.0
	v_fmac_f32_e32 v3, v4, v3
	v_mul_f32_e32 v4, v5, v3
	v_fma_f32 v6, -v2, v4, v5
	v_fmac_f32_e32 v4, v6, v3
	v_fma_f32 v2, -v2, v4, v5
	v_div_fmas_f32 v2, v2, v3, v4
	v_div_fixup_f32 v2, v2, v33, v14
	v_bfe_u32 v3, v2, 16, 1
	v_cmp_o_f32_e32 vcc_lo, v2, v2
	v_add3_u32 v2, v2, v3, 0x7fff
	v_mov_b32_e32 v3, 0x7fc0
	v_cndmask_b32_sdwa v2, v3, v2, vcc_lo dst_sel:DWORD dst_unused:UNUSED_PAD src0_sel:DWORD src1_sel:WORD_1
.LBB766_425:
	s_or_b32 exec_lo, exec_lo, s5
	global_store_short v[0:1], v2, off offset:1664
	s_and_b32 exec_lo, exec_lo, s19
	s_cbranch_execz .LBB766_480
; %bb.426:
	v_mov_b32_e32 v2, 0x7fc0
	s_and_saveexec_b32 s5, s4
	s_cbranch_execz .LBB766_428
; %bb.427:
	v_div_scale_f32 v2, null, v33, v33, v15
	v_div_scale_f32 v5, vcc_lo, v15, v33, v15
	v_rcp_f32_e32 v3, v2
	v_fma_f32 v4, -v2, v3, 1.0
	v_fmac_f32_e32 v3, v4, v3
	v_mul_f32_e32 v4, v5, v3
	v_fma_f32 v6, -v2, v4, v5
	v_fmac_f32_e32 v4, v6, v3
	v_fma_f32 v2, -v2, v4, v5
	v_div_fmas_f32 v2, v2, v3, v4
	v_div_fixup_f32 v2, v2, v33, v15
	v_bfe_u32 v3, v2, 16, 1
	v_cmp_o_f32_e32 vcc_lo, v2, v2
	v_add3_u32 v2, v2, v3, 0x7fff
	v_mov_b32_e32 v3, 0x7fc0
	v_cndmask_b32_sdwa v2, v3, v2, vcc_lo dst_sel:DWORD dst_unused:UNUSED_PAD src0_sel:DWORD src1_sel:WORD_1
.LBB766_428:
	s_or_b32 exec_lo, exec_lo, s5
	global_store_short v[0:1], v2, off offset:1792
	s_and_b32 exec_lo, exec_lo, s18
	s_cbranch_execz .LBB766_480
; %bb.429:
	v_mov_b32_e32 v2, 0x7fc0
	s_and_saveexec_b32 s5, s4
	s_cbranch_execz .LBB766_431
; %bb.430:
	v_div_scale_f32 v2, null, v33, v33, v16
	v_div_scale_f32 v5, vcc_lo, v16, v33, v16
	v_rcp_f32_e32 v3, v2
	v_fma_f32 v4, -v2, v3, 1.0
	v_fmac_f32_e32 v3, v4, v3
	v_mul_f32_e32 v4, v5, v3
	v_fma_f32 v6, -v2, v4, v5
	v_fmac_f32_e32 v4, v6, v3
	v_fma_f32 v2, -v2, v4, v5
	v_div_fmas_f32 v2, v2, v3, v4
	v_div_fixup_f32 v2, v2, v33, v16
	v_bfe_u32 v3, v2, 16, 1
	v_cmp_o_f32_e32 vcc_lo, v2, v2
	v_add3_u32 v2, v2, v3, 0x7fff
	v_mov_b32_e32 v3, 0x7fc0
	v_cndmask_b32_sdwa v2, v3, v2, vcc_lo dst_sel:DWORD dst_unused:UNUSED_PAD src0_sel:DWORD src1_sel:WORD_1
.LBB766_431:
	s_or_b32 exec_lo, exec_lo, s5
	global_store_short v[0:1], v2, off offset:1920
	s_and_b32 exec_lo, exec_lo, s17
	s_cbranch_execz .LBB766_480
; %bb.432:
	v_mov_b32_e32 v2, 0x7fc0
	s_and_saveexec_b32 s5, s4
	s_cbranch_execz .LBB766_434
; %bb.433:
	v_div_scale_f32 v2, null, v33, v33, v17
	v_div_scale_f32 v5, vcc_lo, v17, v33, v17
	v_rcp_f32_e32 v3, v2
	v_fma_f32 v4, -v2, v3, 1.0
	v_fmac_f32_e32 v3, v4, v3
	v_mul_f32_e32 v4, v5, v3
	v_fma_f32 v6, -v2, v4, v5
	v_fmac_f32_e32 v4, v6, v3
	v_fma_f32 v2, -v2, v4, v5
	v_div_fmas_f32 v2, v2, v3, v4
	v_div_fixup_f32 v2, v2, v33, v17
	v_bfe_u32 v3, v2, 16, 1
	v_cmp_o_f32_e32 vcc_lo, v2, v2
	v_add3_u32 v2, v2, v3, 0x7fff
	v_mov_b32_e32 v3, 0x7fc0
	v_cndmask_b32_sdwa v2, v3, v2, vcc_lo dst_sel:DWORD dst_unused:UNUSED_PAD src0_sel:DWORD src1_sel:WORD_1
.LBB766_434:
	s_or_b32 exec_lo, exec_lo, s5
	v_add_co_u32 v0, vcc_lo, 0x800, v0
	v_add_co_ci_u32_e64 v1, null, 0, v1, vcc_lo
	global_store_short v[0:1], v2, off
	s_and_b32 exec_lo, exec_lo, s16
	s_cbranch_execz .LBB766_480
; %bb.435:
	v_mov_b32_e32 v2, 0x7fc0
	s_and_saveexec_b32 s5, s4
	s_cbranch_execz .LBB766_437
; %bb.436:
	v_div_scale_f32 v2, null, v33, v33, v18
	v_div_scale_f32 v5, vcc_lo, v18, v33, v18
	v_rcp_f32_e32 v3, v2
	v_fma_f32 v4, -v2, v3, 1.0
	v_fmac_f32_e32 v3, v4, v3
	v_mul_f32_e32 v4, v5, v3
	v_fma_f32 v6, -v2, v4, v5
	v_fmac_f32_e32 v4, v6, v3
	v_fma_f32 v2, -v2, v4, v5
	v_div_fmas_f32 v2, v2, v3, v4
	v_div_fixup_f32 v2, v2, v33, v18
	v_bfe_u32 v3, v2, 16, 1
	v_cmp_o_f32_e32 vcc_lo, v2, v2
	v_add3_u32 v2, v2, v3, 0x7fff
	v_mov_b32_e32 v3, 0x7fc0
	v_cndmask_b32_sdwa v2, v3, v2, vcc_lo dst_sel:DWORD dst_unused:UNUSED_PAD src0_sel:DWORD src1_sel:WORD_1
.LBB766_437:
	s_or_b32 exec_lo, exec_lo, s5
	global_store_short v[0:1], v2, off offset:128
	s_and_b32 exec_lo, exec_lo, s15
	s_cbranch_execz .LBB766_480
; %bb.438:
	v_mov_b32_e32 v2, 0x7fc0
	s_and_saveexec_b32 s5, s4
	s_cbranch_execz .LBB766_440
; %bb.439:
	v_div_scale_f32 v2, null, v33, v33, v19
	v_div_scale_f32 v5, vcc_lo, v19, v33, v19
	v_rcp_f32_e32 v3, v2
	v_fma_f32 v4, -v2, v3, 1.0
	v_fmac_f32_e32 v3, v4, v3
	v_mul_f32_e32 v4, v5, v3
	v_fma_f32 v6, -v2, v4, v5
	v_fmac_f32_e32 v4, v6, v3
	v_fma_f32 v2, -v2, v4, v5
	v_div_fmas_f32 v2, v2, v3, v4
	v_div_fixup_f32 v2, v2, v33, v19
	v_bfe_u32 v3, v2, 16, 1
	v_cmp_o_f32_e32 vcc_lo, v2, v2
	v_add3_u32 v2, v2, v3, 0x7fff
	v_mov_b32_e32 v3, 0x7fc0
	v_cndmask_b32_sdwa v2, v3, v2, vcc_lo dst_sel:DWORD dst_unused:UNUSED_PAD src0_sel:DWORD src1_sel:WORD_1
.LBB766_440:
	s_or_b32 exec_lo, exec_lo, s5
	global_store_short v[0:1], v2, off offset:256
	;; [unrolled: 26-line block ×15, first 2 shown]
.LBB766_480:
	s_endpgm
	.section	.rodata,"a",@progbits
	.p2align	6, 0x0
	.amdhsa_kernel _ZN12_GLOBAL__N_120softmax_warp_forwardIN3c108BFloat16ES2_fLi11ELb0ELb1ELi64EEEvPT0_PKT_iiiPKbib
		.amdhsa_group_segment_fixed_size 0
		.amdhsa_private_segment_fixed_size 0
		.amdhsa_kernarg_size 304
		.amdhsa_user_sgpr_count 6
		.amdhsa_user_sgpr_private_segment_buffer 1
		.amdhsa_user_sgpr_dispatch_ptr 0
		.amdhsa_user_sgpr_queue_ptr 0
		.amdhsa_user_sgpr_kernarg_segment_ptr 1
		.amdhsa_user_sgpr_dispatch_id 0
		.amdhsa_user_sgpr_flat_scratch_init 0
		.amdhsa_user_sgpr_private_segment_size 0
		.amdhsa_wavefront_size32 1
		.amdhsa_uses_dynamic_stack 0
		.amdhsa_system_sgpr_private_segment_wavefront_offset 0
		.amdhsa_system_sgpr_workgroup_id_x 1
		.amdhsa_system_sgpr_workgroup_id_y 0
		.amdhsa_system_sgpr_workgroup_id_z 0
		.amdhsa_system_sgpr_workgroup_info 0
		.amdhsa_system_vgpr_workitem_id 1
		.amdhsa_next_free_vgpr 108
		.amdhsa_next_free_sgpr 71
		.amdhsa_reserve_vcc 1
		.amdhsa_reserve_flat_scratch 0
		.amdhsa_float_round_mode_32 0
		.amdhsa_float_round_mode_16_64 0
		.amdhsa_float_denorm_mode_32 3
		.amdhsa_float_denorm_mode_16_64 3
		.amdhsa_dx10_clamp 1
		.amdhsa_ieee_mode 1
		.amdhsa_fp16_overflow 0
		.amdhsa_workgroup_processor_mode 1
		.amdhsa_memory_ordered 1
		.amdhsa_forward_progress 1
		.amdhsa_shared_vgpr_count 0
		.amdhsa_exception_fp_ieee_invalid_op 0
		.amdhsa_exception_fp_denorm_src 0
		.amdhsa_exception_fp_ieee_div_zero 0
		.amdhsa_exception_fp_ieee_overflow 0
		.amdhsa_exception_fp_ieee_underflow 0
		.amdhsa_exception_fp_ieee_inexact 0
		.amdhsa_exception_int_div_zero 0
	.end_amdhsa_kernel
	.section	.text._ZN12_GLOBAL__N_120softmax_warp_forwardIN3c108BFloat16ES2_fLi11ELb0ELb1ELi64EEEvPT0_PKT_iiiPKbib,"axG",@progbits,_ZN12_GLOBAL__N_120softmax_warp_forwardIN3c108BFloat16ES2_fLi11ELb0ELb1ELi64EEEvPT0_PKT_iiiPKbib,comdat
.Lfunc_end766:
	.size	_ZN12_GLOBAL__N_120softmax_warp_forwardIN3c108BFloat16ES2_fLi11ELb0ELb1ELi64EEEvPT0_PKT_iiiPKbib, .Lfunc_end766-_ZN12_GLOBAL__N_120softmax_warp_forwardIN3c108BFloat16ES2_fLi11ELb0ELb1ELi64EEEvPT0_PKT_iiiPKbib
                                        ; -- End function
	.set _ZN12_GLOBAL__N_120softmax_warp_forwardIN3c108BFloat16ES2_fLi11ELb0ELb1ELi64EEEvPT0_PKT_iiiPKbib.num_vgpr, 108
	.set _ZN12_GLOBAL__N_120softmax_warp_forwardIN3c108BFloat16ES2_fLi11ELb0ELb1ELi64EEEvPT0_PKT_iiiPKbib.num_agpr, 0
	.set _ZN12_GLOBAL__N_120softmax_warp_forwardIN3c108BFloat16ES2_fLi11ELb0ELb1ELi64EEEvPT0_PKT_iiiPKbib.numbered_sgpr, 71
	.set _ZN12_GLOBAL__N_120softmax_warp_forwardIN3c108BFloat16ES2_fLi11ELb0ELb1ELi64EEEvPT0_PKT_iiiPKbib.num_named_barrier, 0
	.set _ZN12_GLOBAL__N_120softmax_warp_forwardIN3c108BFloat16ES2_fLi11ELb0ELb1ELi64EEEvPT0_PKT_iiiPKbib.private_seg_size, 0
	.set _ZN12_GLOBAL__N_120softmax_warp_forwardIN3c108BFloat16ES2_fLi11ELb0ELb1ELi64EEEvPT0_PKT_iiiPKbib.uses_vcc, 1
	.set _ZN12_GLOBAL__N_120softmax_warp_forwardIN3c108BFloat16ES2_fLi11ELb0ELb1ELi64EEEvPT0_PKT_iiiPKbib.uses_flat_scratch, 0
	.set _ZN12_GLOBAL__N_120softmax_warp_forwardIN3c108BFloat16ES2_fLi11ELb0ELb1ELi64EEEvPT0_PKT_iiiPKbib.has_dyn_sized_stack, 0
	.set _ZN12_GLOBAL__N_120softmax_warp_forwardIN3c108BFloat16ES2_fLi11ELb0ELb1ELi64EEEvPT0_PKT_iiiPKbib.has_recursion, 0
	.set _ZN12_GLOBAL__N_120softmax_warp_forwardIN3c108BFloat16ES2_fLi11ELb0ELb1ELi64EEEvPT0_PKT_iiiPKbib.has_indirect_call, 0
	.section	.AMDGPU.csdata,"",@progbits
; Kernel info:
; codeLenInByte = 30140
; TotalNumSgprs: 73
; NumVgprs: 108
; ScratchSize: 0
; MemoryBound: 0
; FloatMode: 240
; IeeeMode: 1
; LDSByteSize: 0 bytes/workgroup (compile time only)
; SGPRBlocks: 0
; VGPRBlocks: 13
; NumSGPRsForWavesPerEU: 73
; NumVGPRsForWavesPerEU: 108
; Occupancy: 9
; WaveLimiterHint : 0
; COMPUTE_PGM_RSRC2:SCRATCH_EN: 0
; COMPUTE_PGM_RSRC2:USER_SGPR: 6
; COMPUTE_PGM_RSRC2:TRAP_HANDLER: 0
; COMPUTE_PGM_RSRC2:TGID_X_EN: 1
; COMPUTE_PGM_RSRC2:TGID_Y_EN: 0
; COMPUTE_PGM_RSRC2:TGID_Z_EN: 0
; COMPUTE_PGM_RSRC2:TIDIG_COMP_CNT: 1
	.section	.text._ZN12_GLOBAL__N_120softmax_warp_forwardIN3c108BFloat16ES2_fLi11ELb0ELb1ELi32EEEvPT0_PKT_iiiPKbib,"axG",@progbits,_ZN12_GLOBAL__N_120softmax_warp_forwardIN3c108BFloat16ES2_fLi11ELb0ELb1ELi32EEEvPT0_PKT_iiiPKbib,comdat
	.globl	_ZN12_GLOBAL__N_120softmax_warp_forwardIN3c108BFloat16ES2_fLi11ELb0ELb1ELi32EEEvPT0_PKT_iiiPKbib ; -- Begin function _ZN12_GLOBAL__N_120softmax_warp_forwardIN3c108BFloat16ES2_fLi11ELb0ELb1ELi32EEEvPT0_PKT_iiiPKbib
	.p2align	8
	.type	_ZN12_GLOBAL__N_120softmax_warp_forwardIN3c108BFloat16ES2_fLi11ELb0ELb1ELi32EEEvPT0_PKT_iiiPKbib,@function
_ZN12_GLOBAL__N_120softmax_warp_forwardIN3c108BFloat16ES2_fLi11ELb0ELb1ELi32EEEvPT0_PKT_iiiPKbib: ; @_ZN12_GLOBAL__N_120softmax_warp_forwardIN3c108BFloat16ES2_fLi11ELb0ELb1ELi32EEEvPT0_PKT_iiiPKbib
; %bb.0:
	s_clause 0x1
	s_load_dword s0, s[4:5], 0x3c
	s_load_dwordx4 s[72:75], s[4:5], 0x10
	s_waitcnt lgkmcnt(0)
	s_lshr_b32 s0, s0, 16
	v_mad_u64_u32 v[1:2], null, s6, s0, v[1:2]
	s_load_dwordx2 s[0:1], s[4:5], 0x28
	v_mul_lo_u32 v2, v1, s73
	v_add_nc_u32_e32 v5, v2, v0
	v_ashrrev_i32_e32 v6, 31, v5
	v_mov_b32_e32 v3, v5
	s_waitcnt lgkmcnt(0)
	s_bitcmp0_b32 s1, 0
	v_mov_b32_e32 v4, v6
	s_cbranch_scc1 .LBB767_2
; %bb.1:
	s_abs_i32 s1, s0
	v_sub_nc_u32_e32 v7, 0, v2
	v_cvt_f32_u32_e32 v3, s1
	s_sub_i32 s2, 0, s1
	v_max_i32_e32 v7, v2, v7
	v_rcp_iflag_f32_e32 v3, v3
	v_xor_b32_e32 v2, s0, v2
	v_ashrrev_i32_e32 v2, 31, v2
	v_mul_f32_e32 v3, 0x4f7ffffe, v3
	v_cvt_u32_f32_e32 v3, v3
	v_mul_lo_u32 v4, s2, v3
	v_mul_hi_u32 v4, v3, v4
	v_add_nc_u32_e32 v3, v3, v4
	v_mul_hi_u32 v3, v7, v3
	v_mul_lo_u32 v4, v3, s1
	v_sub_nc_u32_e32 v4, v7, v4
	v_add_nc_u32_e32 v7, 1, v3
	v_subrev_nc_u32_e32 v8, s1, v4
	v_cmp_le_u32_e32 vcc_lo, s1, v4
	v_cndmask_b32_e32 v3, v3, v7, vcc_lo
	v_cndmask_b32_e32 v4, v4, v8, vcc_lo
	v_add_nc_u32_e32 v7, 1, v3
	v_cmp_le_u32_e32 vcc_lo, s1, v4
	v_cndmask_b32_e32 v3, v3, v7, vcc_lo
	v_xor_b32_e32 v3, v3, v2
	v_sub_nc_u32_e32 v2, v3, v2
	v_mad_u64_u32 v[3:4], null, v2, s73, v[0:1]
	v_ashrrev_i32_e32 v4, 31, v3
.LBB767_2:
	s_load_dwordx4 s[68:71], s[4:5], 0x0
	v_sub_nc_u32_e32 v7, s72, v1
	v_lshlrev_b64 v[1:2], 1, v[5:6]
	v_cmp_gt_i32_e32 vcc_lo, s74, v0
	v_mov_b32_e32 v70, 0xff800000
	v_mov_b32_e32 v71, 0xff800000
	v_cmp_lt_i32_e64 s66, 0, v7
	s_and_b32 s35, s66, vcc_lo
	s_waitcnt lgkmcnt(0)
	v_add_co_u32 v5, s0, s70, v1
	v_add_co_ci_u32_e64 v6, null, s71, v2, s0
	s_and_saveexec_b32 s0, s35
	s_cbranch_execz .LBB767_4
; %bb.3:
	global_load_ushort v8, v[5:6], off
	s_waitcnt vmcnt(0)
	v_lshlrev_b32_e32 v71, 16, v8
.LBB767_4:
	s_or_b32 exec_lo, exec_lo, s0
	v_add_nc_u32_e32 v8, 32, v0
	v_cmp_gt_i32_e64 s65, s74, v8
	s_and_b32 s34, s66, s65
	s_and_saveexec_b32 s0, s34
	s_cbranch_execz .LBB767_6
; %bb.5:
	global_load_ushort v8, v[5:6], off offset:64
	s_waitcnt vmcnt(0)
	v_lshlrev_b32_e32 v70, 16, v8
.LBB767_6:
	s_or_b32 exec_lo, exec_lo, s0
	v_add_nc_u32_e32 v8, 64, v0
	v_mov_b32_e32 v68, 0xff800000
	v_mov_b32_e32 v69, 0xff800000
	v_cmp_gt_i32_e64 s64, s74, v8
	s_and_b32 s33, s66, s64
	s_and_saveexec_b32 s0, s33
	s_cbranch_execz .LBB767_8
; %bb.7:
	global_load_ushort v8, v[5:6], off offset:128
	s_waitcnt vmcnt(0)
	v_lshlrev_b32_e32 v69, 16, v8
.LBB767_8:
	s_or_b32 exec_lo, exec_lo, s0
	v_add_nc_u32_e32 v8, 0x60, v0
	v_cmp_gt_i32_e64 s63, s74, v8
	s_and_b32 s31, s66, s63
	s_and_saveexec_b32 s0, s31
	s_cbranch_execz .LBB767_10
; %bb.9:
	global_load_ushort v8, v[5:6], off offset:192
	s_waitcnt vmcnt(0)
	v_lshlrev_b32_e32 v68, 16, v8
.LBB767_10:
	s_or_b32 exec_lo, exec_lo, s0
	v_add_nc_u32_e32 v8, 0x80, v0
	v_mov_b32_e32 v66, 0xff800000
	v_mov_b32_e32 v67, 0xff800000
	v_cmp_gt_i32_e64 s62, s74, v8
	s_and_b32 s30, s66, s62
	s_and_saveexec_b32 s0, s30
	s_cbranch_execz .LBB767_12
; %bb.11:
	global_load_ushort v8, v[5:6], off offset:256
	s_waitcnt vmcnt(0)
	v_lshlrev_b32_e32 v67, 16, v8
.LBB767_12:
	;; [unrolled: 24-line block ×15, first 2 shown]
	s_or_b32 exec_lo, exec_lo, s0
	v_add_nc_u32_e32 v8, 0x3e0, v0
                                        ; implicit-def: $vgpr81 : SGPR spill to VGPR lane
	v_cmp_gt_i32_e64 s0, s74, v8
	s_and_b32 s1, s66, s0
	v_writelane_b32 v81, s0, 0
	s_and_saveexec_b32 s0, s1
	s_cbranch_execz .LBB767_66
; %bb.65:
	global_load_ushort v8, v[5:6], off offset:1984
	s_waitcnt vmcnt(0)
	v_lshlrev_b32_e32 v40, 16, v8
.LBB767_66:
	s_or_b32 exec_lo, exec_lo, s0
	v_or_b32_e32 v8, 0x400, v0
	v_mov_b32_e32 v38, 0xff800000
	v_mov_b32_e32 v39, 0xff800000
	v_cmp_gt_i32_e64 s0, s74, v8
	s_and_b32 vcc_hi, s66, s0
	v_writelane_b32 v81, s0, 1
	s_and_saveexec_b32 s67, vcc_hi
	s_cbranch_execz .LBB767_68
; %bb.67:
	v_add_co_u32 v8, s0, 0x800, v5
	v_add_co_ci_u32_e64 v9, null, 0, v6, s0
	global_load_ushort v8, v[8:9], off
	s_waitcnt vmcnt(0)
	v_lshlrev_b32_e32 v39, 16, v8
.LBB767_68:
	s_or_b32 exec_lo, exec_lo, s67
	v_add_nc_u32_e32 v8, 0x420, v0
	v_cmp_gt_i32_e64 s0, s74, v8
	s_and_b32 s104, s66, s0
	v_writelane_b32 v81, s0, 2
	s_and_saveexec_b32 s67, s104
	s_cbranch_execz .LBB767_70
; %bb.69:
	v_add_co_u32 v8, s0, 0x800, v5
	v_add_co_ci_u32_e64 v9, null, 0, v6, s0
	global_load_ushort v8, v[8:9], off offset:64
	s_waitcnt vmcnt(0)
	v_lshlrev_b32_e32 v38, 16, v8
.LBB767_70:
	s_or_b32 exec_lo, exec_lo, s67
	v_add_nc_u32_e32 v8, 0x440, v0
	v_mov_b32_e32 v36, 0xff800000
	v_mov_b32_e32 v37, 0xff800000
	v_cmp_gt_i32_e64 s0, s74, v8
	s_and_b32 s99, s66, s0
	v_writelane_b32 v81, s0, 3
	s_and_saveexec_b32 s67, s99
	s_cbranch_execz .LBB767_72
; %bb.71:
	v_add_co_u32 v8, s0, 0x800, v5
	v_add_co_ci_u32_e64 v9, null, 0, v6, s0
	global_load_ushort v8, v[8:9], off offset:128
	s_waitcnt vmcnt(0)
	v_lshlrev_b32_e32 v37, 16, v8
.LBB767_72:
	s_or_b32 exec_lo, exec_lo, s67
	v_add_nc_u32_e32 v8, 0x460, v0
	v_cmp_gt_i32_e64 s0, s74, v8
	s_and_b32 s98, s66, s0
	v_writelane_b32 v81, s0, 4
	s_and_saveexec_b32 s67, s98
	s_cbranch_execz .LBB767_74
; %bb.73:
	v_add_co_u32 v8, s0, 0x800, v5
	v_add_co_ci_u32_e64 v9, null, 0, v6, s0
	global_load_ushort v8, v[8:9], off offset:192
	s_waitcnt vmcnt(0)
	v_lshlrev_b32_e32 v36, 16, v8
.LBB767_74:
	s_or_b32 exec_lo, exec_lo, s67
	v_add_nc_u32_e32 v8, 0x480, v0
	v_mov_b32_e32 v34, 0xff800000
	v_mov_b32_e32 v35, 0xff800000
	v_cmp_gt_i32_e64 s0, s74, v8
	s_and_b32 s97, s66, s0
	v_writelane_b32 v81, s0, 5
	s_and_saveexec_b32 s67, s97
	s_cbranch_execz .LBB767_76
; %bb.75:
	v_add_co_u32 v8, s0, 0x800, v5
	v_add_co_ci_u32_e64 v9, null, 0, v6, s0
	global_load_ushort v8, v[8:9], off offset:256
	s_waitcnt vmcnt(0)
	v_lshlrev_b32_e32 v35, 16, v8
.LBB767_76:
	;; [unrolled: 30-line block ×14, first 2 shown]
	s_or_b32 exec_lo, exec_lo, s67
	v_add_nc_u32_e32 v8, 0x7a0, v0
	v_cmp_gt_i32_e64 s0, s74, v8
	s_and_b32 s71, s66, s0
	v_writelane_b32 v81, s0, 30
	s_and_saveexec_b32 s67, s71
	s_cbranch_execz .LBB767_126
; %bb.125:
	v_add_co_u32 v8, s0, 0x800, v5
	v_add_co_ci_u32_e64 v9, null, 0, v6, s0
	global_load_ushort v8, v[8:9], off offset:1856
	s_waitcnt vmcnt(0)
	v_lshlrev_b32_e32 v10, 16, v8
.LBB767_126:
	s_or_b32 exec_lo, exec_lo, s67
	v_add_nc_u32_e32 v8, 0x7c0, v0
	v_mov_b32_e32 v9, 0xff800000
	v_cmp_gt_i32_e64 s0, s74, v8
	v_mov_b32_e32 v8, 0xff800000
	s_and_b32 s70, s66, s0
	v_writelane_b32 v81, s0, 31
	s_and_saveexec_b32 s67, s70
	s_cbranch_execz .LBB767_128
; %bb.127:
	v_add_co_u32 v72, s0, 0x800, v5
	v_add_co_ci_u32_e64 v73, null, 0, v6, s0
	global_load_ushort v9, v[72:73], off offset:1920
	s_waitcnt vmcnt(0)
	v_lshlrev_b32_e32 v9, 16, v9
.LBB767_128:
	s_or_b32 exec_lo, exec_lo, s67
	v_add_nc_u32_e32 v0, 0x7e0, v0
                                        ; implicit-def: $vgpr80 : SGPR spill to VGPR lane
	v_cmp_gt_i32_e64 s0, s74, v0
	s_and_b32 s67, s66, s0
	v_writelane_b32 v80, s0, 0
	s_and_saveexec_b32 s74, s67
	s_cbranch_execz .LBB767_130
; %bb.129:
	v_add_co_u32 v5, s66, 0x800, v5
	v_add_co_ci_u32_e64 v6, null, 0, v6, s66
	global_load_ushort v0, v[5:6], off offset:1984
	s_waitcnt vmcnt(0)
	v_lshlrev_b32_e32 v8, 16, v0
.LBB767_130:
	s_or_b32 exec_lo, exec_lo, s74
	s_load_dwordx2 s[4:5], s[4:5], 0x20
	s_waitcnt lgkmcnt(0)
	v_add_co_u32 v3, s4, s4, v3
	v_add_co_ci_u32_e64 v4, null, s5, v4, s4
	s_mov_b32 s5, 0
	s_and_saveexec_b32 s66, s35
	s_cbranch_execnz .LBB767_194
; %bb.131:
	s_or_b32 exec_lo, exec_lo, s66
	v_mov_b32_e32 v0, v71
	s_and_saveexec_b32 s66, s34
	s_cbranch_execnz .LBB767_195
.LBB767_132:
	s_or_b32 exec_lo, exec_lo, s66
	s_and_saveexec_b32 s66, s33
	s_cbranch_execnz .LBB767_198
.LBB767_133:
	s_or_b32 exec_lo, exec_lo, s66
	s_and_saveexec_b32 s66, s31
	s_cbranch_execnz .LBB767_201
.LBB767_134:
	s_or_b32 exec_lo, exec_lo, s66
	s_and_saveexec_b32 s66, s30
	s_cbranch_execnz .LBB767_204
.LBB767_135:
	s_or_b32 exec_lo, exec_lo, s66
	s_and_saveexec_b32 s66, s29
	s_cbranch_execnz .LBB767_207
.LBB767_136:
	s_or_b32 exec_lo, exec_lo, s66
	s_and_saveexec_b32 s66, s28
	s_cbranch_execnz .LBB767_210
.LBB767_137:
	s_or_b32 exec_lo, exec_lo, s66
	s_and_saveexec_b32 s66, s27
	s_cbranch_execnz .LBB767_213
.LBB767_138:
	s_or_b32 exec_lo, exec_lo, s66
	s_and_saveexec_b32 s66, s26
	s_cbranch_execnz .LBB767_216
.LBB767_139:
	s_or_b32 exec_lo, exec_lo, s66
	s_and_saveexec_b32 s66, s25
	s_cbranch_execnz .LBB767_219
.LBB767_140:
	s_or_b32 exec_lo, exec_lo, s66
	s_and_saveexec_b32 s66, s24
	s_cbranch_execnz .LBB767_222
.LBB767_141:
	s_or_b32 exec_lo, exec_lo, s66
	s_and_saveexec_b32 s66, s23
	s_cbranch_execnz .LBB767_225
.LBB767_142:
	s_or_b32 exec_lo, exec_lo, s66
	s_and_saveexec_b32 s66, s22
	s_cbranch_execnz .LBB767_228
.LBB767_143:
	s_or_b32 exec_lo, exec_lo, s66
	s_and_saveexec_b32 s66, s21
	s_cbranch_execnz .LBB767_231
.LBB767_144:
	s_or_b32 exec_lo, exec_lo, s66
	s_and_saveexec_b32 s66, s20
	s_cbranch_execnz .LBB767_234
.LBB767_145:
	s_or_b32 exec_lo, exec_lo, s66
	s_and_saveexec_b32 s66, s19
	s_cbranch_execnz .LBB767_237
.LBB767_146:
	s_or_b32 exec_lo, exec_lo, s66
	s_and_saveexec_b32 s66, s18
	s_cbranch_execnz .LBB767_240
.LBB767_147:
	s_or_b32 exec_lo, exec_lo, s66
	s_and_saveexec_b32 s66, s17
	s_cbranch_execnz .LBB767_243
.LBB767_148:
	s_or_b32 exec_lo, exec_lo, s66
	s_and_saveexec_b32 s66, s16
	s_cbranch_execnz .LBB767_246
.LBB767_149:
	s_or_b32 exec_lo, exec_lo, s66
	s_and_saveexec_b32 s66, s15
	s_cbranch_execnz .LBB767_249
.LBB767_150:
	s_or_b32 exec_lo, exec_lo, s66
	s_and_saveexec_b32 s66, s14
	s_cbranch_execnz .LBB767_252
.LBB767_151:
	s_or_b32 exec_lo, exec_lo, s66
	s_and_saveexec_b32 s66, s13
	s_cbranch_execnz .LBB767_255
.LBB767_152:
	s_or_b32 exec_lo, exec_lo, s66
	s_and_saveexec_b32 s66, s12
	s_cbranch_execnz .LBB767_258
.LBB767_153:
	s_or_b32 exec_lo, exec_lo, s66
	s_and_saveexec_b32 s66, s11
	s_cbranch_execnz .LBB767_261
.LBB767_154:
	s_or_b32 exec_lo, exec_lo, s66
	s_and_saveexec_b32 s66, s10
	s_cbranch_execnz .LBB767_264
.LBB767_155:
	s_or_b32 exec_lo, exec_lo, s66
	s_and_saveexec_b32 s66, s9
	s_cbranch_execnz .LBB767_267
.LBB767_156:
	s_or_b32 exec_lo, exec_lo, s66
	s_and_saveexec_b32 s66, s8
	s_cbranch_execnz .LBB767_270
.LBB767_157:
	s_or_b32 exec_lo, exec_lo, s66
	s_and_saveexec_b32 s66, s7
	s_cbranch_execnz .LBB767_273
.LBB767_158:
	s_or_b32 exec_lo, exec_lo, s66
	s_and_saveexec_b32 s66, s6
	s_cbranch_execnz .LBB767_276
.LBB767_159:
	s_or_b32 exec_lo, exec_lo, s66
	s_and_saveexec_b32 s66, s3
	s_cbranch_execnz .LBB767_279
.LBB767_160:
	s_or_b32 exec_lo, exec_lo, s66
	s_and_saveexec_b32 s66, s2
	s_cbranch_execnz .LBB767_282
.LBB767_161:
	s_or_b32 exec_lo, exec_lo, s66
	s_and_saveexec_b32 s66, s1
	s_cbranch_execnz .LBB767_285
.LBB767_162:
	s_or_b32 exec_lo, exec_lo, s66
	s_and_saveexec_b32 s66, vcc_hi
	s_cbranch_execnz .LBB767_288
.LBB767_163:
	s_or_b32 exec_lo, exec_lo, s66
	s_and_saveexec_b32 s66, s104
	s_cbranch_execnz .LBB767_291
.LBB767_164:
	s_or_b32 exec_lo, exec_lo, s66
	s_and_saveexec_b32 s66, s99
	s_cbranch_execnz .LBB767_294
.LBB767_165:
	s_or_b32 exec_lo, exec_lo, s66
	s_and_saveexec_b32 s66, s98
	s_cbranch_execnz .LBB767_297
.LBB767_166:
	s_or_b32 exec_lo, exec_lo, s66
	s_and_saveexec_b32 s66, s97
	s_cbranch_execnz .LBB767_300
.LBB767_167:
	s_or_b32 exec_lo, exec_lo, s66
	s_and_saveexec_b32 s66, s96
	s_cbranch_execnz .LBB767_303
.LBB767_168:
	s_or_b32 exec_lo, exec_lo, s66
	s_and_saveexec_b32 s66, s95
	s_cbranch_execnz .LBB767_306
.LBB767_169:
	s_or_b32 exec_lo, exec_lo, s66
	s_and_saveexec_b32 s66, s94
	s_cbranch_execnz .LBB767_309
.LBB767_170:
	s_or_b32 exec_lo, exec_lo, s66
	s_and_saveexec_b32 s66, s93
	s_cbranch_execnz .LBB767_312
.LBB767_171:
	s_or_b32 exec_lo, exec_lo, s66
	s_and_saveexec_b32 s66, s92
	s_cbranch_execnz .LBB767_315
.LBB767_172:
	s_or_b32 exec_lo, exec_lo, s66
	s_and_saveexec_b32 s66, s91
	s_cbranch_execnz .LBB767_318
.LBB767_173:
	s_or_b32 exec_lo, exec_lo, s66
	s_and_saveexec_b32 s66, s90
	s_cbranch_execnz .LBB767_321
.LBB767_174:
	s_or_b32 exec_lo, exec_lo, s66
	s_and_saveexec_b32 s66, s89
	s_cbranch_execnz .LBB767_324
.LBB767_175:
	s_or_b32 exec_lo, exec_lo, s66
	s_and_saveexec_b32 s66, s88
	s_cbranch_execnz .LBB767_327
.LBB767_176:
	s_or_b32 exec_lo, exec_lo, s66
	s_and_saveexec_b32 s66, s87
	s_cbranch_execnz .LBB767_330
.LBB767_177:
	s_or_b32 exec_lo, exec_lo, s66
	s_and_saveexec_b32 s66, s86
	s_cbranch_execnz .LBB767_333
.LBB767_178:
	s_or_b32 exec_lo, exec_lo, s66
	s_and_saveexec_b32 s66, s85
	s_cbranch_execnz .LBB767_336
.LBB767_179:
	s_or_b32 exec_lo, exec_lo, s66
	s_and_saveexec_b32 s66, s84
	s_cbranch_execnz .LBB767_339
.LBB767_180:
	s_or_b32 exec_lo, exec_lo, s66
	s_and_saveexec_b32 s66, s83
	s_cbranch_execnz .LBB767_342
.LBB767_181:
	s_or_b32 exec_lo, exec_lo, s66
	s_and_saveexec_b32 s66, s82
	s_cbranch_execnz .LBB767_345
.LBB767_182:
	s_or_b32 exec_lo, exec_lo, s66
	s_and_saveexec_b32 s66, s81
	s_cbranch_execnz .LBB767_348
.LBB767_183:
	s_or_b32 exec_lo, exec_lo, s66
	s_and_saveexec_b32 s66, s80
	s_cbranch_execnz .LBB767_351
.LBB767_184:
	s_or_b32 exec_lo, exec_lo, s66
	s_and_saveexec_b32 s66, s79
	s_cbranch_execnz .LBB767_354
.LBB767_185:
	s_or_b32 exec_lo, exec_lo, s66
	s_and_saveexec_b32 s66, s78
	s_cbranch_execnz .LBB767_357
.LBB767_186:
	s_or_b32 exec_lo, exec_lo, s66
	s_and_saveexec_b32 s66, s77
	s_cbranch_execnz .LBB767_360
.LBB767_187:
	s_or_b32 exec_lo, exec_lo, s66
	s_and_saveexec_b32 s66, s76
	s_cbranch_execnz .LBB767_363
.LBB767_188:
	s_or_b32 exec_lo, exec_lo, s66
	s_and_saveexec_b32 s66, s75
	s_cbranch_execnz .LBB767_366
.LBB767_189:
	s_or_b32 exec_lo, exec_lo, s66
	s_and_saveexec_b32 s66, s73
	s_cbranch_execnz .LBB767_369
.LBB767_190:
	s_or_b32 exec_lo, exec_lo, s66
	s_and_saveexec_b32 s66, s72
	s_cbranch_execnz .LBB767_372
.LBB767_191:
	s_or_b32 exec_lo, exec_lo, s66
	s_and_saveexec_b32 s66, s71
	s_cbranch_execnz .LBB767_375
.LBB767_192:
	s_or_b32 exec_lo, exec_lo, s66
	s_and_saveexec_b32 s66, s70
	s_cbranch_execnz .LBB767_378
.LBB767_193:
	s_or_b32 exec_lo, exec_lo, s66
	s_and_saveexec_b32 s66, s67
	s_cbranch_execnz .LBB767_381
	s_branch .LBB767_384
.LBB767_194:
	global_load_ubyte v0, v[3:4], off
	s_waitcnt vmcnt(0)
	v_and_b32_e32 v0, 1, v0
	v_cmp_eq_u32_e64 s4, 1, v0
	s_xor_b32 s4, s4, -1
	s_and_b32 s5, s4, exec_lo
	s_or_b32 exec_lo, exec_lo, s66
	v_mov_b32_e32 v0, v71
	s_and_saveexec_b32 s66, s34
	s_cbranch_execz .LBB767_132
.LBB767_195:
	global_load_ubyte v0, v[3:4], off offset:32
	s_waitcnt vmcnt(0)
	v_and_b32_e32 v0, 1, v0
	v_cmp_eq_u32_e64 s4, 1, v0
	v_mov_b32_e32 v0, v71
	s_xor_b32 s0, s4, -1
	s_mov_b32 s4, s5
	s_and_saveexec_b32 s74, s0
; %bb.196:
	v_cmp_gt_f32_e64 s4, v71, v70
	s_and_b32 s4, s5, s4
	v_cndmask_b32_e64 v0, v70, v71, s4
	s_or_b32 s4, s5, exec_lo
; %bb.197:
	s_or_b32 exec_lo, exec_lo, s74
	s_andn2_b32 s0, s5, exec_lo
	s_and_b32 s4, s4, exec_lo
	s_or_b32 s5, s0, s4
	s_or_b32 exec_lo, exec_lo, s66
	s_and_saveexec_b32 s66, s33
	s_cbranch_execz .LBB767_133
.LBB767_198:
	global_load_ubyte v5, v[3:4], off offset:64
	s_waitcnt vmcnt(0)
	v_and_b32_e32 v5, 1, v5
	v_cmp_eq_u32_e64 s4, 1, v5
	s_xor_b32 s0, s4, -1
	s_mov_b32 s4, s5
	s_and_saveexec_b32 s74, s0
; %bb.199:
	v_cmp_gt_f32_e64 s4, v0, v69
	s_and_b32 s4, s5, s4
	v_cndmask_b32_e64 v0, v69, v0, s4
	s_or_b32 s4, s5, exec_lo
; %bb.200:
	s_or_b32 exec_lo, exec_lo, s74
	s_andn2_b32 s0, s5, exec_lo
	s_and_b32 s4, s4, exec_lo
	s_or_b32 s5, s0, s4
	s_or_b32 exec_lo, exec_lo, s66
	s_and_saveexec_b32 s66, s31
	s_cbranch_execz .LBB767_134
.LBB767_201:
	global_load_ubyte v5, v[3:4], off offset:96
	s_waitcnt vmcnt(0)
	v_and_b32_e32 v5, 1, v5
	v_cmp_eq_u32_e64 s4, 1, v5
	s_xor_b32 s0, s4, -1
	s_mov_b32 s4, s5
	s_and_saveexec_b32 s74, s0
; %bb.202:
	v_cmp_gt_f32_e64 s4, v0, v68
	s_and_b32 s4, s5, s4
	v_cndmask_b32_e64 v0, v68, v0, s4
	s_or_b32 s4, s5, exec_lo
; %bb.203:
	s_or_b32 exec_lo, exec_lo, s74
	s_andn2_b32 s0, s5, exec_lo
	s_and_b32 s4, s4, exec_lo
	s_or_b32 s5, s0, s4
	s_or_b32 exec_lo, exec_lo, s66
	s_and_saveexec_b32 s66, s30
	s_cbranch_execz .LBB767_135
.LBB767_204:
	global_load_ubyte v5, v[3:4], off offset:128
	s_waitcnt vmcnt(0)
	v_and_b32_e32 v5, 1, v5
	v_cmp_eq_u32_e64 s4, 1, v5
	s_xor_b32 s0, s4, -1
	s_mov_b32 s4, s5
	s_and_saveexec_b32 s74, s0
; %bb.205:
	v_cmp_gt_f32_e64 s4, v0, v67
	s_and_b32 s4, s5, s4
	v_cndmask_b32_e64 v0, v67, v0, s4
	s_or_b32 s4, s5, exec_lo
; %bb.206:
	s_or_b32 exec_lo, exec_lo, s74
	s_andn2_b32 s0, s5, exec_lo
	s_and_b32 s4, s4, exec_lo
	s_or_b32 s5, s0, s4
	s_or_b32 exec_lo, exec_lo, s66
	s_and_saveexec_b32 s66, s29
	s_cbranch_execz .LBB767_136
.LBB767_207:
	global_load_ubyte v5, v[3:4], off offset:160
	s_waitcnt vmcnt(0)
	v_and_b32_e32 v5, 1, v5
	v_cmp_eq_u32_e64 s4, 1, v5
	s_xor_b32 s0, s4, -1
	s_mov_b32 s4, s5
	s_and_saveexec_b32 s74, s0
; %bb.208:
	v_cmp_gt_f32_e64 s4, v0, v66
	s_and_b32 s4, s5, s4
	v_cndmask_b32_e64 v0, v66, v0, s4
	s_or_b32 s4, s5, exec_lo
; %bb.209:
	s_or_b32 exec_lo, exec_lo, s74
	s_andn2_b32 s0, s5, exec_lo
	s_and_b32 s4, s4, exec_lo
	s_or_b32 s5, s0, s4
	s_or_b32 exec_lo, exec_lo, s66
	s_and_saveexec_b32 s66, s28
	s_cbranch_execz .LBB767_137
.LBB767_210:
	global_load_ubyte v5, v[3:4], off offset:192
	s_waitcnt vmcnt(0)
	v_and_b32_e32 v5, 1, v5
	v_cmp_eq_u32_e64 s4, 1, v5
	s_xor_b32 s0, s4, -1
	s_mov_b32 s4, s5
	s_and_saveexec_b32 s74, s0
; %bb.211:
	v_cmp_gt_f32_e64 s4, v0, v65
	s_and_b32 s4, s5, s4
	v_cndmask_b32_e64 v0, v65, v0, s4
	s_or_b32 s4, s5, exec_lo
; %bb.212:
	s_or_b32 exec_lo, exec_lo, s74
	s_andn2_b32 s0, s5, exec_lo
	s_and_b32 s4, s4, exec_lo
	s_or_b32 s5, s0, s4
	s_or_b32 exec_lo, exec_lo, s66
	s_and_saveexec_b32 s66, s27
	s_cbranch_execz .LBB767_138
.LBB767_213:
	global_load_ubyte v5, v[3:4], off offset:224
	s_waitcnt vmcnt(0)
	v_and_b32_e32 v5, 1, v5
	v_cmp_eq_u32_e64 s4, 1, v5
	s_xor_b32 s0, s4, -1
	s_mov_b32 s4, s5
	s_and_saveexec_b32 s74, s0
; %bb.214:
	v_cmp_gt_f32_e64 s4, v0, v64
	s_and_b32 s4, s5, s4
	v_cndmask_b32_e64 v0, v64, v0, s4
	s_or_b32 s4, s5, exec_lo
; %bb.215:
	s_or_b32 exec_lo, exec_lo, s74
	s_andn2_b32 s0, s5, exec_lo
	s_and_b32 s4, s4, exec_lo
	s_or_b32 s5, s0, s4
	s_or_b32 exec_lo, exec_lo, s66
	s_and_saveexec_b32 s66, s26
	s_cbranch_execz .LBB767_139
.LBB767_216:
	global_load_ubyte v5, v[3:4], off offset:256
	s_waitcnt vmcnt(0)
	v_and_b32_e32 v5, 1, v5
	v_cmp_eq_u32_e64 s4, 1, v5
	s_xor_b32 s0, s4, -1
	s_mov_b32 s4, s5
	s_and_saveexec_b32 s74, s0
; %bb.217:
	v_cmp_gt_f32_e64 s4, v0, v63
	s_and_b32 s4, s5, s4
	v_cndmask_b32_e64 v0, v63, v0, s4
	s_or_b32 s4, s5, exec_lo
; %bb.218:
	s_or_b32 exec_lo, exec_lo, s74
	s_andn2_b32 s0, s5, exec_lo
	s_and_b32 s4, s4, exec_lo
	s_or_b32 s5, s0, s4
	s_or_b32 exec_lo, exec_lo, s66
	s_and_saveexec_b32 s66, s25
	s_cbranch_execz .LBB767_140
.LBB767_219:
	global_load_ubyte v5, v[3:4], off offset:288
	s_waitcnt vmcnt(0)
	v_and_b32_e32 v5, 1, v5
	v_cmp_eq_u32_e64 s4, 1, v5
	s_xor_b32 s0, s4, -1
	s_mov_b32 s4, s5
	s_and_saveexec_b32 s74, s0
; %bb.220:
	v_cmp_gt_f32_e64 s4, v0, v62
	s_and_b32 s4, s5, s4
	v_cndmask_b32_e64 v0, v62, v0, s4
	s_or_b32 s4, s5, exec_lo
; %bb.221:
	s_or_b32 exec_lo, exec_lo, s74
	s_andn2_b32 s0, s5, exec_lo
	s_and_b32 s4, s4, exec_lo
	s_or_b32 s5, s0, s4
	s_or_b32 exec_lo, exec_lo, s66
	s_and_saveexec_b32 s66, s24
	s_cbranch_execz .LBB767_141
.LBB767_222:
	global_load_ubyte v5, v[3:4], off offset:320
	s_waitcnt vmcnt(0)
	v_and_b32_e32 v5, 1, v5
	v_cmp_eq_u32_e64 s4, 1, v5
	s_xor_b32 s0, s4, -1
	s_mov_b32 s4, s5
	s_and_saveexec_b32 s74, s0
; %bb.223:
	v_cmp_gt_f32_e64 s4, v0, v61
	s_and_b32 s4, s5, s4
	v_cndmask_b32_e64 v0, v61, v0, s4
	s_or_b32 s4, s5, exec_lo
; %bb.224:
	s_or_b32 exec_lo, exec_lo, s74
	s_andn2_b32 s0, s5, exec_lo
	s_and_b32 s4, s4, exec_lo
	s_or_b32 s5, s0, s4
	s_or_b32 exec_lo, exec_lo, s66
	s_and_saveexec_b32 s66, s23
	s_cbranch_execz .LBB767_142
.LBB767_225:
	global_load_ubyte v5, v[3:4], off offset:352
	s_waitcnt vmcnt(0)
	v_and_b32_e32 v5, 1, v5
	v_cmp_eq_u32_e64 s4, 1, v5
	s_xor_b32 s0, s4, -1
	s_mov_b32 s4, s5
	s_and_saveexec_b32 s74, s0
; %bb.226:
	v_cmp_gt_f32_e64 s4, v0, v60
	s_and_b32 s4, s5, s4
	v_cndmask_b32_e64 v0, v60, v0, s4
	s_or_b32 s4, s5, exec_lo
; %bb.227:
	s_or_b32 exec_lo, exec_lo, s74
	s_andn2_b32 s0, s5, exec_lo
	s_and_b32 s4, s4, exec_lo
	s_or_b32 s5, s0, s4
	s_or_b32 exec_lo, exec_lo, s66
	s_and_saveexec_b32 s66, s22
	s_cbranch_execz .LBB767_143
.LBB767_228:
	global_load_ubyte v5, v[3:4], off offset:384
	s_waitcnt vmcnt(0)
	v_and_b32_e32 v5, 1, v5
	v_cmp_eq_u32_e64 s4, 1, v5
	s_xor_b32 s0, s4, -1
	s_mov_b32 s4, s5
	s_and_saveexec_b32 s74, s0
; %bb.229:
	v_cmp_gt_f32_e64 s4, v0, v59
	s_and_b32 s4, s5, s4
	v_cndmask_b32_e64 v0, v59, v0, s4
	s_or_b32 s4, s5, exec_lo
; %bb.230:
	s_or_b32 exec_lo, exec_lo, s74
	s_andn2_b32 s0, s5, exec_lo
	s_and_b32 s4, s4, exec_lo
	s_or_b32 s5, s0, s4
	s_or_b32 exec_lo, exec_lo, s66
	s_and_saveexec_b32 s66, s21
	s_cbranch_execz .LBB767_144
.LBB767_231:
	global_load_ubyte v5, v[3:4], off offset:416
	s_waitcnt vmcnt(0)
	v_and_b32_e32 v5, 1, v5
	v_cmp_eq_u32_e64 s4, 1, v5
	s_xor_b32 s0, s4, -1
	s_mov_b32 s4, s5
	s_and_saveexec_b32 s74, s0
; %bb.232:
	v_cmp_gt_f32_e64 s4, v0, v58
	s_and_b32 s4, s5, s4
	v_cndmask_b32_e64 v0, v58, v0, s4
	s_or_b32 s4, s5, exec_lo
; %bb.233:
	s_or_b32 exec_lo, exec_lo, s74
	s_andn2_b32 s0, s5, exec_lo
	s_and_b32 s4, s4, exec_lo
	s_or_b32 s5, s0, s4
	s_or_b32 exec_lo, exec_lo, s66
	s_and_saveexec_b32 s66, s20
	s_cbranch_execz .LBB767_145
.LBB767_234:
	global_load_ubyte v5, v[3:4], off offset:448
	s_waitcnt vmcnt(0)
	v_and_b32_e32 v5, 1, v5
	v_cmp_eq_u32_e64 s4, 1, v5
	s_xor_b32 s0, s4, -1
	s_mov_b32 s4, s5
	s_and_saveexec_b32 s74, s0
; %bb.235:
	v_cmp_gt_f32_e64 s4, v0, v57
	s_and_b32 s4, s5, s4
	v_cndmask_b32_e64 v0, v57, v0, s4
	s_or_b32 s4, s5, exec_lo
; %bb.236:
	s_or_b32 exec_lo, exec_lo, s74
	s_andn2_b32 s0, s5, exec_lo
	s_and_b32 s4, s4, exec_lo
	s_or_b32 s5, s0, s4
	s_or_b32 exec_lo, exec_lo, s66
	s_and_saveexec_b32 s66, s19
	s_cbranch_execz .LBB767_146
.LBB767_237:
	global_load_ubyte v5, v[3:4], off offset:480
	s_waitcnt vmcnt(0)
	v_and_b32_e32 v5, 1, v5
	v_cmp_eq_u32_e64 s4, 1, v5
	s_xor_b32 s0, s4, -1
	s_mov_b32 s4, s5
	s_and_saveexec_b32 s74, s0
; %bb.238:
	v_cmp_gt_f32_e64 s4, v0, v56
	s_and_b32 s4, s5, s4
	v_cndmask_b32_e64 v0, v56, v0, s4
	s_or_b32 s4, s5, exec_lo
; %bb.239:
	s_or_b32 exec_lo, exec_lo, s74
	s_andn2_b32 s0, s5, exec_lo
	s_and_b32 s4, s4, exec_lo
	s_or_b32 s5, s0, s4
	s_or_b32 exec_lo, exec_lo, s66
	s_and_saveexec_b32 s66, s18
	s_cbranch_execz .LBB767_147
.LBB767_240:
	global_load_ubyte v5, v[3:4], off offset:512
	s_waitcnt vmcnt(0)
	v_and_b32_e32 v5, 1, v5
	v_cmp_eq_u32_e64 s4, 1, v5
	s_xor_b32 s0, s4, -1
	s_mov_b32 s4, s5
	s_and_saveexec_b32 s74, s0
; %bb.241:
	v_cmp_gt_f32_e64 s4, v0, v55
	s_and_b32 s4, s5, s4
	v_cndmask_b32_e64 v0, v55, v0, s4
	s_or_b32 s4, s5, exec_lo
; %bb.242:
	s_or_b32 exec_lo, exec_lo, s74
	s_andn2_b32 s0, s5, exec_lo
	s_and_b32 s4, s4, exec_lo
	s_or_b32 s5, s0, s4
	s_or_b32 exec_lo, exec_lo, s66
	s_and_saveexec_b32 s66, s17
	s_cbranch_execz .LBB767_148
.LBB767_243:
	global_load_ubyte v5, v[3:4], off offset:544
	s_waitcnt vmcnt(0)
	v_and_b32_e32 v5, 1, v5
	v_cmp_eq_u32_e64 s4, 1, v5
	s_xor_b32 s0, s4, -1
	s_mov_b32 s4, s5
	s_and_saveexec_b32 s74, s0
; %bb.244:
	v_cmp_gt_f32_e64 s4, v0, v54
	s_and_b32 s4, s5, s4
	v_cndmask_b32_e64 v0, v54, v0, s4
	s_or_b32 s4, s5, exec_lo
; %bb.245:
	s_or_b32 exec_lo, exec_lo, s74
	s_andn2_b32 s0, s5, exec_lo
	s_and_b32 s4, s4, exec_lo
	s_or_b32 s5, s0, s4
	s_or_b32 exec_lo, exec_lo, s66
	s_and_saveexec_b32 s66, s16
	s_cbranch_execz .LBB767_149
.LBB767_246:
	global_load_ubyte v5, v[3:4], off offset:576
	s_waitcnt vmcnt(0)
	v_and_b32_e32 v5, 1, v5
	v_cmp_eq_u32_e64 s4, 1, v5
	s_xor_b32 s0, s4, -1
	s_mov_b32 s4, s5
	s_and_saveexec_b32 s74, s0
; %bb.247:
	v_cmp_gt_f32_e64 s4, v0, v53
	s_and_b32 s4, s5, s4
	v_cndmask_b32_e64 v0, v53, v0, s4
	s_or_b32 s4, s5, exec_lo
; %bb.248:
	s_or_b32 exec_lo, exec_lo, s74
	s_andn2_b32 s0, s5, exec_lo
	s_and_b32 s4, s4, exec_lo
	s_or_b32 s5, s0, s4
	s_or_b32 exec_lo, exec_lo, s66
	s_and_saveexec_b32 s66, s15
	s_cbranch_execz .LBB767_150
.LBB767_249:
	global_load_ubyte v5, v[3:4], off offset:608
	s_waitcnt vmcnt(0)
	v_and_b32_e32 v5, 1, v5
	v_cmp_eq_u32_e64 s4, 1, v5
	s_xor_b32 s0, s4, -1
	s_mov_b32 s4, s5
	s_and_saveexec_b32 s74, s0
; %bb.250:
	v_cmp_gt_f32_e64 s4, v0, v52
	s_and_b32 s4, s5, s4
	v_cndmask_b32_e64 v0, v52, v0, s4
	s_or_b32 s4, s5, exec_lo
; %bb.251:
	s_or_b32 exec_lo, exec_lo, s74
	s_andn2_b32 s0, s5, exec_lo
	s_and_b32 s4, s4, exec_lo
	s_or_b32 s5, s0, s4
	s_or_b32 exec_lo, exec_lo, s66
	s_and_saveexec_b32 s66, s14
	s_cbranch_execz .LBB767_151
.LBB767_252:
	global_load_ubyte v5, v[3:4], off offset:640
	s_waitcnt vmcnt(0)
	v_and_b32_e32 v5, 1, v5
	v_cmp_eq_u32_e64 s4, 1, v5
	s_xor_b32 s0, s4, -1
	s_mov_b32 s4, s5
	s_and_saveexec_b32 s74, s0
; %bb.253:
	v_cmp_gt_f32_e64 s4, v0, v51
	s_and_b32 s4, s5, s4
	v_cndmask_b32_e64 v0, v51, v0, s4
	s_or_b32 s4, s5, exec_lo
; %bb.254:
	s_or_b32 exec_lo, exec_lo, s74
	s_andn2_b32 s0, s5, exec_lo
	s_and_b32 s4, s4, exec_lo
	s_or_b32 s5, s0, s4
	s_or_b32 exec_lo, exec_lo, s66
	s_and_saveexec_b32 s66, s13
	s_cbranch_execz .LBB767_152
.LBB767_255:
	global_load_ubyte v5, v[3:4], off offset:672
	s_waitcnt vmcnt(0)
	v_and_b32_e32 v5, 1, v5
	v_cmp_eq_u32_e64 s4, 1, v5
	s_xor_b32 s0, s4, -1
	s_mov_b32 s4, s5
	s_and_saveexec_b32 s74, s0
; %bb.256:
	v_cmp_gt_f32_e64 s4, v0, v50
	s_and_b32 s4, s5, s4
	v_cndmask_b32_e64 v0, v50, v0, s4
	s_or_b32 s4, s5, exec_lo
; %bb.257:
	s_or_b32 exec_lo, exec_lo, s74
	s_andn2_b32 s0, s5, exec_lo
	s_and_b32 s4, s4, exec_lo
	s_or_b32 s5, s0, s4
	s_or_b32 exec_lo, exec_lo, s66
	s_and_saveexec_b32 s66, s12
	s_cbranch_execz .LBB767_153
.LBB767_258:
	global_load_ubyte v5, v[3:4], off offset:704
	s_waitcnt vmcnt(0)
	v_and_b32_e32 v5, 1, v5
	v_cmp_eq_u32_e64 s4, 1, v5
	s_xor_b32 s0, s4, -1
	s_mov_b32 s4, s5
	s_and_saveexec_b32 s74, s0
; %bb.259:
	v_cmp_gt_f32_e64 s4, v0, v49
	s_and_b32 s4, s5, s4
	v_cndmask_b32_e64 v0, v49, v0, s4
	s_or_b32 s4, s5, exec_lo
; %bb.260:
	s_or_b32 exec_lo, exec_lo, s74
	s_andn2_b32 s0, s5, exec_lo
	s_and_b32 s4, s4, exec_lo
	s_or_b32 s5, s0, s4
	s_or_b32 exec_lo, exec_lo, s66
	s_and_saveexec_b32 s66, s11
	s_cbranch_execz .LBB767_154
.LBB767_261:
	global_load_ubyte v5, v[3:4], off offset:736
	s_waitcnt vmcnt(0)
	v_and_b32_e32 v5, 1, v5
	v_cmp_eq_u32_e64 s4, 1, v5
	s_xor_b32 s0, s4, -1
	s_mov_b32 s4, s5
	s_and_saveexec_b32 s74, s0
; %bb.262:
	v_cmp_gt_f32_e64 s4, v0, v48
	s_and_b32 s4, s5, s4
	v_cndmask_b32_e64 v0, v48, v0, s4
	s_or_b32 s4, s5, exec_lo
; %bb.263:
	s_or_b32 exec_lo, exec_lo, s74
	s_andn2_b32 s0, s5, exec_lo
	s_and_b32 s4, s4, exec_lo
	s_or_b32 s5, s0, s4
	s_or_b32 exec_lo, exec_lo, s66
	s_and_saveexec_b32 s66, s10
	s_cbranch_execz .LBB767_155
.LBB767_264:
	global_load_ubyte v5, v[3:4], off offset:768
	s_waitcnt vmcnt(0)
	v_and_b32_e32 v5, 1, v5
	v_cmp_eq_u32_e64 s4, 1, v5
	s_xor_b32 s0, s4, -1
	s_mov_b32 s4, s5
	s_and_saveexec_b32 s74, s0
; %bb.265:
	v_cmp_gt_f32_e64 s4, v0, v47
	s_and_b32 s4, s5, s4
	v_cndmask_b32_e64 v0, v47, v0, s4
	s_or_b32 s4, s5, exec_lo
; %bb.266:
	s_or_b32 exec_lo, exec_lo, s74
	s_andn2_b32 s0, s5, exec_lo
	s_and_b32 s4, s4, exec_lo
	s_or_b32 s5, s0, s4
	s_or_b32 exec_lo, exec_lo, s66
	s_and_saveexec_b32 s66, s9
	s_cbranch_execz .LBB767_156
.LBB767_267:
	global_load_ubyte v5, v[3:4], off offset:800
	s_waitcnt vmcnt(0)
	v_and_b32_e32 v5, 1, v5
	v_cmp_eq_u32_e64 s4, 1, v5
	s_xor_b32 s0, s4, -1
	s_mov_b32 s4, s5
	s_and_saveexec_b32 s74, s0
; %bb.268:
	v_cmp_gt_f32_e64 s4, v0, v46
	s_and_b32 s4, s5, s4
	v_cndmask_b32_e64 v0, v46, v0, s4
	s_or_b32 s4, s5, exec_lo
; %bb.269:
	s_or_b32 exec_lo, exec_lo, s74
	s_andn2_b32 s0, s5, exec_lo
	s_and_b32 s4, s4, exec_lo
	s_or_b32 s5, s0, s4
	s_or_b32 exec_lo, exec_lo, s66
	s_and_saveexec_b32 s66, s8
	s_cbranch_execz .LBB767_157
.LBB767_270:
	global_load_ubyte v5, v[3:4], off offset:832
	s_waitcnt vmcnt(0)
	v_and_b32_e32 v5, 1, v5
	v_cmp_eq_u32_e64 s4, 1, v5
	s_xor_b32 s0, s4, -1
	s_mov_b32 s4, s5
	s_and_saveexec_b32 s74, s0
; %bb.271:
	v_cmp_gt_f32_e64 s4, v0, v45
	s_and_b32 s4, s5, s4
	v_cndmask_b32_e64 v0, v45, v0, s4
	s_or_b32 s4, s5, exec_lo
; %bb.272:
	s_or_b32 exec_lo, exec_lo, s74
	s_andn2_b32 s0, s5, exec_lo
	s_and_b32 s4, s4, exec_lo
	s_or_b32 s5, s0, s4
	s_or_b32 exec_lo, exec_lo, s66
	s_and_saveexec_b32 s66, s7
	s_cbranch_execz .LBB767_158
.LBB767_273:
	global_load_ubyte v5, v[3:4], off offset:864
	s_waitcnt vmcnt(0)
	v_and_b32_e32 v5, 1, v5
	v_cmp_eq_u32_e64 s4, 1, v5
	s_xor_b32 s0, s4, -1
	s_mov_b32 s4, s5
	s_and_saveexec_b32 s74, s0
; %bb.274:
	v_cmp_gt_f32_e64 s4, v0, v44
	s_and_b32 s4, s5, s4
	v_cndmask_b32_e64 v0, v44, v0, s4
	s_or_b32 s4, s5, exec_lo
; %bb.275:
	s_or_b32 exec_lo, exec_lo, s74
	s_andn2_b32 s0, s5, exec_lo
	s_and_b32 s4, s4, exec_lo
	s_or_b32 s5, s0, s4
	s_or_b32 exec_lo, exec_lo, s66
	s_and_saveexec_b32 s66, s6
	s_cbranch_execz .LBB767_159
.LBB767_276:
	global_load_ubyte v5, v[3:4], off offset:896
	s_waitcnt vmcnt(0)
	v_and_b32_e32 v5, 1, v5
	v_cmp_eq_u32_e64 s4, 1, v5
	s_xor_b32 s0, s4, -1
	s_mov_b32 s4, s5
	s_and_saveexec_b32 s74, s0
; %bb.277:
	v_cmp_gt_f32_e64 s4, v0, v43
	s_and_b32 s4, s5, s4
	v_cndmask_b32_e64 v0, v43, v0, s4
	s_or_b32 s4, s5, exec_lo
; %bb.278:
	s_or_b32 exec_lo, exec_lo, s74
	s_andn2_b32 s0, s5, exec_lo
	s_and_b32 s4, s4, exec_lo
	s_or_b32 s5, s0, s4
	s_or_b32 exec_lo, exec_lo, s66
	s_and_saveexec_b32 s66, s3
	s_cbranch_execz .LBB767_160
.LBB767_279:
	global_load_ubyte v5, v[3:4], off offset:928
	s_waitcnt vmcnt(0)
	v_and_b32_e32 v5, 1, v5
	v_cmp_eq_u32_e64 s4, 1, v5
	s_xor_b32 s0, s4, -1
	s_mov_b32 s4, s5
	s_and_saveexec_b32 s74, s0
; %bb.280:
	v_cmp_gt_f32_e64 s4, v0, v42
	s_and_b32 s4, s5, s4
	v_cndmask_b32_e64 v0, v42, v0, s4
	s_or_b32 s4, s5, exec_lo
; %bb.281:
	s_or_b32 exec_lo, exec_lo, s74
	s_andn2_b32 s0, s5, exec_lo
	s_and_b32 s4, s4, exec_lo
	s_or_b32 s5, s0, s4
	s_or_b32 exec_lo, exec_lo, s66
	s_and_saveexec_b32 s66, s2
	s_cbranch_execz .LBB767_161
.LBB767_282:
	global_load_ubyte v5, v[3:4], off offset:960
	s_waitcnt vmcnt(0)
	v_and_b32_e32 v5, 1, v5
	v_cmp_eq_u32_e64 s4, 1, v5
	s_xor_b32 s0, s4, -1
	s_mov_b32 s4, s5
	s_and_saveexec_b32 s74, s0
; %bb.283:
	v_cmp_gt_f32_e64 s4, v0, v41
	s_and_b32 s4, s5, s4
	v_cndmask_b32_e64 v0, v41, v0, s4
	s_or_b32 s4, s5, exec_lo
; %bb.284:
	s_or_b32 exec_lo, exec_lo, s74
	s_andn2_b32 s0, s5, exec_lo
	s_and_b32 s4, s4, exec_lo
	s_or_b32 s5, s0, s4
	s_or_b32 exec_lo, exec_lo, s66
	s_and_saveexec_b32 s66, s1
	s_cbranch_execz .LBB767_162
.LBB767_285:
	global_load_ubyte v5, v[3:4], off offset:992
	s_waitcnt vmcnt(0)
	v_and_b32_e32 v5, 1, v5
	v_cmp_eq_u32_e64 s4, 1, v5
	s_xor_b32 s0, s4, -1
	s_mov_b32 s4, s5
	s_and_saveexec_b32 s74, s0
; %bb.286:
	v_cmp_gt_f32_e64 s4, v0, v40
	s_and_b32 s4, s5, s4
	v_cndmask_b32_e64 v0, v40, v0, s4
	s_or_b32 s4, s5, exec_lo
; %bb.287:
	s_or_b32 exec_lo, exec_lo, s74
	s_andn2_b32 s0, s5, exec_lo
	s_and_b32 s4, s4, exec_lo
	s_or_b32 s5, s0, s4
	s_or_b32 exec_lo, exec_lo, s66
	s_and_saveexec_b32 s66, vcc_hi
	s_cbranch_execz .LBB767_163
.LBB767_288:
	global_load_ubyte v5, v[3:4], off offset:1024
	s_waitcnt vmcnt(0)
	v_and_b32_e32 v5, 1, v5
	v_cmp_eq_u32_e64 s4, 1, v5
	s_xor_b32 s0, s4, -1
	s_mov_b32 s4, s5
	s_and_saveexec_b32 s74, s0
; %bb.289:
	v_cmp_gt_f32_e64 s4, v0, v39
	s_and_b32 s4, s5, s4
	v_cndmask_b32_e64 v0, v39, v0, s4
	s_or_b32 s4, s5, exec_lo
; %bb.290:
	s_or_b32 exec_lo, exec_lo, s74
	s_andn2_b32 s0, s5, exec_lo
	s_and_b32 s4, s4, exec_lo
	s_or_b32 s5, s0, s4
	s_or_b32 exec_lo, exec_lo, s66
	s_and_saveexec_b32 s66, s104
	s_cbranch_execz .LBB767_164
.LBB767_291:
	global_load_ubyte v5, v[3:4], off offset:1056
	s_waitcnt vmcnt(0)
	v_and_b32_e32 v5, 1, v5
	v_cmp_eq_u32_e64 s4, 1, v5
	s_xor_b32 s0, s4, -1
	s_mov_b32 s4, s5
	s_and_saveexec_b32 s74, s0
; %bb.292:
	v_cmp_gt_f32_e64 s4, v0, v38
	s_and_b32 s4, s5, s4
	v_cndmask_b32_e64 v0, v38, v0, s4
	s_or_b32 s4, s5, exec_lo
; %bb.293:
	s_or_b32 exec_lo, exec_lo, s74
	s_andn2_b32 s0, s5, exec_lo
	s_and_b32 s4, s4, exec_lo
	s_or_b32 s5, s0, s4
	s_or_b32 exec_lo, exec_lo, s66
	s_and_saveexec_b32 s66, s99
	s_cbranch_execz .LBB767_165
.LBB767_294:
	global_load_ubyte v5, v[3:4], off offset:1088
	s_waitcnt vmcnt(0)
	v_and_b32_e32 v5, 1, v5
	v_cmp_eq_u32_e64 s4, 1, v5
	s_xor_b32 s0, s4, -1
	s_mov_b32 s4, s5
	s_and_saveexec_b32 s74, s0
; %bb.295:
	v_cmp_gt_f32_e64 s4, v0, v37
	s_and_b32 s4, s5, s4
	v_cndmask_b32_e64 v0, v37, v0, s4
	s_or_b32 s4, s5, exec_lo
; %bb.296:
	s_or_b32 exec_lo, exec_lo, s74
	s_andn2_b32 s0, s5, exec_lo
	s_and_b32 s4, s4, exec_lo
	s_or_b32 s5, s0, s4
	s_or_b32 exec_lo, exec_lo, s66
	s_and_saveexec_b32 s66, s98
	s_cbranch_execz .LBB767_166
.LBB767_297:
	global_load_ubyte v5, v[3:4], off offset:1120
	s_waitcnt vmcnt(0)
	v_and_b32_e32 v5, 1, v5
	v_cmp_eq_u32_e64 s4, 1, v5
	s_xor_b32 s0, s4, -1
	s_mov_b32 s4, s5
	s_and_saveexec_b32 s74, s0
; %bb.298:
	v_cmp_gt_f32_e64 s4, v0, v36
	s_and_b32 s4, s5, s4
	v_cndmask_b32_e64 v0, v36, v0, s4
	s_or_b32 s4, s5, exec_lo
; %bb.299:
	s_or_b32 exec_lo, exec_lo, s74
	s_andn2_b32 s0, s5, exec_lo
	s_and_b32 s4, s4, exec_lo
	s_or_b32 s5, s0, s4
	s_or_b32 exec_lo, exec_lo, s66
	s_and_saveexec_b32 s66, s97
	s_cbranch_execz .LBB767_167
.LBB767_300:
	global_load_ubyte v5, v[3:4], off offset:1152
	s_waitcnt vmcnt(0)
	v_and_b32_e32 v5, 1, v5
	v_cmp_eq_u32_e64 s4, 1, v5
	s_xor_b32 s0, s4, -1
	s_mov_b32 s4, s5
	s_and_saveexec_b32 s74, s0
; %bb.301:
	v_cmp_gt_f32_e64 s4, v0, v35
	s_and_b32 s4, s5, s4
	v_cndmask_b32_e64 v0, v35, v0, s4
	s_or_b32 s4, s5, exec_lo
; %bb.302:
	s_or_b32 exec_lo, exec_lo, s74
	s_andn2_b32 s0, s5, exec_lo
	s_and_b32 s4, s4, exec_lo
	s_or_b32 s5, s0, s4
	s_or_b32 exec_lo, exec_lo, s66
	s_and_saveexec_b32 s66, s96
	s_cbranch_execz .LBB767_168
.LBB767_303:
	global_load_ubyte v5, v[3:4], off offset:1184
	s_waitcnt vmcnt(0)
	v_and_b32_e32 v5, 1, v5
	v_cmp_eq_u32_e64 s4, 1, v5
	s_xor_b32 s0, s4, -1
	s_mov_b32 s4, s5
	s_and_saveexec_b32 s74, s0
; %bb.304:
	v_cmp_gt_f32_e64 s4, v0, v34
	s_and_b32 s4, s5, s4
	v_cndmask_b32_e64 v0, v34, v0, s4
	s_or_b32 s4, s5, exec_lo
; %bb.305:
	s_or_b32 exec_lo, exec_lo, s74
	s_andn2_b32 s0, s5, exec_lo
	s_and_b32 s4, s4, exec_lo
	s_or_b32 s5, s0, s4
	s_or_b32 exec_lo, exec_lo, s66
	s_and_saveexec_b32 s66, s95
	s_cbranch_execz .LBB767_169
.LBB767_306:
	global_load_ubyte v5, v[3:4], off offset:1216
	s_waitcnt vmcnt(0)
	v_and_b32_e32 v5, 1, v5
	v_cmp_eq_u32_e64 s4, 1, v5
	s_xor_b32 s0, s4, -1
	s_mov_b32 s4, s5
	s_and_saveexec_b32 s74, s0
; %bb.307:
	v_cmp_gt_f32_e64 s4, v0, v33
	s_and_b32 s4, s5, s4
	v_cndmask_b32_e64 v0, v33, v0, s4
	s_or_b32 s4, s5, exec_lo
; %bb.308:
	s_or_b32 exec_lo, exec_lo, s74
	s_andn2_b32 s0, s5, exec_lo
	s_and_b32 s4, s4, exec_lo
	s_or_b32 s5, s0, s4
	s_or_b32 exec_lo, exec_lo, s66
	s_and_saveexec_b32 s66, s94
	s_cbranch_execz .LBB767_170
.LBB767_309:
	global_load_ubyte v5, v[3:4], off offset:1248
	s_waitcnt vmcnt(0)
	v_and_b32_e32 v5, 1, v5
	v_cmp_eq_u32_e64 s4, 1, v5
	s_xor_b32 s0, s4, -1
	s_mov_b32 s4, s5
	s_and_saveexec_b32 s74, s0
; %bb.310:
	v_cmp_gt_f32_e64 s4, v0, v32
	s_and_b32 s4, s5, s4
	v_cndmask_b32_e64 v0, v32, v0, s4
	s_or_b32 s4, s5, exec_lo
; %bb.311:
	s_or_b32 exec_lo, exec_lo, s74
	s_andn2_b32 s0, s5, exec_lo
	s_and_b32 s4, s4, exec_lo
	s_or_b32 s5, s0, s4
	s_or_b32 exec_lo, exec_lo, s66
	s_and_saveexec_b32 s66, s93
	s_cbranch_execz .LBB767_171
.LBB767_312:
	global_load_ubyte v5, v[3:4], off offset:1280
	s_waitcnt vmcnt(0)
	v_and_b32_e32 v5, 1, v5
	v_cmp_eq_u32_e64 s4, 1, v5
	s_xor_b32 s0, s4, -1
	s_mov_b32 s4, s5
	s_and_saveexec_b32 s74, s0
; %bb.313:
	v_cmp_gt_f32_e64 s4, v0, v31
	s_and_b32 s4, s5, s4
	v_cndmask_b32_e64 v0, v31, v0, s4
	s_or_b32 s4, s5, exec_lo
; %bb.314:
	s_or_b32 exec_lo, exec_lo, s74
	s_andn2_b32 s0, s5, exec_lo
	s_and_b32 s4, s4, exec_lo
	s_or_b32 s5, s0, s4
	s_or_b32 exec_lo, exec_lo, s66
	s_and_saveexec_b32 s66, s92
	s_cbranch_execz .LBB767_172
.LBB767_315:
	global_load_ubyte v5, v[3:4], off offset:1312
	s_waitcnt vmcnt(0)
	v_and_b32_e32 v5, 1, v5
	v_cmp_eq_u32_e64 s4, 1, v5
	s_xor_b32 s0, s4, -1
	s_mov_b32 s4, s5
	s_and_saveexec_b32 s74, s0
; %bb.316:
	v_cmp_gt_f32_e64 s4, v0, v30
	s_and_b32 s4, s5, s4
	v_cndmask_b32_e64 v0, v30, v0, s4
	s_or_b32 s4, s5, exec_lo
; %bb.317:
	s_or_b32 exec_lo, exec_lo, s74
	s_andn2_b32 s0, s5, exec_lo
	s_and_b32 s4, s4, exec_lo
	s_or_b32 s5, s0, s4
	s_or_b32 exec_lo, exec_lo, s66
	s_and_saveexec_b32 s66, s91
	s_cbranch_execz .LBB767_173
.LBB767_318:
	global_load_ubyte v5, v[3:4], off offset:1344
	s_waitcnt vmcnt(0)
	v_and_b32_e32 v5, 1, v5
	v_cmp_eq_u32_e64 s4, 1, v5
	s_xor_b32 s0, s4, -1
	s_mov_b32 s4, s5
	s_and_saveexec_b32 s74, s0
; %bb.319:
	v_cmp_gt_f32_e64 s4, v0, v29
	s_and_b32 s4, s5, s4
	v_cndmask_b32_e64 v0, v29, v0, s4
	s_or_b32 s4, s5, exec_lo
; %bb.320:
	s_or_b32 exec_lo, exec_lo, s74
	s_andn2_b32 s0, s5, exec_lo
	s_and_b32 s4, s4, exec_lo
	s_or_b32 s5, s0, s4
	s_or_b32 exec_lo, exec_lo, s66
	s_and_saveexec_b32 s66, s90
	s_cbranch_execz .LBB767_174
.LBB767_321:
	global_load_ubyte v5, v[3:4], off offset:1376
	s_waitcnt vmcnt(0)
	v_and_b32_e32 v5, 1, v5
	v_cmp_eq_u32_e64 s4, 1, v5
	s_xor_b32 s0, s4, -1
	s_mov_b32 s4, s5
	s_and_saveexec_b32 s74, s0
; %bb.322:
	v_cmp_gt_f32_e64 s4, v0, v28
	s_and_b32 s4, s5, s4
	v_cndmask_b32_e64 v0, v28, v0, s4
	s_or_b32 s4, s5, exec_lo
; %bb.323:
	s_or_b32 exec_lo, exec_lo, s74
	s_andn2_b32 s0, s5, exec_lo
	s_and_b32 s4, s4, exec_lo
	s_or_b32 s5, s0, s4
	s_or_b32 exec_lo, exec_lo, s66
	s_and_saveexec_b32 s66, s89
	s_cbranch_execz .LBB767_175
.LBB767_324:
	global_load_ubyte v5, v[3:4], off offset:1408
	s_waitcnt vmcnt(0)
	v_and_b32_e32 v5, 1, v5
	v_cmp_eq_u32_e64 s4, 1, v5
	s_xor_b32 s0, s4, -1
	s_mov_b32 s4, s5
	s_and_saveexec_b32 s74, s0
; %bb.325:
	v_cmp_gt_f32_e64 s4, v0, v27
	s_and_b32 s4, s5, s4
	v_cndmask_b32_e64 v0, v27, v0, s4
	s_or_b32 s4, s5, exec_lo
; %bb.326:
	s_or_b32 exec_lo, exec_lo, s74
	s_andn2_b32 s0, s5, exec_lo
	s_and_b32 s4, s4, exec_lo
	s_or_b32 s5, s0, s4
	s_or_b32 exec_lo, exec_lo, s66
	s_and_saveexec_b32 s66, s88
	s_cbranch_execz .LBB767_176
.LBB767_327:
	global_load_ubyte v5, v[3:4], off offset:1440
	s_waitcnt vmcnt(0)
	v_and_b32_e32 v5, 1, v5
	v_cmp_eq_u32_e64 s4, 1, v5
	s_xor_b32 s0, s4, -1
	s_mov_b32 s4, s5
	s_and_saveexec_b32 s74, s0
; %bb.328:
	v_cmp_gt_f32_e64 s4, v0, v26
	s_and_b32 s4, s5, s4
	v_cndmask_b32_e64 v0, v26, v0, s4
	s_or_b32 s4, s5, exec_lo
; %bb.329:
	s_or_b32 exec_lo, exec_lo, s74
	s_andn2_b32 s0, s5, exec_lo
	s_and_b32 s4, s4, exec_lo
	s_or_b32 s5, s0, s4
	s_or_b32 exec_lo, exec_lo, s66
	s_and_saveexec_b32 s66, s87
	s_cbranch_execz .LBB767_177
.LBB767_330:
	global_load_ubyte v5, v[3:4], off offset:1472
	s_waitcnt vmcnt(0)
	v_and_b32_e32 v5, 1, v5
	v_cmp_eq_u32_e64 s4, 1, v5
	s_xor_b32 s0, s4, -1
	s_mov_b32 s4, s5
	s_and_saveexec_b32 s74, s0
; %bb.331:
	v_cmp_gt_f32_e64 s4, v0, v25
	s_and_b32 s4, s5, s4
	v_cndmask_b32_e64 v0, v25, v0, s4
	s_or_b32 s4, s5, exec_lo
; %bb.332:
	s_or_b32 exec_lo, exec_lo, s74
	s_andn2_b32 s0, s5, exec_lo
	s_and_b32 s4, s4, exec_lo
	s_or_b32 s5, s0, s4
	s_or_b32 exec_lo, exec_lo, s66
	s_and_saveexec_b32 s66, s86
	s_cbranch_execz .LBB767_178
.LBB767_333:
	global_load_ubyte v5, v[3:4], off offset:1504
	s_waitcnt vmcnt(0)
	v_and_b32_e32 v5, 1, v5
	v_cmp_eq_u32_e64 s4, 1, v5
	s_xor_b32 s0, s4, -1
	s_mov_b32 s4, s5
	s_and_saveexec_b32 s74, s0
; %bb.334:
	v_cmp_gt_f32_e64 s4, v0, v24
	s_and_b32 s4, s5, s4
	v_cndmask_b32_e64 v0, v24, v0, s4
	s_or_b32 s4, s5, exec_lo
; %bb.335:
	s_or_b32 exec_lo, exec_lo, s74
	s_andn2_b32 s0, s5, exec_lo
	s_and_b32 s4, s4, exec_lo
	s_or_b32 s5, s0, s4
	s_or_b32 exec_lo, exec_lo, s66
	s_and_saveexec_b32 s66, s85
	s_cbranch_execz .LBB767_179
.LBB767_336:
	global_load_ubyte v5, v[3:4], off offset:1536
	s_waitcnt vmcnt(0)
	v_and_b32_e32 v5, 1, v5
	v_cmp_eq_u32_e64 s4, 1, v5
	s_xor_b32 s0, s4, -1
	s_mov_b32 s4, s5
	s_and_saveexec_b32 s74, s0
; %bb.337:
	v_cmp_gt_f32_e64 s4, v0, v23
	s_and_b32 s4, s5, s4
	v_cndmask_b32_e64 v0, v23, v0, s4
	s_or_b32 s4, s5, exec_lo
; %bb.338:
	s_or_b32 exec_lo, exec_lo, s74
	s_andn2_b32 s0, s5, exec_lo
	s_and_b32 s4, s4, exec_lo
	s_or_b32 s5, s0, s4
	s_or_b32 exec_lo, exec_lo, s66
	s_and_saveexec_b32 s66, s84
	s_cbranch_execz .LBB767_180
.LBB767_339:
	global_load_ubyte v5, v[3:4], off offset:1568
	s_waitcnt vmcnt(0)
	v_and_b32_e32 v5, 1, v5
	v_cmp_eq_u32_e64 s4, 1, v5
	s_xor_b32 s0, s4, -1
	s_mov_b32 s4, s5
	s_and_saveexec_b32 s74, s0
; %bb.340:
	v_cmp_gt_f32_e64 s4, v0, v22
	s_and_b32 s4, s5, s4
	v_cndmask_b32_e64 v0, v22, v0, s4
	s_or_b32 s4, s5, exec_lo
; %bb.341:
	s_or_b32 exec_lo, exec_lo, s74
	s_andn2_b32 s0, s5, exec_lo
	s_and_b32 s4, s4, exec_lo
	s_or_b32 s5, s0, s4
	s_or_b32 exec_lo, exec_lo, s66
	s_and_saveexec_b32 s66, s83
	s_cbranch_execz .LBB767_181
.LBB767_342:
	global_load_ubyte v5, v[3:4], off offset:1600
	s_waitcnt vmcnt(0)
	v_and_b32_e32 v5, 1, v5
	v_cmp_eq_u32_e64 s4, 1, v5
	s_xor_b32 s0, s4, -1
	s_mov_b32 s4, s5
	s_and_saveexec_b32 s74, s0
; %bb.343:
	v_cmp_gt_f32_e64 s4, v0, v21
	s_and_b32 s4, s5, s4
	v_cndmask_b32_e64 v0, v21, v0, s4
	s_or_b32 s4, s5, exec_lo
; %bb.344:
	s_or_b32 exec_lo, exec_lo, s74
	s_andn2_b32 s0, s5, exec_lo
	s_and_b32 s4, s4, exec_lo
	s_or_b32 s5, s0, s4
	s_or_b32 exec_lo, exec_lo, s66
	s_and_saveexec_b32 s66, s82
	s_cbranch_execz .LBB767_182
.LBB767_345:
	global_load_ubyte v5, v[3:4], off offset:1632
	s_waitcnt vmcnt(0)
	v_and_b32_e32 v5, 1, v5
	v_cmp_eq_u32_e64 s4, 1, v5
	s_xor_b32 s0, s4, -1
	s_mov_b32 s4, s5
	s_and_saveexec_b32 s74, s0
; %bb.346:
	v_cmp_gt_f32_e64 s4, v0, v20
	s_and_b32 s4, s5, s4
	v_cndmask_b32_e64 v0, v20, v0, s4
	s_or_b32 s4, s5, exec_lo
; %bb.347:
	s_or_b32 exec_lo, exec_lo, s74
	s_andn2_b32 s0, s5, exec_lo
	s_and_b32 s4, s4, exec_lo
	s_or_b32 s5, s0, s4
	s_or_b32 exec_lo, exec_lo, s66
	s_and_saveexec_b32 s66, s81
	s_cbranch_execz .LBB767_183
.LBB767_348:
	global_load_ubyte v5, v[3:4], off offset:1664
	s_waitcnt vmcnt(0)
	v_and_b32_e32 v5, 1, v5
	v_cmp_eq_u32_e64 s4, 1, v5
	s_xor_b32 s0, s4, -1
	s_mov_b32 s4, s5
	s_and_saveexec_b32 s74, s0
; %bb.349:
	v_cmp_gt_f32_e64 s4, v0, v19
	s_and_b32 s4, s5, s4
	v_cndmask_b32_e64 v0, v19, v0, s4
	s_or_b32 s4, s5, exec_lo
; %bb.350:
	s_or_b32 exec_lo, exec_lo, s74
	s_andn2_b32 s0, s5, exec_lo
	s_and_b32 s4, s4, exec_lo
	s_or_b32 s5, s0, s4
	s_or_b32 exec_lo, exec_lo, s66
	s_and_saveexec_b32 s66, s80
	s_cbranch_execz .LBB767_184
.LBB767_351:
	global_load_ubyte v5, v[3:4], off offset:1696
	s_waitcnt vmcnt(0)
	v_and_b32_e32 v5, 1, v5
	v_cmp_eq_u32_e64 s4, 1, v5
	s_xor_b32 s0, s4, -1
	s_mov_b32 s4, s5
	s_and_saveexec_b32 s74, s0
; %bb.352:
	v_cmp_gt_f32_e64 s4, v0, v18
	s_and_b32 s4, s5, s4
	v_cndmask_b32_e64 v0, v18, v0, s4
	s_or_b32 s4, s5, exec_lo
; %bb.353:
	s_or_b32 exec_lo, exec_lo, s74
	s_andn2_b32 s0, s5, exec_lo
	s_and_b32 s4, s4, exec_lo
	s_or_b32 s5, s0, s4
	s_or_b32 exec_lo, exec_lo, s66
	s_and_saveexec_b32 s66, s79
	s_cbranch_execz .LBB767_185
.LBB767_354:
	global_load_ubyte v5, v[3:4], off offset:1728
	s_waitcnt vmcnt(0)
	v_and_b32_e32 v5, 1, v5
	v_cmp_eq_u32_e64 s4, 1, v5
	s_xor_b32 s0, s4, -1
	s_mov_b32 s4, s5
	s_and_saveexec_b32 s74, s0
; %bb.355:
	v_cmp_gt_f32_e64 s4, v0, v17
	s_and_b32 s4, s5, s4
	v_cndmask_b32_e64 v0, v17, v0, s4
	s_or_b32 s4, s5, exec_lo
; %bb.356:
	s_or_b32 exec_lo, exec_lo, s74
	s_andn2_b32 s0, s5, exec_lo
	s_and_b32 s4, s4, exec_lo
	s_or_b32 s5, s0, s4
	s_or_b32 exec_lo, exec_lo, s66
	s_and_saveexec_b32 s66, s78
	s_cbranch_execz .LBB767_186
.LBB767_357:
	global_load_ubyte v5, v[3:4], off offset:1760
	s_waitcnt vmcnt(0)
	v_and_b32_e32 v5, 1, v5
	v_cmp_eq_u32_e64 s4, 1, v5
	s_xor_b32 s0, s4, -1
	s_mov_b32 s4, s5
	s_and_saveexec_b32 s74, s0
; %bb.358:
	v_cmp_gt_f32_e64 s4, v0, v16
	s_and_b32 s4, s5, s4
	v_cndmask_b32_e64 v0, v16, v0, s4
	s_or_b32 s4, s5, exec_lo
; %bb.359:
	s_or_b32 exec_lo, exec_lo, s74
	s_andn2_b32 s0, s5, exec_lo
	s_and_b32 s4, s4, exec_lo
	s_or_b32 s5, s0, s4
	s_or_b32 exec_lo, exec_lo, s66
	s_and_saveexec_b32 s66, s77
	s_cbranch_execz .LBB767_187
.LBB767_360:
	global_load_ubyte v5, v[3:4], off offset:1792
	s_waitcnt vmcnt(0)
	v_and_b32_e32 v5, 1, v5
	v_cmp_eq_u32_e64 s4, 1, v5
	s_xor_b32 s0, s4, -1
	s_mov_b32 s4, s5
	s_and_saveexec_b32 s74, s0
; %bb.361:
	v_cmp_gt_f32_e64 s4, v0, v15
	s_and_b32 s4, s5, s4
	v_cndmask_b32_e64 v0, v15, v0, s4
	s_or_b32 s4, s5, exec_lo
; %bb.362:
	s_or_b32 exec_lo, exec_lo, s74
	s_andn2_b32 s0, s5, exec_lo
	s_and_b32 s4, s4, exec_lo
	s_or_b32 s5, s0, s4
	s_or_b32 exec_lo, exec_lo, s66
	s_and_saveexec_b32 s66, s76
	s_cbranch_execz .LBB767_188
.LBB767_363:
	global_load_ubyte v5, v[3:4], off offset:1824
	s_waitcnt vmcnt(0)
	v_and_b32_e32 v5, 1, v5
	v_cmp_eq_u32_e64 s4, 1, v5
	s_xor_b32 s0, s4, -1
	s_mov_b32 s4, s5
	s_and_saveexec_b32 s74, s0
; %bb.364:
	v_cmp_gt_f32_e64 s4, v0, v14
	s_and_b32 s4, s5, s4
	v_cndmask_b32_e64 v0, v14, v0, s4
	s_or_b32 s4, s5, exec_lo
; %bb.365:
	s_or_b32 exec_lo, exec_lo, s74
	s_andn2_b32 s0, s5, exec_lo
	s_and_b32 s4, s4, exec_lo
	s_or_b32 s5, s0, s4
	s_or_b32 exec_lo, exec_lo, s66
	s_and_saveexec_b32 s66, s75
	s_cbranch_execz .LBB767_189
.LBB767_366:
	global_load_ubyte v5, v[3:4], off offset:1856
	s_waitcnt vmcnt(0)
	v_and_b32_e32 v5, 1, v5
	v_cmp_eq_u32_e64 s4, 1, v5
	s_xor_b32 s0, s4, -1
	s_mov_b32 s4, s5
	s_and_saveexec_b32 s74, s0
; %bb.367:
	v_cmp_gt_f32_e64 s4, v0, v13
	s_and_b32 s4, s5, s4
	v_cndmask_b32_e64 v0, v13, v0, s4
	s_or_b32 s4, s5, exec_lo
; %bb.368:
	s_or_b32 exec_lo, exec_lo, s74
	s_andn2_b32 s0, s5, exec_lo
	s_and_b32 s4, s4, exec_lo
	s_or_b32 s5, s0, s4
	s_or_b32 exec_lo, exec_lo, s66
	s_and_saveexec_b32 s66, s73
	s_cbranch_execz .LBB767_190
.LBB767_369:
	global_load_ubyte v5, v[3:4], off offset:1888
	s_waitcnt vmcnt(0)
	v_and_b32_e32 v5, 1, v5
	v_cmp_eq_u32_e64 s4, 1, v5
	s_xor_b32 s0, s4, -1
	s_mov_b32 s4, s5
	s_and_saveexec_b32 s74, s0
; %bb.370:
	v_cmp_gt_f32_e64 s4, v0, v12
	s_and_b32 s4, s5, s4
	v_cndmask_b32_e64 v0, v12, v0, s4
	s_or_b32 s4, s5, exec_lo
; %bb.371:
	s_or_b32 exec_lo, exec_lo, s74
	s_andn2_b32 s0, s5, exec_lo
	s_and_b32 s4, s4, exec_lo
	s_or_b32 s5, s0, s4
	s_or_b32 exec_lo, exec_lo, s66
	s_and_saveexec_b32 s66, s72
	s_cbranch_execz .LBB767_191
.LBB767_372:
	global_load_ubyte v5, v[3:4], off offset:1920
	s_waitcnt vmcnt(0)
	v_and_b32_e32 v5, 1, v5
	v_cmp_eq_u32_e64 s4, 1, v5
	s_xor_b32 s0, s4, -1
	s_mov_b32 s4, s5
	s_and_saveexec_b32 s74, s0
; %bb.373:
	v_cmp_gt_f32_e64 s4, v0, v11
	s_and_b32 s4, s5, s4
	v_cndmask_b32_e64 v0, v11, v0, s4
	s_or_b32 s4, s5, exec_lo
; %bb.374:
	s_or_b32 exec_lo, exec_lo, s74
	s_andn2_b32 s0, s5, exec_lo
	s_and_b32 s4, s4, exec_lo
	s_or_b32 s5, s0, s4
	s_or_b32 exec_lo, exec_lo, s66
	s_and_saveexec_b32 s66, s71
	s_cbranch_execz .LBB767_192
.LBB767_375:
	global_load_ubyte v5, v[3:4], off offset:1952
	s_waitcnt vmcnt(0)
	v_and_b32_e32 v5, 1, v5
	v_cmp_eq_u32_e64 s4, 1, v5
	s_xor_b32 s0, s4, -1
	s_mov_b32 s4, s5
	s_and_saveexec_b32 s74, s0
; %bb.376:
	v_cmp_gt_f32_e64 s4, v0, v10
	s_and_b32 s4, s5, s4
	v_cndmask_b32_e64 v0, v10, v0, s4
	s_or_b32 s4, s5, exec_lo
; %bb.377:
	s_or_b32 exec_lo, exec_lo, s74
	s_andn2_b32 s0, s5, exec_lo
	s_and_b32 s4, s4, exec_lo
	s_or_b32 s5, s0, s4
	s_or_b32 exec_lo, exec_lo, s66
	s_and_saveexec_b32 s66, s70
	s_cbranch_execz .LBB767_193
.LBB767_378:
	global_load_ubyte v5, v[3:4], off offset:1984
	s_waitcnt vmcnt(0)
	v_and_b32_e32 v5, 1, v5
	v_cmp_eq_u32_e64 s4, 1, v5
	s_xor_b32 s0, s4, -1
	s_mov_b32 s4, s5
	s_and_saveexec_b32 s74, s0
; %bb.379:
	v_cmp_gt_f32_e64 s4, v0, v9
	s_and_b32 s4, s5, s4
	v_cndmask_b32_e64 v0, v9, v0, s4
	s_or_b32 s4, s5, exec_lo
; %bb.380:
	s_or_b32 exec_lo, exec_lo, s74
	s_andn2_b32 s0, s5, exec_lo
	s_and_b32 s4, s4, exec_lo
	s_or_b32 s5, s0, s4
	s_or_b32 exec_lo, exec_lo, s66
	s_and_saveexec_b32 s66, s67
	s_cbranch_execz .LBB767_384
.LBB767_381:
	global_load_ubyte v5, v[3:4], off offset:2016
	s_waitcnt vmcnt(0)
	v_and_b32_e32 v5, 1, v5
	v_cmp_eq_u32_e64 s4, 1, v5
	s_xor_b32 s0, s4, -1
	s_mov_b32 s4, s5
	s_and_saveexec_b32 s74, s0
; %bb.382:
	v_cmp_gt_f32_e64 s4, v0, v8
	s_and_b32 s4, s5, s4
	v_cndmask_b32_e64 v0, v8, v0, s4
	s_or_b32 s4, s5, exec_lo
; %bb.383:
	s_or_b32 exec_lo, exec_lo, s74
	s_andn2_b32 s0, s5, exec_lo
	s_and_b32 s4, s4, exec_lo
	s_or_b32 s5, s0, s4
.LBB767_384:
	s_or_b32 exec_lo, exec_lo, s66
	v_mbcnt_lo_u32_b32 v5, -1, 0
	v_cndmask_b32_e64 v73, 0xff800000, v0, s5
	v_xor_b32_e32 v6, 16, v5
	v_xor_b32_e32 v72, 8, v5
	;; [unrolled: 1-line block ×3, first 2 shown]
	v_cmp_gt_i32_e64 s4, 32, v6
	v_cndmask_b32_e64 v6, v5, v6, s4
	v_cmp_gt_i32_e64 s4, 32, v72
	v_lshlrev_b32_e32 v0, 2, v6
	v_cndmask_b32_e64 v72, v5, v72, s4
	ds_bpermute_b32 v6, v0, v73
	v_lshlrev_b32_e32 v72, 2, v72
	s_waitcnt lgkmcnt(0)
	v_cmp_lt_f32_e64 s4, v73, v6
	v_cndmask_b32_e64 v6, v73, v6, s4
	v_xor_b32_e32 v73, 4, v5
	ds_bpermute_b32 v74, v72, v6
	v_cmp_gt_i32_e64 s4, 32, v73
	v_cndmask_b32_e64 v73, v5, v73, s4
	v_lshlrev_b32_e32 v73, 2, v73
	s_waitcnt lgkmcnt(0)
	v_cmp_lt_f32_e64 s4, v6, v74
	v_cndmask_b32_e64 v6, v6, v74, s4
	v_xor_b32_e32 v74, 2, v5
	ds_bpermute_b32 v75, v73, v6
	v_cmp_gt_i32_e64 s4, 32, v74
	v_cndmask_b32_e64 v74, v5, v74, s4
	v_lshlrev_b32_e32 v74, 2, v74
	s_waitcnt lgkmcnt(0)
	v_cmp_lt_f32_e64 s4, v6, v75
	v_cndmask_b32_e64 v6, v6, v75, s4
	v_cmp_gt_i32_e64 s4, 32, v76
	ds_bpermute_b32 v75, v74, v6
	v_cndmask_b32_e64 v5, v5, v76, s4
	v_lshlrev_b32_e32 v76, 2, v5
	v_mov_b32_e32 v5, 0
	s_waitcnt lgkmcnt(0)
	v_cmp_lt_f32_e64 s4, v6, v75
	v_cndmask_b32_e64 v6, v6, v75, s4
	ds_bpermute_b32 v75, v76, v6
	s_waitcnt lgkmcnt(0)
	v_cmp_lt_f32_e64 s4, v6, v75
	v_cndmask_b32_e64 v77, v6, v75, s4
	v_mov_b32_e32 v75, 0
	s_and_saveexec_b32 s5, s35
	s_cbranch_execz .LBB767_388
; %bb.385:
	global_load_ubyte v6, v[3:4], off
	v_mov_b32_e32 v75, 0
	s_waitcnt vmcnt(0)
	v_and_b32_e32 v6, 1, v6
	v_cmp_eq_u32_e64 s4, 1, v6
	s_xor_b32 s0, s4, -1
	s_and_saveexec_b32 s35, s0
	s_cbranch_execz .LBB767_387
; %bb.386:
	v_sub_f32_e32 v6, v71, v77
	v_mul_f32_e32 v71, 0x3fb8aa3b, v6
	v_cmp_ngt_f32_e64 s4, 0xc2ce8ed0, v6
	v_fma_f32 v75, 0x3fb8aa3b, v6, -v71
	v_rndne_f32_e32 v78, v71
	v_fmamk_f32 v75, v6, 0x32a5705f, v75
	v_sub_f32_e32 v71, v71, v78
	v_add_f32_e32 v71, v71, v75
	v_cvt_i32_f32_e32 v75, v78
	v_exp_f32_e32 v71, v71
	v_ldexp_f32 v71, v71, v75
	v_cndmask_b32_e64 v71, 0, v71, s4
	v_cmp_nlt_f32_e64 s4, 0x42b17218, v6
	v_cndmask_b32_e64 v75, 0x7f800000, v71, s4
.LBB767_387:
	s_or_b32 exec_lo, exec_lo, s35
.LBB767_388:
	s_or_b32 exec_lo, exec_lo, s5
	v_mov_b32_e32 v71, v75
	s_and_saveexec_b32 s5, s34
	s_cbranch_execz .LBB767_392
; %bb.389:
	global_load_ubyte v5, v[3:4], off offset:32
	v_mov_b32_e32 v71, v75
	s_waitcnt vmcnt(0)
	v_and_b32_e32 v5, 1, v5
	v_cmp_eq_u32_e64 s4, 1, v5
	v_mov_b32_e32 v5, 0
	s_xor_b32 s0, s4, -1
	s_and_saveexec_b32 s34, s0
	s_cbranch_execz .LBB767_391
; %bb.390:
	v_sub_f32_e32 v5, v70, v77
	v_mul_f32_e32 v6, 0x3fb8aa3b, v5
	v_cmp_ngt_f32_e64 s4, 0xc2ce8ed0, v5
	v_fma_f32 v70, 0x3fb8aa3b, v5, -v6
	v_rndne_f32_e32 v71, v6
	v_fmamk_f32 v70, v5, 0x32a5705f, v70
	v_sub_f32_e32 v6, v6, v71
	v_add_f32_e32 v6, v6, v70
	v_cvt_i32_f32_e32 v70, v71
	v_exp_f32_e32 v6, v6
	v_ldexp_f32 v6, v6, v70
	v_cndmask_b32_e64 v6, 0, v6, s4
	v_cmp_nlt_f32_e64 s4, 0x42b17218, v5
	v_cndmask_b32_e64 v5, 0x7f800000, v6, s4
	v_add_f32_e32 v71, v75, v5
.LBB767_391:
	s_or_b32 exec_lo, exec_lo, s34
.LBB767_392:
	s_or_b32 exec_lo, exec_lo, s5
	v_mov_b32_e32 v6, 0
	v_mov_b32_e32 v70, 0
	s_and_saveexec_b32 s5, s33
	s_cbranch_execz .LBB767_396
; %bb.393:
	global_load_ubyte v70, v[3:4], off offset:64
	s_waitcnt vmcnt(0)
	v_and_b32_e32 v70, 1, v70
	v_cmp_eq_u32_e64 s4, 1, v70
	v_mov_b32_e32 v70, 0
	s_xor_b32 s0, s4, -1
	s_and_saveexec_b32 s33, s0
	s_cbranch_execz .LBB767_395
; %bb.394:
	v_sub_f32_e32 v69, v69, v77
	v_mul_f32_e32 v70, 0x3fb8aa3b, v69
	v_cmp_ngt_f32_e64 s4, 0xc2ce8ed0, v69
	v_fma_f32 v78, 0x3fb8aa3b, v69, -v70
	v_rndne_f32_e32 v79, v70
	v_fmamk_f32 v78, v69, 0x32a5705f, v78
	v_sub_f32_e32 v70, v70, v79
	v_add_f32_e32 v70, v70, v78
	v_cvt_i32_f32_e32 v78, v79
	v_exp_f32_e32 v70, v70
	v_ldexp_f32 v70, v70, v78
	v_cndmask_b32_e64 v70, 0, v70, s4
	v_cmp_nlt_f32_e64 s4, 0x42b17218, v69
	v_cndmask_b32_e64 v70, 0x7f800000, v70, s4
	v_add_f32_e32 v71, v71, v70
.LBB767_395:
	s_or_b32 exec_lo, exec_lo, s33
.LBB767_396:
	s_or_b32 exec_lo, exec_lo, s5
	s_and_saveexec_b32 s5, s31
	s_cbranch_execz .LBB767_400
; %bb.397:
	global_load_ubyte v6, v[3:4], off offset:96
	s_waitcnt vmcnt(0)
	v_and_b32_e32 v6, 1, v6
	v_cmp_eq_u32_e64 s4, 1, v6
	v_mov_b32_e32 v6, 0
	s_xor_b32 s0, s4, -1
	s_and_saveexec_b32 s31, s0
	s_cbranch_execz .LBB767_399
; %bb.398:
	v_sub_f32_e32 v6, v68, v77
	v_mul_f32_e32 v68, 0x3fb8aa3b, v6
	v_cmp_ngt_f32_e64 s4, 0xc2ce8ed0, v6
	v_fma_f32 v69, 0x3fb8aa3b, v6, -v68
	v_rndne_f32_e32 v78, v68
	v_fmamk_f32 v69, v6, 0x32a5705f, v69
	v_sub_f32_e32 v68, v68, v78
	v_add_f32_e32 v68, v68, v69
	v_cvt_i32_f32_e32 v69, v78
	v_exp_f32_e32 v68, v68
	v_ldexp_f32 v68, v68, v69
	v_cndmask_b32_e64 v68, 0, v68, s4
	v_cmp_nlt_f32_e64 s4, 0x42b17218, v6
	v_cndmask_b32_e64 v6, 0x7f800000, v68, s4
	v_add_f32_e32 v71, v71, v6
.LBB767_399:
	s_or_b32 exec_lo, exec_lo, s31
.LBB767_400:
	s_or_b32 exec_lo, exec_lo, s5
	v_mov_b32_e32 v68, 0
	v_mov_b32_e32 v69, 0
	s_and_saveexec_b32 s5, s30
	s_cbranch_execz .LBB767_404
; %bb.401:
	global_load_ubyte v69, v[3:4], off offset:128
	s_waitcnt vmcnt(0)
	v_and_b32_e32 v69, 1, v69
	v_cmp_eq_u32_e64 s4, 1, v69
	v_mov_b32_e32 v69, 0
	s_xor_b32 s0, s4, -1
	s_and_saveexec_b32 s30, s0
	s_cbranch_execz .LBB767_403
; %bb.402:
	v_sub_f32_e32 v67, v67, v77
	v_mul_f32_e32 v69, 0x3fb8aa3b, v67
	v_cmp_ngt_f32_e64 s4, 0xc2ce8ed0, v67
	v_fma_f32 v78, 0x3fb8aa3b, v67, -v69
	v_rndne_f32_e32 v79, v69
	v_fmamk_f32 v78, v67, 0x32a5705f, v78
	v_sub_f32_e32 v69, v69, v79
	v_add_f32_e32 v69, v69, v78
	v_cvt_i32_f32_e32 v78, v79
	v_exp_f32_e32 v69, v69
	v_ldexp_f32 v69, v69, v78
	v_cndmask_b32_e64 v69, 0, v69, s4
	v_cmp_nlt_f32_e64 s4, 0x42b17218, v67
	v_cndmask_b32_e64 v69, 0x7f800000, v69, s4
	v_add_f32_e32 v71, v71, v69
.LBB767_403:
	s_or_b32 exec_lo, exec_lo, s30
.LBB767_404:
	s_or_b32 exec_lo, exec_lo, s5
	s_and_saveexec_b32 s5, s29
	s_cbranch_execz .LBB767_408
; %bb.405:
	global_load_ubyte v67, v[3:4], off offset:160
	v_mov_b32_e32 v68, 0
	s_waitcnt vmcnt(0)
	v_and_b32_e32 v67, 1, v67
	v_cmp_eq_u32_e64 s4, 1, v67
	s_xor_b32 s0, s4, -1
	s_and_saveexec_b32 s29, s0
	s_cbranch_execz .LBB767_407
; %bb.406:
	v_sub_f32_e32 v66, v66, v77
	v_mul_f32_e32 v67, 0x3fb8aa3b, v66
	v_cmp_ngt_f32_e64 s4, 0xc2ce8ed0, v66
	v_fma_f32 v68, 0x3fb8aa3b, v66, -v67
	v_rndne_f32_e32 v78, v67
	v_fmamk_f32 v68, v66, 0x32a5705f, v68
	v_sub_f32_e32 v67, v67, v78
	v_add_f32_e32 v67, v67, v68
	v_cvt_i32_f32_e32 v68, v78
	v_exp_f32_e32 v67, v67
	v_ldexp_f32 v67, v67, v68
	v_cndmask_b32_e64 v67, 0, v67, s4
	v_cmp_nlt_f32_e64 s4, 0x42b17218, v66
	v_cndmask_b32_e64 v68, 0x7f800000, v67, s4
	v_add_f32_e32 v71, v71, v68
.LBB767_407:
	s_or_b32 exec_lo, exec_lo, s29
.LBB767_408:
	s_or_b32 exec_lo, exec_lo, s5
	v_mov_b32_e32 v66, 0
	v_mov_b32_e32 v67, 0
	s_and_saveexec_b32 s5, s28
	s_cbranch_execz .LBB767_412
; %bb.409:
	global_load_ubyte v67, v[3:4], off offset:192
	s_waitcnt vmcnt(0)
	v_and_b32_e32 v67, 1, v67
	v_cmp_eq_u32_e64 s4, 1, v67
	v_mov_b32_e32 v67, 0
	s_xor_b32 s0, s4, -1
	s_and_saveexec_b32 s28, s0
	s_cbranch_execz .LBB767_411
; %bb.410:
	v_sub_f32_e32 v65, v65, v77
	v_mul_f32_e32 v67, 0x3fb8aa3b, v65
	v_cmp_ngt_f32_e64 s4, 0xc2ce8ed0, v65
	v_fma_f32 v78, 0x3fb8aa3b, v65, -v67
	v_rndne_f32_e32 v79, v67
	v_fmamk_f32 v78, v65, 0x32a5705f, v78
	v_sub_f32_e32 v67, v67, v79
	v_add_f32_e32 v67, v67, v78
	v_cvt_i32_f32_e32 v78, v79
	v_exp_f32_e32 v67, v67
	v_ldexp_f32 v67, v67, v78
	v_cndmask_b32_e64 v67, 0, v67, s4
	v_cmp_nlt_f32_e64 s4, 0x42b17218, v65
	v_cndmask_b32_e64 v67, 0x7f800000, v67, s4
	v_add_f32_e32 v71, v71, v67
.LBB767_411:
	s_or_b32 exec_lo, exec_lo, s28
.LBB767_412:
	s_or_b32 exec_lo, exec_lo, s5
	s_and_saveexec_b32 s5, s27
	s_cbranch_execz .LBB767_416
; %bb.413:
	global_load_ubyte v65, v[3:4], off offset:224
	v_mov_b32_e32 v66, 0
	s_waitcnt vmcnt(0)
	v_and_b32_e32 v65, 1, v65
	v_cmp_eq_u32_e64 s4, 1, v65
	s_xor_b32 s0, s4, -1
	s_and_saveexec_b32 s27, s0
	s_cbranch_execz .LBB767_415
; %bb.414:
	v_sub_f32_e32 v64, v64, v77
	v_mul_f32_e32 v65, 0x3fb8aa3b, v64
	v_cmp_ngt_f32_e64 s4, 0xc2ce8ed0, v64
	v_fma_f32 v66, 0x3fb8aa3b, v64, -v65
	v_rndne_f32_e32 v78, v65
	v_fmamk_f32 v66, v64, 0x32a5705f, v66
	v_sub_f32_e32 v65, v65, v78
	v_add_f32_e32 v65, v65, v66
	v_cvt_i32_f32_e32 v66, v78
	v_exp_f32_e32 v65, v65
	v_ldexp_f32 v65, v65, v66
	v_cndmask_b32_e64 v65, 0, v65, s4
	v_cmp_nlt_f32_e64 s4, 0x42b17218, v64
	v_cndmask_b32_e64 v66, 0x7f800000, v65, s4
	v_add_f32_e32 v71, v71, v66
.LBB767_415:
	s_or_b32 exec_lo, exec_lo, s27
.LBB767_416:
	;; [unrolled: 64-line block ×14, first 2 shown]
	s_or_b32 exec_lo, exec_lo, s2
	v_mov_b32_e32 v40, 0
	v_mov_b32_e32 v41, 0
	s_and_saveexec_b32 s1, vcc_hi
	s_cbranch_execz .LBB767_516
; %bb.513:
	global_load_ubyte v41, v[3:4], off offset:1024
	s_waitcnt vmcnt(0)
	v_and_b32_e32 v41, 1, v41
	v_cmp_eq_u32_e64 s4, 1, v41
	v_mov_b32_e32 v41, 0
	s_xor_b32 s0, s4, -1
	s_and_saveexec_b32 s2, s0
	s_cbranch_execz .LBB767_515
; %bb.514:
	v_sub_f32_e32 v39, v39, v77
	v_mul_f32_e32 v41, 0x3fb8aa3b, v39
	v_cmp_ngt_f32_e64 s4, 0xc2ce8ed0, v39
	v_fma_f32 v78, 0x3fb8aa3b, v39, -v41
	v_rndne_f32_e32 v79, v41
	v_fmamk_f32 v78, v39, 0x32a5705f, v78
	v_sub_f32_e32 v41, v41, v79
	v_add_f32_e32 v41, v41, v78
	v_cvt_i32_f32_e32 v78, v79
	v_exp_f32_e32 v41, v41
	v_ldexp_f32 v41, v41, v78
	v_cndmask_b32_e64 v41, 0, v41, s4
	v_cmp_nlt_f32_e64 s4, 0x42b17218, v39
	v_cndmask_b32_e64 v41, 0x7f800000, v41, s4
	v_add_f32_e32 v71, v71, v41
.LBB767_515:
	s_or_b32 exec_lo, exec_lo, s2
.LBB767_516:
	s_or_b32 exec_lo, exec_lo, s1
	s_and_saveexec_b32 s1, s104
	s_cbranch_execz .LBB767_520
; %bb.517:
	global_load_ubyte v39, v[3:4], off offset:1056
	v_mov_b32_e32 v40, 0
	s_waitcnt vmcnt(0)
	v_and_b32_e32 v39, 1, v39
	v_cmp_eq_u32_e64 s4, 1, v39
	s_xor_b32 s0, s4, -1
	s_and_saveexec_b32 s2, s0
	s_cbranch_execz .LBB767_519
; %bb.518:
	v_sub_f32_e32 v38, v38, v77
	v_mul_f32_e32 v39, 0x3fb8aa3b, v38
	v_cmp_ngt_f32_e64 s4, 0xc2ce8ed0, v38
	v_fma_f32 v40, 0x3fb8aa3b, v38, -v39
	v_rndne_f32_e32 v78, v39
	v_fmamk_f32 v40, v38, 0x32a5705f, v40
	v_sub_f32_e32 v39, v39, v78
	v_add_f32_e32 v39, v39, v40
	v_cvt_i32_f32_e32 v40, v78
	v_exp_f32_e32 v39, v39
	v_ldexp_f32 v39, v39, v40
	v_cndmask_b32_e64 v39, 0, v39, s4
	v_cmp_nlt_f32_e64 s4, 0x42b17218, v38
	v_cndmask_b32_e64 v40, 0x7f800000, v39, s4
	v_add_f32_e32 v71, v71, v40
.LBB767_519:
	s_or_b32 exec_lo, exec_lo, s2
.LBB767_520:
	s_or_b32 exec_lo, exec_lo, s1
	v_mov_b32_e32 v38, 0
	v_mov_b32_e32 v39, 0
	s_and_saveexec_b32 s1, s99
	s_cbranch_execz .LBB767_524
; %bb.521:
	global_load_ubyte v39, v[3:4], off offset:1088
	s_waitcnt vmcnt(0)
	v_and_b32_e32 v39, 1, v39
	v_cmp_eq_u32_e64 s4, 1, v39
	v_mov_b32_e32 v39, 0
	s_xor_b32 s0, s4, -1
	s_and_saveexec_b32 s2, s0
	s_cbranch_execz .LBB767_523
; %bb.522:
	v_sub_f32_e32 v37, v37, v77
	v_mul_f32_e32 v39, 0x3fb8aa3b, v37
	v_cmp_ngt_f32_e64 s4, 0xc2ce8ed0, v37
	v_fma_f32 v78, 0x3fb8aa3b, v37, -v39
	v_rndne_f32_e32 v79, v39
	v_fmamk_f32 v78, v37, 0x32a5705f, v78
	v_sub_f32_e32 v39, v39, v79
	v_add_f32_e32 v39, v39, v78
	v_cvt_i32_f32_e32 v78, v79
	v_exp_f32_e32 v39, v39
	v_ldexp_f32 v39, v39, v78
	v_cndmask_b32_e64 v39, 0, v39, s4
	v_cmp_nlt_f32_e64 s4, 0x42b17218, v37
	v_cndmask_b32_e64 v39, 0x7f800000, v39, s4
	v_add_f32_e32 v71, v71, v39
.LBB767_523:
	s_or_b32 exec_lo, exec_lo, s2
.LBB767_524:
	s_or_b32 exec_lo, exec_lo, s1
	s_and_saveexec_b32 s1, s98
	s_cbranch_execz .LBB767_528
; %bb.525:
	global_load_ubyte v37, v[3:4], off offset:1120
	v_mov_b32_e32 v38, 0
	s_waitcnt vmcnt(0)
	v_and_b32_e32 v37, 1, v37
	v_cmp_eq_u32_e64 s4, 1, v37
	s_xor_b32 s0, s4, -1
	s_and_saveexec_b32 s2, s0
	s_cbranch_execz .LBB767_527
; %bb.526:
	v_sub_f32_e32 v36, v36, v77
	v_mul_f32_e32 v37, 0x3fb8aa3b, v36
	v_cmp_ngt_f32_e64 s4, 0xc2ce8ed0, v36
	v_fma_f32 v38, 0x3fb8aa3b, v36, -v37
	v_rndne_f32_e32 v78, v37
	v_fmamk_f32 v38, v36, 0x32a5705f, v38
	v_sub_f32_e32 v37, v37, v78
	v_add_f32_e32 v37, v37, v38
	v_cvt_i32_f32_e32 v38, v78
	v_exp_f32_e32 v37, v37
	v_ldexp_f32 v37, v37, v38
	v_cndmask_b32_e64 v37, 0, v37, s4
	v_cmp_nlt_f32_e64 s4, 0x42b17218, v36
	v_cndmask_b32_e64 v38, 0x7f800000, v37, s4
	v_add_f32_e32 v71, v71, v38
.LBB767_527:
	s_or_b32 exec_lo, exec_lo, s2
.LBB767_528:
	s_or_b32 exec_lo, exec_lo, s1
	v_mov_b32_e32 v36, 0
	v_mov_b32_e32 v37, 0
	s_and_saveexec_b32 s1, s97
	;; [unrolled: 64-line block ×15, first 2 shown]
	s_cbranch_execz .LBB767_636
; %bb.633:
	global_load_ubyte v11, v[3:4], off offset:1984
	s_waitcnt vmcnt(0)
	v_and_b32_e32 v11, 1, v11
	v_cmp_eq_u32_e64 s4, 1, v11
	v_mov_b32_e32 v11, 0
	s_xor_b32 s0, s4, -1
	s_and_saveexec_b32 s2, s0
	s_cbranch_execz .LBB767_635
; %bb.634:
	v_sub_f32_e32 v9, v9, v77
	v_mul_f32_e32 v11, 0x3fb8aa3b, v9
	v_cmp_ngt_f32_e64 s4, 0xc2ce8ed0, v9
	v_fma_f32 v78, 0x3fb8aa3b, v9, -v11
	v_rndne_f32_e32 v79, v11
	v_fmamk_f32 v78, v9, 0x32a5705f, v78
	v_sub_f32_e32 v11, v11, v79
	v_add_f32_e32 v11, v11, v78
	v_cvt_i32_f32_e32 v78, v79
	v_exp_f32_e32 v11, v11
	v_ldexp_f32 v11, v11, v78
	v_cndmask_b32_e64 v11, 0, v11, s4
	v_cmp_nlt_f32_e64 s4, 0x42b17218, v9
	v_cndmask_b32_e64 v11, 0x7f800000, v11, s4
	v_add_f32_e32 v71, v71, v11
.LBB767_635:
	s_or_b32 exec_lo, exec_lo, s2
.LBB767_636:
	s_or_b32 exec_lo, exec_lo, s1
	s_and_saveexec_b32 s1, s67
	s_cbranch_execz .LBB767_640
; %bb.637:
	global_load_ubyte v3, v[3:4], off offset:2016
	v_mov_b32_e32 v10, 0
	s_waitcnt vmcnt(0)
	v_and_b32_e32 v3, 1, v3
	v_cmp_eq_u32_e64 s4, 1, v3
	s_xor_b32 s0, s4, -1
	s_and_saveexec_b32 s2, s0
	s_cbranch_execz .LBB767_639
; %bb.638:
	v_sub_f32_e32 v3, v8, v77
	v_mul_f32_e32 v4, 0x3fb8aa3b, v3
	v_cmp_ngt_f32_e64 s4, 0xc2ce8ed0, v3
	v_fma_f32 v8, 0x3fb8aa3b, v3, -v4
	v_rndne_f32_e32 v9, v4
	v_fmamk_f32 v8, v3, 0x32a5705f, v8
	v_sub_f32_e32 v4, v4, v9
	v_add_f32_e32 v4, v4, v8
	v_cvt_i32_f32_e32 v8, v9
	v_exp_f32_e32 v4, v4
	v_ldexp_f32 v4, v4, v8
	v_cndmask_b32_e64 v4, 0, v4, s4
	v_cmp_nlt_f32_e64 s4, 0x42b17218, v3
	v_cndmask_b32_e64 v10, 0x7f800000, v4, s4
	v_add_f32_e32 v71, v71, v10
.LBB767_639:
	s_or_b32 exec_lo, exec_lo, s2
.LBB767_640:
	s_or_b32 exec_lo, exec_lo, s1
	ds_bpermute_b32 v0, v0, v71
	s_mov_b32 s0, exec_lo
	s_waitcnt lgkmcnt(0)
	v_add_f32_e32 v0, v71, v0
	ds_bpermute_b32 v3, v72, v0
	s_waitcnt lgkmcnt(0)
	v_add_f32_e32 v0, v0, v3
	ds_bpermute_b32 v3, v73, v0
	;; [unrolled: 3-line block ×4, first 2 shown]
	v_cmpx_lt_i32_e32 0, v7
	s_cbranch_execz .LBB767_834
; %bb.641:
	s_and_b32 exec_lo, exec_lo, vcc_lo
	s_cbranch_execz .LBB767_834
; %bb.642:
	s_waitcnt lgkmcnt(0)
	v_add_f32_e32 v3, v0, v3
	v_mov_b32_e32 v4, 0x7fc0
	v_cmp_neq_f32_e64 s4, 0, v3
	s_and_saveexec_b32 s1, s4
	s_cbranch_execz .LBB767_644
; %bb.643:
	v_div_scale_f32 v0, null, v3, v3, v75
	v_div_scale_f32 v8, vcc_lo, v75, v3, v75
	v_rcp_f32_e32 v4, v0
	v_fma_f32 v7, -v0, v4, 1.0
	v_fmac_f32_e32 v4, v7, v4
	v_mul_f32_e32 v7, v8, v4
	v_fma_f32 v9, -v0, v7, v8
	v_fmac_f32_e32 v7, v9, v4
	v_fma_f32 v0, -v0, v7, v8
	v_div_fmas_f32 v0, v0, v4, v7
	v_div_fixup_f32 v0, v0, v3, v75
	v_bfe_u32 v4, v0, 16, 1
	v_cmp_o_f32_e32 vcc_lo, v0, v0
	v_add3_u32 v0, v0, v4, 0x7fff
	v_mov_b32_e32 v4, 0x7fc0
	v_cndmask_b32_sdwa v4, v4, v0, vcc_lo dst_sel:DWORD dst_unused:UNUSED_PAD src0_sel:DWORD src1_sel:WORD_1
.LBB767_644:
	s_or_b32 exec_lo, exec_lo, s1
	v_add_co_u32 v0, vcc_lo, s68, v1
	v_add_co_ci_u32_e64 v1, null, s69, v2, vcc_lo
	global_store_short v[0:1], v4, off
	s_and_b32 exec_lo, exec_lo, s65
	s_cbranch_execz .LBB767_834
; %bb.645:
	v_mov_b32_e32 v2, 0x7fc0
	s_and_saveexec_b32 s1, s4
	s_cbranch_execz .LBB767_647
; %bb.646:
	v_div_scale_f32 v2, null, v3, v3, v5
	v_div_scale_f32 v8, vcc_lo, v5, v3, v5
	v_rcp_f32_e32 v4, v2
	v_fma_f32 v7, -v2, v4, 1.0
	v_fmac_f32_e32 v4, v7, v4
	v_mul_f32_e32 v7, v8, v4
	v_fma_f32 v9, -v2, v7, v8
	v_fmac_f32_e32 v7, v9, v4
	v_fma_f32 v2, -v2, v7, v8
	v_div_fmas_f32 v2, v2, v4, v7
	v_div_fixup_f32 v2, v2, v3, v5
	v_bfe_u32 v4, v2, 16, 1
	v_cmp_o_f32_e32 vcc_lo, v2, v2
	v_add3_u32 v2, v2, v4, 0x7fff
	v_mov_b32_e32 v4, 0x7fc0
	v_cndmask_b32_sdwa v2, v4, v2, vcc_lo dst_sel:DWORD dst_unused:UNUSED_PAD src0_sel:DWORD src1_sel:WORD_1
.LBB767_647:
	s_or_b32 exec_lo, exec_lo, s1
	global_store_short v[0:1], v2, off offset:64
	s_and_b32 exec_lo, exec_lo, s64
	s_cbranch_execz .LBB767_834
; %bb.648:
	v_mov_b32_e32 v2, 0x7fc0
	s_and_saveexec_b32 s1, s4
	s_cbranch_execz .LBB767_650
; %bb.649:
	v_div_scale_f32 v2, null, v3, v3, v70
	v_div_scale_f32 v7, vcc_lo, v70, v3, v70
	v_rcp_f32_e32 v4, v2
	v_fma_f32 v5, -v2, v4, 1.0
	v_fmac_f32_e32 v4, v5, v4
	v_mul_f32_e32 v5, v7, v4
	v_fma_f32 v8, -v2, v5, v7
	v_fmac_f32_e32 v5, v8, v4
	v_fma_f32 v2, -v2, v5, v7
	v_div_fmas_f32 v2, v2, v4, v5
	v_div_fixup_f32 v2, v2, v3, v70
	v_bfe_u32 v4, v2, 16, 1
	v_cmp_o_f32_e32 vcc_lo, v2, v2
	v_add3_u32 v2, v2, v4, 0x7fff
	v_mov_b32_e32 v4, 0x7fc0
	v_cndmask_b32_sdwa v2, v4, v2, vcc_lo dst_sel:DWORD dst_unused:UNUSED_PAD src0_sel:DWORD src1_sel:WORD_1
.LBB767_650:
	s_or_b32 exec_lo, exec_lo, s1
	global_store_short v[0:1], v2, off offset:128
	;; [unrolled: 26-line block ×29, first 2 shown]
	s_and_b32 exec_lo, exec_lo, s36
	s_cbranch_execz .LBB767_834
; %bb.732:
	v_mov_b32_e32 v2, 0x7fc0
	s_and_saveexec_b32 s1, s4
	s_cbranch_execz .LBB767_734
; %bb.733:
	v_div_scale_f32 v2, null, v3, v3, v43
	v_div_scale_f32 v6, vcc_lo, v43, v3, v43
	v_rcp_f32_e32 v4, v2
	v_fma_f32 v5, -v2, v4, 1.0
	v_fmac_f32_e32 v4, v5, v4
	v_mul_f32_e32 v5, v6, v4
	v_fma_f32 v7, -v2, v5, v6
	v_fmac_f32_e32 v5, v7, v4
	v_fma_f32 v2, -v2, v5, v6
	v_div_fmas_f32 v2, v2, v4, v5
	v_div_fixup_f32 v2, v2, v3, v43
	v_bfe_u32 v4, v2, 16, 1
	v_cmp_o_f32_e32 vcc_lo, v2, v2
	v_add3_u32 v2, v2, v4, 0x7fff
	v_mov_b32_e32 v4, 0x7fc0
	v_cndmask_b32_sdwa v2, v4, v2, vcc_lo dst_sel:DWORD dst_unused:UNUSED_PAD src0_sel:DWORD src1_sel:WORD_1
.LBB767_734:
	s_or_b32 exec_lo, exec_lo, s1
	v_readlane_b32 s0, v81, 0
	global_store_short v[0:1], v2, off offset:1920
	s_and_b32 exec_lo, exec_lo, s0
	s_cbranch_execz .LBB767_834
; %bb.735:
	v_mov_b32_e32 v2, 0x7fc0
	s_and_saveexec_b32 s1, s4
	s_cbranch_execz .LBB767_737
; %bb.736:
	v_div_scale_f32 v2, null, v3, v3, v42
	v_div_scale_f32 v6, vcc_lo, v42, v3, v42
	v_rcp_f32_e32 v4, v2
	v_fma_f32 v5, -v2, v4, 1.0
	v_fmac_f32_e32 v4, v5, v4
	v_mul_f32_e32 v5, v6, v4
	v_fma_f32 v7, -v2, v5, v6
	v_fmac_f32_e32 v5, v7, v4
	v_fma_f32 v2, -v2, v5, v6
	v_div_fmas_f32 v2, v2, v4, v5
	v_div_fixup_f32 v2, v2, v3, v42
	v_bfe_u32 v4, v2, 16, 1
	v_cmp_o_f32_e32 vcc_lo, v2, v2
	v_add3_u32 v2, v2, v4, 0x7fff
	v_mov_b32_e32 v4, 0x7fc0
	v_cndmask_b32_sdwa v2, v4, v2, vcc_lo dst_sel:DWORD dst_unused:UNUSED_PAD src0_sel:DWORD src1_sel:WORD_1
.LBB767_737:
	s_or_b32 exec_lo, exec_lo, s1
	v_readlane_b32 s0, v81, 1
	global_store_short v[0:1], v2, off offset:1984
	s_and_b32 exec_lo, exec_lo, s0
	s_cbranch_execz .LBB767_834
; %bb.738:
	v_mov_b32_e32 v2, 0x7fc0
	s_and_saveexec_b32 s1, s4
	s_cbranch_execz .LBB767_740
; %bb.739:
	v_div_scale_f32 v2, null, v3, v3, v41
	v_div_scale_f32 v6, vcc_lo, v41, v3, v41
	v_rcp_f32_e32 v4, v2
	v_fma_f32 v5, -v2, v4, 1.0
	v_fmac_f32_e32 v4, v5, v4
	v_mul_f32_e32 v5, v6, v4
	v_fma_f32 v7, -v2, v5, v6
	v_fmac_f32_e32 v5, v7, v4
	v_fma_f32 v2, -v2, v5, v6
	v_div_fmas_f32 v2, v2, v4, v5
	v_div_fixup_f32 v2, v2, v3, v41
	v_bfe_u32 v4, v2, 16, 1
	v_cmp_o_f32_e32 vcc_lo, v2, v2
	v_add3_u32 v2, v2, v4, 0x7fff
	v_mov_b32_e32 v4, 0x7fc0
	v_cndmask_b32_sdwa v2, v4, v2, vcc_lo dst_sel:DWORD dst_unused:UNUSED_PAD src0_sel:DWORD src1_sel:WORD_1
.LBB767_740:
	s_or_b32 exec_lo, exec_lo, s1
	v_add_co_u32 v0, vcc_lo, 0x800, v0
	v_add_co_ci_u32_e64 v1, null, 0, v1, vcc_lo
	v_readlane_b32 s0, v81, 2
	global_store_short v[0:1], v2, off
	s_and_b32 exec_lo, exec_lo, s0
	s_cbranch_execz .LBB767_834
; %bb.741:
	v_mov_b32_e32 v2, 0x7fc0
	s_and_saveexec_b32 s1, s4
	s_cbranch_execz .LBB767_743
; %bb.742:
	v_div_scale_f32 v2, null, v3, v3, v40
	v_div_scale_f32 v6, vcc_lo, v40, v3, v40
	v_rcp_f32_e32 v4, v2
	v_fma_f32 v5, -v2, v4, 1.0
	v_fmac_f32_e32 v4, v5, v4
	v_mul_f32_e32 v5, v6, v4
	v_fma_f32 v7, -v2, v5, v6
	v_fmac_f32_e32 v5, v7, v4
	v_fma_f32 v2, -v2, v5, v6
	v_div_fmas_f32 v2, v2, v4, v5
	v_div_fixup_f32 v2, v2, v3, v40
	v_bfe_u32 v4, v2, 16, 1
	v_cmp_o_f32_e32 vcc_lo, v2, v2
	v_add3_u32 v2, v2, v4, 0x7fff
	v_mov_b32_e32 v4, 0x7fc0
	v_cndmask_b32_sdwa v2, v4, v2, vcc_lo dst_sel:DWORD dst_unused:UNUSED_PAD src0_sel:DWORD src1_sel:WORD_1
.LBB767_743:
	s_or_b32 exec_lo, exec_lo, s1
	v_readlane_b32 s0, v81, 3
	global_store_short v[0:1], v2, off offset:64
	s_and_b32 exec_lo, exec_lo, s0
	s_cbranch_execz .LBB767_834
; %bb.744:
	v_mov_b32_e32 v2, 0x7fc0
	s_and_saveexec_b32 s1, s4
	s_cbranch_execz .LBB767_746
; %bb.745:
	v_div_scale_f32 v2, null, v3, v3, v39
	v_div_scale_f32 v6, vcc_lo, v39, v3, v39
	v_rcp_f32_e32 v4, v2
	v_fma_f32 v5, -v2, v4, 1.0
	v_fmac_f32_e32 v4, v5, v4
	v_mul_f32_e32 v5, v6, v4
	v_fma_f32 v7, -v2, v5, v6
	v_fmac_f32_e32 v5, v7, v4
	v_fma_f32 v2, -v2, v5, v6
	v_div_fmas_f32 v2, v2, v4, v5
	v_div_fixup_f32 v2, v2, v3, v39
	v_bfe_u32 v4, v2, 16, 1
	v_cmp_o_f32_e32 vcc_lo, v2, v2
	v_add3_u32 v2, v2, v4, 0x7fff
	v_mov_b32_e32 v4, 0x7fc0
	v_cndmask_b32_sdwa v2, v4, v2, vcc_lo dst_sel:DWORD dst_unused:UNUSED_PAD src0_sel:DWORD src1_sel:WORD_1
.LBB767_746:
	s_or_b32 exec_lo, exec_lo, s1
	v_readlane_b32 s0, v81, 4
	global_store_short v[0:1], v2, off offset:128
	;; [unrolled: 27-line block ×30, first 2 shown]
	s_and_b32 exec_lo, exec_lo, s0
	s_cbranch_execz .LBB767_834
; %bb.831:
	v_mov_b32_e32 v2, 0x7fc0
	s_and_saveexec_b32 s0, s4
	s_cbranch_execz .LBB767_833
; %bb.832:
	v_div_scale_f32 v2, null, v3, v3, v10
	v_div_scale_f32 v6, vcc_lo, v10, v3, v10
	v_rcp_f32_e32 v4, v2
	v_fma_f32 v5, -v2, v4, 1.0
	v_fmac_f32_e32 v4, v5, v4
	v_mul_f32_e32 v5, v6, v4
	v_fma_f32 v7, -v2, v5, v6
	v_fmac_f32_e32 v5, v7, v4
	v_fma_f32 v2, -v2, v5, v6
	v_div_fmas_f32 v2, v2, v4, v5
	v_div_fixup_f32 v2, v2, v3, v10
	v_bfe_u32 v3, v2, 16, 1
	v_cmp_o_f32_e32 vcc_lo, v2, v2
	v_add3_u32 v2, v2, v3, 0x7fff
	v_mov_b32_e32 v3, 0x7fc0
	v_cndmask_b32_sdwa v2, v3, v2, vcc_lo dst_sel:DWORD dst_unused:UNUSED_PAD src0_sel:DWORD src1_sel:WORD_1
.LBB767_833:
	s_or_b32 exec_lo, exec_lo, s0
	global_store_short v[0:1], v2, off offset:1984
.LBB767_834:
	s_endpgm
	.section	.rodata,"a",@progbits
	.p2align	6, 0x0
	.amdhsa_kernel _ZN12_GLOBAL__N_120softmax_warp_forwardIN3c108BFloat16ES2_fLi11ELb0ELb1ELi32EEEvPT0_PKT_iiiPKbib
		.amdhsa_group_segment_fixed_size 0
		.amdhsa_private_segment_fixed_size 0
		.amdhsa_kernarg_size 304
		.amdhsa_user_sgpr_count 6
		.amdhsa_user_sgpr_private_segment_buffer 1
		.amdhsa_user_sgpr_dispatch_ptr 0
		.amdhsa_user_sgpr_queue_ptr 0
		.amdhsa_user_sgpr_kernarg_segment_ptr 1
		.amdhsa_user_sgpr_dispatch_id 0
		.amdhsa_user_sgpr_flat_scratch_init 0
		.amdhsa_user_sgpr_private_segment_size 0
		.amdhsa_wavefront_size32 1
		.amdhsa_uses_dynamic_stack 0
		.amdhsa_system_sgpr_private_segment_wavefront_offset 0
		.amdhsa_system_sgpr_workgroup_id_x 1
		.amdhsa_system_sgpr_workgroup_id_y 0
		.amdhsa_system_sgpr_workgroup_id_z 0
		.amdhsa_system_sgpr_workgroup_info 0
		.amdhsa_system_vgpr_workitem_id 1
		.amdhsa_next_free_vgpr 82
		.amdhsa_next_free_sgpr 105
		.amdhsa_reserve_vcc 1
		.amdhsa_reserve_flat_scratch 0
		.amdhsa_float_round_mode_32 0
		.amdhsa_float_round_mode_16_64 0
		.amdhsa_float_denorm_mode_32 3
		.amdhsa_float_denorm_mode_16_64 3
		.amdhsa_dx10_clamp 1
		.amdhsa_ieee_mode 1
		.amdhsa_fp16_overflow 0
		.amdhsa_workgroup_processor_mode 1
		.amdhsa_memory_ordered 1
		.amdhsa_forward_progress 1
		.amdhsa_shared_vgpr_count 0
		.amdhsa_exception_fp_ieee_invalid_op 0
		.amdhsa_exception_fp_denorm_src 0
		.amdhsa_exception_fp_ieee_div_zero 0
		.amdhsa_exception_fp_ieee_overflow 0
		.amdhsa_exception_fp_ieee_underflow 0
		.amdhsa_exception_fp_ieee_inexact 0
		.amdhsa_exception_int_div_zero 0
	.end_amdhsa_kernel
	.section	.text._ZN12_GLOBAL__N_120softmax_warp_forwardIN3c108BFloat16ES2_fLi11ELb0ELb1ELi32EEEvPT0_PKT_iiiPKbib,"axG",@progbits,_ZN12_GLOBAL__N_120softmax_warp_forwardIN3c108BFloat16ES2_fLi11ELb0ELb1ELi32EEEvPT0_PKT_iiiPKbib,comdat
.Lfunc_end767:
	.size	_ZN12_GLOBAL__N_120softmax_warp_forwardIN3c108BFloat16ES2_fLi11ELb0ELb1ELi32EEEvPT0_PKT_iiiPKbib, .Lfunc_end767-_ZN12_GLOBAL__N_120softmax_warp_forwardIN3c108BFloat16ES2_fLi11ELb0ELb1ELi32EEEvPT0_PKT_iiiPKbib
                                        ; -- End function
	.set _ZN12_GLOBAL__N_120softmax_warp_forwardIN3c108BFloat16ES2_fLi11ELb0ELb1ELi32EEEvPT0_PKT_iiiPKbib.num_vgpr, 82
	.set _ZN12_GLOBAL__N_120softmax_warp_forwardIN3c108BFloat16ES2_fLi11ELb0ELb1ELi32EEEvPT0_PKT_iiiPKbib.num_agpr, 0
	.set _ZN12_GLOBAL__N_120softmax_warp_forwardIN3c108BFloat16ES2_fLi11ELb0ELb1ELi32EEEvPT0_PKT_iiiPKbib.numbered_sgpr, 105
	.set _ZN12_GLOBAL__N_120softmax_warp_forwardIN3c108BFloat16ES2_fLi11ELb0ELb1ELi32EEEvPT0_PKT_iiiPKbib.num_named_barrier, 0
	.set _ZN12_GLOBAL__N_120softmax_warp_forwardIN3c108BFloat16ES2_fLi11ELb0ELb1ELi32EEEvPT0_PKT_iiiPKbib.private_seg_size, 0
	.set _ZN12_GLOBAL__N_120softmax_warp_forwardIN3c108BFloat16ES2_fLi11ELb0ELb1ELi32EEEvPT0_PKT_iiiPKbib.uses_vcc, 1
	.set _ZN12_GLOBAL__N_120softmax_warp_forwardIN3c108BFloat16ES2_fLi11ELb0ELb1ELi32EEEvPT0_PKT_iiiPKbib.uses_flat_scratch, 0
	.set _ZN12_GLOBAL__N_120softmax_warp_forwardIN3c108BFloat16ES2_fLi11ELb0ELb1ELi32EEEvPT0_PKT_iiiPKbib.has_dyn_sized_stack, 0
	.set _ZN12_GLOBAL__N_120softmax_warp_forwardIN3c108BFloat16ES2_fLi11ELb0ELb1ELi32EEEvPT0_PKT_iiiPKbib.has_recursion, 0
	.set _ZN12_GLOBAL__N_120softmax_warp_forwardIN3c108BFloat16ES2_fLi11ELb0ELb1ELi32EEEvPT0_PKT_iiiPKbib.has_indirect_call, 0
	.section	.AMDGPU.csdata,"",@progbits
; Kernel info:
; codeLenInByte = 32036
; TotalNumSgprs: 107
; NumVgprs: 82
; ScratchSize: 0
; MemoryBound: 0
; FloatMode: 240
; IeeeMode: 1
; LDSByteSize: 0 bytes/workgroup (compile time only)
; SGPRBlocks: 0
; VGPRBlocks: 10
; NumSGPRsForWavesPerEU: 107
; NumVGPRsForWavesPerEU: 82
; Occupancy: 10
; WaveLimiterHint : 0
; COMPUTE_PGM_RSRC2:SCRATCH_EN: 0
; COMPUTE_PGM_RSRC2:USER_SGPR: 6
; COMPUTE_PGM_RSRC2:TRAP_HANDLER: 0
; COMPUTE_PGM_RSRC2:TGID_X_EN: 1
; COMPUTE_PGM_RSRC2:TGID_Y_EN: 0
; COMPUTE_PGM_RSRC2:TGID_Z_EN: 0
; COMPUTE_PGM_RSRC2:TIDIG_COMP_CNT: 1
	.section	.text._ZN12_GLOBAL__N_121softmax_warp_backwardIdddLi0ELb0ELb1ELi64EEEvPT0_PKT_S5_iiiPKb,"axG",@progbits,_ZN12_GLOBAL__N_121softmax_warp_backwardIdddLi0ELb0ELb1ELi64EEEvPT0_PKT_S5_iiiPKb,comdat
	.globl	_ZN12_GLOBAL__N_121softmax_warp_backwardIdddLi0ELb0ELb1ELi64EEEvPT0_PKT_S5_iiiPKb ; -- Begin function _ZN12_GLOBAL__N_121softmax_warp_backwardIdddLi0ELb0ELb1ELi64EEEvPT0_PKT_S5_iiiPKb
	.p2align	8
	.type	_ZN12_GLOBAL__N_121softmax_warp_backwardIdddLi0ELb0ELb1ELi64EEEvPT0_PKT_S5_iiiPKb,@function
_ZN12_GLOBAL__N_121softmax_warp_backwardIdddLi0ELb0ELb1ELi64EEEvPT0_PKT_S5_iiiPKb: ; @_ZN12_GLOBAL__N_121softmax_warp_backwardIdddLi0ELb0ELb1ELi64EEEvPT0_PKT_S5_iiiPKb
; %bb.0:
	s_clause 0x2
	s_load_dword s7, s[4:5], 0x3c
	s_load_dwordx4 s[0:3], s[4:5], 0x18
	s_load_dwordx4 s[8:11], s[4:5], 0x0
	v_mov_b32_e32 v2, 0
	v_mov_b32_e32 v4, 0
	;; [unrolled: 1-line block ×4, first 2 shown]
	s_waitcnt lgkmcnt(0)
	s_lshr_b32 s3, s7, 16
	s_and_b32 s3, s3, 0xffff
	s_cmp_gt_i32 s2, 0
	s_mul_i32 s6, s6, s3
	v_add_lshl_u32 v0, s6, v1, 1
	s_load_dwordx2 s[6:7], s[4:5], 0x10
	v_mul_lo_u32 v6, v0, s1
	v_sub_nc_u32_e32 v16, s0, v0
	v_cmp_lt_i32_e32 vcc_lo, 0, v16
	v_ashrrev_i32_e32 v7, 31, v6
	v_lshlrev_b64 v[0:1], 3, v[6:7]
	v_add_co_u32 v14, s0, s10, v0
	v_add_co_ci_u32_e64 v15, null, s11, v1, s0
	s_waitcnt lgkmcnt(0)
	v_add_co_u32 v12, s0, s6, v0
	v_add_co_ci_u32_e64 v13, null, s7, v1, s0
	s_cselect_b32 s6, -1, 0
	s_and_b32 s1, s6, vcc_lo
	s_and_saveexec_b32 s0, s1
	s_cbranch_execz .LBB768_2
; %bb.1:
	global_load_dwordx2 v[4:5], v[14:15], off
	global_load_dwordx2 v[2:3], v[12:13], off
.LBB768_2:
	s_or_b32 exec_lo, exec_lo, s0
	v_cmp_gt_i32_e64 s0, 2, v16
	s_xor_b32 s1, s6, -1
	s_or_b32 s0, s1, s0
	s_and_saveexec_b32 s1, s0
	s_xor_b32 s0, exec_lo, s1
                                        ; implicit-def: $vgpr8_vgpr9
; %bb.3:
	s_mov_b32 s1, 0
                                        ; implicit-def: $vgpr12
                                        ; implicit-def: $vgpr14
	v_mov_b32_e32 v8, s1
	v_mov_b32_e32 v9, s1
; %bb.4:
	s_or_saveexec_b32 s1, s0
	v_mov_b32_e32 v10, 0
	v_mov_b32_e32 v11, 0
	s_xor_b32 exec_lo, exec_lo, s1
	s_cbranch_execz .LBB768_6
; %bb.5:
	s_mov_b32 s3, 0
	s_lshl_b64 s[10:11], s[2:3], 3
	v_add_co_u32 v8, s0, v14, s10
	v_add_co_ci_u32_e64 v9, null, s11, v15, s0
	v_add_co_u32 v10, s0, v12, s10
	v_add_co_ci_u32_e64 v11, null, s11, v13, s0
	global_load_dwordx2 v[8:9], v[8:9], off
	global_load_dwordx2 v[10:11], v[10:11], off
.LBB768_6:
	s_or_b32 exec_lo, exec_lo, s1
	s_and_saveexec_b32 s0, vcc_lo
	s_cbranch_execz .LBB768_11
; %bb.7:
	s_load_dwordx2 s[0:1], s[4:5], 0x28
	s_waitcnt vmcnt(1)
	v_add_f64 v[14:15], v[8:9], 0
	s_waitcnt lgkmcnt(0)
	v_add_co_u32 v6, vcc_lo, s0, v6
	v_add_co_ci_u32_e64 v7, null, s1, v7, vcc_lo
	s_ashr_i32 s0, s2, 31
	v_add_co_u32 v12, vcc_lo, v6, s2
	v_add_co_ci_u32_e64 v13, null, s0, v7, vcc_lo
	v_add_co_u32 v0, vcc_lo, s8, v0
	s_clause 0x1
	global_load_ubyte v17, v[6:7], off
	global_load_ubyte v12, v[12:13], off
	v_add_f64 v[6:7], v[4:5], 0
	v_add_co_ci_u32_e64 v1, null, s9, v1, vcc_lo
	s_andn2_b32 vcc_lo, exec_lo, s6
	s_waitcnt vmcnt(1)
	v_and_b32_e32 v13, 1, v17
	s_waitcnt vmcnt(0)
	v_and_b32_e32 v12, 1, v12
	v_cmp_eq_u32_e64 s1, 1, v13
	v_cmp_eq_u32_e64 s0, 1, v12
	v_cndmask_b32_e64 v13, v7, 0, s1
	v_cndmask_b32_e64 v12, v6, 0, s1
	;; [unrolled: 1-line block ×4, first 2 shown]
	s_cbranch_vccnz .LBB768_9
; %bb.8:
	v_fma_f64 v[2:3], -v[2:3], v[12:13], v[4:5]
	v_cndmask_b32_e64 v3, v3, 0, s1
	v_cndmask_b32_e64 v2, v2, 0, s1
	global_store_dwordx2 v[0:1], v[2:3], off
.LBB768_9:
	v_cmp_ne_u32_e32 vcc_lo, 1, v16
	s_and_b32 s1, vcc_lo, s6
	s_and_b32 exec_lo, exec_lo, s1
	s_cbranch_execz .LBB768_11
; %bb.10:
	v_fma_f64 v[2:3], -v[10:11], v[6:7], v[8:9]
	s_mov_b32 s3, 0
	s_lshl_b64 s[2:3], s[2:3], 3
	v_add_co_u32 v0, vcc_lo, v0, s2
	v_add_co_ci_u32_e64 v1, null, s3, v1, vcc_lo
	v_cndmask_b32_e64 v3, v3, 0, s0
	v_cndmask_b32_e64 v2, v2, 0, s0
	global_store_dwordx2 v[0:1], v[2:3], off
.LBB768_11:
	s_endpgm
	.section	.rodata,"a",@progbits
	.p2align	6, 0x0
	.amdhsa_kernel _ZN12_GLOBAL__N_121softmax_warp_backwardIdddLi0ELb0ELb1ELi64EEEvPT0_PKT_S5_iiiPKb
		.amdhsa_group_segment_fixed_size 0
		.amdhsa_private_segment_fixed_size 0
		.amdhsa_kernarg_size 304
		.amdhsa_user_sgpr_count 6
		.amdhsa_user_sgpr_private_segment_buffer 1
		.amdhsa_user_sgpr_dispatch_ptr 0
		.amdhsa_user_sgpr_queue_ptr 0
		.amdhsa_user_sgpr_kernarg_segment_ptr 1
		.amdhsa_user_sgpr_dispatch_id 0
		.amdhsa_user_sgpr_flat_scratch_init 0
		.amdhsa_user_sgpr_private_segment_size 0
		.amdhsa_wavefront_size32 1
		.amdhsa_uses_dynamic_stack 0
		.amdhsa_system_sgpr_private_segment_wavefront_offset 0
		.amdhsa_system_sgpr_workgroup_id_x 1
		.amdhsa_system_sgpr_workgroup_id_y 0
		.amdhsa_system_sgpr_workgroup_id_z 0
		.amdhsa_system_sgpr_workgroup_info 0
		.amdhsa_system_vgpr_workitem_id 1
		.amdhsa_next_free_vgpr 18
		.amdhsa_next_free_sgpr 12
		.amdhsa_reserve_vcc 1
		.amdhsa_reserve_flat_scratch 0
		.amdhsa_float_round_mode_32 0
		.amdhsa_float_round_mode_16_64 0
		.amdhsa_float_denorm_mode_32 3
		.amdhsa_float_denorm_mode_16_64 3
		.amdhsa_dx10_clamp 1
		.amdhsa_ieee_mode 1
		.amdhsa_fp16_overflow 0
		.amdhsa_workgroup_processor_mode 1
		.amdhsa_memory_ordered 1
		.amdhsa_forward_progress 1
		.amdhsa_shared_vgpr_count 0
		.amdhsa_exception_fp_ieee_invalid_op 0
		.amdhsa_exception_fp_denorm_src 0
		.amdhsa_exception_fp_ieee_div_zero 0
		.amdhsa_exception_fp_ieee_overflow 0
		.amdhsa_exception_fp_ieee_underflow 0
		.amdhsa_exception_fp_ieee_inexact 0
		.amdhsa_exception_int_div_zero 0
	.end_amdhsa_kernel
	.section	.text._ZN12_GLOBAL__N_121softmax_warp_backwardIdddLi0ELb0ELb1ELi64EEEvPT0_PKT_S5_iiiPKb,"axG",@progbits,_ZN12_GLOBAL__N_121softmax_warp_backwardIdddLi0ELb0ELb1ELi64EEEvPT0_PKT_S5_iiiPKb,comdat
.Lfunc_end768:
	.size	_ZN12_GLOBAL__N_121softmax_warp_backwardIdddLi0ELb0ELb1ELi64EEEvPT0_PKT_S5_iiiPKb, .Lfunc_end768-_ZN12_GLOBAL__N_121softmax_warp_backwardIdddLi0ELb0ELb1ELi64EEEvPT0_PKT_S5_iiiPKb
                                        ; -- End function
	.set _ZN12_GLOBAL__N_121softmax_warp_backwardIdddLi0ELb0ELb1ELi64EEEvPT0_PKT_S5_iiiPKb.num_vgpr, 18
	.set _ZN12_GLOBAL__N_121softmax_warp_backwardIdddLi0ELb0ELb1ELi64EEEvPT0_PKT_S5_iiiPKb.num_agpr, 0
	.set _ZN12_GLOBAL__N_121softmax_warp_backwardIdddLi0ELb0ELb1ELi64EEEvPT0_PKT_S5_iiiPKb.numbered_sgpr, 12
	.set _ZN12_GLOBAL__N_121softmax_warp_backwardIdddLi0ELb0ELb1ELi64EEEvPT0_PKT_S5_iiiPKb.num_named_barrier, 0
	.set _ZN12_GLOBAL__N_121softmax_warp_backwardIdddLi0ELb0ELb1ELi64EEEvPT0_PKT_S5_iiiPKb.private_seg_size, 0
	.set _ZN12_GLOBAL__N_121softmax_warp_backwardIdddLi0ELb0ELb1ELi64EEEvPT0_PKT_S5_iiiPKb.uses_vcc, 1
	.set _ZN12_GLOBAL__N_121softmax_warp_backwardIdddLi0ELb0ELb1ELi64EEEvPT0_PKT_S5_iiiPKb.uses_flat_scratch, 0
	.set _ZN12_GLOBAL__N_121softmax_warp_backwardIdddLi0ELb0ELb1ELi64EEEvPT0_PKT_S5_iiiPKb.has_dyn_sized_stack, 0
	.set _ZN12_GLOBAL__N_121softmax_warp_backwardIdddLi0ELb0ELb1ELi64EEEvPT0_PKT_S5_iiiPKb.has_recursion, 0
	.set _ZN12_GLOBAL__N_121softmax_warp_backwardIdddLi0ELb0ELb1ELi64EEEvPT0_PKT_S5_iiiPKb.has_indirect_call, 0
	.section	.AMDGPU.csdata,"",@progbits
; Kernel info:
; codeLenInByte = 592
; TotalNumSgprs: 14
; NumVgprs: 18
; ScratchSize: 0
; MemoryBound: 1
; FloatMode: 240
; IeeeMode: 1
; LDSByteSize: 0 bytes/workgroup (compile time only)
; SGPRBlocks: 0
; VGPRBlocks: 2
; NumSGPRsForWavesPerEU: 14
; NumVGPRsForWavesPerEU: 18
; Occupancy: 16
; WaveLimiterHint : 0
; COMPUTE_PGM_RSRC2:SCRATCH_EN: 0
; COMPUTE_PGM_RSRC2:USER_SGPR: 6
; COMPUTE_PGM_RSRC2:TRAP_HANDLER: 0
; COMPUTE_PGM_RSRC2:TGID_X_EN: 1
; COMPUTE_PGM_RSRC2:TGID_Y_EN: 0
; COMPUTE_PGM_RSRC2:TGID_Z_EN: 0
; COMPUTE_PGM_RSRC2:TIDIG_COMP_CNT: 1
	.section	.text._ZN12_GLOBAL__N_121softmax_warp_backwardIdddLi0ELb0ELb1ELi32EEEvPT0_PKT_S5_iiiPKb,"axG",@progbits,_ZN12_GLOBAL__N_121softmax_warp_backwardIdddLi0ELb0ELb1ELi32EEEvPT0_PKT_S5_iiiPKb,comdat
	.globl	_ZN12_GLOBAL__N_121softmax_warp_backwardIdddLi0ELb0ELb1ELi32EEEvPT0_PKT_S5_iiiPKb ; -- Begin function _ZN12_GLOBAL__N_121softmax_warp_backwardIdddLi0ELb0ELb1ELi32EEEvPT0_PKT_S5_iiiPKb
	.p2align	8
	.type	_ZN12_GLOBAL__N_121softmax_warp_backwardIdddLi0ELb0ELb1ELi32EEEvPT0_PKT_S5_iiiPKb,@function
_ZN12_GLOBAL__N_121softmax_warp_backwardIdddLi0ELb0ELb1ELi32EEEvPT0_PKT_S5_iiiPKb: ; @_ZN12_GLOBAL__N_121softmax_warp_backwardIdddLi0ELb0ELb1ELi32EEEvPT0_PKT_S5_iiiPKb
; %bb.0:
	s_clause 0x2
	s_load_dword s7, s[4:5], 0x3c
	s_load_dwordx4 s[0:3], s[4:5], 0x18
	s_load_dwordx4 s[8:11], s[4:5], 0x0
	v_mov_b32_e32 v2, 0
	v_mov_b32_e32 v4, 0
	;; [unrolled: 1-line block ×4, first 2 shown]
	s_waitcnt lgkmcnt(0)
	s_lshr_b32 s3, s7, 16
	s_and_b32 s3, s3, 0xffff
	s_cmp_gt_i32 s2, 0
	s_mul_i32 s6, s6, s3
	v_add_lshl_u32 v0, s6, v1, 1
	s_load_dwordx2 s[6:7], s[4:5], 0x10
	v_mul_lo_u32 v6, v0, s1
	v_sub_nc_u32_e32 v16, s0, v0
	v_cmp_lt_i32_e32 vcc_lo, 0, v16
	v_ashrrev_i32_e32 v7, 31, v6
	v_lshlrev_b64 v[0:1], 3, v[6:7]
	v_add_co_u32 v14, s0, s10, v0
	v_add_co_ci_u32_e64 v15, null, s11, v1, s0
	s_waitcnt lgkmcnt(0)
	v_add_co_u32 v12, s0, s6, v0
	v_add_co_ci_u32_e64 v13, null, s7, v1, s0
	s_cselect_b32 s6, -1, 0
	s_and_b32 s1, s6, vcc_lo
	s_and_saveexec_b32 s0, s1
	s_cbranch_execz .LBB769_2
; %bb.1:
	global_load_dwordx2 v[4:5], v[14:15], off
	global_load_dwordx2 v[2:3], v[12:13], off
.LBB769_2:
	s_or_b32 exec_lo, exec_lo, s0
	v_cmp_gt_i32_e64 s0, 2, v16
	s_xor_b32 s1, s6, -1
	s_or_b32 s0, s1, s0
	s_and_saveexec_b32 s1, s0
	s_xor_b32 s0, exec_lo, s1
                                        ; implicit-def: $vgpr8_vgpr9
; %bb.3:
	s_mov_b32 s1, 0
                                        ; implicit-def: $vgpr12
                                        ; implicit-def: $vgpr14
	v_mov_b32_e32 v8, s1
	v_mov_b32_e32 v9, s1
; %bb.4:
	s_or_saveexec_b32 s1, s0
	v_mov_b32_e32 v10, 0
	v_mov_b32_e32 v11, 0
	s_xor_b32 exec_lo, exec_lo, s1
	s_cbranch_execz .LBB769_6
; %bb.5:
	s_mov_b32 s3, 0
	s_lshl_b64 s[10:11], s[2:3], 3
	v_add_co_u32 v8, s0, v14, s10
	v_add_co_ci_u32_e64 v9, null, s11, v15, s0
	v_add_co_u32 v10, s0, v12, s10
	v_add_co_ci_u32_e64 v11, null, s11, v13, s0
	global_load_dwordx2 v[8:9], v[8:9], off
	global_load_dwordx2 v[10:11], v[10:11], off
.LBB769_6:
	s_or_b32 exec_lo, exec_lo, s1
	s_and_saveexec_b32 s0, vcc_lo
	s_cbranch_execz .LBB769_11
; %bb.7:
	s_load_dwordx2 s[0:1], s[4:5], 0x28
	s_waitcnt vmcnt(1)
	v_add_f64 v[14:15], v[8:9], 0
	s_waitcnt lgkmcnt(0)
	v_add_co_u32 v6, vcc_lo, s0, v6
	v_add_co_ci_u32_e64 v7, null, s1, v7, vcc_lo
	s_ashr_i32 s0, s2, 31
	v_add_co_u32 v12, vcc_lo, v6, s2
	v_add_co_ci_u32_e64 v13, null, s0, v7, vcc_lo
	v_add_co_u32 v0, vcc_lo, s8, v0
	s_clause 0x1
	global_load_ubyte v17, v[6:7], off
	global_load_ubyte v12, v[12:13], off
	v_add_f64 v[6:7], v[4:5], 0
	v_add_co_ci_u32_e64 v1, null, s9, v1, vcc_lo
	s_andn2_b32 vcc_lo, exec_lo, s6
	s_waitcnt vmcnt(1)
	v_and_b32_e32 v13, 1, v17
	s_waitcnt vmcnt(0)
	v_and_b32_e32 v12, 1, v12
	v_cmp_eq_u32_e64 s1, 1, v13
	v_cmp_eq_u32_e64 s0, 1, v12
	v_cndmask_b32_e64 v13, v7, 0, s1
	v_cndmask_b32_e64 v12, v6, 0, s1
	;; [unrolled: 1-line block ×4, first 2 shown]
	s_cbranch_vccnz .LBB769_9
; %bb.8:
	v_fma_f64 v[2:3], -v[2:3], v[12:13], v[4:5]
	v_cndmask_b32_e64 v3, v3, 0, s1
	v_cndmask_b32_e64 v2, v2, 0, s1
	global_store_dwordx2 v[0:1], v[2:3], off
.LBB769_9:
	v_cmp_ne_u32_e32 vcc_lo, 1, v16
	s_and_b32 s1, vcc_lo, s6
	s_and_b32 exec_lo, exec_lo, s1
	s_cbranch_execz .LBB769_11
; %bb.10:
	v_fma_f64 v[2:3], -v[10:11], v[6:7], v[8:9]
	s_mov_b32 s3, 0
	s_lshl_b64 s[2:3], s[2:3], 3
	v_add_co_u32 v0, vcc_lo, v0, s2
	v_add_co_ci_u32_e64 v1, null, s3, v1, vcc_lo
	v_cndmask_b32_e64 v3, v3, 0, s0
	v_cndmask_b32_e64 v2, v2, 0, s0
	global_store_dwordx2 v[0:1], v[2:3], off
.LBB769_11:
	s_endpgm
	.section	.rodata,"a",@progbits
	.p2align	6, 0x0
	.amdhsa_kernel _ZN12_GLOBAL__N_121softmax_warp_backwardIdddLi0ELb0ELb1ELi32EEEvPT0_PKT_S5_iiiPKb
		.amdhsa_group_segment_fixed_size 0
		.amdhsa_private_segment_fixed_size 0
		.amdhsa_kernarg_size 304
		.amdhsa_user_sgpr_count 6
		.amdhsa_user_sgpr_private_segment_buffer 1
		.amdhsa_user_sgpr_dispatch_ptr 0
		.amdhsa_user_sgpr_queue_ptr 0
		.amdhsa_user_sgpr_kernarg_segment_ptr 1
		.amdhsa_user_sgpr_dispatch_id 0
		.amdhsa_user_sgpr_flat_scratch_init 0
		.amdhsa_user_sgpr_private_segment_size 0
		.amdhsa_wavefront_size32 1
		.amdhsa_uses_dynamic_stack 0
		.amdhsa_system_sgpr_private_segment_wavefront_offset 0
		.amdhsa_system_sgpr_workgroup_id_x 1
		.amdhsa_system_sgpr_workgroup_id_y 0
		.amdhsa_system_sgpr_workgroup_id_z 0
		.amdhsa_system_sgpr_workgroup_info 0
		.amdhsa_system_vgpr_workitem_id 1
		.amdhsa_next_free_vgpr 18
		.amdhsa_next_free_sgpr 12
		.amdhsa_reserve_vcc 1
		.amdhsa_reserve_flat_scratch 0
		.amdhsa_float_round_mode_32 0
		.amdhsa_float_round_mode_16_64 0
		.amdhsa_float_denorm_mode_32 3
		.amdhsa_float_denorm_mode_16_64 3
		.amdhsa_dx10_clamp 1
		.amdhsa_ieee_mode 1
		.amdhsa_fp16_overflow 0
		.amdhsa_workgroup_processor_mode 1
		.amdhsa_memory_ordered 1
		.amdhsa_forward_progress 1
		.amdhsa_shared_vgpr_count 0
		.amdhsa_exception_fp_ieee_invalid_op 0
		.amdhsa_exception_fp_denorm_src 0
		.amdhsa_exception_fp_ieee_div_zero 0
		.amdhsa_exception_fp_ieee_overflow 0
		.amdhsa_exception_fp_ieee_underflow 0
		.amdhsa_exception_fp_ieee_inexact 0
		.amdhsa_exception_int_div_zero 0
	.end_amdhsa_kernel
	.section	.text._ZN12_GLOBAL__N_121softmax_warp_backwardIdddLi0ELb0ELb1ELi32EEEvPT0_PKT_S5_iiiPKb,"axG",@progbits,_ZN12_GLOBAL__N_121softmax_warp_backwardIdddLi0ELb0ELb1ELi32EEEvPT0_PKT_S5_iiiPKb,comdat
.Lfunc_end769:
	.size	_ZN12_GLOBAL__N_121softmax_warp_backwardIdddLi0ELb0ELb1ELi32EEEvPT0_PKT_S5_iiiPKb, .Lfunc_end769-_ZN12_GLOBAL__N_121softmax_warp_backwardIdddLi0ELb0ELb1ELi32EEEvPT0_PKT_S5_iiiPKb
                                        ; -- End function
	.set _ZN12_GLOBAL__N_121softmax_warp_backwardIdddLi0ELb0ELb1ELi32EEEvPT0_PKT_S5_iiiPKb.num_vgpr, 18
	.set _ZN12_GLOBAL__N_121softmax_warp_backwardIdddLi0ELb0ELb1ELi32EEEvPT0_PKT_S5_iiiPKb.num_agpr, 0
	.set _ZN12_GLOBAL__N_121softmax_warp_backwardIdddLi0ELb0ELb1ELi32EEEvPT0_PKT_S5_iiiPKb.numbered_sgpr, 12
	.set _ZN12_GLOBAL__N_121softmax_warp_backwardIdddLi0ELb0ELb1ELi32EEEvPT0_PKT_S5_iiiPKb.num_named_barrier, 0
	.set _ZN12_GLOBAL__N_121softmax_warp_backwardIdddLi0ELb0ELb1ELi32EEEvPT0_PKT_S5_iiiPKb.private_seg_size, 0
	.set _ZN12_GLOBAL__N_121softmax_warp_backwardIdddLi0ELb0ELb1ELi32EEEvPT0_PKT_S5_iiiPKb.uses_vcc, 1
	.set _ZN12_GLOBAL__N_121softmax_warp_backwardIdddLi0ELb0ELb1ELi32EEEvPT0_PKT_S5_iiiPKb.uses_flat_scratch, 0
	.set _ZN12_GLOBAL__N_121softmax_warp_backwardIdddLi0ELb0ELb1ELi32EEEvPT0_PKT_S5_iiiPKb.has_dyn_sized_stack, 0
	.set _ZN12_GLOBAL__N_121softmax_warp_backwardIdddLi0ELb0ELb1ELi32EEEvPT0_PKT_S5_iiiPKb.has_recursion, 0
	.set _ZN12_GLOBAL__N_121softmax_warp_backwardIdddLi0ELb0ELb1ELi32EEEvPT0_PKT_S5_iiiPKb.has_indirect_call, 0
	.section	.AMDGPU.csdata,"",@progbits
; Kernel info:
; codeLenInByte = 592
; TotalNumSgprs: 14
; NumVgprs: 18
; ScratchSize: 0
; MemoryBound: 1
; FloatMode: 240
; IeeeMode: 1
; LDSByteSize: 0 bytes/workgroup (compile time only)
; SGPRBlocks: 0
; VGPRBlocks: 2
; NumSGPRsForWavesPerEU: 14
; NumVGPRsForWavesPerEU: 18
; Occupancy: 16
; WaveLimiterHint : 0
; COMPUTE_PGM_RSRC2:SCRATCH_EN: 0
; COMPUTE_PGM_RSRC2:USER_SGPR: 6
; COMPUTE_PGM_RSRC2:TRAP_HANDLER: 0
; COMPUTE_PGM_RSRC2:TGID_X_EN: 1
; COMPUTE_PGM_RSRC2:TGID_Y_EN: 0
; COMPUTE_PGM_RSRC2:TGID_Z_EN: 0
; COMPUTE_PGM_RSRC2:TIDIG_COMP_CNT: 1
	.section	.text._ZN12_GLOBAL__N_121softmax_warp_backwardIdddLi1ELb0ELb1ELi64EEEvPT0_PKT_S5_iiiPKb,"axG",@progbits,_ZN12_GLOBAL__N_121softmax_warp_backwardIdddLi1ELb0ELb1ELi64EEEvPT0_PKT_S5_iiiPKb,comdat
	.globl	_ZN12_GLOBAL__N_121softmax_warp_backwardIdddLi1ELb0ELb1ELi64EEEvPT0_PKT_S5_iiiPKb ; -- Begin function _ZN12_GLOBAL__N_121softmax_warp_backwardIdddLi1ELb0ELb1ELi64EEEvPT0_PKT_S5_iiiPKb
	.p2align	8
	.type	_ZN12_GLOBAL__N_121softmax_warp_backwardIdddLi1ELb0ELb1ELi64EEEvPT0_PKT_S5_iiiPKb,@function
_ZN12_GLOBAL__N_121softmax_warp_backwardIdddLi1ELb0ELb1ELi64EEEvPT0_PKT_S5_iiiPKb: ; @_ZN12_GLOBAL__N_121softmax_warp_backwardIdddLi1ELb0ELb1ELi64EEEvPT0_PKT_S5_iiiPKb
; %bb.0:
	s_clause 0x1
	s_load_dword s0, s[4:5], 0x3c
	s_load_dwordx4 s[8:11], s[4:5], 0x18
	v_and_b32_e32 v6, 1, v0
	s_clause 0x1
	s_load_dwordx4 s[12:15], s[4:5], 0x0
	s_load_dwordx2 s[2:3], s[4:5], 0x10
	v_mov_b32_e32 v4, 0
	v_mov_b32_e32 v5, 0
	s_waitcnt lgkmcnt(0)
	s_lshr_b32 s0, s0, 16
	v_cmp_gt_i32_e32 vcc_lo, s10, v6
	s_and_b32 s0, s0, 0xffff
	s_mul_i32 s6, s6, s0
	v_add_lshl_u32 v1, s6, v1, 1
	v_mul_lo_u32 v2, v1, s9
	v_sub_nc_u32_e32 v18, s8, v1
	v_cmp_lt_i32_e64 s0, 0, v18
	v_or_b32_e32 v8, v2, v6
	v_mov_b32_e32 v2, 0
	v_mov_b32_e32 v3, 0
	v_ashrrev_i32_e32 v9, 31, v8
	v_lshlrev_b64 v[0:1], 3, v[8:9]
	v_add_co_u32 v14, s1, s14, v0
	v_add_co_ci_u32_e64 v15, null, s15, v1, s1
	v_add_co_u32 v12, s1, s2, v0
	v_add_co_ci_u32_e64 v13, null, s3, v1, s1
	s_and_b32 s2, vcc_lo, s0
	s_and_saveexec_b32 s1, s2
	s_cbranch_execz .LBB770_2
; %bb.1:
	global_load_dwordx2 v[4:5], v[14:15], off
	global_load_dwordx2 v[2:3], v[12:13], off
.LBB770_2:
	s_or_b32 exec_lo, exec_lo, s1
	v_cmp_gt_i32_e64 s1, 2, v18
	s_xor_b32 s2, vcc_lo, -1
	s_or_b32 s1, s2, s1
	s_and_saveexec_b32 s2, s1
	s_xor_b32 s1, exec_lo, s2
                                        ; implicit-def: $vgpr6_vgpr7
; %bb.3:
	s_mov_b32 s2, 0
                                        ; implicit-def: $vgpr12
                                        ; implicit-def: $vgpr14
	v_mov_b32_e32 v6, s2
	v_mov_b32_e32 v7, s2
; %bb.4:
	s_or_saveexec_b32 s2, s1
	v_mov_b32_e32 v10, 0
	v_mov_b32_e32 v11, 0
	s_xor_b32 exec_lo, exec_lo, s2
	s_cbranch_execz .LBB770_6
; %bb.5:
	s_mov_b32 s11, 0
	s_lshl_b64 s[6:7], s[10:11], 3
	v_add_co_u32 v6, s1, v14, s6
	v_add_co_ci_u32_e64 v7, null, s7, v15, s1
	v_add_co_u32 v10, s1, v12, s6
	v_add_co_ci_u32_e64 v11, null, s7, v13, s1
	global_load_dwordx2 v[6:7], v[6:7], off
	global_load_dwordx2 v[10:11], v[10:11], off
.LBB770_6:
	s_or_b32 exec_lo, exec_lo, s2
	s_load_dwordx2 s[2:3], s[4:5], 0x28
	v_mbcnt_lo_u32_b32 v16, -1, 0
	v_and_b32_e32 v17, 30, v16
	v_xor_b32_e32 v19, 1, v16
	v_add_nc_u32_e32 v17, 2, v17
	s_waitcnt lgkmcnt(0)
	v_add_co_u32 v8, s1, s2, v8
	v_add_co_ci_u32_e64 v9, null, s3, v9, s1
	s_ashr_i32 s2, s10, 31
	v_add_co_u32 v12, s1, v8, s10
	v_add_co_ci_u32_e64 v13, null, s2, v9, s1
	v_cmp_lt_i32_e64 s1, v19, v17
	s_clause 0x1
	global_load_ubyte v14, v[8:9], off
	global_load_ubyte v15, v[12:13], off
	s_waitcnt vmcnt(3)
	v_add_f64 v[8:9], v[4:5], 0
	v_add_f64 v[12:13], v[6:7], 0
	v_cndmask_b32_e64 v16, v16, v19, s1
	v_lshlrev_b32_e32 v19, 2, v16
	s_waitcnt vmcnt(1)
	v_and_b32_e32 v14, 1, v14
	s_waitcnt vmcnt(0)
	v_and_b32_e32 v15, 1, v15
	v_cmp_eq_u32_e64 s2, 1, v14
	v_cmp_eq_u32_e64 s1, 1, v15
	v_cndmask_b32_e64 v15, v9, 0, s2
	v_cndmask_b32_e64 v14, v8, 0, s2
	;; [unrolled: 1-line block ×4, first 2 shown]
	ds_bpermute_b32 v17, v19, v15
	ds_bpermute_b32 v16, v19, v14
	;; [unrolled: 1-line block ×4, first 2 shown]
	s_and_saveexec_b32 s3, s0
	s_cbranch_execz .LBB770_11
; %bb.7:
	v_add_co_u32 v0, s0, s12, v0
	v_add_co_ci_u32_e64 v1, null, s13, v1, s0
	s_and_saveexec_b32 s0, vcc_lo
	s_cbranch_execz .LBB770_9
; %bb.8:
	s_waitcnt lgkmcnt(2)
	v_add_f64 v[14:15], v[14:15], v[16:17]
	v_fma_f64 v[2:3], -v[2:3], v[14:15], v[4:5]
	v_cndmask_b32_e64 v3, v3, 0, s2
	v_cndmask_b32_e64 v2, v2, 0, s2
	global_store_dwordx2 v[0:1], v[2:3], off
.LBB770_9:
	s_or_b32 exec_lo, exec_lo, s0
	v_cmp_ne_u32_e64 s0, 1, v18
	s_and_b32 s0, s0, vcc_lo
	s_and_b32 exec_lo, exec_lo, s0
	s_cbranch_execz .LBB770_11
; %bb.10:
	s_waitcnt lgkmcnt(0)
	v_add_f64 v[2:3], v[8:9], v[12:13]
	s_mov_b32 s11, 0
	s_lshl_b64 s[2:3], s[10:11], 3
	v_add_co_u32 v0, vcc_lo, v0, s2
	v_add_co_ci_u32_e64 v1, null, s3, v1, vcc_lo
	v_fma_f64 v[2:3], -v[10:11], v[2:3], v[6:7]
	v_cndmask_b32_e64 v3, v3, 0, s1
	v_cndmask_b32_e64 v2, v2, 0, s1
	global_store_dwordx2 v[0:1], v[2:3], off
.LBB770_11:
	s_endpgm
	.section	.rodata,"a",@progbits
	.p2align	6, 0x0
	.amdhsa_kernel _ZN12_GLOBAL__N_121softmax_warp_backwardIdddLi1ELb0ELb1ELi64EEEvPT0_PKT_S5_iiiPKb
		.amdhsa_group_segment_fixed_size 0
		.amdhsa_private_segment_fixed_size 0
		.amdhsa_kernarg_size 304
		.amdhsa_user_sgpr_count 6
		.amdhsa_user_sgpr_private_segment_buffer 1
		.amdhsa_user_sgpr_dispatch_ptr 0
		.amdhsa_user_sgpr_queue_ptr 0
		.amdhsa_user_sgpr_kernarg_segment_ptr 1
		.amdhsa_user_sgpr_dispatch_id 0
		.amdhsa_user_sgpr_flat_scratch_init 0
		.amdhsa_user_sgpr_private_segment_size 0
		.amdhsa_wavefront_size32 1
		.amdhsa_uses_dynamic_stack 0
		.amdhsa_system_sgpr_private_segment_wavefront_offset 0
		.amdhsa_system_sgpr_workgroup_id_x 1
		.amdhsa_system_sgpr_workgroup_id_y 0
		.amdhsa_system_sgpr_workgroup_id_z 0
		.amdhsa_system_sgpr_workgroup_info 0
		.amdhsa_system_vgpr_workitem_id 1
		.amdhsa_next_free_vgpr 20
		.amdhsa_next_free_sgpr 16
		.amdhsa_reserve_vcc 1
		.amdhsa_reserve_flat_scratch 0
		.amdhsa_float_round_mode_32 0
		.amdhsa_float_round_mode_16_64 0
		.amdhsa_float_denorm_mode_32 3
		.amdhsa_float_denorm_mode_16_64 3
		.amdhsa_dx10_clamp 1
		.amdhsa_ieee_mode 1
		.amdhsa_fp16_overflow 0
		.amdhsa_workgroup_processor_mode 1
		.amdhsa_memory_ordered 1
		.amdhsa_forward_progress 1
		.amdhsa_shared_vgpr_count 0
		.amdhsa_exception_fp_ieee_invalid_op 0
		.amdhsa_exception_fp_denorm_src 0
		.amdhsa_exception_fp_ieee_div_zero 0
		.amdhsa_exception_fp_ieee_overflow 0
		.amdhsa_exception_fp_ieee_underflow 0
		.amdhsa_exception_fp_ieee_inexact 0
		.amdhsa_exception_int_div_zero 0
	.end_amdhsa_kernel
	.section	.text._ZN12_GLOBAL__N_121softmax_warp_backwardIdddLi1ELb0ELb1ELi64EEEvPT0_PKT_S5_iiiPKb,"axG",@progbits,_ZN12_GLOBAL__N_121softmax_warp_backwardIdddLi1ELb0ELb1ELi64EEEvPT0_PKT_S5_iiiPKb,comdat
.Lfunc_end770:
	.size	_ZN12_GLOBAL__N_121softmax_warp_backwardIdddLi1ELb0ELb1ELi64EEEvPT0_PKT_S5_iiiPKb, .Lfunc_end770-_ZN12_GLOBAL__N_121softmax_warp_backwardIdddLi1ELb0ELb1ELi64EEEvPT0_PKT_S5_iiiPKb
                                        ; -- End function
	.set _ZN12_GLOBAL__N_121softmax_warp_backwardIdddLi1ELb0ELb1ELi64EEEvPT0_PKT_S5_iiiPKb.num_vgpr, 20
	.set _ZN12_GLOBAL__N_121softmax_warp_backwardIdddLi1ELb0ELb1ELi64EEEvPT0_PKT_S5_iiiPKb.num_agpr, 0
	.set _ZN12_GLOBAL__N_121softmax_warp_backwardIdddLi1ELb0ELb1ELi64EEEvPT0_PKT_S5_iiiPKb.numbered_sgpr, 16
	.set _ZN12_GLOBAL__N_121softmax_warp_backwardIdddLi1ELb0ELb1ELi64EEEvPT0_PKT_S5_iiiPKb.num_named_barrier, 0
	.set _ZN12_GLOBAL__N_121softmax_warp_backwardIdddLi1ELb0ELb1ELi64EEEvPT0_PKT_S5_iiiPKb.private_seg_size, 0
	.set _ZN12_GLOBAL__N_121softmax_warp_backwardIdddLi1ELb0ELb1ELi64EEEvPT0_PKT_S5_iiiPKb.uses_vcc, 1
	.set _ZN12_GLOBAL__N_121softmax_warp_backwardIdddLi1ELb0ELb1ELi64EEEvPT0_PKT_S5_iiiPKb.uses_flat_scratch, 0
	.set _ZN12_GLOBAL__N_121softmax_warp_backwardIdddLi1ELb0ELb1ELi64EEEvPT0_PKT_S5_iiiPKb.has_dyn_sized_stack, 0
	.set _ZN12_GLOBAL__N_121softmax_warp_backwardIdddLi1ELb0ELb1ELi64EEEvPT0_PKT_S5_iiiPKb.has_recursion, 0
	.set _ZN12_GLOBAL__N_121softmax_warp_backwardIdddLi1ELb0ELb1ELi64EEEvPT0_PKT_S5_iiiPKb.has_indirect_call, 0
	.section	.AMDGPU.csdata,"",@progbits
; Kernel info:
; codeLenInByte = 704
; TotalNumSgprs: 18
; NumVgprs: 20
; ScratchSize: 0
; MemoryBound: 1
; FloatMode: 240
; IeeeMode: 1
; LDSByteSize: 0 bytes/workgroup (compile time only)
; SGPRBlocks: 0
; VGPRBlocks: 2
; NumSGPRsForWavesPerEU: 18
; NumVGPRsForWavesPerEU: 20
; Occupancy: 16
; WaveLimiterHint : 0
; COMPUTE_PGM_RSRC2:SCRATCH_EN: 0
; COMPUTE_PGM_RSRC2:USER_SGPR: 6
; COMPUTE_PGM_RSRC2:TRAP_HANDLER: 0
; COMPUTE_PGM_RSRC2:TGID_X_EN: 1
; COMPUTE_PGM_RSRC2:TGID_Y_EN: 0
; COMPUTE_PGM_RSRC2:TGID_Z_EN: 0
; COMPUTE_PGM_RSRC2:TIDIG_COMP_CNT: 1
	.section	.text._ZN12_GLOBAL__N_121softmax_warp_backwardIdddLi1ELb0ELb1ELi32EEEvPT0_PKT_S5_iiiPKb,"axG",@progbits,_ZN12_GLOBAL__N_121softmax_warp_backwardIdddLi1ELb0ELb1ELi32EEEvPT0_PKT_S5_iiiPKb,comdat
	.globl	_ZN12_GLOBAL__N_121softmax_warp_backwardIdddLi1ELb0ELb1ELi32EEEvPT0_PKT_S5_iiiPKb ; -- Begin function _ZN12_GLOBAL__N_121softmax_warp_backwardIdddLi1ELb0ELb1ELi32EEEvPT0_PKT_S5_iiiPKb
	.p2align	8
	.type	_ZN12_GLOBAL__N_121softmax_warp_backwardIdddLi1ELb0ELb1ELi32EEEvPT0_PKT_S5_iiiPKb,@function
_ZN12_GLOBAL__N_121softmax_warp_backwardIdddLi1ELb0ELb1ELi32EEEvPT0_PKT_S5_iiiPKb: ; @_ZN12_GLOBAL__N_121softmax_warp_backwardIdddLi1ELb0ELb1ELi32EEEvPT0_PKT_S5_iiiPKb
; %bb.0:
	s_clause 0x1
	s_load_dword s0, s[4:5], 0x3c
	s_load_dwordx4 s[8:11], s[4:5], 0x18
	v_and_b32_e32 v6, 1, v0
	s_clause 0x1
	s_load_dwordx4 s[12:15], s[4:5], 0x0
	s_load_dwordx2 s[2:3], s[4:5], 0x10
	v_mov_b32_e32 v4, 0
	v_mov_b32_e32 v5, 0
	s_waitcnt lgkmcnt(0)
	s_lshr_b32 s0, s0, 16
	v_cmp_gt_i32_e32 vcc_lo, s10, v6
	s_and_b32 s0, s0, 0xffff
	s_mul_i32 s6, s6, s0
	v_add_lshl_u32 v1, s6, v1, 1
	v_mul_lo_u32 v2, v1, s9
	v_sub_nc_u32_e32 v18, s8, v1
	v_cmp_lt_i32_e64 s0, 0, v18
	v_or_b32_e32 v8, v2, v6
	v_mov_b32_e32 v2, 0
	v_mov_b32_e32 v3, 0
	v_ashrrev_i32_e32 v9, 31, v8
	v_lshlrev_b64 v[0:1], 3, v[8:9]
	v_add_co_u32 v14, s1, s14, v0
	v_add_co_ci_u32_e64 v15, null, s15, v1, s1
	v_add_co_u32 v12, s1, s2, v0
	v_add_co_ci_u32_e64 v13, null, s3, v1, s1
	s_and_b32 s2, vcc_lo, s0
	s_and_saveexec_b32 s1, s2
	s_cbranch_execz .LBB771_2
; %bb.1:
	global_load_dwordx2 v[4:5], v[14:15], off
	global_load_dwordx2 v[2:3], v[12:13], off
.LBB771_2:
	s_or_b32 exec_lo, exec_lo, s1
	v_cmp_gt_i32_e64 s1, 2, v18
	s_xor_b32 s2, vcc_lo, -1
	s_or_b32 s1, s2, s1
	s_and_saveexec_b32 s2, s1
	s_xor_b32 s1, exec_lo, s2
                                        ; implicit-def: $vgpr6_vgpr7
; %bb.3:
	s_mov_b32 s2, 0
                                        ; implicit-def: $vgpr12
                                        ; implicit-def: $vgpr14
	v_mov_b32_e32 v6, s2
	v_mov_b32_e32 v7, s2
; %bb.4:
	s_or_saveexec_b32 s2, s1
	v_mov_b32_e32 v10, 0
	v_mov_b32_e32 v11, 0
	s_xor_b32 exec_lo, exec_lo, s2
	s_cbranch_execz .LBB771_6
; %bb.5:
	s_mov_b32 s11, 0
	s_lshl_b64 s[6:7], s[10:11], 3
	v_add_co_u32 v6, s1, v14, s6
	v_add_co_ci_u32_e64 v7, null, s7, v15, s1
	v_add_co_u32 v10, s1, v12, s6
	v_add_co_ci_u32_e64 v11, null, s7, v13, s1
	global_load_dwordx2 v[6:7], v[6:7], off
	global_load_dwordx2 v[10:11], v[10:11], off
.LBB771_6:
	s_or_b32 exec_lo, exec_lo, s2
	s_load_dwordx2 s[2:3], s[4:5], 0x28
	v_mbcnt_lo_u32_b32 v16, -1, 0
	v_and_b32_e32 v17, 30, v16
	v_xor_b32_e32 v19, 1, v16
	v_add_nc_u32_e32 v17, 2, v17
	s_waitcnt lgkmcnt(0)
	v_add_co_u32 v8, s1, s2, v8
	v_add_co_ci_u32_e64 v9, null, s3, v9, s1
	s_ashr_i32 s2, s10, 31
	v_add_co_u32 v12, s1, v8, s10
	v_add_co_ci_u32_e64 v13, null, s2, v9, s1
	v_cmp_lt_i32_e64 s1, v19, v17
	s_clause 0x1
	global_load_ubyte v14, v[8:9], off
	global_load_ubyte v15, v[12:13], off
	s_waitcnt vmcnt(3)
	v_add_f64 v[8:9], v[4:5], 0
	v_add_f64 v[12:13], v[6:7], 0
	v_cndmask_b32_e64 v16, v16, v19, s1
	v_lshlrev_b32_e32 v19, 2, v16
	s_waitcnt vmcnt(1)
	v_and_b32_e32 v14, 1, v14
	s_waitcnt vmcnt(0)
	v_and_b32_e32 v15, 1, v15
	v_cmp_eq_u32_e64 s2, 1, v14
	v_cmp_eq_u32_e64 s1, 1, v15
	v_cndmask_b32_e64 v15, v9, 0, s2
	v_cndmask_b32_e64 v14, v8, 0, s2
	;; [unrolled: 1-line block ×4, first 2 shown]
	ds_bpermute_b32 v17, v19, v15
	ds_bpermute_b32 v16, v19, v14
	;; [unrolled: 1-line block ×4, first 2 shown]
	s_and_saveexec_b32 s3, s0
	s_cbranch_execz .LBB771_11
; %bb.7:
	v_add_co_u32 v0, s0, s12, v0
	v_add_co_ci_u32_e64 v1, null, s13, v1, s0
	s_and_saveexec_b32 s0, vcc_lo
	s_cbranch_execz .LBB771_9
; %bb.8:
	s_waitcnt lgkmcnt(2)
	v_add_f64 v[14:15], v[14:15], v[16:17]
	v_fma_f64 v[2:3], -v[2:3], v[14:15], v[4:5]
	v_cndmask_b32_e64 v3, v3, 0, s2
	v_cndmask_b32_e64 v2, v2, 0, s2
	global_store_dwordx2 v[0:1], v[2:3], off
.LBB771_9:
	s_or_b32 exec_lo, exec_lo, s0
	v_cmp_ne_u32_e64 s0, 1, v18
	s_and_b32 s0, s0, vcc_lo
	s_and_b32 exec_lo, exec_lo, s0
	s_cbranch_execz .LBB771_11
; %bb.10:
	s_waitcnt lgkmcnt(0)
	v_add_f64 v[2:3], v[8:9], v[12:13]
	s_mov_b32 s11, 0
	s_lshl_b64 s[2:3], s[10:11], 3
	v_add_co_u32 v0, vcc_lo, v0, s2
	v_add_co_ci_u32_e64 v1, null, s3, v1, vcc_lo
	v_fma_f64 v[2:3], -v[10:11], v[2:3], v[6:7]
	v_cndmask_b32_e64 v3, v3, 0, s1
	v_cndmask_b32_e64 v2, v2, 0, s1
	global_store_dwordx2 v[0:1], v[2:3], off
.LBB771_11:
	s_endpgm
	.section	.rodata,"a",@progbits
	.p2align	6, 0x0
	.amdhsa_kernel _ZN12_GLOBAL__N_121softmax_warp_backwardIdddLi1ELb0ELb1ELi32EEEvPT0_PKT_S5_iiiPKb
		.amdhsa_group_segment_fixed_size 0
		.amdhsa_private_segment_fixed_size 0
		.amdhsa_kernarg_size 304
		.amdhsa_user_sgpr_count 6
		.amdhsa_user_sgpr_private_segment_buffer 1
		.amdhsa_user_sgpr_dispatch_ptr 0
		.amdhsa_user_sgpr_queue_ptr 0
		.amdhsa_user_sgpr_kernarg_segment_ptr 1
		.amdhsa_user_sgpr_dispatch_id 0
		.amdhsa_user_sgpr_flat_scratch_init 0
		.amdhsa_user_sgpr_private_segment_size 0
		.amdhsa_wavefront_size32 1
		.amdhsa_uses_dynamic_stack 0
		.amdhsa_system_sgpr_private_segment_wavefront_offset 0
		.amdhsa_system_sgpr_workgroup_id_x 1
		.amdhsa_system_sgpr_workgroup_id_y 0
		.amdhsa_system_sgpr_workgroup_id_z 0
		.amdhsa_system_sgpr_workgroup_info 0
		.amdhsa_system_vgpr_workitem_id 1
		.amdhsa_next_free_vgpr 20
		.amdhsa_next_free_sgpr 16
		.amdhsa_reserve_vcc 1
		.amdhsa_reserve_flat_scratch 0
		.amdhsa_float_round_mode_32 0
		.amdhsa_float_round_mode_16_64 0
		.amdhsa_float_denorm_mode_32 3
		.amdhsa_float_denorm_mode_16_64 3
		.amdhsa_dx10_clamp 1
		.amdhsa_ieee_mode 1
		.amdhsa_fp16_overflow 0
		.amdhsa_workgroup_processor_mode 1
		.amdhsa_memory_ordered 1
		.amdhsa_forward_progress 1
		.amdhsa_shared_vgpr_count 0
		.amdhsa_exception_fp_ieee_invalid_op 0
		.amdhsa_exception_fp_denorm_src 0
		.amdhsa_exception_fp_ieee_div_zero 0
		.amdhsa_exception_fp_ieee_overflow 0
		.amdhsa_exception_fp_ieee_underflow 0
		.amdhsa_exception_fp_ieee_inexact 0
		.amdhsa_exception_int_div_zero 0
	.end_amdhsa_kernel
	.section	.text._ZN12_GLOBAL__N_121softmax_warp_backwardIdddLi1ELb0ELb1ELi32EEEvPT0_PKT_S5_iiiPKb,"axG",@progbits,_ZN12_GLOBAL__N_121softmax_warp_backwardIdddLi1ELb0ELb1ELi32EEEvPT0_PKT_S5_iiiPKb,comdat
.Lfunc_end771:
	.size	_ZN12_GLOBAL__N_121softmax_warp_backwardIdddLi1ELb0ELb1ELi32EEEvPT0_PKT_S5_iiiPKb, .Lfunc_end771-_ZN12_GLOBAL__N_121softmax_warp_backwardIdddLi1ELb0ELb1ELi32EEEvPT0_PKT_S5_iiiPKb
                                        ; -- End function
	.set _ZN12_GLOBAL__N_121softmax_warp_backwardIdddLi1ELb0ELb1ELi32EEEvPT0_PKT_S5_iiiPKb.num_vgpr, 20
	.set _ZN12_GLOBAL__N_121softmax_warp_backwardIdddLi1ELb0ELb1ELi32EEEvPT0_PKT_S5_iiiPKb.num_agpr, 0
	.set _ZN12_GLOBAL__N_121softmax_warp_backwardIdddLi1ELb0ELb1ELi32EEEvPT0_PKT_S5_iiiPKb.numbered_sgpr, 16
	.set _ZN12_GLOBAL__N_121softmax_warp_backwardIdddLi1ELb0ELb1ELi32EEEvPT0_PKT_S5_iiiPKb.num_named_barrier, 0
	.set _ZN12_GLOBAL__N_121softmax_warp_backwardIdddLi1ELb0ELb1ELi32EEEvPT0_PKT_S5_iiiPKb.private_seg_size, 0
	.set _ZN12_GLOBAL__N_121softmax_warp_backwardIdddLi1ELb0ELb1ELi32EEEvPT0_PKT_S5_iiiPKb.uses_vcc, 1
	.set _ZN12_GLOBAL__N_121softmax_warp_backwardIdddLi1ELb0ELb1ELi32EEEvPT0_PKT_S5_iiiPKb.uses_flat_scratch, 0
	.set _ZN12_GLOBAL__N_121softmax_warp_backwardIdddLi1ELb0ELb1ELi32EEEvPT0_PKT_S5_iiiPKb.has_dyn_sized_stack, 0
	.set _ZN12_GLOBAL__N_121softmax_warp_backwardIdddLi1ELb0ELb1ELi32EEEvPT0_PKT_S5_iiiPKb.has_recursion, 0
	.set _ZN12_GLOBAL__N_121softmax_warp_backwardIdddLi1ELb0ELb1ELi32EEEvPT0_PKT_S5_iiiPKb.has_indirect_call, 0
	.section	.AMDGPU.csdata,"",@progbits
; Kernel info:
; codeLenInByte = 704
; TotalNumSgprs: 18
; NumVgprs: 20
; ScratchSize: 0
; MemoryBound: 1
; FloatMode: 240
; IeeeMode: 1
; LDSByteSize: 0 bytes/workgroup (compile time only)
; SGPRBlocks: 0
; VGPRBlocks: 2
; NumSGPRsForWavesPerEU: 18
; NumVGPRsForWavesPerEU: 20
; Occupancy: 16
; WaveLimiterHint : 0
; COMPUTE_PGM_RSRC2:SCRATCH_EN: 0
; COMPUTE_PGM_RSRC2:USER_SGPR: 6
; COMPUTE_PGM_RSRC2:TRAP_HANDLER: 0
; COMPUTE_PGM_RSRC2:TGID_X_EN: 1
; COMPUTE_PGM_RSRC2:TGID_Y_EN: 0
; COMPUTE_PGM_RSRC2:TGID_Z_EN: 0
; COMPUTE_PGM_RSRC2:TIDIG_COMP_CNT: 1
	.section	.text._ZN12_GLOBAL__N_121softmax_warp_backwardIdddLi2ELb0ELb1ELi64EEEvPT0_PKT_S5_iiiPKb,"axG",@progbits,_ZN12_GLOBAL__N_121softmax_warp_backwardIdddLi2ELb0ELb1ELi64EEEvPT0_PKT_S5_iiiPKb,comdat
	.globl	_ZN12_GLOBAL__N_121softmax_warp_backwardIdddLi2ELb0ELb1ELi64EEEvPT0_PKT_S5_iiiPKb ; -- Begin function _ZN12_GLOBAL__N_121softmax_warp_backwardIdddLi2ELb0ELb1ELi64EEEvPT0_PKT_S5_iiiPKb
	.p2align	8
	.type	_ZN12_GLOBAL__N_121softmax_warp_backwardIdddLi2ELb0ELb1ELi64EEEvPT0_PKT_S5_iiiPKb,@function
_ZN12_GLOBAL__N_121softmax_warp_backwardIdddLi2ELb0ELb1ELi64EEEvPT0_PKT_S5_iiiPKb: ; @_ZN12_GLOBAL__N_121softmax_warp_backwardIdddLi2ELb0ELb1ELi64EEEvPT0_PKT_S5_iiiPKb
; %bb.0:
	s_clause 0x1
	s_load_dword s0, s[4:5], 0x3c
	s_load_dwordx4 s[8:11], s[4:5], 0x18
	v_and_b32_e32 v6, 3, v0
	s_clause 0x1
	s_load_dwordx4 s[12:15], s[4:5], 0x0
	s_load_dwordx2 s[2:3], s[4:5], 0x10
	v_mov_b32_e32 v2, 0
	v_mov_b32_e32 v4, 0
	;; [unrolled: 1-line block ×4, first 2 shown]
	s_waitcnt lgkmcnt(0)
	s_lshr_b32 s0, s0, 16
	v_cmp_gt_i32_e32 vcc_lo, s10, v6
	s_and_b32 s0, s0, 0xffff
	s_mul_i32 s6, s6, s0
	v_add_lshl_u32 v0, s6, v1, 1
	v_mad_u64_u32 v[10:11], null, v0, s9, v[6:7]
	v_sub_nc_u32_e32 v18, s8, v0
	v_cmp_lt_i32_e64 s0, 0, v18
	v_ashrrev_i32_e32 v11, 31, v10
	v_lshlrev_b64 v[0:1], 3, v[10:11]
	v_add_co_u32 v14, s1, s14, v0
	v_add_co_ci_u32_e64 v15, null, s15, v1, s1
	v_add_co_u32 v12, s1, s2, v0
	v_add_co_ci_u32_e64 v13, null, s3, v1, s1
	s_and_b32 s2, vcc_lo, s0
	s_and_saveexec_b32 s1, s2
	s_cbranch_execz .LBB772_2
; %bb.1:
	global_load_dwordx2 v[4:5], v[14:15], off
	global_load_dwordx2 v[2:3], v[12:13], off
.LBB772_2:
	s_or_b32 exec_lo, exec_lo, s1
	v_cmp_gt_i32_e64 s1, 2, v18
	s_xor_b32 s2, vcc_lo, -1
	s_or_b32 s1, s2, s1
	s_and_saveexec_b32 s2, s1
	s_xor_b32 s1, exec_lo, s2
                                        ; implicit-def: $vgpr6_vgpr7
; %bb.3:
	s_mov_b32 s2, 0
                                        ; implicit-def: $vgpr12
                                        ; implicit-def: $vgpr14
	v_mov_b32_e32 v6, s2
	v_mov_b32_e32 v7, s2
; %bb.4:
	s_or_saveexec_b32 s2, s1
	v_mov_b32_e32 v8, 0
	v_mov_b32_e32 v9, 0
	s_xor_b32 exec_lo, exec_lo, s2
	s_cbranch_execz .LBB772_6
; %bb.5:
	s_mov_b32 s11, 0
	s_lshl_b64 s[6:7], s[10:11], 3
	v_add_co_u32 v6, s1, v14, s6
	v_add_co_ci_u32_e64 v7, null, s7, v15, s1
	v_add_co_u32 v8, s1, v12, s6
	v_add_co_ci_u32_e64 v9, null, s7, v13, s1
	global_load_dwordx2 v[6:7], v[6:7], off
	global_load_dwordx2 v[8:9], v[8:9], off
.LBB772_6:
	s_or_b32 exec_lo, exec_lo, s2
	s_load_dwordx2 s[2:3], s[4:5], 0x28
	v_mbcnt_lo_u32_b32 v19, -1, 0
	v_and_b32_e32 v16, 28, v19
	v_xor_b32_e32 v17, 2, v19
	v_add_nc_u32_e32 v20, 4, v16
	s_waitcnt lgkmcnt(0)
	v_add_co_u32 v10, s1, s2, v10
	v_add_co_ci_u32_e64 v11, null, s3, v11, s1
	s_ashr_i32 s2, s10, 31
	v_add_co_u32 v12, s1, v10, s10
	v_add_co_ci_u32_e64 v13, null, s2, v11, s1
	v_cmp_lt_i32_e64 s1, v17, v20
	s_clause 0x1
	global_load_ubyte v14, v[10:11], off
	global_load_ubyte v15, v[12:13], off
	s_waitcnt vmcnt(3)
	v_add_f64 v[10:11], v[4:5], 0
	v_add_f64 v[12:13], v[6:7], 0
	v_cndmask_b32_e64 v16, v19, v17, s1
	v_lshlrev_b32_e32 v16, 2, v16
	s_waitcnt vmcnt(1)
	v_and_b32_e32 v14, 1, v14
	s_waitcnt vmcnt(0)
	v_and_b32_e32 v15, 1, v15
	v_cmp_eq_u32_e64 s2, 1, v14
	v_cmp_eq_u32_e64 s1, 1, v15
	v_cndmask_b32_e64 v11, v11, 0, s2
	v_cndmask_b32_e64 v10, v10, 0, s2
	;; [unrolled: 1-line block ×4, first 2 shown]
	ds_bpermute_b32 v15, v16, v11
	ds_bpermute_b32 v14, v16, v10
	;; [unrolled: 1-line block ×4, first 2 shown]
	s_waitcnt lgkmcnt(2)
	v_add_f64 v[14:15], v[10:11], v[14:15]
	s_waitcnt lgkmcnt(0)
	v_add_f64 v[10:11], v[12:13], v[16:17]
	v_xor_b32_e32 v12, 1, v19
	v_cmp_lt_i32_e64 s3, v12, v20
	v_cndmask_b32_e64 v12, v19, v12, s3
	v_lshlrev_b32_e32 v13, 2, v12
	ds_bpermute_b32 v16, v13, v14
	ds_bpermute_b32 v17, v13, v15
	;; [unrolled: 1-line block ×4, first 2 shown]
	s_and_saveexec_b32 s3, s0
	s_cbranch_execz .LBB772_11
; %bb.7:
	v_add_co_u32 v0, s0, s12, v0
	v_add_co_ci_u32_e64 v1, null, s13, v1, s0
	s_and_saveexec_b32 s0, vcc_lo
	s_cbranch_execz .LBB772_9
; %bb.8:
	s_waitcnt lgkmcnt(2)
	v_add_f64 v[14:15], v[14:15], v[16:17]
	v_fma_f64 v[2:3], -v[2:3], v[14:15], v[4:5]
	v_cndmask_b32_e64 v3, v3, 0, s2
	v_cndmask_b32_e64 v2, v2, 0, s2
	global_store_dwordx2 v[0:1], v[2:3], off
.LBB772_9:
	s_or_b32 exec_lo, exec_lo, s0
	v_cmp_ne_u32_e64 s0, 1, v18
	s_and_b32 s0, s0, vcc_lo
	s_and_b32 exec_lo, exec_lo, s0
	s_cbranch_execz .LBB772_11
; %bb.10:
	s_waitcnt lgkmcnt(0)
	v_add_f64 v[2:3], v[10:11], v[12:13]
	s_mov_b32 s11, 0
	s_lshl_b64 s[2:3], s[10:11], 3
	v_add_co_u32 v0, vcc_lo, v0, s2
	v_add_co_ci_u32_e64 v1, null, s3, v1, vcc_lo
	v_fma_f64 v[2:3], -v[8:9], v[2:3], v[6:7]
	v_cndmask_b32_e64 v3, v3, 0, s1
	v_cndmask_b32_e64 v2, v2, 0, s1
	global_store_dwordx2 v[0:1], v[2:3], off
.LBB772_11:
	s_endpgm
	.section	.rodata,"a",@progbits
	.p2align	6, 0x0
	.amdhsa_kernel _ZN12_GLOBAL__N_121softmax_warp_backwardIdddLi2ELb0ELb1ELi64EEEvPT0_PKT_S5_iiiPKb
		.amdhsa_group_segment_fixed_size 0
		.amdhsa_private_segment_fixed_size 0
		.amdhsa_kernarg_size 304
		.amdhsa_user_sgpr_count 6
		.amdhsa_user_sgpr_private_segment_buffer 1
		.amdhsa_user_sgpr_dispatch_ptr 0
		.amdhsa_user_sgpr_queue_ptr 0
		.amdhsa_user_sgpr_kernarg_segment_ptr 1
		.amdhsa_user_sgpr_dispatch_id 0
		.amdhsa_user_sgpr_flat_scratch_init 0
		.amdhsa_user_sgpr_private_segment_size 0
		.amdhsa_wavefront_size32 1
		.amdhsa_uses_dynamic_stack 0
		.amdhsa_system_sgpr_private_segment_wavefront_offset 0
		.amdhsa_system_sgpr_workgroup_id_x 1
		.amdhsa_system_sgpr_workgroup_id_y 0
		.amdhsa_system_sgpr_workgroup_id_z 0
		.amdhsa_system_sgpr_workgroup_info 0
		.amdhsa_system_vgpr_workitem_id 1
		.amdhsa_next_free_vgpr 21
		.amdhsa_next_free_sgpr 16
		.amdhsa_reserve_vcc 1
		.amdhsa_reserve_flat_scratch 0
		.amdhsa_float_round_mode_32 0
		.amdhsa_float_round_mode_16_64 0
		.amdhsa_float_denorm_mode_32 3
		.amdhsa_float_denorm_mode_16_64 3
		.amdhsa_dx10_clamp 1
		.amdhsa_ieee_mode 1
		.amdhsa_fp16_overflow 0
		.amdhsa_workgroup_processor_mode 1
		.amdhsa_memory_ordered 1
		.amdhsa_forward_progress 1
		.amdhsa_shared_vgpr_count 0
		.amdhsa_exception_fp_ieee_invalid_op 0
		.amdhsa_exception_fp_denorm_src 0
		.amdhsa_exception_fp_ieee_div_zero 0
		.amdhsa_exception_fp_ieee_overflow 0
		.amdhsa_exception_fp_ieee_underflow 0
		.amdhsa_exception_fp_ieee_inexact 0
		.amdhsa_exception_int_div_zero 0
	.end_amdhsa_kernel
	.section	.text._ZN12_GLOBAL__N_121softmax_warp_backwardIdddLi2ELb0ELb1ELi64EEEvPT0_PKT_S5_iiiPKb,"axG",@progbits,_ZN12_GLOBAL__N_121softmax_warp_backwardIdddLi2ELb0ELb1ELi64EEEvPT0_PKT_S5_iiiPKb,comdat
.Lfunc_end772:
	.size	_ZN12_GLOBAL__N_121softmax_warp_backwardIdddLi2ELb0ELb1ELi64EEEvPT0_PKT_S5_iiiPKb, .Lfunc_end772-_ZN12_GLOBAL__N_121softmax_warp_backwardIdddLi2ELb0ELb1ELi64EEEvPT0_PKT_S5_iiiPKb
                                        ; -- End function
	.set _ZN12_GLOBAL__N_121softmax_warp_backwardIdddLi2ELb0ELb1ELi64EEEvPT0_PKT_S5_iiiPKb.num_vgpr, 21
	.set _ZN12_GLOBAL__N_121softmax_warp_backwardIdddLi2ELb0ELb1ELi64EEEvPT0_PKT_S5_iiiPKb.num_agpr, 0
	.set _ZN12_GLOBAL__N_121softmax_warp_backwardIdddLi2ELb0ELb1ELi64EEEvPT0_PKT_S5_iiiPKb.numbered_sgpr, 16
	.set _ZN12_GLOBAL__N_121softmax_warp_backwardIdddLi2ELb0ELb1ELi64EEEvPT0_PKT_S5_iiiPKb.num_named_barrier, 0
	.set _ZN12_GLOBAL__N_121softmax_warp_backwardIdddLi2ELb0ELb1ELi64EEEvPT0_PKT_S5_iiiPKb.private_seg_size, 0
	.set _ZN12_GLOBAL__N_121softmax_warp_backwardIdddLi2ELb0ELb1ELi64EEEvPT0_PKT_S5_iiiPKb.uses_vcc, 1
	.set _ZN12_GLOBAL__N_121softmax_warp_backwardIdddLi2ELb0ELb1ELi64EEEvPT0_PKT_S5_iiiPKb.uses_flat_scratch, 0
	.set _ZN12_GLOBAL__N_121softmax_warp_backwardIdddLi2ELb0ELb1ELi64EEEvPT0_PKT_S5_iiiPKb.has_dyn_sized_stack, 0
	.set _ZN12_GLOBAL__N_121softmax_warp_backwardIdddLi2ELb0ELb1ELi64EEEvPT0_PKT_S5_iiiPKb.has_recursion, 0
	.set _ZN12_GLOBAL__N_121softmax_warp_backwardIdddLi2ELb0ELb1ELi64EEEvPT0_PKT_S5_iiiPKb.has_indirect_call, 0
	.section	.AMDGPU.csdata,"",@progbits
; Kernel info:
; codeLenInByte = 780
; TotalNumSgprs: 18
; NumVgprs: 21
; ScratchSize: 0
; MemoryBound: 1
; FloatMode: 240
; IeeeMode: 1
; LDSByteSize: 0 bytes/workgroup (compile time only)
; SGPRBlocks: 0
; VGPRBlocks: 2
; NumSGPRsForWavesPerEU: 18
; NumVGPRsForWavesPerEU: 21
; Occupancy: 16
; WaveLimiterHint : 0
; COMPUTE_PGM_RSRC2:SCRATCH_EN: 0
; COMPUTE_PGM_RSRC2:USER_SGPR: 6
; COMPUTE_PGM_RSRC2:TRAP_HANDLER: 0
; COMPUTE_PGM_RSRC2:TGID_X_EN: 1
; COMPUTE_PGM_RSRC2:TGID_Y_EN: 0
; COMPUTE_PGM_RSRC2:TGID_Z_EN: 0
; COMPUTE_PGM_RSRC2:TIDIG_COMP_CNT: 1
	.section	.text._ZN12_GLOBAL__N_121softmax_warp_backwardIdddLi2ELb0ELb1ELi32EEEvPT0_PKT_S5_iiiPKb,"axG",@progbits,_ZN12_GLOBAL__N_121softmax_warp_backwardIdddLi2ELb0ELb1ELi32EEEvPT0_PKT_S5_iiiPKb,comdat
	.globl	_ZN12_GLOBAL__N_121softmax_warp_backwardIdddLi2ELb0ELb1ELi32EEEvPT0_PKT_S5_iiiPKb ; -- Begin function _ZN12_GLOBAL__N_121softmax_warp_backwardIdddLi2ELb0ELb1ELi32EEEvPT0_PKT_S5_iiiPKb
	.p2align	8
	.type	_ZN12_GLOBAL__N_121softmax_warp_backwardIdddLi2ELb0ELb1ELi32EEEvPT0_PKT_S5_iiiPKb,@function
_ZN12_GLOBAL__N_121softmax_warp_backwardIdddLi2ELb0ELb1ELi32EEEvPT0_PKT_S5_iiiPKb: ; @_ZN12_GLOBAL__N_121softmax_warp_backwardIdddLi2ELb0ELb1ELi32EEEvPT0_PKT_S5_iiiPKb
; %bb.0:
	s_clause 0x1
	s_load_dword s0, s[4:5], 0x3c
	s_load_dwordx4 s[8:11], s[4:5], 0x18
	v_and_b32_e32 v6, 3, v0
	s_clause 0x1
	s_load_dwordx4 s[12:15], s[4:5], 0x0
	s_load_dwordx2 s[2:3], s[4:5], 0x10
	v_mov_b32_e32 v2, 0
	v_mov_b32_e32 v4, 0
	;; [unrolled: 1-line block ×4, first 2 shown]
	s_waitcnt lgkmcnt(0)
	s_lshr_b32 s0, s0, 16
	v_cmp_gt_i32_e32 vcc_lo, s10, v6
	s_and_b32 s0, s0, 0xffff
	s_mul_i32 s6, s6, s0
	v_add_lshl_u32 v0, s6, v1, 1
	v_mad_u64_u32 v[10:11], null, v0, s9, v[6:7]
	v_sub_nc_u32_e32 v18, s8, v0
	v_cmp_lt_i32_e64 s0, 0, v18
	v_ashrrev_i32_e32 v11, 31, v10
	v_lshlrev_b64 v[0:1], 3, v[10:11]
	v_add_co_u32 v14, s1, s14, v0
	v_add_co_ci_u32_e64 v15, null, s15, v1, s1
	v_add_co_u32 v12, s1, s2, v0
	v_add_co_ci_u32_e64 v13, null, s3, v1, s1
	s_and_b32 s2, vcc_lo, s0
	s_and_saveexec_b32 s1, s2
	s_cbranch_execz .LBB773_2
; %bb.1:
	global_load_dwordx2 v[4:5], v[14:15], off
	global_load_dwordx2 v[2:3], v[12:13], off
.LBB773_2:
	s_or_b32 exec_lo, exec_lo, s1
	v_cmp_gt_i32_e64 s1, 2, v18
	s_xor_b32 s2, vcc_lo, -1
	s_or_b32 s1, s2, s1
	s_and_saveexec_b32 s2, s1
	s_xor_b32 s1, exec_lo, s2
                                        ; implicit-def: $vgpr6_vgpr7
; %bb.3:
	s_mov_b32 s2, 0
                                        ; implicit-def: $vgpr12
                                        ; implicit-def: $vgpr14
	v_mov_b32_e32 v6, s2
	v_mov_b32_e32 v7, s2
; %bb.4:
	s_or_saveexec_b32 s2, s1
	v_mov_b32_e32 v8, 0
	v_mov_b32_e32 v9, 0
	s_xor_b32 exec_lo, exec_lo, s2
	s_cbranch_execz .LBB773_6
; %bb.5:
	s_mov_b32 s11, 0
	s_lshl_b64 s[6:7], s[10:11], 3
	v_add_co_u32 v6, s1, v14, s6
	v_add_co_ci_u32_e64 v7, null, s7, v15, s1
	v_add_co_u32 v8, s1, v12, s6
	v_add_co_ci_u32_e64 v9, null, s7, v13, s1
	global_load_dwordx2 v[6:7], v[6:7], off
	global_load_dwordx2 v[8:9], v[8:9], off
.LBB773_6:
	s_or_b32 exec_lo, exec_lo, s2
	s_load_dwordx2 s[2:3], s[4:5], 0x28
	v_mbcnt_lo_u32_b32 v19, -1, 0
	v_and_b32_e32 v16, 28, v19
	v_xor_b32_e32 v17, 2, v19
	v_add_nc_u32_e32 v20, 4, v16
	s_waitcnt lgkmcnt(0)
	v_add_co_u32 v10, s1, s2, v10
	v_add_co_ci_u32_e64 v11, null, s3, v11, s1
	s_ashr_i32 s2, s10, 31
	v_add_co_u32 v12, s1, v10, s10
	v_add_co_ci_u32_e64 v13, null, s2, v11, s1
	v_cmp_lt_i32_e64 s1, v17, v20
	s_clause 0x1
	global_load_ubyte v14, v[10:11], off
	global_load_ubyte v15, v[12:13], off
	s_waitcnt vmcnt(3)
	v_add_f64 v[10:11], v[4:5], 0
	v_add_f64 v[12:13], v[6:7], 0
	v_cndmask_b32_e64 v16, v19, v17, s1
	v_lshlrev_b32_e32 v16, 2, v16
	s_waitcnt vmcnt(1)
	v_and_b32_e32 v14, 1, v14
	s_waitcnt vmcnt(0)
	v_and_b32_e32 v15, 1, v15
	v_cmp_eq_u32_e64 s2, 1, v14
	v_cmp_eq_u32_e64 s1, 1, v15
	v_cndmask_b32_e64 v11, v11, 0, s2
	v_cndmask_b32_e64 v10, v10, 0, s2
	;; [unrolled: 1-line block ×4, first 2 shown]
	ds_bpermute_b32 v15, v16, v11
	ds_bpermute_b32 v14, v16, v10
	;; [unrolled: 1-line block ×4, first 2 shown]
	s_waitcnt lgkmcnt(2)
	v_add_f64 v[14:15], v[10:11], v[14:15]
	s_waitcnt lgkmcnt(0)
	v_add_f64 v[10:11], v[12:13], v[16:17]
	v_xor_b32_e32 v12, 1, v19
	v_cmp_lt_i32_e64 s3, v12, v20
	v_cndmask_b32_e64 v12, v19, v12, s3
	v_lshlrev_b32_e32 v13, 2, v12
	ds_bpermute_b32 v16, v13, v14
	ds_bpermute_b32 v17, v13, v15
	;; [unrolled: 1-line block ×4, first 2 shown]
	s_and_saveexec_b32 s3, s0
	s_cbranch_execz .LBB773_11
; %bb.7:
	v_add_co_u32 v0, s0, s12, v0
	v_add_co_ci_u32_e64 v1, null, s13, v1, s0
	s_and_saveexec_b32 s0, vcc_lo
	s_cbranch_execz .LBB773_9
; %bb.8:
	s_waitcnt lgkmcnt(2)
	v_add_f64 v[14:15], v[14:15], v[16:17]
	v_fma_f64 v[2:3], -v[2:3], v[14:15], v[4:5]
	v_cndmask_b32_e64 v3, v3, 0, s2
	v_cndmask_b32_e64 v2, v2, 0, s2
	global_store_dwordx2 v[0:1], v[2:3], off
.LBB773_9:
	s_or_b32 exec_lo, exec_lo, s0
	v_cmp_ne_u32_e64 s0, 1, v18
	s_and_b32 s0, s0, vcc_lo
	s_and_b32 exec_lo, exec_lo, s0
	s_cbranch_execz .LBB773_11
; %bb.10:
	s_waitcnt lgkmcnt(0)
	v_add_f64 v[2:3], v[10:11], v[12:13]
	s_mov_b32 s11, 0
	s_lshl_b64 s[2:3], s[10:11], 3
	v_add_co_u32 v0, vcc_lo, v0, s2
	v_add_co_ci_u32_e64 v1, null, s3, v1, vcc_lo
	v_fma_f64 v[2:3], -v[8:9], v[2:3], v[6:7]
	v_cndmask_b32_e64 v3, v3, 0, s1
	v_cndmask_b32_e64 v2, v2, 0, s1
	global_store_dwordx2 v[0:1], v[2:3], off
.LBB773_11:
	s_endpgm
	.section	.rodata,"a",@progbits
	.p2align	6, 0x0
	.amdhsa_kernel _ZN12_GLOBAL__N_121softmax_warp_backwardIdddLi2ELb0ELb1ELi32EEEvPT0_PKT_S5_iiiPKb
		.amdhsa_group_segment_fixed_size 0
		.amdhsa_private_segment_fixed_size 0
		.amdhsa_kernarg_size 304
		.amdhsa_user_sgpr_count 6
		.amdhsa_user_sgpr_private_segment_buffer 1
		.amdhsa_user_sgpr_dispatch_ptr 0
		.amdhsa_user_sgpr_queue_ptr 0
		.amdhsa_user_sgpr_kernarg_segment_ptr 1
		.amdhsa_user_sgpr_dispatch_id 0
		.amdhsa_user_sgpr_flat_scratch_init 0
		.amdhsa_user_sgpr_private_segment_size 0
		.amdhsa_wavefront_size32 1
		.amdhsa_uses_dynamic_stack 0
		.amdhsa_system_sgpr_private_segment_wavefront_offset 0
		.amdhsa_system_sgpr_workgroup_id_x 1
		.amdhsa_system_sgpr_workgroup_id_y 0
		.amdhsa_system_sgpr_workgroup_id_z 0
		.amdhsa_system_sgpr_workgroup_info 0
		.amdhsa_system_vgpr_workitem_id 1
		.amdhsa_next_free_vgpr 21
		.amdhsa_next_free_sgpr 16
		.amdhsa_reserve_vcc 1
		.amdhsa_reserve_flat_scratch 0
		.amdhsa_float_round_mode_32 0
		.amdhsa_float_round_mode_16_64 0
		.amdhsa_float_denorm_mode_32 3
		.amdhsa_float_denorm_mode_16_64 3
		.amdhsa_dx10_clamp 1
		.amdhsa_ieee_mode 1
		.amdhsa_fp16_overflow 0
		.amdhsa_workgroup_processor_mode 1
		.amdhsa_memory_ordered 1
		.amdhsa_forward_progress 1
		.amdhsa_shared_vgpr_count 0
		.amdhsa_exception_fp_ieee_invalid_op 0
		.amdhsa_exception_fp_denorm_src 0
		.amdhsa_exception_fp_ieee_div_zero 0
		.amdhsa_exception_fp_ieee_overflow 0
		.amdhsa_exception_fp_ieee_underflow 0
		.amdhsa_exception_fp_ieee_inexact 0
		.amdhsa_exception_int_div_zero 0
	.end_amdhsa_kernel
	.section	.text._ZN12_GLOBAL__N_121softmax_warp_backwardIdddLi2ELb0ELb1ELi32EEEvPT0_PKT_S5_iiiPKb,"axG",@progbits,_ZN12_GLOBAL__N_121softmax_warp_backwardIdddLi2ELb0ELb1ELi32EEEvPT0_PKT_S5_iiiPKb,comdat
.Lfunc_end773:
	.size	_ZN12_GLOBAL__N_121softmax_warp_backwardIdddLi2ELb0ELb1ELi32EEEvPT0_PKT_S5_iiiPKb, .Lfunc_end773-_ZN12_GLOBAL__N_121softmax_warp_backwardIdddLi2ELb0ELb1ELi32EEEvPT0_PKT_S5_iiiPKb
                                        ; -- End function
	.set _ZN12_GLOBAL__N_121softmax_warp_backwardIdddLi2ELb0ELb1ELi32EEEvPT0_PKT_S5_iiiPKb.num_vgpr, 21
	.set _ZN12_GLOBAL__N_121softmax_warp_backwardIdddLi2ELb0ELb1ELi32EEEvPT0_PKT_S5_iiiPKb.num_agpr, 0
	.set _ZN12_GLOBAL__N_121softmax_warp_backwardIdddLi2ELb0ELb1ELi32EEEvPT0_PKT_S5_iiiPKb.numbered_sgpr, 16
	.set _ZN12_GLOBAL__N_121softmax_warp_backwardIdddLi2ELb0ELb1ELi32EEEvPT0_PKT_S5_iiiPKb.num_named_barrier, 0
	.set _ZN12_GLOBAL__N_121softmax_warp_backwardIdddLi2ELb0ELb1ELi32EEEvPT0_PKT_S5_iiiPKb.private_seg_size, 0
	.set _ZN12_GLOBAL__N_121softmax_warp_backwardIdddLi2ELb0ELb1ELi32EEEvPT0_PKT_S5_iiiPKb.uses_vcc, 1
	.set _ZN12_GLOBAL__N_121softmax_warp_backwardIdddLi2ELb0ELb1ELi32EEEvPT0_PKT_S5_iiiPKb.uses_flat_scratch, 0
	.set _ZN12_GLOBAL__N_121softmax_warp_backwardIdddLi2ELb0ELb1ELi32EEEvPT0_PKT_S5_iiiPKb.has_dyn_sized_stack, 0
	.set _ZN12_GLOBAL__N_121softmax_warp_backwardIdddLi2ELb0ELb1ELi32EEEvPT0_PKT_S5_iiiPKb.has_recursion, 0
	.set _ZN12_GLOBAL__N_121softmax_warp_backwardIdddLi2ELb0ELb1ELi32EEEvPT0_PKT_S5_iiiPKb.has_indirect_call, 0
	.section	.AMDGPU.csdata,"",@progbits
; Kernel info:
; codeLenInByte = 780
; TotalNumSgprs: 18
; NumVgprs: 21
; ScratchSize: 0
; MemoryBound: 1
; FloatMode: 240
; IeeeMode: 1
; LDSByteSize: 0 bytes/workgroup (compile time only)
; SGPRBlocks: 0
; VGPRBlocks: 2
; NumSGPRsForWavesPerEU: 18
; NumVGPRsForWavesPerEU: 21
; Occupancy: 16
; WaveLimiterHint : 0
; COMPUTE_PGM_RSRC2:SCRATCH_EN: 0
; COMPUTE_PGM_RSRC2:USER_SGPR: 6
; COMPUTE_PGM_RSRC2:TRAP_HANDLER: 0
; COMPUTE_PGM_RSRC2:TGID_X_EN: 1
; COMPUTE_PGM_RSRC2:TGID_Y_EN: 0
; COMPUTE_PGM_RSRC2:TGID_Z_EN: 0
; COMPUTE_PGM_RSRC2:TIDIG_COMP_CNT: 1
	.section	.text._ZN12_GLOBAL__N_121softmax_warp_backwardIdddLi3ELb0ELb1ELi64EEEvPT0_PKT_S5_iiiPKb,"axG",@progbits,_ZN12_GLOBAL__N_121softmax_warp_backwardIdddLi3ELb0ELb1ELi64EEEvPT0_PKT_S5_iiiPKb,comdat
	.globl	_ZN12_GLOBAL__N_121softmax_warp_backwardIdddLi3ELb0ELb1ELi64EEEvPT0_PKT_S5_iiiPKb ; -- Begin function _ZN12_GLOBAL__N_121softmax_warp_backwardIdddLi3ELb0ELb1ELi64EEEvPT0_PKT_S5_iiiPKb
	.p2align	8
	.type	_ZN12_GLOBAL__N_121softmax_warp_backwardIdddLi3ELb0ELb1ELi64EEEvPT0_PKT_S5_iiiPKb,@function
_ZN12_GLOBAL__N_121softmax_warp_backwardIdddLi3ELb0ELb1ELi64EEEvPT0_PKT_S5_iiiPKb: ; @_ZN12_GLOBAL__N_121softmax_warp_backwardIdddLi3ELb0ELb1ELi64EEEvPT0_PKT_S5_iiiPKb
; %bb.0:
	s_clause 0x1
	s_load_dword s0, s[4:5], 0x3c
	s_load_dwordx4 s[8:11], s[4:5], 0x18
	v_and_b32_e32 v6, 7, v0
	s_clause 0x1
	s_load_dwordx4 s[12:15], s[4:5], 0x0
	s_load_dwordx2 s[2:3], s[4:5], 0x10
	v_mov_b32_e32 v2, 0
	v_mov_b32_e32 v4, 0
	;; [unrolled: 1-line block ×4, first 2 shown]
	s_waitcnt lgkmcnt(0)
	s_lshr_b32 s0, s0, 16
	v_cmp_gt_i32_e32 vcc_lo, s10, v6
	s_and_b32 s0, s0, 0xffff
	s_mul_i32 s6, s6, s0
	v_add_lshl_u32 v0, s6, v1, 1
	v_mad_u64_u32 v[10:11], null, v0, s9, v[6:7]
	v_sub_nc_u32_e32 v18, s8, v0
	v_cmp_lt_i32_e64 s0, 0, v18
	v_ashrrev_i32_e32 v11, 31, v10
	v_lshlrev_b64 v[0:1], 3, v[10:11]
	v_add_co_u32 v14, s1, s14, v0
	v_add_co_ci_u32_e64 v15, null, s15, v1, s1
	v_add_co_u32 v12, s1, s2, v0
	v_add_co_ci_u32_e64 v13, null, s3, v1, s1
	s_and_b32 s2, vcc_lo, s0
	s_and_saveexec_b32 s1, s2
	s_cbranch_execz .LBB774_2
; %bb.1:
	global_load_dwordx2 v[4:5], v[14:15], off
	global_load_dwordx2 v[2:3], v[12:13], off
.LBB774_2:
	s_or_b32 exec_lo, exec_lo, s1
	v_cmp_gt_i32_e64 s1, 2, v18
	s_xor_b32 s2, vcc_lo, -1
	s_or_b32 s1, s2, s1
	s_and_saveexec_b32 s2, s1
	s_xor_b32 s1, exec_lo, s2
                                        ; implicit-def: $vgpr6_vgpr7
; %bb.3:
	s_mov_b32 s2, 0
                                        ; implicit-def: $vgpr12
                                        ; implicit-def: $vgpr14
	v_mov_b32_e32 v6, s2
	v_mov_b32_e32 v7, s2
; %bb.4:
	s_or_saveexec_b32 s2, s1
	v_mov_b32_e32 v8, 0
	v_mov_b32_e32 v9, 0
	s_xor_b32 exec_lo, exec_lo, s2
	s_cbranch_execz .LBB774_6
; %bb.5:
	s_mov_b32 s11, 0
	s_lshl_b64 s[6:7], s[10:11], 3
	v_add_co_u32 v6, s1, v14, s6
	v_add_co_ci_u32_e64 v7, null, s7, v15, s1
	v_add_co_u32 v8, s1, v12, s6
	v_add_co_ci_u32_e64 v9, null, s7, v13, s1
	global_load_dwordx2 v[6:7], v[6:7], off
	global_load_dwordx2 v[8:9], v[8:9], off
.LBB774_6:
	s_or_b32 exec_lo, exec_lo, s2
	s_load_dwordx2 s[2:3], s[4:5], 0x28
	v_mbcnt_lo_u32_b32 v19, -1, 0
	v_and_b32_e32 v16, 24, v19
	v_xor_b32_e32 v17, 4, v19
	v_add_nc_u32_e32 v20, 8, v16
	s_waitcnt lgkmcnt(0)
	v_add_co_u32 v10, s1, s2, v10
	v_add_co_ci_u32_e64 v11, null, s3, v11, s1
	s_ashr_i32 s2, s10, 31
	v_add_co_u32 v12, s1, v10, s10
	v_add_co_ci_u32_e64 v13, null, s2, v11, s1
	v_cmp_lt_i32_e64 s1, v17, v20
	s_clause 0x1
	global_load_ubyte v14, v[10:11], off
	global_load_ubyte v15, v[12:13], off
	s_waitcnt vmcnt(3)
	v_add_f64 v[10:11], v[4:5], 0
	v_add_f64 v[12:13], v[6:7], 0
	v_cndmask_b32_e64 v16, v19, v17, s1
	v_lshlrev_b32_e32 v16, 2, v16
	s_waitcnt vmcnt(1)
	v_and_b32_e32 v14, 1, v14
	s_waitcnt vmcnt(0)
	v_and_b32_e32 v15, 1, v15
	v_cmp_eq_u32_e64 s2, 1, v14
	v_cmp_eq_u32_e64 s1, 1, v15
	v_cndmask_b32_e64 v11, v11, 0, s2
	v_cndmask_b32_e64 v10, v10, 0, s2
	;; [unrolled: 1-line block ×4, first 2 shown]
	ds_bpermute_b32 v15, v16, v11
	ds_bpermute_b32 v14, v16, v10
	;; [unrolled: 1-line block ×4, first 2 shown]
	s_waitcnt lgkmcnt(2)
	v_add_f64 v[10:11], v[10:11], v[14:15]
	v_xor_b32_e32 v14, 2, v19
	s_waitcnt lgkmcnt(0)
	v_add_f64 v[12:13], v[12:13], v[16:17]
	v_cmp_lt_i32_e64 s3, v14, v20
	v_cndmask_b32_e64 v14, v19, v14, s3
	v_lshlrev_b32_e32 v17, 2, v14
	ds_bpermute_b32 v14, v17, v10
	ds_bpermute_b32 v15, v17, v11
	;; [unrolled: 1-line block ×4, first 2 shown]
	s_waitcnt lgkmcnt(2)
	v_add_f64 v[14:15], v[10:11], v[14:15]
	s_waitcnt lgkmcnt(0)
	v_add_f64 v[10:11], v[12:13], v[16:17]
	v_xor_b32_e32 v12, 1, v19
	v_cmp_lt_i32_e64 s3, v12, v20
	v_cndmask_b32_e64 v12, v19, v12, s3
	v_lshlrev_b32_e32 v13, 2, v12
	ds_bpermute_b32 v16, v13, v14
	ds_bpermute_b32 v17, v13, v15
	;; [unrolled: 1-line block ×4, first 2 shown]
	s_and_saveexec_b32 s3, s0
	s_cbranch_execz .LBB774_11
; %bb.7:
	v_add_co_u32 v0, s0, s12, v0
	v_add_co_ci_u32_e64 v1, null, s13, v1, s0
	s_and_saveexec_b32 s0, vcc_lo
	s_cbranch_execz .LBB774_9
; %bb.8:
	s_waitcnt lgkmcnt(2)
	v_add_f64 v[14:15], v[14:15], v[16:17]
	v_fma_f64 v[2:3], -v[2:3], v[14:15], v[4:5]
	v_cndmask_b32_e64 v3, v3, 0, s2
	v_cndmask_b32_e64 v2, v2, 0, s2
	global_store_dwordx2 v[0:1], v[2:3], off
.LBB774_9:
	s_or_b32 exec_lo, exec_lo, s0
	v_cmp_ne_u32_e64 s0, 1, v18
	s_and_b32 s0, s0, vcc_lo
	s_and_b32 exec_lo, exec_lo, s0
	s_cbranch_execz .LBB774_11
; %bb.10:
	s_waitcnt lgkmcnt(0)
	v_add_f64 v[2:3], v[10:11], v[12:13]
	s_mov_b32 s11, 0
	s_lshl_b64 s[2:3], s[10:11], 3
	v_add_co_u32 v0, vcc_lo, v0, s2
	v_add_co_ci_u32_e64 v1, null, s3, v1, vcc_lo
	v_fma_f64 v[2:3], -v[8:9], v[2:3], v[6:7]
	v_cndmask_b32_e64 v3, v3, 0, s1
	v_cndmask_b32_e64 v2, v2, 0, s1
	global_store_dwordx2 v[0:1], v[2:3], off
.LBB774_11:
	s_endpgm
	.section	.rodata,"a",@progbits
	.p2align	6, 0x0
	.amdhsa_kernel _ZN12_GLOBAL__N_121softmax_warp_backwardIdddLi3ELb0ELb1ELi64EEEvPT0_PKT_S5_iiiPKb
		.amdhsa_group_segment_fixed_size 0
		.amdhsa_private_segment_fixed_size 0
		.amdhsa_kernarg_size 304
		.amdhsa_user_sgpr_count 6
		.amdhsa_user_sgpr_private_segment_buffer 1
		.amdhsa_user_sgpr_dispatch_ptr 0
		.amdhsa_user_sgpr_queue_ptr 0
		.amdhsa_user_sgpr_kernarg_segment_ptr 1
		.amdhsa_user_sgpr_dispatch_id 0
		.amdhsa_user_sgpr_flat_scratch_init 0
		.amdhsa_user_sgpr_private_segment_size 0
		.amdhsa_wavefront_size32 1
		.amdhsa_uses_dynamic_stack 0
		.amdhsa_system_sgpr_private_segment_wavefront_offset 0
		.amdhsa_system_sgpr_workgroup_id_x 1
		.amdhsa_system_sgpr_workgroup_id_y 0
		.amdhsa_system_sgpr_workgroup_id_z 0
		.amdhsa_system_sgpr_workgroup_info 0
		.amdhsa_system_vgpr_workitem_id 1
		.amdhsa_next_free_vgpr 21
		.amdhsa_next_free_sgpr 16
		.amdhsa_reserve_vcc 1
		.amdhsa_reserve_flat_scratch 0
		.amdhsa_float_round_mode_32 0
		.amdhsa_float_round_mode_16_64 0
		.amdhsa_float_denorm_mode_32 3
		.amdhsa_float_denorm_mode_16_64 3
		.amdhsa_dx10_clamp 1
		.amdhsa_ieee_mode 1
		.amdhsa_fp16_overflow 0
		.amdhsa_workgroup_processor_mode 1
		.amdhsa_memory_ordered 1
		.amdhsa_forward_progress 1
		.amdhsa_shared_vgpr_count 0
		.amdhsa_exception_fp_ieee_invalid_op 0
		.amdhsa_exception_fp_denorm_src 0
		.amdhsa_exception_fp_ieee_div_zero 0
		.amdhsa_exception_fp_ieee_overflow 0
		.amdhsa_exception_fp_ieee_underflow 0
		.amdhsa_exception_fp_ieee_inexact 0
		.amdhsa_exception_int_div_zero 0
	.end_amdhsa_kernel
	.section	.text._ZN12_GLOBAL__N_121softmax_warp_backwardIdddLi3ELb0ELb1ELi64EEEvPT0_PKT_S5_iiiPKb,"axG",@progbits,_ZN12_GLOBAL__N_121softmax_warp_backwardIdddLi3ELb0ELb1ELi64EEEvPT0_PKT_S5_iiiPKb,comdat
.Lfunc_end774:
	.size	_ZN12_GLOBAL__N_121softmax_warp_backwardIdddLi3ELb0ELb1ELi64EEEvPT0_PKT_S5_iiiPKb, .Lfunc_end774-_ZN12_GLOBAL__N_121softmax_warp_backwardIdddLi3ELb0ELb1ELi64EEEvPT0_PKT_S5_iiiPKb
                                        ; -- End function
	.set _ZN12_GLOBAL__N_121softmax_warp_backwardIdddLi3ELb0ELb1ELi64EEEvPT0_PKT_S5_iiiPKb.num_vgpr, 21
	.set _ZN12_GLOBAL__N_121softmax_warp_backwardIdddLi3ELb0ELb1ELi64EEEvPT0_PKT_S5_iiiPKb.num_agpr, 0
	.set _ZN12_GLOBAL__N_121softmax_warp_backwardIdddLi3ELb0ELb1ELi64EEEvPT0_PKT_S5_iiiPKb.numbered_sgpr, 16
	.set _ZN12_GLOBAL__N_121softmax_warp_backwardIdddLi3ELb0ELb1ELi64EEEvPT0_PKT_S5_iiiPKb.num_named_barrier, 0
	.set _ZN12_GLOBAL__N_121softmax_warp_backwardIdddLi3ELb0ELb1ELi64EEEvPT0_PKT_S5_iiiPKb.private_seg_size, 0
	.set _ZN12_GLOBAL__N_121softmax_warp_backwardIdddLi3ELb0ELb1ELi64EEEvPT0_PKT_S5_iiiPKb.uses_vcc, 1
	.set _ZN12_GLOBAL__N_121softmax_warp_backwardIdddLi3ELb0ELb1ELi64EEEvPT0_PKT_S5_iiiPKb.uses_flat_scratch, 0
	.set _ZN12_GLOBAL__N_121softmax_warp_backwardIdddLi3ELb0ELb1ELi64EEEvPT0_PKT_S5_iiiPKb.has_dyn_sized_stack, 0
	.set _ZN12_GLOBAL__N_121softmax_warp_backwardIdddLi3ELb0ELb1ELi64EEEvPT0_PKT_S5_iiiPKb.has_recursion, 0
	.set _ZN12_GLOBAL__N_121softmax_warp_backwardIdddLi3ELb0ELb1ELi64EEEvPT0_PKT_S5_iiiPKb.has_indirect_call, 0
	.section	.AMDGPU.csdata,"",@progbits
; Kernel info:
; codeLenInByte = 860
; TotalNumSgprs: 18
; NumVgprs: 21
; ScratchSize: 0
; MemoryBound: 1
; FloatMode: 240
; IeeeMode: 1
; LDSByteSize: 0 bytes/workgroup (compile time only)
; SGPRBlocks: 0
; VGPRBlocks: 2
; NumSGPRsForWavesPerEU: 18
; NumVGPRsForWavesPerEU: 21
; Occupancy: 16
; WaveLimiterHint : 0
; COMPUTE_PGM_RSRC2:SCRATCH_EN: 0
; COMPUTE_PGM_RSRC2:USER_SGPR: 6
; COMPUTE_PGM_RSRC2:TRAP_HANDLER: 0
; COMPUTE_PGM_RSRC2:TGID_X_EN: 1
; COMPUTE_PGM_RSRC2:TGID_Y_EN: 0
; COMPUTE_PGM_RSRC2:TGID_Z_EN: 0
; COMPUTE_PGM_RSRC2:TIDIG_COMP_CNT: 1
	.section	.text._ZN12_GLOBAL__N_121softmax_warp_backwardIdddLi3ELb0ELb1ELi32EEEvPT0_PKT_S5_iiiPKb,"axG",@progbits,_ZN12_GLOBAL__N_121softmax_warp_backwardIdddLi3ELb0ELb1ELi32EEEvPT0_PKT_S5_iiiPKb,comdat
	.globl	_ZN12_GLOBAL__N_121softmax_warp_backwardIdddLi3ELb0ELb1ELi32EEEvPT0_PKT_S5_iiiPKb ; -- Begin function _ZN12_GLOBAL__N_121softmax_warp_backwardIdddLi3ELb0ELb1ELi32EEEvPT0_PKT_S5_iiiPKb
	.p2align	8
	.type	_ZN12_GLOBAL__N_121softmax_warp_backwardIdddLi3ELb0ELb1ELi32EEEvPT0_PKT_S5_iiiPKb,@function
_ZN12_GLOBAL__N_121softmax_warp_backwardIdddLi3ELb0ELb1ELi32EEEvPT0_PKT_S5_iiiPKb: ; @_ZN12_GLOBAL__N_121softmax_warp_backwardIdddLi3ELb0ELb1ELi32EEEvPT0_PKT_S5_iiiPKb
; %bb.0:
	s_clause 0x1
	s_load_dword s0, s[4:5], 0x3c
	s_load_dwordx4 s[8:11], s[4:5], 0x18
	v_and_b32_e32 v6, 7, v0
	s_clause 0x1
	s_load_dwordx4 s[12:15], s[4:5], 0x0
	s_load_dwordx2 s[2:3], s[4:5], 0x10
	v_mov_b32_e32 v2, 0
	v_mov_b32_e32 v4, 0
	;; [unrolled: 1-line block ×4, first 2 shown]
	s_waitcnt lgkmcnt(0)
	s_lshr_b32 s0, s0, 16
	v_cmp_gt_i32_e32 vcc_lo, s10, v6
	s_and_b32 s0, s0, 0xffff
	s_mul_i32 s6, s6, s0
	v_add_lshl_u32 v0, s6, v1, 1
	v_mad_u64_u32 v[10:11], null, v0, s9, v[6:7]
	v_sub_nc_u32_e32 v18, s8, v0
	v_cmp_lt_i32_e64 s0, 0, v18
	v_ashrrev_i32_e32 v11, 31, v10
	v_lshlrev_b64 v[0:1], 3, v[10:11]
	v_add_co_u32 v14, s1, s14, v0
	v_add_co_ci_u32_e64 v15, null, s15, v1, s1
	v_add_co_u32 v12, s1, s2, v0
	v_add_co_ci_u32_e64 v13, null, s3, v1, s1
	s_and_b32 s2, vcc_lo, s0
	s_and_saveexec_b32 s1, s2
	s_cbranch_execz .LBB775_2
; %bb.1:
	global_load_dwordx2 v[4:5], v[14:15], off
	global_load_dwordx2 v[2:3], v[12:13], off
.LBB775_2:
	s_or_b32 exec_lo, exec_lo, s1
	v_cmp_gt_i32_e64 s1, 2, v18
	s_xor_b32 s2, vcc_lo, -1
	s_or_b32 s1, s2, s1
	s_and_saveexec_b32 s2, s1
	s_xor_b32 s1, exec_lo, s2
                                        ; implicit-def: $vgpr6_vgpr7
; %bb.3:
	s_mov_b32 s2, 0
                                        ; implicit-def: $vgpr12
                                        ; implicit-def: $vgpr14
	v_mov_b32_e32 v6, s2
	v_mov_b32_e32 v7, s2
; %bb.4:
	s_or_saveexec_b32 s2, s1
	v_mov_b32_e32 v8, 0
	v_mov_b32_e32 v9, 0
	s_xor_b32 exec_lo, exec_lo, s2
	s_cbranch_execz .LBB775_6
; %bb.5:
	s_mov_b32 s11, 0
	s_lshl_b64 s[6:7], s[10:11], 3
	v_add_co_u32 v6, s1, v14, s6
	v_add_co_ci_u32_e64 v7, null, s7, v15, s1
	v_add_co_u32 v8, s1, v12, s6
	v_add_co_ci_u32_e64 v9, null, s7, v13, s1
	global_load_dwordx2 v[6:7], v[6:7], off
	global_load_dwordx2 v[8:9], v[8:9], off
.LBB775_6:
	s_or_b32 exec_lo, exec_lo, s2
	s_load_dwordx2 s[2:3], s[4:5], 0x28
	v_mbcnt_lo_u32_b32 v19, -1, 0
	v_and_b32_e32 v16, 24, v19
	v_xor_b32_e32 v17, 4, v19
	v_add_nc_u32_e32 v20, 8, v16
	s_waitcnt lgkmcnt(0)
	v_add_co_u32 v10, s1, s2, v10
	v_add_co_ci_u32_e64 v11, null, s3, v11, s1
	s_ashr_i32 s2, s10, 31
	v_add_co_u32 v12, s1, v10, s10
	v_add_co_ci_u32_e64 v13, null, s2, v11, s1
	v_cmp_lt_i32_e64 s1, v17, v20
	s_clause 0x1
	global_load_ubyte v14, v[10:11], off
	global_load_ubyte v15, v[12:13], off
	s_waitcnt vmcnt(3)
	v_add_f64 v[10:11], v[4:5], 0
	v_add_f64 v[12:13], v[6:7], 0
	v_cndmask_b32_e64 v16, v19, v17, s1
	v_lshlrev_b32_e32 v16, 2, v16
	s_waitcnt vmcnt(1)
	v_and_b32_e32 v14, 1, v14
	s_waitcnt vmcnt(0)
	v_and_b32_e32 v15, 1, v15
	v_cmp_eq_u32_e64 s2, 1, v14
	v_cmp_eq_u32_e64 s1, 1, v15
	v_cndmask_b32_e64 v11, v11, 0, s2
	v_cndmask_b32_e64 v10, v10, 0, s2
	;; [unrolled: 1-line block ×4, first 2 shown]
	ds_bpermute_b32 v15, v16, v11
	ds_bpermute_b32 v14, v16, v10
	;; [unrolled: 1-line block ×4, first 2 shown]
	s_waitcnt lgkmcnt(2)
	v_add_f64 v[10:11], v[10:11], v[14:15]
	v_xor_b32_e32 v14, 2, v19
	s_waitcnt lgkmcnt(0)
	v_add_f64 v[12:13], v[12:13], v[16:17]
	v_cmp_lt_i32_e64 s3, v14, v20
	v_cndmask_b32_e64 v14, v19, v14, s3
	v_lshlrev_b32_e32 v17, 2, v14
	ds_bpermute_b32 v14, v17, v10
	ds_bpermute_b32 v15, v17, v11
	;; [unrolled: 1-line block ×4, first 2 shown]
	s_waitcnt lgkmcnt(2)
	v_add_f64 v[14:15], v[10:11], v[14:15]
	s_waitcnt lgkmcnt(0)
	v_add_f64 v[10:11], v[12:13], v[16:17]
	v_xor_b32_e32 v12, 1, v19
	v_cmp_lt_i32_e64 s3, v12, v20
	v_cndmask_b32_e64 v12, v19, v12, s3
	v_lshlrev_b32_e32 v13, 2, v12
	ds_bpermute_b32 v16, v13, v14
	ds_bpermute_b32 v17, v13, v15
	;; [unrolled: 1-line block ×4, first 2 shown]
	s_and_saveexec_b32 s3, s0
	s_cbranch_execz .LBB775_11
; %bb.7:
	v_add_co_u32 v0, s0, s12, v0
	v_add_co_ci_u32_e64 v1, null, s13, v1, s0
	s_and_saveexec_b32 s0, vcc_lo
	s_cbranch_execz .LBB775_9
; %bb.8:
	s_waitcnt lgkmcnt(2)
	v_add_f64 v[14:15], v[14:15], v[16:17]
	v_fma_f64 v[2:3], -v[2:3], v[14:15], v[4:5]
	v_cndmask_b32_e64 v3, v3, 0, s2
	v_cndmask_b32_e64 v2, v2, 0, s2
	global_store_dwordx2 v[0:1], v[2:3], off
.LBB775_9:
	s_or_b32 exec_lo, exec_lo, s0
	v_cmp_ne_u32_e64 s0, 1, v18
	s_and_b32 s0, s0, vcc_lo
	s_and_b32 exec_lo, exec_lo, s0
	s_cbranch_execz .LBB775_11
; %bb.10:
	s_waitcnt lgkmcnt(0)
	v_add_f64 v[2:3], v[10:11], v[12:13]
	s_mov_b32 s11, 0
	s_lshl_b64 s[2:3], s[10:11], 3
	v_add_co_u32 v0, vcc_lo, v0, s2
	v_add_co_ci_u32_e64 v1, null, s3, v1, vcc_lo
	v_fma_f64 v[2:3], -v[8:9], v[2:3], v[6:7]
	v_cndmask_b32_e64 v3, v3, 0, s1
	v_cndmask_b32_e64 v2, v2, 0, s1
	global_store_dwordx2 v[0:1], v[2:3], off
.LBB775_11:
	s_endpgm
	.section	.rodata,"a",@progbits
	.p2align	6, 0x0
	.amdhsa_kernel _ZN12_GLOBAL__N_121softmax_warp_backwardIdddLi3ELb0ELb1ELi32EEEvPT0_PKT_S5_iiiPKb
		.amdhsa_group_segment_fixed_size 0
		.amdhsa_private_segment_fixed_size 0
		.amdhsa_kernarg_size 304
		.amdhsa_user_sgpr_count 6
		.amdhsa_user_sgpr_private_segment_buffer 1
		.amdhsa_user_sgpr_dispatch_ptr 0
		.amdhsa_user_sgpr_queue_ptr 0
		.amdhsa_user_sgpr_kernarg_segment_ptr 1
		.amdhsa_user_sgpr_dispatch_id 0
		.amdhsa_user_sgpr_flat_scratch_init 0
		.amdhsa_user_sgpr_private_segment_size 0
		.amdhsa_wavefront_size32 1
		.amdhsa_uses_dynamic_stack 0
		.amdhsa_system_sgpr_private_segment_wavefront_offset 0
		.amdhsa_system_sgpr_workgroup_id_x 1
		.amdhsa_system_sgpr_workgroup_id_y 0
		.amdhsa_system_sgpr_workgroup_id_z 0
		.amdhsa_system_sgpr_workgroup_info 0
		.amdhsa_system_vgpr_workitem_id 1
		.amdhsa_next_free_vgpr 21
		.amdhsa_next_free_sgpr 16
		.amdhsa_reserve_vcc 1
		.amdhsa_reserve_flat_scratch 0
		.amdhsa_float_round_mode_32 0
		.amdhsa_float_round_mode_16_64 0
		.amdhsa_float_denorm_mode_32 3
		.amdhsa_float_denorm_mode_16_64 3
		.amdhsa_dx10_clamp 1
		.amdhsa_ieee_mode 1
		.amdhsa_fp16_overflow 0
		.amdhsa_workgroup_processor_mode 1
		.amdhsa_memory_ordered 1
		.amdhsa_forward_progress 1
		.amdhsa_shared_vgpr_count 0
		.amdhsa_exception_fp_ieee_invalid_op 0
		.amdhsa_exception_fp_denorm_src 0
		.amdhsa_exception_fp_ieee_div_zero 0
		.amdhsa_exception_fp_ieee_overflow 0
		.amdhsa_exception_fp_ieee_underflow 0
		.amdhsa_exception_fp_ieee_inexact 0
		.amdhsa_exception_int_div_zero 0
	.end_amdhsa_kernel
	.section	.text._ZN12_GLOBAL__N_121softmax_warp_backwardIdddLi3ELb0ELb1ELi32EEEvPT0_PKT_S5_iiiPKb,"axG",@progbits,_ZN12_GLOBAL__N_121softmax_warp_backwardIdddLi3ELb0ELb1ELi32EEEvPT0_PKT_S5_iiiPKb,comdat
.Lfunc_end775:
	.size	_ZN12_GLOBAL__N_121softmax_warp_backwardIdddLi3ELb0ELb1ELi32EEEvPT0_PKT_S5_iiiPKb, .Lfunc_end775-_ZN12_GLOBAL__N_121softmax_warp_backwardIdddLi3ELb0ELb1ELi32EEEvPT0_PKT_S5_iiiPKb
                                        ; -- End function
	.set _ZN12_GLOBAL__N_121softmax_warp_backwardIdddLi3ELb0ELb1ELi32EEEvPT0_PKT_S5_iiiPKb.num_vgpr, 21
	.set _ZN12_GLOBAL__N_121softmax_warp_backwardIdddLi3ELb0ELb1ELi32EEEvPT0_PKT_S5_iiiPKb.num_agpr, 0
	.set _ZN12_GLOBAL__N_121softmax_warp_backwardIdddLi3ELb0ELb1ELi32EEEvPT0_PKT_S5_iiiPKb.numbered_sgpr, 16
	.set _ZN12_GLOBAL__N_121softmax_warp_backwardIdddLi3ELb0ELb1ELi32EEEvPT0_PKT_S5_iiiPKb.num_named_barrier, 0
	.set _ZN12_GLOBAL__N_121softmax_warp_backwardIdddLi3ELb0ELb1ELi32EEEvPT0_PKT_S5_iiiPKb.private_seg_size, 0
	.set _ZN12_GLOBAL__N_121softmax_warp_backwardIdddLi3ELb0ELb1ELi32EEEvPT0_PKT_S5_iiiPKb.uses_vcc, 1
	.set _ZN12_GLOBAL__N_121softmax_warp_backwardIdddLi3ELb0ELb1ELi32EEEvPT0_PKT_S5_iiiPKb.uses_flat_scratch, 0
	.set _ZN12_GLOBAL__N_121softmax_warp_backwardIdddLi3ELb0ELb1ELi32EEEvPT0_PKT_S5_iiiPKb.has_dyn_sized_stack, 0
	.set _ZN12_GLOBAL__N_121softmax_warp_backwardIdddLi3ELb0ELb1ELi32EEEvPT0_PKT_S5_iiiPKb.has_recursion, 0
	.set _ZN12_GLOBAL__N_121softmax_warp_backwardIdddLi3ELb0ELb1ELi32EEEvPT0_PKT_S5_iiiPKb.has_indirect_call, 0
	.section	.AMDGPU.csdata,"",@progbits
; Kernel info:
; codeLenInByte = 860
; TotalNumSgprs: 18
; NumVgprs: 21
; ScratchSize: 0
; MemoryBound: 1
; FloatMode: 240
; IeeeMode: 1
; LDSByteSize: 0 bytes/workgroup (compile time only)
; SGPRBlocks: 0
; VGPRBlocks: 2
; NumSGPRsForWavesPerEU: 18
; NumVGPRsForWavesPerEU: 21
; Occupancy: 16
; WaveLimiterHint : 0
; COMPUTE_PGM_RSRC2:SCRATCH_EN: 0
; COMPUTE_PGM_RSRC2:USER_SGPR: 6
; COMPUTE_PGM_RSRC2:TRAP_HANDLER: 0
; COMPUTE_PGM_RSRC2:TGID_X_EN: 1
; COMPUTE_PGM_RSRC2:TGID_Y_EN: 0
; COMPUTE_PGM_RSRC2:TGID_Z_EN: 0
; COMPUTE_PGM_RSRC2:TIDIG_COMP_CNT: 1
	.section	.text._ZN12_GLOBAL__N_121softmax_warp_backwardIdddLi4ELb0ELb1ELi64EEEvPT0_PKT_S5_iiiPKb,"axG",@progbits,_ZN12_GLOBAL__N_121softmax_warp_backwardIdddLi4ELb0ELb1ELi64EEEvPT0_PKT_S5_iiiPKb,comdat
	.globl	_ZN12_GLOBAL__N_121softmax_warp_backwardIdddLi4ELb0ELb1ELi64EEEvPT0_PKT_S5_iiiPKb ; -- Begin function _ZN12_GLOBAL__N_121softmax_warp_backwardIdddLi4ELb0ELb1ELi64EEEvPT0_PKT_S5_iiiPKb
	.p2align	8
	.type	_ZN12_GLOBAL__N_121softmax_warp_backwardIdddLi4ELb0ELb1ELi64EEEvPT0_PKT_S5_iiiPKb,@function
_ZN12_GLOBAL__N_121softmax_warp_backwardIdddLi4ELb0ELb1ELi64EEEvPT0_PKT_S5_iiiPKb: ; @_ZN12_GLOBAL__N_121softmax_warp_backwardIdddLi4ELb0ELb1ELi64EEEvPT0_PKT_S5_iiiPKb
; %bb.0:
	s_clause 0x1
	s_load_dword s0, s[4:5], 0x3c
	s_load_dwordx4 s[8:11], s[4:5], 0x18
	v_and_b32_e32 v6, 15, v0
	s_clause 0x1
	s_load_dwordx4 s[12:15], s[4:5], 0x0
	s_load_dwordx2 s[2:3], s[4:5], 0x10
	v_mov_b32_e32 v2, 0
	v_mov_b32_e32 v4, 0
	;; [unrolled: 1-line block ×4, first 2 shown]
	s_waitcnt lgkmcnt(0)
	s_lshr_b32 s0, s0, 16
	v_cmp_gt_i32_e32 vcc_lo, s10, v6
	s_and_b32 s0, s0, 0xffff
	s_mul_i32 s6, s6, s0
	v_add_lshl_u32 v0, s6, v1, 1
	v_mad_u64_u32 v[10:11], null, v0, s9, v[6:7]
	v_sub_nc_u32_e32 v22, s8, v0
	v_cmp_lt_i32_e64 s0, 0, v22
	v_ashrrev_i32_e32 v11, 31, v10
	v_lshlrev_b64 v[0:1], 3, v[10:11]
	v_add_co_u32 v14, s1, s14, v0
	v_add_co_ci_u32_e64 v15, null, s15, v1, s1
	v_add_co_u32 v12, s1, s2, v0
	v_add_co_ci_u32_e64 v13, null, s3, v1, s1
	s_and_b32 s2, vcc_lo, s0
	s_and_saveexec_b32 s1, s2
	s_cbranch_execz .LBB776_2
; %bb.1:
	global_load_dwordx2 v[4:5], v[14:15], off
	global_load_dwordx2 v[2:3], v[12:13], off
.LBB776_2:
	s_or_b32 exec_lo, exec_lo, s1
	v_cmp_gt_i32_e64 s1, 2, v22
	s_xor_b32 s2, vcc_lo, -1
	s_or_b32 s1, s2, s1
	s_and_saveexec_b32 s2, s1
	s_xor_b32 s1, exec_lo, s2
                                        ; implicit-def: $vgpr6_vgpr7
; %bb.3:
	s_mov_b32 s2, 0
                                        ; implicit-def: $vgpr12
                                        ; implicit-def: $vgpr14
	v_mov_b32_e32 v6, s2
	v_mov_b32_e32 v7, s2
; %bb.4:
	s_or_saveexec_b32 s2, s1
	v_mov_b32_e32 v8, 0
	v_mov_b32_e32 v9, 0
	s_xor_b32 exec_lo, exec_lo, s2
	s_cbranch_execz .LBB776_6
; %bb.5:
	s_mov_b32 s11, 0
	s_lshl_b64 s[6:7], s[10:11], 3
	v_add_co_u32 v6, s1, v14, s6
	v_add_co_ci_u32_e64 v7, null, s7, v15, s1
	v_add_co_u32 v8, s1, v12, s6
	v_add_co_ci_u32_e64 v9, null, s7, v13, s1
	global_load_dwordx2 v[6:7], v[6:7], off
	global_load_dwordx2 v[8:9], v[8:9], off
.LBB776_6:
	s_or_b32 exec_lo, exec_lo, s2
	s_load_dwordx2 s[2:3], s[4:5], 0x28
	v_mbcnt_lo_u32_b32 v23, -1, 0
	s_waitcnt vmcnt(1)
	v_add_f64 v[15:16], v[6:7], 0
	v_and_b32_e32 v18, 16, v23
	v_xor_b32_e32 v19, 8, v23
	v_add_nc_u32_e32 v24, 16, v18
	s_waitcnt lgkmcnt(0)
	v_add_co_u32 v10, s1, s2, v10
	v_add_co_ci_u32_e64 v11, null, s3, v11, s1
	s_ashr_i32 s2, s10, 31
	v_add_co_u32 v12, s1, v10, s10
	v_add_co_ci_u32_e64 v13, null, s2, v11, s1
	v_cmp_lt_i32_e64 s2, v19, v24
	s_clause 0x1
	global_load_ubyte v10, v[10:11], off
	global_load_ubyte v17, v[12:13], off
	v_add_f64 v[13:14], v[4:5], 0
	v_cndmask_b32_e64 v18, v23, v19, s2
	s_waitcnt vmcnt(1)
	v_and_b32_e32 v10, 1, v10
	s_waitcnt vmcnt(0)
	v_and_b32_e32 v17, 1, v17
	v_cmp_eq_u32_e64 s2, 1, v10
	v_cmp_eq_u32_e64 s3, 1, v17
	v_lshlrev_b32_e32 v10, 2, v18
	v_cndmask_b32_e64 v14, v14, 0, s2
	v_cndmask_b32_e64 v13, v13, 0, s2
	;; [unrolled: 1-line block ×4, first 2 shown]
	ds_bpermute_b32 v18, v10, v14
	ds_bpermute_b32 v17, v10, v13
	ds_bpermute_b32 v20, v10, v16
	ds_bpermute_b32 v19, v10, v15
	v_xor_b32_e32 v10, 4, v23
	v_cmp_lt_i32_e64 s3, v10, v24
	v_cndmask_b32_e64 v10, v23, v10, s3
	v_lshlrev_b32_e32 v10, 2, v10
	s_waitcnt lgkmcnt(2)
	v_add_f64 v[13:14], v[13:14], v[17:18]
	s_waitcnt lgkmcnt(0)
	v_add_f64 v[15:16], v[15:16], v[19:20]
	ds_bpermute_b32 v17, v10, v13
	ds_bpermute_b32 v18, v10, v14
	ds_bpermute_b32 v19, v10, v15
	ds_bpermute_b32 v20, v10, v16
	v_xor_b32_e32 v10, 2, v23
	v_cmp_lt_i32_e64 s3, v10, v24
	v_cndmask_b32_e64 v10, v23, v10, s3
	v_lshlrev_b32_e32 v10, 2, v10
	s_waitcnt lgkmcnt(2)
	v_add_f64 v[13:14], v[13:14], v[17:18]
	s_waitcnt lgkmcnt(0)
	v_add_f64 v[15:16], v[15:16], v[19:20]
	;; [unrolled: 12-line block ×3, first 2 shown]
	ds_bpermute_b32 v20, v10, v18
	ds_bpermute_b32 v21, v10, v19
	;; [unrolled: 1-line block ×4, first 2 shown]
	s_and_saveexec_b32 s3, s0
	s_cbranch_execz .LBB776_11
; %bb.7:
	v_add_co_u32 v0, s0, s12, v0
	v_add_co_ci_u32_e64 v1, null, s13, v1, s0
	s_and_saveexec_b32 s0, vcc_lo
	s_cbranch_execz .LBB776_9
; %bb.8:
	s_waitcnt lgkmcnt(2)
	v_add_f64 v[18:19], v[18:19], v[20:21]
	v_fma_f64 v[2:3], -v[2:3], v[18:19], v[4:5]
	v_cndmask_b32_e64 v3, v3, 0, s2
	v_cndmask_b32_e64 v2, v2, 0, s2
	global_store_dwordx2 v[0:1], v[2:3], off
.LBB776_9:
	s_or_b32 exec_lo, exec_lo, s0
	v_cmp_ne_u32_e64 s0, 1, v22
	s_and_b32 s0, s0, vcc_lo
	s_and_b32 exec_lo, exec_lo, s0
	s_cbranch_execz .LBB776_11
; %bb.10:
	v_add_co_ci_u32_e64 v13, null, 0, v11, s1
	s_waitcnt lgkmcnt(0)
	v_add_f64 v[2:3], v[14:15], v[16:17]
	s_mov_b32 s11, 0
	s_lshl_b64 s[0:1], s[10:11], 3
	global_load_ubyte v4, v[12:13], off
	v_add_co_u32 v0, s0, v0, s0
	v_add_co_ci_u32_e64 v1, null, s1, v1, s0
	v_fma_f64 v[2:3], -v[8:9], v[2:3], v[6:7]
	s_waitcnt vmcnt(0)
	v_and_b32_e32 v4, 1, v4
	v_cmp_eq_u32_e32 vcc_lo, 1, v4
	v_cndmask_b32_e64 v3, v3, 0, vcc_lo
	v_cndmask_b32_e64 v2, v2, 0, vcc_lo
	global_store_dwordx2 v[0:1], v[2:3], off
.LBB776_11:
	s_endpgm
	.section	.rodata,"a",@progbits
	.p2align	6, 0x0
	.amdhsa_kernel _ZN12_GLOBAL__N_121softmax_warp_backwardIdddLi4ELb0ELb1ELi64EEEvPT0_PKT_S5_iiiPKb
		.amdhsa_group_segment_fixed_size 0
		.amdhsa_private_segment_fixed_size 0
		.amdhsa_kernarg_size 304
		.amdhsa_user_sgpr_count 6
		.amdhsa_user_sgpr_private_segment_buffer 1
		.amdhsa_user_sgpr_dispatch_ptr 0
		.amdhsa_user_sgpr_queue_ptr 0
		.amdhsa_user_sgpr_kernarg_segment_ptr 1
		.amdhsa_user_sgpr_dispatch_id 0
		.amdhsa_user_sgpr_flat_scratch_init 0
		.amdhsa_user_sgpr_private_segment_size 0
		.amdhsa_wavefront_size32 1
		.amdhsa_uses_dynamic_stack 0
		.amdhsa_system_sgpr_private_segment_wavefront_offset 0
		.amdhsa_system_sgpr_workgroup_id_x 1
		.amdhsa_system_sgpr_workgroup_id_y 0
		.amdhsa_system_sgpr_workgroup_id_z 0
		.amdhsa_system_sgpr_workgroup_info 0
		.amdhsa_system_vgpr_workitem_id 1
		.amdhsa_next_free_vgpr 25
		.amdhsa_next_free_sgpr 16
		.amdhsa_reserve_vcc 1
		.amdhsa_reserve_flat_scratch 0
		.amdhsa_float_round_mode_32 0
		.amdhsa_float_round_mode_16_64 0
		.amdhsa_float_denorm_mode_32 3
		.amdhsa_float_denorm_mode_16_64 3
		.amdhsa_dx10_clamp 1
		.amdhsa_ieee_mode 1
		.amdhsa_fp16_overflow 0
		.amdhsa_workgroup_processor_mode 1
		.amdhsa_memory_ordered 1
		.amdhsa_forward_progress 1
		.amdhsa_shared_vgpr_count 0
		.amdhsa_exception_fp_ieee_invalid_op 0
		.amdhsa_exception_fp_denorm_src 0
		.amdhsa_exception_fp_ieee_div_zero 0
		.amdhsa_exception_fp_ieee_overflow 0
		.amdhsa_exception_fp_ieee_underflow 0
		.amdhsa_exception_fp_ieee_inexact 0
		.amdhsa_exception_int_div_zero 0
	.end_amdhsa_kernel
	.section	.text._ZN12_GLOBAL__N_121softmax_warp_backwardIdddLi4ELb0ELb1ELi64EEEvPT0_PKT_S5_iiiPKb,"axG",@progbits,_ZN12_GLOBAL__N_121softmax_warp_backwardIdddLi4ELb0ELb1ELi64EEEvPT0_PKT_S5_iiiPKb,comdat
.Lfunc_end776:
	.size	_ZN12_GLOBAL__N_121softmax_warp_backwardIdddLi4ELb0ELb1ELi64EEEvPT0_PKT_S5_iiiPKb, .Lfunc_end776-_ZN12_GLOBAL__N_121softmax_warp_backwardIdddLi4ELb0ELb1ELi64EEEvPT0_PKT_S5_iiiPKb
                                        ; -- End function
	.set _ZN12_GLOBAL__N_121softmax_warp_backwardIdddLi4ELb0ELb1ELi64EEEvPT0_PKT_S5_iiiPKb.num_vgpr, 25
	.set _ZN12_GLOBAL__N_121softmax_warp_backwardIdddLi4ELb0ELb1ELi64EEEvPT0_PKT_S5_iiiPKb.num_agpr, 0
	.set _ZN12_GLOBAL__N_121softmax_warp_backwardIdddLi4ELb0ELb1ELi64EEEvPT0_PKT_S5_iiiPKb.numbered_sgpr, 16
	.set _ZN12_GLOBAL__N_121softmax_warp_backwardIdddLi4ELb0ELb1ELi64EEEvPT0_PKT_S5_iiiPKb.num_named_barrier, 0
	.set _ZN12_GLOBAL__N_121softmax_warp_backwardIdddLi4ELb0ELb1ELi64EEEvPT0_PKT_S5_iiiPKb.private_seg_size, 0
	.set _ZN12_GLOBAL__N_121softmax_warp_backwardIdddLi4ELb0ELb1ELi64EEEvPT0_PKT_S5_iiiPKb.uses_vcc, 1
	.set _ZN12_GLOBAL__N_121softmax_warp_backwardIdddLi4ELb0ELb1ELi64EEEvPT0_PKT_S5_iiiPKb.uses_flat_scratch, 0
	.set _ZN12_GLOBAL__N_121softmax_warp_backwardIdddLi4ELb0ELb1ELi64EEEvPT0_PKT_S5_iiiPKb.has_dyn_sized_stack, 0
	.set _ZN12_GLOBAL__N_121softmax_warp_backwardIdddLi4ELb0ELb1ELi64EEEvPT0_PKT_S5_iiiPKb.has_recursion, 0
	.set _ZN12_GLOBAL__N_121softmax_warp_backwardIdddLi4ELb0ELb1ELi64EEEvPT0_PKT_S5_iiiPKb.has_indirect_call, 0
	.section	.AMDGPU.csdata,"",@progbits
; Kernel info:
; codeLenInByte = 968
; TotalNumSgprs: 18
; NumVgprs: 25
; ScratchSize: 0
; MemoryBound: 1
; FloatMode: 240
; IeeeMode: 1
; LDSByteSize: 0 bytes/workgroup (compile time only)
; SGPRBlocks: 0
; VGPRBlocks: 3
; NumSGPRsForWavesPerEU: 18
; NumVGPRsForWavesPerEU: 25
; Occupancy: 16
; WaveLimiterHint : 0
; COMPUTE_PGM_RSRC2:SCRATCH_EN: 0
; COMPUTE_PGM_RSRC2:USER_SGPR: 6
; COMPUTE_PGM_RSRC2:TRAP_HANDLER: 0
; COMPUTE_PGM_RSRC2:TGID_X_EN: 1
; COMPUTE_PGM_RSRC2:TGID_Y_EN: 0
; COMPUTE_PGM_RSRC2:TGID_Z_EN: 0
; COMPUTE_PGM_RSRC2:TIDIG_COMP_CNT: 1
	.section	.text._ZN12_GLOBAL__N_121softmax_warp_backwardIdddLi4ELb0ELb1ELi32EEEvPT0_PKT_S5_iiiPKb,"axG",@progbits,_ZN12_GLOBAL__N_121softmax_warp_backwardIdddLi4ELb0ELb1ELi32EEEvPT0_PKT_S5_iiiPKb,comdat
	.globl	_ZN12_GLOBAL__N_121softmax_warp_backwardIdddLi4ELb0ELb1ELi32EEEvPT0_PKT_S5_iiiPKb ; -- Begin function _ZN12_GLOBAL__N_121softmax_warp_backwardIdddLi4ELb0ELb1ELi32EEEvPT0_PKT_S5_iiiPKb
	.p2align	8
	.type	_ZN12_GLOBAL__N_121softmax_warp_backwardIdddLi4ELb0ELb1ELi32EEEvPT0_PKT_S5_iiiPKb,@function
_ZN12_GLOBAL__N_121softmax_warp_backwardIdddLi4ELb0ELb1ELi32EEEvPT0_PKT_S5_iiiPKb: ; @_ZN12_GLOBAL__N_121softmax_warp_backwardIdddLi4ELb0ELb1ELi32EEEvPT0_PKT_S5_iiiPKb
; %bb.0:
	s_clause 0x1
	s_load_dword s0, s[4:5], 0x3c
	s_load_dwordx4 s[8:11], s[4:5], 0x18
	v_and_b32_e32 v6, 15, v0
	s_clause 0x1
	s_load_dwordx4 s[12:15], s[4:5], 0x0
	s_load_dwordx2 s[2:3], s[4:5], 0x10
	v_mov_b32_e32 v2, 0
	v_mov_b32_e32 v4, 0
	;; [unrolled: 1-line block ×4, first 2 shown]
	s_waitcnt lgkmcnt(0)
	s_lshr_b32 s0, s0, 16
	v_cmp_gt_i32_e32 vcc_lo, s10, v6
	s_and_b32 s0, s0, 0xffff
	s_mul_i32 s6, s6, s0
	v_add_lshl_u32 v0, s6, v1, 1
	v_mad_u64_u32 v[10:11], null, v0, s9, v[6:7]
	v_sub_nc_u32_e32 v22, s8, v0
	v_cmp_lt_i32_e64 s0, 0, v22
	v_ashrrev_i32_e32 v11, 31, v10
	v_lshlrev_b64 v[0:1], 3, v[10:11]
	v_add_co_u32 v14, s1, s14, v0
	v_add_co_ci_u32_e64 v15, null, s15, v1, s1
	v_add_co_u32 v12, s1, s2, v0
	v_add_co_ci_u32_e64 v13, null, s3, v1, s1
	s_and_b32 s2, vcc_lo, s0
	s_and_saveexec_b32 s1, s2
	s_cbranch_execz .LBB777_2
; %bb.1:
	global_load_dwordx2 v[4:5], v[14:15], off
	global_load_dwordx2 v[2:3], v[12:13], off
.LBB777_2:
	s_or_b32 exec_lo, exec_lo, s1
	v_cmp_gt_i32_e64 s1, 2, v22
	s_xor_b32 s2, vcc_lo, -1
	s_or_b32 s1, s2, s1
	s_and_saveexec_b32 s2, s1
	s_xor_b32 s1, exec_lo, s2
                                        ; implicit-def: $vgpr6_vgpr7
; %bb.3:
	s_mov_b32 s2, 0
                                        ; implicit-def: $vgpr12
                                        ; implicit-def: $vgpr14
	v_mov_b32_e32 v6, s2
	v_mov_b32_e32 v7, s2
; %bb.4:
	s_or_saveexec_b32 s2, s1
	v_mov_b32_e32 v8, 0
	v_mov_b32_e32 v9, 0
	s_xor_b32 exec_lo, exec_lo, s2
	s_cbranch_execz .LBB777_6
; %bb.5:
	s_mov_b32 s11, 0
	s_lshl_b64 s[6:7], s[10:11], 3
	v_add_co_u32 v6, s1, v14, s6
	v_add_co_ci_u32_e64 v7, null, s7, v15, s1
	v_add_co_u32 v8, s1, v12, s6
	v_add_co_ci_u32_e64 v9, null, s7, v13, s1
	global_load_dwordx2 v[6:7], v[6:7], off
	global_load_dwordx2 v[8:9], v[8:9], off
.LBB777_6:
	s_or_b32 exec_lo, exec_lo, s2
	s_load_dwordx2 s[2:3], s[4:5], 0x28
	v_mbcnt_lo_u32_b32 v23, -1, 0
	s_waitcnt vmcnt(1)
	v_add_f64 v[15:16], v[6:7], 0
	v_and_b32_e32 v18, 16, v23
	v_xor_b32_e32 v19, 8, v23
	v_add_nc_u32_e32 v24, 16, v18
	s_waitcnt lgkmcnt(0)
	v_add_co_u32 v10, s1, s2, v10
	v_add_co_ci_u32_e64 v11, null, s3, v11, s1
	s_ashr_i32 s2, s10, 31
	v_add_co_u32 v12, s1, v10, s10
	v_add_co_ci_u32_e64 v13, null, s2, v11, s1
	v_cmp_lt_i32_e64 s2, v19, v24
	s_clause 0x1
	global_load_ubyte v10, v[10:11], off
	global_load_ubyte v17, v[12:13], off
	v_add_f64 v[13:14], v[4:5], 0
	v_cndmask_b32_e64 v18, v23, v19, s2
	s_waitcnt vmcnt(1)
	v_and_b32_e32 v10, 1, v10
	s_waitcnt vmcnt(0)
	v_and_b32_e32 v17, 1, v17
	v_cmp_eq_u32_e64 s2, 1, v10
	v_cmp_eq_u32_e64 s3, 1, v17
	v_lshlrev_b32_e32 v10, 2, v18
	v_cndmask_b32_e64 v14, v14, 0, s2
	v_cndmask_b32_e64 v13, v13, 0, s2
	;; [unrolled: 1-line block ×4, first 2 shown]
	ds_bpermute_b32 v18, v10, v14
	ds_bpermute_b32 v17, v10, v13
	ds_bpermute_b32 v20, v10, v16
	ds_bpermute_b32 v19, v10, v15
	v_xor_b32_e32 v10, 4, v23
	v_cmp_lt_i32_e64 s3, v10, v24
	v_cndmask_b32_e64 v10, v23, v10, s3
	v_lshlrev_b32_e32 v10, 2, v10
	s_waitcnt lgkmcnt(2)
	v_add_f64 v[13:14], v[13:14], v[17:18]
	s_waitcnt lgkmcnt(0)
	v_add_f64 v[15:16], v[15:16], v[19:20]
	ds_bpermute_b32 v17, v10, v13
	ds_bpermute_b32 v18, v10, v14
	ds_bpermute_b32 v19, v10, v15
	ds_bpermute_b32 v20, v10, v16
	v_xor_b32_e32 v10, 2, v23
	v_cmp_lt_i32_e64 s3, v10, v24
	v_cndmask_b32_e64 v10, v23, v10, s3
	v_lshlrev_b32_e32 v10, 2, v10
	s_waitcnt lgkmcnt(2)
	v_add_f64 v[13:14], v[13:14], v[17:18]
	s_waitcnt lgkmcnt(0)
	v_add_f64 v[15:16], v[15:16], v[19:20]
	;; [unrolled: 12-line block ×3, first 2 shown]
	ds_bpermute_b32 v20, v10, v18
	ds_bpermute_b32 v21, v10, v19
	;; [unrolled: 1-line block ×4, first 2 shown]
	s_and_saveexec_b32 s3, s0
	s_cbranch_execz .LBB777_11
; %bb.7:
	v_add_co_u32 v0, s0, s12, v0
	v_add_co_ci_u32_e64 v1, null, s13, v1, s0
	s_and_saveexec_b32 s0, vcc_lo
	s_cbranch_execz .LBB777_9
; %bb.8:
	s_waitcnt lgkmcnt(2)
	v_add_f64 v[18:19], v[18:19], v[20:21]
	v_fma_f64 v[2:3], -v[2:3], v[18:19], v[4:5]
	v_cndmask_b32_e64 v3, v3, 0, s2
	v_cndmask_b32_e64 v2, v2, 0, s2
	global_store_dwordx2 v[0:1], v[2:3], off
.LBB777_9:
	s_or_b32 exec_lo, exec_lo, s0
	v_cmp_ne_u32_e64 s0, 1, v22
	s_and_b32 s0, s0, vcc_lo
	s_and_b32 exec_lo, exec_lo, s0
	s_cbranch_execz .LBB777_11
; %bb.10:
	v_add_co_ci_u32_e64 v13, null, 0, v11, s1
	s_waitcnt lgkmcnt(0)
	v_add_f64 v[2:3], v[14:15], v[16:17]
	s_mov_b32 s11, 0
	s_lshl_b64 s[0:1], s[10:11], 3
	global_load_ubyte v4, v[12:13], off
	v_add_co_u32 v0, s0, v0, s0
	v_add_co_ci_u32_e64 v1, null, s1, v1, s0
	v_fma_f64 v[2:3], -v[8:9], v[2:3], v[6:7]
	s_waitcnt vmcnt(0)
	v_and_b32_e32 v4, 1, v4
	v_cmp_eq_u32_e32 vcc_lo, 1, v4
	v_cndmask_b32_e64 v3, v3, 0, vcc_lo
	v_cndmask_b32_e64 v2, v2, 0, vcc_lo
	global_store_dwordx2 v[0:1], v[2:3], off
.LBB777_11:
	s_endpgm
	.section	.rodata,"a",@progbits
	.p2align	6, 0x0
	.amdhsa_kernel _ZN12_GLOBAL__N_121softmax_warp_backwardIdddLi4ELb0ELb1ELi32EEEvPT0_PKT_S5_iiiPKb
		.amdhsa_group_segment_fixed_size 0
		.amdhsa_private_segment_fixed_size 0
		.amdhsa_kernarg_size 304
		.amdhsa_user_sgpr_count 6
		.amdhsa_user_sgpr_private_segment_buffer 1
		.amdhsa_user_sgpr_dispatch_ptr 0
		.amdhsa_user_sgpr_queue_ptr 0
		.amdhsa_user_sgpr_kernarg_segment_ptr 1
		.amdhsa_user_sgpr_dispatch_id 0
		.amdhsa_user_sgpr_flat_scratch_init 0
		.amdhsa_user_sgpr_private_segment_size 0
		.amdhsa_wavefront_size32 1
		.amdhsa_uses_dynamic_stack 0
		.amdhsa_system_sgpr_private_segment_wavefront_offset 0
		.amdhsa_system_sgpr_workgroup_id_x 1
		.amdhsa_system_sgpr_workgroup_id_y 0
		.amdhsa_system_sgpr_workgroup_id_z 0
		.amdhsa_system_sgpr_workgroup_info 0
		.amdhsa_system_vgpr_workitem_id 1
		.amdhsa_next_free_vgpr 25
		.amdhsa_next_free_sgpr 16
		.amdhsa_reserve_vcc 1
		.amdhsa_reserve_flat_scratch 0
		.amdhsa_float_round_mode_32 0
		.amdhsa_float_round_mode_16_64 0
		.amdhsa_float_denorm_mode_32 3
		.amdhsa_float_denorm_mode_16_64 3
		.amdhsa_dx10_clamp 1
		.amdhsa_ieee_mode 1
		.amdhsa_fp16_overflow 0
		.amdhsa_workgroup_processor_mode 1
		.amdhsa_memory_ordered 1
		.amdhsa_forward_progress 1
		.amdhsa_shared_vgpr_count 0
		.amdhsa_exception_fp_ieee_invalid_op 0
		.amdhsa_exception_fp_denorm_src 0
		.amdhsa_exception_fp_ieee_div_zero 0
		.amdhsa_exception_fp_ieee_overflow 0
		.amdhsa_exception_fp_ieee_underflow 0
		.amdhsa_exception_fp_ieee_inexact 0
		.amdhsa_exception_int_div_zero 0
	.end_amdhsa_kernel
	.section	.text._ZN12_GLOBAL__N_121softmax_warp_backwardIdddLi4ELb0ELb1ELi32EEEvPT0_PKT_S5_iiiPKb,"axG",@progbits,_ZN12_GLOBAL__N_121softmax_warp_backwardIdddLi4ELb0ELb1ELi32EEEvPT0_PKT_S5_iiiPKb,comdat
.Lfunc_end777:
	.size	_ZN12_GLOBAL__N_121softmax_warp_backwardIdddLi4ELb0ELb1ELi32EEEvPT0_PKT_S5_iiiPKb, .Lfunc_end777-_ZN12_GLOBAL__N_121softmax_warp_backwardIdddLi4ELb0ELb1ELi32EEEvPT0_PKT_S5_iiiPKb
                                        ; -- End function
	.set _ZN12_GLOBAL__N_121softmax_warp_backwardIdddLi4ELb0ELb1ELi32EEEvPT0_PKT_S5_iiiPKb.num_vgpr, 25
	.set _ZN12_GLOBAL__N_121softmax_warp_backwardIdddLi4ELb0ELb1ELi32EEEvPT0_PKT_S5_iiiPKb.num_agpr, 0
	.set _ZN12_GLOBAL__N_121softmax_warp_backwardIdddLi4ELb0ELb1ELi32EEEvPT0_PKT_S5_iiiPKb.numbered_sgpr, 16
	.set _ZN12_GLOBAL__N_121softmax_warp_backwardIdddLi4ELb0ELb1ELi32EEEvPT0_PKT_S5_iiiPKb.num_named_barrier, 0
	.set _ZN12_GLOBAL__N_121softmax_warp_backwardIdddLi4ELb0ELb1ELi32EEEvPT0_PKT_S5_iiiPKb.private_seg_size, 0
	.set _ZN12_GLOBAL__N_121softmax_warp_backwardIdddLi4ELb0ELb1ELi32EEEvPT0_PKT_S5_iiiPKb.uses_vcc, 1
	.set _ZN12_GLOBAL__N_121softmax_warp_backwardIdddLi4ELb0ELb1ELi32EEEvPT0_PKT_S5_iiiPKb.uses_flat_scratch, 0
	.set _ZN12_GLOBAL__N_121softmax_warp_backwardIdddLi4ELb0ELb1ELi32EEEvPT0_PKT_S5_iiiPKb.has_dyn_sized_stack, 0
	.set _ZN12_GLOBAL__N_121softmax_warp_backwardIdddLi4ELb0ELb1ELi32EEEvPT0_PKT_S5_iiiPKb.has_recursion, 0
	.set _ZN12_GLOBAL__N_121softmax_warp_backwardIdddLi4ELb0ELb1ELi32EEEvPT0_PKT_S5_iiiPKb.has_indirect_call, 0
	.section	.AMDGPU.csdata,"",@progbits
; Kernel info:
; codeLenInByte = 968
; TotalNumSgprs: 18
; NumVgprs: 25
; ScratchSize: 0
; MemoryBound: 1
; FloatMode: 240
; IeeeMode: 1
; LDSByteSize: 0 bytes/workgroup (compile time only)
; SGPRBlocks: 0
; VGPRBlocks: 3
; NumSGPRsForWavesPerEU: 18
; NumVGPRsForWavesPerEU: 25
; Occupancy: 16
; WaveLimiterHint : 0
; COMPUTE_PGM_RSRC2:SCRATCH_EN: 0
; COMPUTE_PGM_RSRC2:USER_SGPR: 6
; COMPUTE_PGM_RSRC2:TRAP_HANDLER: 0
; COMPUTE_PGM_RSRC2:TGID_X_EN: 1
; COMPUTE_PGM_RSRC2:TGID_Y_EN: 0
; COMPUTE_PGM_RSRC2:TGID_Z_EN: 0
; COMPUTE_PGM_RSRC2:TIDIG_COMP_CNT: 1
	.section	.text._ZN12_GLOBAL__N_121softmax_warp_backwardIdddLi5ELb0ELb1ELi64EEEvPT0_PKT_S5_iiiPKb,"axG",@progbits,_ZN12_GLOBAL__N_121softmax_warp_backwardIdddLi5ELb0ELb1ELi64EEEvPT0_PKT_S5_iiiPKb,comdat
	.globl	_ZN12_GLOBAL__N_121softmax_warp_backwardIdddLi5ELb0ELb1ELi64EEEvPT0_PKT_S5_iiiPKb ; -- Begin function _ZN12_GLOBAL__N_121softmax_warp_backwardIdddLi5ELb0ELb1ELi64EEEvPT0_PKT_S5_iiiPKb
	.p2align	8
	.type	_ZN12_GLOBAL__N_121softmax_warp_backwardIdddLi5ELb0ELb1ELi64EEEvPT0_PKT_S5_iiiPKb,@function
_ZN12_GLOBAL__N_121softmax_warp_backwardIdddLi5ELb0ELb1ELi64EEEvPT0_PKT_S5_iiiPKb: ; @_ZN12_GLOBAL__N_121softmax_warp_backwardIdddLi5ELb0ELb1ELi64EEEvPT0_PKT_S5_iiiPKb
; %bb.0:
	s_clause 0x1
	s_load_dword s0, s[4:5], 0x3c
	s_load_dwordx4 s[8:11], s[4:5], 0x18
	v_and_b32_e32 v6, 31, v0
	s_clause 0x1
	s_load_dwordx4 s[12:15], s[4:5], 0x0
	s_load_dwordx2 s[2:3], s[4:5], 0x10
	v_mov_b32_e32 v2, 0
	v_mov_b32_e32 v4, 0
	;; [unrolled: 1-line block ×4, first 2 shown]
	s_waitcnt lgkmcnt(0)
	s_lshr_b32 s0, s0, 16
	v_cmp_gt_i32_e32 vcc_lo, s10, v6
	s_and_b32 s0, s0, 0xffff
	s_mul_i32 s6, s6, s0
	v_add_lshl_u32 v0, s6, v1, 1
	v_mad_u64_u32 v[10:11], null, v0, s9, v[6:7]
	v_sub_nc_u32_e32 v22, s8, v0
	v_cmp_lt_i32_e64 s0, 0, v22
	v_ashrrev_i32_e32 v11, 31, v10
	v_lshlrev_b64 v[0:1], 3, v[10:11]
	v_add_co_u32 v14, s1, s14, v0
	v_add_co_ci_u32_e64 v15, null, s15, v1, s1
	v_add_co_u32 v12, s1, s2, v0
	v_add_co_ci_u32_e64 v13, null, s3, v1, s1
	s_and_b32 s2, vcc_lo, s0
	s_and_saveexec_b32 s1, s2
	s_cbranch_execz .LBB778_2
; %bb.1:
	global_load_dwordx2 v[4:5], v[14:15], off
	global_load_dwordx2 v[2:3], v[12:13], off
.LBB778_2:
	s_or_b32 exec_lo, exec_lo, s1
	v_cmp_gt_i32_e64 s1, 2, v22
	s_xor_b32 s2, vcc_lo, -1
	s_or_b32 s1, s2, s1
	s_and_saveexec_b32 s2, s1
	s_xor_b32 s1, exec_lo, s2
                                        ; implicit-def: $vgpr6_vgpr7
; %bb.3:
	s_mov_b32 s2, 0
                                        ; implicit-def: $vgpr12
                                        ; implicit-def: $vgpr14
	v_mov_b32_e32 v6, s2
	v_mov_b32_e32 v7, s2
; %bb.4:
	s_or_saveexec_b32 s2, s1
	v_mov_b32_e32 v8, 0
	v_mov_b32_e32 v9, 0
	s_xor_b32 exec_lo, exec_lo, s2
	s_cbranch_execz .LBB778_6
; %bb.5:
	s_mov_b32 s11, 0
	s_lshl_b64 s[6:7], s[10:11], 3
	v_add_co_u32 v6, s1, v14, s6
	v_add_co_ci_u32_e64 v7, null, s7, v15, s1
	v_add_co_u32 v8, s1, v12, s6
	v_add_co_ci_u32_e64 v9, null, s7, v13, s1
	global_load_dwordx2 v[6:7], v[6:7], off
	global_load_dwordx2 v[8:9], v[8:9], off
.LBB778_6:
	s_or_b32 exec_lo, exec_lo, s2
	s_load_dwordx2 s[2:3], s[4:5], 0x28
	s_waitcnt vmcnt(1)
	v_add_f64 v[15:16], v[6:7], 0
	v_mbcnt_lo_u32_b32 v23, -1, 0
	v_xor_b32_e32 v18, 16, v23
	s_waitcnt lgkmcnt(0)
	v_add_co_u32 v10, s1, s2, v10
	v_add_co_ci_u32_e64 v11, null, s3, v11, s1
	s_ashr_i32 s2, s10, 31
	v_add_co_u32 v12, s1, v10, s10
	v_add_co_ci_u32_e64 v13, null, s2, v11, s1
	v_cmp_gt_i32_e64 s2, 32, v18
	s_clause 0x1
	global_load_ubyte v10, v[10:11], off
	global_load_ubyte v17, v[12:13], off
	v_add_f64 v[13:14], v[4:5], 0
	v_cndmask_b32_e64 v18, v23, v18, s2
	s_waitcnt vmcnt(1)
	v_and_b32_e32 v10, 1, v10
	s_waitcnt vmcnt(0)
	v_and_b32_e32 v17, 1, v17
	v_cmp_eq_u32_e64 s2, 1, v10
	v_cmp_eq_u32_e64 s3, 1, v17
	v_lshlrev_b32_e32 v10, 2, v18
	v_cndmask_b32_e64 v14, v14, 0, s2
	v_cndmask_b32_e64 v13, v13, 0, s2
	;; [unrolled: 1-line block ×4, first 2 shown]
	ds_bpermute_b32 v18, v10, v14
	ds_bpermute_b32 v17, v10, v13
	ds_bpermute_b32 v20, v10, v16
	ds_bpermute_b32 v19, v10, v15
	v_xor_b32_e32 v10, 8, v23
	v_cmp_gt_i32_e64 s3, 32, v10
	v_cndmask_b32_e64 v10, v23, v10, s3
	v_lshlrev_b32_e32 v10, 2, v10
	s_waitcnt lgkmcnt(2)
	v_add_f64 v[13:14], v[13:14], v[17:18]
	s_waitcnt lgkmcnt(0)
	v_add_f64 v[15:16], v[15:16], v[19:20]
	ds_bpermute_b32 v17, v10, v13
	ds_bpermute_b32 v18, v10, v14
	ds_bpermute_b32 v19, v10, v15
	ds_bpermute_b32 v20, v10, v16
	v_xor_b32_e32 v10, 4, v23
	v_cmp_gt_i32_e64 s3, 32, v10
	v_cndmask_b32_e64 v10, v23, v10, s3
	v_lshlrev_b32_e32 v10, 2, v10
	s_waitcnt lgkmcnt(2)
	v_add_f64 v[13:14], v[13:14], v[17:18]
	s_waitcnt lgkmcnt(0)
	v_add_f64 v[15:16], v[15:16], v[19:20]
	;; [unrolled: 12-line block ×4, first 2 shown]
	ds_bpermute_b32 v20, v10, v18
	ds_bpermute_b32 v21, v10, v19
	;; [unrolled: 1-line block ×4, first 2 shown]
	s_and_saveexec_b32 s3, s0
	s_cbranch_execz .LBB778_11
; %bb.7:
	v_add_co_u32 v0, s0, s12, v0
	v_add_co_ci_u32_e64 v1, null, s13, v1, s0
	s_and_saveexec_b32 s0, vcc_lo
	s_cbranch_execz .LBB778_9
; %bb.8:
	s_waitcnt lgkmcnt(2)
	v_add_f64 v[18:19], v[18:19], v[20:21]
	v_fma_f64 v[2:3], -v[2:3], v[18:19], v[4:5]
	v_cndmask_b32_e64 v3, v3, 0, s2
	v_cndmask_b32_e64 v2, v2, 0, s2
	global_store_dwordx2 v[0:1], v[2:3], off
.LBB778_9:
	s_or_b32 exec_lo, exec_lo, s0
	v_cmp_ne_u32_e64 s0, 1, v22
	s_and_b32 s0, s0, vcc_lo
	s_and_b32 exec_lo, exec_lo, s0
	s_cbranch_execz .LBB778_11
; %bb.10:
	v_add_co_ci_u32_e64 v13, null, 0, v11, s1
	s_waitcnt lgkmcnt(0)
	v_add_f64 v[2:3], v[14:15], v[16:17]
	s_mov_b32 s11, 0
	s_lshl_b64 s[0:1], s[10:11], 3
	global_load_ubyte v4, v[12:13], off
	v_add_co_u32 v0, s0, v0, s0
	v_add_co_ci_u32_e64 v1, null, s1, v1, s0
	v_fma_f64 v[2:3], -v[8:9], v[2:3], v[6:7]
	s_waitcnt vmcnt(0)
	v_and_b32_e32 v4, 1, v4
	v_cmp_eq_u32_e32 vcc_lo, 1, v4
	v_cndmask_b32_e64 v3, v3, 0, vcc_lo
	v_cndmask_b32_e64 v2, v2, 0, vcc_lo
	global_store_dwordx2 v[0:1], v[2:3], off
.LBB778_11:
	s_endpgm
	.section	.rodata,"a",@progbits
	.p2align	6, 0x0
	.amdhsa_kernel _ZN12_GLOBAL__N_121softmax_warp_backwardIdddLi5ELb0ELb1ELi64EEEvPT0_PKT_S5_iiiPKb
		.amdhsa_group_segment_fixed_size 0
		.amdhsa_private_segment_fixed_size 0
		.amdhsa_kernarg_size 304
		.amdhsa_user_sgpr_count 6
		.amdhsa_user_sgpr_private_segment_buffer 1
		.amdhsa_user_sgpr_dispatch_ptr 0
		.amdhsa_user_sgpr_queue_ptr 0
		.amdhsa_user_sgpr_kernarg_segment_ptr 1
		.amdhsa_user_sgpr_dispatch_id 0
		.amdhsa_user_sgpr_flat_scratch_init 0
		.amdhsa_user_sgpr_private_segment_size 0
		.amdhsa_wavefront_size32 1
		.amdhsa_uses_dynamic_stack 0
		.amdhsa_system_sgpr_private_segment_wavefront_offset 0
		.amdhsa_system_sgpr_workgroup_id_x 1
		.amdhsa_system_sgpr_workgroup_id_y 0
		.amdhsa_system_sgpr_workgroup_id_z 0
		.amdhsa_system_sgpr_workgroup_info 0
		.amdhsa_system_vgpr_workitem_id 1
		.amdhsa_next_free_vgpr 24
		.amdhsa_next_free_sgpr 16
		.amdhsa_reserve_vcc 1
		.amdhsa_reserve_flat_scratch 0
		.amdhsa_float_round_mode_32 0
		.amdhsa_float_round_mode_16_64 0
		.amdhsa_float_denorm_mode_32 3
		.amdhsa_float_denorm_mode_16_64 3
		.amdhsa_dx10_clamp 1
		.amdhsa_ieee_mode 1
		.amdhsa_fp16_overflow 0
		.amdhsa_workgroup_processor_mode 1
		.amdhsa_memory_ordered 1
		.amdhsa_forward_progress 1
		.amdhsa_shared_vgpr_count 0
		.amdhsa_exception_fp_ieee_invalid_op 0
		.amdhsa_exception_fp_denorm_src 0
		.amdhsa_exception_fp_ieee_div_zero 0
		.amdhsa_exception_fp_ieee_overflow 0
		.amdhsa_exception_fp_ieee_underflow 0
		.amdhsa_exception_fp_ieee_inexact 0
		.amdhsa_exception_int_div_zero 0
	.end_amdhsa_kernel
	.section	.text._ZN12_GLOBAL__N_121softmax_warp_backwardIdddLi5ELb0ELb1ELi64EEEvPT0_PKT_S5_iiiPKb,"axG",@progbits,_ZN12_GLOBAL__N_121softmax_warp_backwardIdddLi5ELb0ELb1ELi64EEEvPT0_PKT_S5_iiiPKb,comdat
.Lfunc_end778:
	.size	_ZN12_GLOBAL__N_121softmax_warp_backwardIdddLi5ELb0ELb1ELi64EEEvPT0_PKT_S5_iiiPKb, .Lfunc_end778-_ZN12_GLOBAL__N_121softmax_warp_backwardIdddLi5ELb0ELb1ELi64EEEvPT0_PKT_S5_iiiPKb
                                        ; -- End function
	.set _ZN12_GLOBAL__N_121softmax_warp_backwardIdddLi5ELb0ELb1ELi64EEEvPT0_PKT_S5_iiiPKb.num_vgpr, 24
	.set _ZN12_GLOBAL__N_121softmax_warp_backwardIdddLi5ELb0ELb1ELi64EEEvPT0_PKT_S5_iiiPKb.num_agpr, 0
	.set _ZN12_GLOBAL__N_121softmax_warp_backwardIdddLi5ELb0ELb1ELi64EEEvPT0_PKT_S5_iiiPKb.numbered_sgpr, 16
	.set _ZN12_GLOBAL__N_121softmax_warp_backwardIdddLi5ELb0ELb1ELi64EEEvPT0_PKT_S5_iiiPKb.num_named_barrier, 0
	.set _ZN12_GLOBAL__N_121softmax_warp_backwardIdddLi5ELb0ELb1ELi64EEEvPT0_PKT_S5_iiiPKb.private_seg_size, 0
	.set _ZN12_GLOBAL__N_121softmax_warp_backwardIdddLi5ELb0ELb1ELi64EEEvPT0_PKT_S5_iiiPKb.uses_vcc, 1
	.set _ZN12_GLOBAL__N_121softmax_warp_backwardIdddLi5ELb0ELb1ELi64EEEvPT0_PKT_S5_iiiPKb.uses_flat_scratch, 0
	.set _ZN12_GLOBAL__N_121softmax_warp_backwardIdddLi5ELb0ELb1ELi64EEEvPT0_PKT_S5_iiiPKb.has_dyn_sized_stack, 0
	.set _ZN12_GLOBAL__N_121softmax_warp_backwardIdddLi5ELb0ELb1ELi64EEEvPT0_PKT_S5_iiiPKb.has_recursion, 0
	.set _ZN12_GLOBAL__N_121softmax_warp_backwardIdddLi5ELb0ELb1ELi64EEEvPT0_PKT_S5_iiiPKb.has_indirect_call, 0
	.section	.AMDGPU.csdata,"",@progbits
; Kernel info:
; codeLenInByte = 1040
; TotalNumSgprs: 18
; NumVgprs: 24
; ScratchSize: 0
; MemoryBound: 1
; FloatMode: 240
; IeeeMode: 1
; LDSByteSize: 0 bytes/workgroup (compile time only)
; SGPRBlocks: 0
; VGPRBlocks: 2
; NumSGPRsForWavesPerEU: 18
; NumVGPRsForWavesPerEU: 24
; Occupancy: 16
; WaveLimiterHint : 0
; COMPUTE_PGM_RSRC2:SCRATCH_EN: 0
; COMPUTE_PGM_RSRC2:USER_SGPR: 6
; COMPUTE_PGM_RSRC2:TRAP_HANDLER: 0
; COMPUTE_PGM_RSRC2:TGID_X_EN: 1
; COMPUTE_PGM_RSRC2:TGID_Y_EN: 0
; COMPUTE_PGM_RSRC2:TGID_Z_EN: 0
; COMPUTE_PGM_RSRC2:TIDIG_COMP_CNT: 1
	.section	.text._ZN12_GLOBAL__N_121softmax_warp_backwardIdddLi5ELb0ELb1ELi32EEEvPT0_PKT_S5_iiiPKb,"axG",@progbits,_ZN12_GLOBAL__N_121softmax_warp_backwardIdddLi5ELb0ELb1ELi32EEEvPT0_PKT_S5_iiiPKb,comdat
	.globl	_ZN12_GLOBAL__N_121softmax_warp_backwardIdddLi5ELb0ELb1ELi32EEEvPT0_PKT_S5_iiiPKb ; -- Begin function _ZN12_GLOBAL__N_121softmax_warp_backwardIdddLi5ELb0ELb1ELi32EEEvPT0_PKT_S5_iiiPKb
	.p2align	8
	.type	_ZN12_GLOBAL__N_121softmax_warp_backwardIdddLi5ELb0ELb1ELi32EEEvPT0_PKT_S5_iiiPKb,@function
_ZN12_GLOBAL__N_121softmax_warp_backwardIdddLi5ELb0ELb1ELi32EEEvPT0_PKT_S5_iiiPKb: ; @_ZN12_GLOBAL__N_121softmax_warp_backwardIdddLi5ELb0ELb1ELi32EEEvPT0_PKT_S5_iiiPKb
; %bb.0:
	s_clause 0x1
	s_load_dword s0, s[4:5], 0x3c
	s_load_dwordx4 s[8:11], s[4:5], 0x18
	v_and_b32_e32 v6, 31, v0
	s_clause 0x1
	s_load_dwordx4 s[12:15], s[4:5], 0x0
	s_load_dwordx2 s[2:3], s[4:5], 0x10
	v_mov_b32_e32 v2, 0
	v_mov_b32_e32 v4, 0
	;; [unrolled: 1-line block ×4, first 2 shown]
	s_waitcnt lgkmcnt(0)
	s_lshr_b32 s0, s0, 16
	v_cmp_gt_i32_e32 vcc_lo, s10, v6
	s_and_b32 s0, s0, 0xffff
	s_mul_i32 s6, s6, s0
	v_add_lshl_u32 v0, s6, v1, 1
	v_mad_u64_u32 v[10:11], null, v0, s9, v[6:7]
	v_sub_nc_u32_e32 v22, s8, v0
	v_cmp_lt_i32_e64 s0, 0, v22
	v_ashrrev_i32_e32 v11, 31, v10
	v_lshlrev_b64 v[0:1], 3, v[10:11]
	v_add_co_u32 v14, s1, s14, v0
	v_add_co_ci_u32_e64 v15, null, s15, v1, s1
	v_add_co_u32 v12, s1, s2, v0
	v_add_co_ci_u32_e64 v13, null, s3, v1, s1
	s_and_b32 s2, vcc_lo, s0
	s_and_saveexec_b32 s1, s2
	s_cbranch_execz .LBB779_2
; %bb.1:
	global_load_dwordx2 v[4:5], v[14:15], off
	global_load_dwordx2 v[2:3], v[12:13], off
.LBB779_2:
	s_or_b32 exec_lo, exec_lo, s1
	v_cmp_gt_i32_e64 s1, 2, v22
	s_xor_b32 s2, vcc_lo, -1
	s_or_b32 s1, s2, s1
	s_and_saveexec_b32 s2, s1
	s_xor_b32 s1, exec_lo, s2
                                        ; implicit-def: $vgpr6_vgpr7
; %bb.3:
	s_mov_b32 s2, 0
                                        ; implicit-def: $vgpr12
                                        ; implicit-def: $vgpr14
	v_mov_b32_e32 v6, s2
	v_mov_b32_e32 v7, s2
; %bb.4:
	s_or_saveexec_b32 s2, s1
	v_mov_b32_e32 v8, 0
	v_mov_b32_e32 v9, 0
	s_xor_b32 exec_lo, exec_lo, s2
	s_cbranch_execz .LBB779_6
; %bb.5:
	s_mov_b32 s11, 0
	s_lshl_b64 s[6:7], s[10:11], 3
	v_add_co_u32 v6, s1, v14, s6
	v_add_co_ci_u32_e64 v7, null, s7, v15, s1
	v_add_co_u32 v8, s1, v12, s6
	v_add_co_ci_u32_e64 v9, null, s7, v13, s1
	global_load_dwordx2 v[6:7], v[6:7], off
	global_load_dwordx2 v[8:9], v[8:9], off
.LBB779_6:
	s_or_b32 exec_lo, exec_lo, s2
	s_load_dwordx2 s[2:3], s[4:5], 0x28
	s_waitcnt vmcnt(1)
	v_add_f64 v[15:16], v[6:7], 0
	v_mbcnt_lo_u32_b32 v23, -1, 0
	v_xor_b32_e32 v18, 16, v23
	s_waitcnt lgkmcnt(0)
	v_add_co_u32 v10, s1, s2, v10
	v_add_co_ci_u32_e64 v11, null, s3, v11, s1
	s_ashr_i32 s2, s10, 31
	v_add_co_u32 v12, s1, v10, s10
	v_add_co_ci_u32_e64 v13, null, s2, v11, s1
	v_cmp_gt_i32_e64 s2, 32, v18
	s_clause 0x1
	global_load_ubyte v10, v[10:11], off
	global_load_ubyte v17, v[12:13], off
	v_add_f64 v[13:14], v[4:5], 0
	v_cndmask_b32_e64 v18, v23, v18, s2
	s_waitcnt vmcnt(1)
	v_and_b32_e32 v10, 1, v10
	s_waitcnt vmcnt(0)
	v_and_b32_e32 v17, 1, v17
	v_cmp_eq_u32_e64 s2, 1, v10
	v_cmp_eq_u32_e64 s3, 1, v17
	v_lshlrev_b32_e32 v10, 2, v18
	v_cndmask_b32_e64 v14, v14, 0, s2
	v_cndmask_b32_e64 v13, v13, 0, s2
	;; [unrolled: 1-line block ×4, first 2 shown]
	ds_bpermute_b32 v18, v10, v14
	ds_bpermute_b32 v17, v10, v13
	ds_bpermute_b32 v20, v10, v16
	ds_bpermute_b32 v19, v10, v15
	v_xor_b32_e32 v10, 8, v23
	v_cmp_gt_i32_e64 s3, 32, v10
	v_cndmask_b32_e64 v10, v23, v10, s3
	v_lshlrev_b32_e32 v10, 2, v10
	s_waitcnt lgkmcnt(2)
	v_add_f64 v[13:14], v[13:14], v[17:18]
	s_waitcnt lgkmcnt(0)
	v_add_f64 v[15:16], v[15:16], v[19:20]
	ds_bpermute_b32 v17, v10, v13
	ds_bpermute_b32 v18, v10, v14
	ds_bpermute_b32 v19, v10, v15
	ds_bpermute_b32 v20, v10, v16
	v_xor_b32_e32 v10, 4, v23
	v_cmp_gt_i32_e64 s3, 32, v10
	v_cndmask_b32_e64 v10, v23, v10, s3
	v_lshlrev_b32_e32 v10, 2, v10
	s_waitcnt lgkmcnt(2)
	v_add_f64 v[13:14], v[13:14], v[17:18]
	s_waitcnt lgkmcnt(0)
	v_add_f64 v[15:16], v[15:16], v[19:20]
	;; [unrolled: 12-line block ×4, first 2 shown]
	ds_bpermute_b32 v20, v10, v18
	ds_bpermute_b32 v21, v10, v19
	;; [unrolled: 1-line block ×4, first 2 shown]
	s_and_saveexec_b32 s3, s0
	s_cbranch_execz .LBB779_11
; %bb.7:
	v_add_co_u32 v0, s0, s12, v0
	v_add_co_ci_u32_e64 v1, null, s13, v1, s0
	s_and_saveexec_b32 s0, vcc_lo
	s_cbranch_execz .LBB779_9
; %bb.8:
	s_waitcnt lgkmcnt(2)
	v_add_f64 v[18:19], v[18:19], v[20:21]
	v_fma_f64 v[2:3], -v[2:3], v[18:19], v[4:5]
	v_cndmask_b32_e64 v3, v3, 0, s2
	v_cndmask_b32_e64 v2, v2, 0, s2
	global_store_dwordx2 v[0:1], v[2:3], off
.LBB779_9:
	s_or_b32 exec_lo, exec_lo, s0
	v_cmp_ne_u32_e64 s0, 1, v22
	s_and_b32 s0, s0, vcc_lo
	s_and_b32 exec_lo, exec_lo, s0
	s_cbranch_execz .LBB779_11
; %bb.10:
	v_add_co_ci_u32_e64 v13, null, 0, v11, s1
	s_waitcnt lgkmcnt(0)
	v_add_f64 v[2:3], v[14:15], v[16:17]
	s_mov_b32 s11, 0
	s_lshl_b64 s[0:1], s[10:11], 3
	global_load_ubyte v4, v[12:13], off
	v_add_co_u32 v0, s0, v0, s0
	v_add_co_ci_u32_e64 v1, null, s1, v1, s0
	v_fma_f64 v[2:3], -v[8:9], v[2:3], v[6:7]
	s_waitcnt vmcnt(0)
	v_and_b32_e32 v4, 1, v4
	v_cmp_eq_u32_e32 vcc_lo, 1, v4
	v_cndmask_b32_e64 v3, v3, 0, vcc_lo
	v_cndmask_b32_e64 v2, v2, 0, vcc_lo
	global_store_dwordx2 v[0:1], v[2:3], off
.LBB779_11:
	s_endpgm
	.section	.rodata,"a",@progbits
	.p2align	6, 0x0
	.amdhsa_kernel _ZN12_GLOBAL__N_121softmax_warp_backwardIdddLi5ELb0ELb1ELi32EEEvPT0_PKT_S5_iiiPKb
		.amdhsa_group_segment_fixed_size 0
		.amdhsa_private_segment_fixed_size 0
		.amdhsa_kernarg_size 304
		.amdhsa_user_sgpr_count 6
		.amdhsa_user_sgpr_private_segment_buffer 1
		.amdhsa_user_sgpr_dispatch_ptr 0
		.amdhsa_user_sgpr_queue_ptr 0
		.amdhsa_user_sgpr_kernarg_segment_ptr 1
		.amdhsa_user_sgpr_dispatch_id 0
		.amdhsa_user_sgpr_flat_scratch_init 0
		.amdhsa_user_sgpr_private_segment_size 0
		.amdhsa_wavefront_size32 1
		.amdhsa_uses_dynamic_stack 0
		.amdhsa_system_sgpr_private_segment_wavefront_offset 0
		.amdhsa_system_sgpr_workgroup_id_x 1
		.amdhsa_system_sgpr_workgroup_id_y 0
		.amdhsa_system_sgpr_workgroup_id_z 0
		.amdhsa_system_sgpr_workgroup_info 0
		.amdhsa_system_vgpr_workitem_id 1
		.amdhsa_next_free_vgpr 24
		.amdhsa_next_free_sgpr 16
		.amdhsa_reserve_vcc 1
		.amdhsa_reserve_flat_scratch 0
		.amdhsa_float_round_mode_32 0
		.amdhsa_float_round_mode_16_64 0
		.amdhsa_float_denorm_mode_32 3
		.amdhsa_float_denorm_mode_16_64 3
		.amdhsa_dx10_clamp 1
		.amdhsa_ieee_mode 1
		.amdhsa_fp16_overflow 0
		.amdhsa_workgroup_processor_mode 1
		.amdhsa_memory_ordered 1
		.amdhsa_forward_progress 1
		.amdhsa_shared_vgpr_count 0
		.amdhsa_exception_fp_ieee_invalid_op 0
		.amdhsa_exception_fp_denorm_src 0
		.amdhsa_exception_fp_ieee_div_zero 0
		.amdhsa_exception_fp_ieee_overflow 0
		.amdhsa_exception_fp_ieee_underflow 0
		.amdhsa_exception_fp_ieee_inexact 0
		.amdhsa_exception_int_div_zero 0
	.end_amdhsa_kernel
	.section	.text._ZN12_GLOBAL__N_121softmax_warp_backwardIdddLi5ELb0ELb1ELi32EEEvPT0_PKT_S5_iiiPKb,"axG",@progbits,_ZN12_GLOBAL__N_121softmax_warp_backwardIdddLi5ELb0ELb1ELi32EEEvPT0_PKT_S5_iiiPKb,comdat
.Lfunc_end779:
	.size	_ZN12_GLOBAL__N_121softmax_warp_backwardIdddLi5ELb0ELb1ELi32EEEvPT0_PKT_S5_iiiPKb, .Lfunc_end779-_ZN12_GLOBAL__N_121softmax_warp_backwardIdddLi5ELb0ELb1ELi32EEEvPT0_PKT_S5_iiiPKb
                                        ; -- End function
	.set _ZN12_GLOBAL__N_121softmax_warp_backwardIdddLi5ELb0ELb1ELi32EEEvPT0_PKT_S5_iiiPKb.num_vgpr, 24
	.set _ZN12_GLOBAL__N_121softmax_warp_backwardIdddLi5ELb0ELb1ELi32EEEvPT0_PKT_S5_iiiPKb.num_agpr, 0
	.set _ZN12_GLOBAL__N_121softmax_warp_backwardIdddLi5ELb0ELb1ELi32EEEvPT0_PKT_S5_iiiPKb.numbered_sgpr, 16
	.set _ZN12_GLOBAL__N_121softmax_warp_backwardIdddLi5ELb0ELb1ELi32EEEvPT0_PKT_S5_iiiPKb.num_named_barrier, 0
	.set _ZN12_GLOBAL__N_121softmax_warp_backwardIdddLi5ELb0ELb1ELi32EEEvPT0_PKT_S5_iiiPKb.private_seg_size, 0
	.set _ZN12_GLOBAL__N_121softmax_warp_backwardIdddLi5ELb0ELb1ELi32EEEvPT0_PKT_S5_iiiPKb.uses_vcc, 1
	.set _ZN12_GLOBAL__N_121softmax_warp_backwardIdddLi5ELb0ELb1ELi32EEEvPT0_PKT_S5_iiiPKb.uses_flat_scratch, 0
	.set _ZN12_GLOBAL__N_121softmax_warp_backwardIdddLi5ELb0ELb1ELi32EEEvPT0_PKT_S5_iiiPKb.has_dyn_sized_stack, 0
	.set _ZN12_GLOBAL__N_121softmax_warp_backwardIdddLi5ELb0ELb1ELi32EEEvPT0_PKT_S5_iiiPKb.has_recursion, 0
	.set _ZN12_GLOBAL__N_121softmax_warp_backwardIdddLi5ELb0ELb1ELi32EEEvPT0_PKT_S5_iiiPKb.has_indirect_call, 0
	.section	.AMDGPU.csdata,"",@progbits
; Kernel info:
; codeLenInByte = 1040
; TotalNumSgprs: 18
; NumVgprs: 24
; ScratchSize: 0
; MemoryBound: 1
; FloatMode: 240
; IeeeMode: 1
; LDSByteSize: 0 bytes/workgroup (compile time only)
; SGPRBlocks: 0
; VGPRBlocks: 2
; NumSGPRsForWavesPerEU: 18
; NumVGPRsForWavesPerEU: 24
; Occupancy: 16
; WaveLimiterHint : 0
; COMPUTE_PGM_RSRC2:SCRATCH_EN: 0
; COMPUTE_PGM_RSRC2:USER_SGPR: 6
; COMPUTE_PGM_RSRC2:TRAP_HANDLER: 0
; COMPUTE_PGM_RSRC2:TGID_X_EN: 1
; COMPUTE_PGM_RSRC2:TGID_Y_EN: 0
; COMPUTE_PGM_RSRC2:TGID_Z_EN: 0
; COMPUTE_PGM_RSRC2:TIDIG_COMP_CNT: 1
	.section	.text._ZN12_GLOBAL__N_121softmax_warp_backwardIdddLi6ELb0ELb1ELi64EEEvPT0_PKT_S5_iiiPKb,"axG",@progbits,_ZN12_GLOBAL__N_121softmax_warp_backwardIdddLi6ELb0ELb1ELi64EEEvPT0_PKT_S5_iiiPKb,comdat
	.globl	_ZN12_GLOBAL__N_121softmax_warp_backwardIdddLi6ELb0ELb1ELi64EEEvPT0_PKT_S5_iiiPKb ; -- Begin function _ZN12_GLOBAL__N_121softmax_warp_backwardIdddLi6ELb0ELb1ELi64EEEvPT0_PKT_S5_iiiPKb
	.p2align	8
	.type	_ZN12_GLOBAL__N_121softmax_warp_backwardIdddLi6ELb0ELb1ELi64EEEvPT0_PKT_S5_iiiPKb,@function
_ZN12_GLOBAL__N_121softmax_warp_backwardIdddLi6ELb0ELb1ELi64EEEvPT0_PKT_S5_iiiPKb: ; @_ZN12_GLOBAL__N_121softmax_warp_backwardIdddLi6ELb0ELb1ELi64EEEvPT0_PKT_S5_iiiPKb
; %bb.0:
	s_clause 0x1
	s_load_dword s0, s[4:5], 0x3c
	s_load_dwordx4 s[8:11], s[4:5], 0x18
	v_and_b32_e32 v6, 63, v0
	s_clause 0x1
	s_load_dwordx4 s[12:15], s[4:5], 0x0
	s_load_dwordx2 s[2:3], s[4:5], 0x10
	v_mov_b32_e32 v2, 0
	v_mov_b32_e32 v4, 0
	;; [unrolled: 1-line block ×4, first 2 shown]
	s_waitcnt lgkmcnt(0)
	s_lshr_b32 s0, s0, 16
	v_cmp_gt_i32_e32 vcc_lo, s10, v6
	s_and_b32 s0, s0, 0xffff
	s_mul_i32 s6, s6, s0
	v_add_lshl_u32 v0, s6, v1, 1
	v_mad_u64_u32 v[10:11], null, v0, s9, v[6:7]
	v_sub_nc_u32_e32 v22, s8, v0
	v_cmp_lt_i32_e64 s0, 0, v22
	v_ashrrev_i32_e32 v11, 31, v10
	v_lshlrev_b64 v[0:1], 3, v[10:11]
	v_add_co_u32 v14, s1, s14, v0
	v_add_co_ci_u32_e64 v15, null, s15, v1, s1
	v_add_co_u32 v12, s1, s2, v0
	v_add_co_ci_u32_e64 v13, null, s3, v1, s1
	s_and_b32 s2, vcc_lo, s0
	s_and_saveexec_b32 s1, s2
	s_cbranch_execz .LBB780_2
; %bb.1:
	global_load_dwordx2 v[4:5], v[14:15], off
	global_load_dwordx2 v[2:3], v[12:13], off
.LBB780_2:
	s_or_b32 exec_lo, exec_lo, s1
	v_cmp_gt_i32_e64 s1, 2, v22
	s_xor_b32 s2, vcc_lo, -1
	s_or_b32 s1, s2, s1
	s_and_saveexec_b32 s2, s1
	s_xor_b32 s1, exec_lo, s2
                                        ; implicit-def: $vgpr6_vgpr7
; %bb.3:
	s_mov_b32 s2, 0
                                        ; implicit-def: $vgpr12
                                        ; implicit-def: $vgpr14
	v_mov_b32_e32 v6, s2
	v_mov_b32_e32 v7, s2
; %bb.4:
	s_or_saveexec_b32 s2, s1
	v_mov_b32_e32 v8, 0
	v_mov_b32_e32 v9, 0
	s_xor_b32 exec_lo, exec_lo, s2
	s_cbranch_execz .LBB780_6
; %bb.5:
	s_mov_b32 s11, 0
	s_lshl_b64 s[6:7], s[10:11], 3
	v_add_co_u32 v6, s1, v14, s6
	v_add_co_ci_u32_e64 v7, null, s7, v15, s1
	v_add_co_u32 v8, s1, v12, s6
	v_add_co_ci_u32_e64 v9, null, s7, v13, s1
	global_load_dwordx2 v[6:7], v[6:7], off
	global_load_dwordx2 v[8:9], v[8:9], off
.LBB780_6:
	s_or_b32 exec_lo, exec_lo, s2
	s_load_dwordx2 s[2:3], s[4:5], 0x28
	s_waitcnt vmcnt(1)
	v_add_f64 v[15:16], v[6:7], 0
	v_mbcnt_lo_u32_b32 v23, -1, 0
	v_or_b32_e32 v18, 32, v23
	s_waitcnt lgkmcnt(0)
	v_add_co_u32 v10, s1, s2, v10
	v_add_co_ci_u32_e64 v11, null, s3, v11, s1
	s_ashr_i32 s2, s10, 31
	v_add_co_u32 v12, s1, v10, s10
	v_add_co_ci_u32_e64 v13, null, s2, v11, s1
	v_cmp_gt_i32_e64 s2, 64, v18
	s_clause 0x1
	global_load_ubyte v10, v[10:11], off
	global_load_ubyte v17, v[12:13], off
	v_add_f64 v[13:14], v[4:5], 0
	v_cndmask_b32_e64 v18, v23, v18, s2
	s_waitcnt vmcnt(1)
	v_and_b32_e32 v10, 1, v10
	s_waitcnt vmcnt(0)
	v_and_b32_e32 v17, 1, v17
	v_cmp_eq_u32_e64 s2, 1, v10
	v_cmp_eq_u32_e64 s3, 1, v17
	v_lshlrev_b32_e32 v10, 2, v18
	v_cndmask_b32_e64 v14, v14, 0, s2
	v_cndmask_b32_e64 v13, v13, 0, s2
	v_cndmask_b32_e64 v16, v16, 0, s3
	v_cndmask_b32_e64 v15, v15, 0, s3
	ds_bpermute_b32 v18, v10, v14
	ds_bpermute_b32 v17, v10, v13
	ds_bpermute_b32 v20, v10, v16
	ds_bpermute_b32 v19, v10, v15
	v_xor_b32_e32 v10, 16, v23
	v_cmp_gt_i32_e64 s3, 64, v10
	v_cndmask_b32_e64 v10, v23, v10, s3
	v_lshlrev_b32_e32 v10, 2, v10
	s_waitcnt lgkmcnt(2)
	v_add_f64 v[13:14], v[13:14], v[17:18]
	s_waitcnt lgkmcnt(0)
	v_add_f64 v[15:16], v[15:16], v[19:20]
	ds_bpermute_b32 v17, v10, v13
	ds_bpermute_b32 v18, v10, v14
	ds_bpermute_b32 v19, v10, v15
	ds_bpermute_b32 v20, v10, v16
	v_xor_b32_e32 v10, 8, v23
	v_cmp_gt_i32_e64 s3, 64, v10
	v_cndmask_b32_e64 v10, v23, v10, s3
	v_lshlrev_b32_e32 v10, 2, v10
	s_waitcnt lgkmcnt(2)
	v_add_f64 v[13:14], v[13:14], v[17:18]
	s_waitcnt lgkmcnt(0)
	v_add_f64 v[15:16], v[15:16], v[19:20]
	;; [unrolled: 12-line block ×5, first 2 shown]
	ds_bpermute_b32 v20, v10, v18
	ds_bpermute_b32 v21, v10, v19
	;; [unrolled: 1-line block ×4, first 2 shown]
	s_and_saveexec_b32 s3, s0
	s_cbranch_execz .LBB780_11
; %bb.7:
	v_add_co_u32 v0, s0, s12, v0
	v_add_co_ci_u32_e64 v1, null, s13, v1, s0
	s_and_saveexec_b32 s0, vcc_lo
	s_cbranch_execz .LBB780_9
; %bb.8:
	s_waitcnt lgkmcnt(2)
	v_add_f64 v[18:19], v[18:19], v[20:21]
	v_fma_f64 v[2:3], -v[2:3], v[18:19], v[4:5]
	v_cndmask_b32_e64 v3, v3, 0, s2
	v_cndmask_b32_e64 v2, v2, 0, s2
	global_store_dwordx2 v[0:1], v[2:3], off
.LBB780_9:
	s_or_b32 exec_lo, exec_lo, s0
	v_cmp_ne_u32_e64 s0, 1, v22
	s_and_b32 s0, s0, vcc_lo
	s_and_b32 exec_lo, exec_lo, s0
	s_cbranch_execz .LBB780_11
; %bb.10:
	v_add_co_ci_u32_e64 v13, null, 0, v11, s1
	s_waitcnt lgkmcnt(0)
	v_add_f64 v[2:3], v[14:15], v[16:17]
	s_mov_b32 s11, 0
	s_lshl_b64 s[0:1], s[10:11], 3
	global_load_ubyte v4, v[12:13], off
	v_add_co_u32 v0, s0, v0, s0
	v_add_co_ci_u32_e64 v1, null, s1, v1, s0
	v_fma_f64 v[2:3], -v[8:9], v[2:3], v[6:7]
	s_waitcnt vmcnt(0)
	v_and_b32_e32 v4, 1, v4
	v_cmp_eq_u32_e32 vcc_lo, 1, v4
	v_cndmask_b32_e64 v3, v3, 0, vcc_lo
	v_cndmask_b32_e64 v2, v2, 0, vcc_lo
	global_store_dwordx2 v[0:1], v[2:3], off
.LBB780_11:
	s_endpgm
	.section	.rodata,"a",@progbits
	.p2align	6, 0x0
	.amdhsa_kernel _ZN12_GLOBAL__N_121softmax_warp_backwardIdddLi6ELb0ELb1ELi64EEEvPT0_PKT_S5_iiiPKb
		.amdhsa_group_segment_fixed_size 0
		.amdhsa_private_segment_fixed_size 0
		.amdhsa_kernarg_size 304
		.amdhsa_user_sgpr_count 6
		.amdhsa_user_sgpr_private_segment_buffer 1
		.amdhsa_user_sgpr_dispatch_ptr 0
		.amdhsa_user_sgpr_queue_ptr 0
		.amdhsa_user_sgpr_kernarg_segment_ptr 1
		.amdhsa_user_sgpr_dispatch_id 0
		.amdhsa_user_sgpr_flat_scratch_init 0
		.amdhsa_user_sgpr_private_segment_size 0
		.amdhsa_wavefront_size32 1
		.amdhsa_uses_dynamic_stack 0
		.amdhsa_system_sgpr_private_segment_wavefront_offset 0
		.amdhsa_system_sgpr_workgroup_id_x 1
		.amdhsa_system_sgpr_workgroup_id_y 0
		.amdhsa_system_sgpr_workgroup_id_z 0
		.amdhsa_system_sgpr_workgroup_info 0
		.amdhsa_system_vgpr_workitem_id 1
		.amdhsa_next_free_vgpr 24
		.amdhsa_next_free_sgpr 16
		.amdhsa_reserve_vcc 1
		.amdhsa_reserve_flat_scratch 0
		.amdhsa_float_round_mode_32 0
		.amdhsa_float_round_mode_16_64 0
		.amdhsa_float_denorm_mode_32 3
		.amdhsa_float_denorm_mode_16_64 3
		.amdhsa_dx10_clamp 1
		.amdhsa_ieee_mode 1
		.amdhsa_fp16_overflow 0
		.amdhsa_workgroup_processor_mode 1
		.amdhsa_memory_ordered 1
		.amdhsa_forward_progress 1
		.amdhsa_shared_vgpr_count 0
		.amdhsa_exception_fp_ieee_invalid_op 0
		.amdhsa_exception_fp_denorm_src 0
		.amdhsa_exception_fp_ieee_div_zero 0
		.amdhsa_exception_fp_ieee_overflow 0
		.amdhsa_exception_fp_ieee_underflow 0
		.amdhsa_exception_fp_ieee_inexact 0
		.amdhsa_exception_int_div_zero 0
	.end_amdhsa_kernel
	.section	.text._ZN12_GLOBAL__N_121softmax_warp_backwardIdddLi6ELb0ELb1ELi64EEEvPT0_PKT_S5_iiiPKb,"axG",@progbits,_ZN12_GLOBAL__N_121softmax_warp_backwardIdddLi6ELb0ELb1ELi64EEEvPT0_PKT_S5_iiiPKb,comdat
.Lfunc_end780:
	.size	_ZN12_GLOBAL__N_121softmax_warp_backwardIdddLi6ELb0ELb1ELi64EEEvPT0_PKT_S5_iiiPKb, .Lfunc_end780-_ZN12_GLOBAL__N_121softmax_warp_backwardIdddLi6ELb0ELb1ELi64EEEvPT0_PKT_S5_iiiPKb
                                        ; -- End function
	.set _ZN12_GLOBAL__N_121softmax_warp_backwardIdddLi6ELb0ELb1ELi64EEEvPT0_PKT_S5_iiiPKb.num_vgpr, 24
	.set _ZN12_GLOBAL__N_121softmax_warp_backwardIdddLi6ELb0ELb1ELi64EEEvPT0_PKT_S5_iiiPKb.num_agpr, 0
	.set _ZN12_GLOBAL__N_121softmax_warp_backwardIdddLi6ELb0ELb1ELi64EEEvPT0_PKT_S5_iiiPKb.numbered_sgpr, 16
	.set _ZN12_GLOBAL__N_121softmax_warp_backwardIdddLi6ELb0ELb1ELi64EEEvPT0_PKT_S5_iiiPKb.num_named_barrier, 0
	.set _ZN12_GLOBAL__N_121softmax_warp_backwardIdddLi6ELb0ELb1ELi64EEEvPT0_PKT_S5_iiiPKb.private_seg_size, 0
	.set _ZN12_GLOBAL__N_121softmax_warp_backwardIdddLi6ELb0ELb1ELi64EEEvPT0_PKT_S5_iiiPKb.uses_vcc, 1
	.set _ZN12_GLOBAL__N_121softmax_warp_backwardIdddLi6ELb0ELb1ELi64EEEvPT0_PKT_S5_iiiPKb.uses_flat_scratch, 0
	.set _ZN12_GLOBAL__N_121softmax_warp_backwardIdddLi6ELb0ELb1ELi64EEEvPT0_PKT_S5_iiiPKb.has_dyn_sized_stack, 0
	.set _ZN12_GLOBAL__N_121softmax_warp_backwardIdddLi6ELb0ELb1ELi64EEEvPT0_PKT_S5_iiiPKb.has_recursion, 0
	.set _ZN12_GLOBAL__N_121softmax_warp_backwardIdddLi6ELb0ELb1ELi64EEEvPT0_PKT_S5_iiiPKb.has_indirect_call, 0
	.section	.AMDGPU.csdata,"",@progbits
; Kernel info:
; codeLenInByte = 1120
; TotalNumSgprs: 18
; NumVgprs: 24
; ScratchSize: 0
; MemoryBound: 1
; FloatMode: 240
; IeeeMode: 1
; LDSByteSize: 0 bytes/workgroup (compile time only)
; SGPRBlocks: 0
; VGPRBlocks: 2
; NumSGPRsForWavesPerEU: 18
; NumVGPRsForWavesPerEU: 24
; Occupancy: 16
; WaveLimiterHint : 0
; COMPUTE_PGM_RSRC2:SCRATCH_EN: 0
; COMPUTE_PGM_RSRC2:USER_SGPR: 6
; COMPUTE_PGM_RSRC2:TRAP_HANDLER: 0
; COMPUTE_PGM_RSRC2:TGID_X_EN: 1
; COMPUTE_PGM_RSRC2:TGID_Y_EN: 0
; COMPUTE_PGM_RSRC2:TGID_Z_EN: 0
; COMPUTE_PGM_RSRC2:TIDIG_COMP_CNT: 1
	.section	.text._ZN12_GLOBAL__N_121softmax_warp_backwardIdddLi6ELb0ELb1ELi32EEEvPT0_PKT_S5_iiiPKb,"axG",@progbits,_ZN12_GLOBAL__N_121softmax_warp_backwardIdddLi6ELb0ELb1ELi32EEEvPT0_PKT_S5_iiiPKb,comdat
	.globl	_ZN12_GLOBAL__N_121softmax_warp_backwardIdddLi6ELb0ELb1ELi32EEEvPT0_PKT_S5_iiiPKb ; -- Begin function _ZN12_GLOBAL__N_121softmax_warp_backwardIdddLi6ELb0ELb1ELi32EEEvPT0_PKT_S5_iiiPKb
	.p2align	8
	.type	_ZN12_GLOBAL__N_121softmax_warp_backwardIdddLi6ELb0ELb1ELi32EEEvPT0_PKT_S5_iiiPKb,@function
_ZN12_GLOBAL__N_121softmax_warp_backwardIdddLi6ELb0ELb1ELi32EEEvPT0_PKT_S5_iiiPKb: ; @_ZN12_GLOBAL__N_121softmax_warp_backwardIdddLi6ELb0ELb1ELi32EEEvPT0_PKT_S5_iiiPKb
; %bb.0:
	s_clause 0x1
	s_load_dword s0, s[4:5], 0x3c
	s_load_dwordx4 s[8:11], s[4:5], 0x18
	v_and_b32_e32 v0, 31, v0
	s_clause 0x1
	s_load_dwordx4 s[12:15], s[4:5], 0x0
	s_load_dwordx2 s[2:3], s[4:5], 0x10
	v_mov_b32_e32 v2, 0
	v_mov_b32_e32 v4, 0
	;; [unrolled: 1-line block ×6, first 2 shown]
	s_waitcnt lgkmcnt(0)
	s_lshr_b32 s0, s0, 16
	s_and_b32 s0, s0, 0xffff
	s_mul_i32 s6, s6, s0
	v_cmp_gt_i32_e64 s0, s10, v0
	v_add_lshl_u32 v1, s6, v1, 1
	v_mad_u64_u32 v[18:19], null, v1, s9, v[0:1]
	v_sub_nc_u32_e32 v29, s8, v1
	v_cmp_lt_i32_e64 s1, 0, v29
	v_ashrrev_i32_e32 v19, 31, v18
	v_lshlrev_b64 v[12:13], 3, v[18:19]
	v_add_co_u32 v22, vcc_lo, s14, v12
	v_add_co_ci_u32_e64 v23, null, s15, v13, vcc_lo
	v_add_co_u32 v20, vcc_lo, s2, v12
	v_add_co_ci_u32_e64 v21, null, s3, v13, vcc_lo
	s_and_b32 s3, s1, s0
	s_and_saveexec_b32 s2, s3
	s_cbranch_execz .LBB781_2
; %bb.1:
	global_load_dwordx2 v[4:5], v[22:23], off
	global_load_dwordx2 v[6:7], v[20:21], off
.LBB781_2:
	s_or_b32 exec_lo, exec_lo, s2
	v_or_b32_e32 v0, 32, v0
	v_mov_b32_e32 v16, 0
	v_mov_b32_e32 v17, 0
	v_cmp_gt_i32_e32 vcc_lo, s10, v0
	s_and_b32 s3, s1, vcc_lo
	s_and_saveexec_b32 s2, s3
	s_cbranch_execz .LBB781_4
; %bb.3:
	global_load_dwordx2 v[2:3], v[22:23], off offset:256
	global_load_dwordx2 v[16:17], v[20:21], off offset:256
.LBB781_4:
	s_or_b32 exec_lo, exec_lo, s2
	v_cmp_lt_i32_e64 s2, 1, v29
	v_mov_b32_e32 v0, 0
	v_mov_b32_e32 v10, 0
	;; [unrolled: 1-line block ×6, first 2 shown]
	s_and_b32 s3, s2, s0
	s_and_saveexec_b32 s6, s3
	s_cbranch_execz .LBB781_6
; %bb.5:
	s_mov_b32 s11, 0
	s_lshl_b64 s[8:9], s[10:11], 3
	v_add_co_u32 v8, s3, v22, s8
	v_add_co_ci_u32_e64 v9, null, s9, v23, s3
	v_add_co_u32 v14, s3, v20, s8
	v_add_co_ci_u32_e64 v15, null, s9, v21, s3
	global_load_dwordx2 v[10:11], v[8:9], off
	global_load_dwordx2 v[14:15], v[14:15], off
.LBB781_6:
	s_or_b32 exec_lo, exec_lo, s6
	v_mov_b32_e32 v8, 0
	v_mov_b32_e32 v9, 0
	s_and_b32 s2, s2, vcc_lo
	s_and_saveexec_b32 s3, s2
	s_cbranch_execz .LBB781_8
; %bb.7:
	s_mov_b32 s11, 0
	s_lshl_b64 s[6:7], s[10:11], 3
	v_add_co_u32 v0, s2, v22, s6
	v_add_co_ci_u32_e64 v1, null, s7, v23, s2
	v_add_co_u32 v8, s2, v20, s6
	v_add_co_ci_u32_e64 v9, null, s7, v21, s2
	global_load_dwordx2 v[0:1], v[0:1], off offset:256
	global_load_dwordx2 v[8:9], v[8:9], off offset:256
.LBB781_8:
	s_or_b32 exec_lo, exec_lo, s3
	s_load_dwordx2 s[2:3], s[4:5], 0x28
	s_waitcnt vmcnt(1)
	v_add_f64 v[23:24], v[10:11], 0
	v_mbcnt_lo_u32_b32 v32, -1, 0
	v_xor_b32_e32 v33, 16, v32
	s_waitcnt lgkmcnt(0)
	v_add_co_u32 v18, s2, s2, v18
	v_add_co_ci_u32_e64 v19, null, s3, v19, s2
	s_ashr_i32 s3, s10, 31
	v_add_co_u32 v20, s2, v18, s10
	v_add_co_ci_u32_e64 v21, null, s3, v19, s2
	s_clause 0x3
	global_load_ubyte v25, v[18:19], off
	global_load_ubyte v26, v[20:21], off
	global_load_ubyte v30, v[18:19], off offset:32
	global_load_ubyte v31, v[20:21], off offset:32
	v_add_f64 v[21:22], v[4:5], 0
	s_waitcnt vmcnt(3)
	v_and_b32_e32 v25, 1, v25
	s_waitcnt vmcnt(2)
	v_and_b32_e32 v26, 1, v26
	;; [unrolled: 2-line block ×4, first 2 shown]
	v_cmp_eq_u32_e64 s3, 1, v25
	v_cmp_eq_u32_e64 s4, 1, v26
	;; [unrolled: 1-line block ×3, first 2 shown]
	v_cndmask_b32_e64 v22, v22, 0, s3
	v_cndmask_b32_e64 v21, v21, 0, s3
	;; [unrolled: 1-line block ×4, first 2 shown]
	v_cmp_gt_i32_e64 s4, 32, v33
	v_add_f64 v[25:26], v[21:22], v[2:3]
	v_add_f64 v[27:28], v[23:24], v[0:1]
	v_cndmask_b32_e64 v33, v32, v33, s4
	v_cmp_eq_u32_e64 s4, 1, v30
	v_lshlrev_b32_e32 v30, 2, v33
	v_cndmask_b32_e64 v22, v26, v22, s4
	v_cndmask_b32_e64 v21, v25, v21, s4
	;; [unrolled: 1-line block ×4, first 2 shown]
	ds_bpermute_b32 v26, v30, v22
	ds_bpermute_b32 v25, v30, v21
	ds_bpermute_b32 v28, v30, v24
	ds_bpermute_b32 v27, v30, v23
	s_waitcnt lgkmcnt(2)
	v_add_f64 v[21:22], v[21:22], v[25:26]
	v_xor_b32_e32 v25, 8, v32
	s_waitcnt lgkmcnt(0)
	v_add_f64 v[23:24], v[23:24], v[27:28]
	v_cmp_gt_i32_e64 s4, 32, v25
	v_cndmask_b32_e64 v25, v32, v25, s4
	v_lshlrev_b32_e32 v28, 2, v25
	ds_bpermute_b32 v25, v28, v21
	ds_bpermute_b32 v26, v28, v22
	ds_bpermute_b32 v27, v28, v23
	ds_bpermute_b32 v28, v28, v24
	s_waitcnt lgkmcnt(2)
	v_add_f64 v[21:22], v[21:22], v[25:26]
	v_xor_b32_e32 v25, 4, v32
	s_waitcnt lgkmcnt(0)
	v_add_f64 v[23:24], v[23:24], v[27:28]
	v_cmp_gt_i32_e64 s4, 32, v25
	v_cndmask_b32_e64 v25, v32, v25, s4
	v_lshlrev_b32_e32 v28, 2, v25
	;; [unrolled: 12-line block ×3, first 2 shown]
	ds_bpermute_b32 v25, v28, v21
	ds_bpermute_b32 v26, v28, v22
	;; [unrolled: 1-line block ×4, first 2 shown]
	s_waitcnt lgkmcnt(2)
	v_add_f64 v[25:26], v[21:22], v[25:26]
	s_waitcnt lgkmcnt(0)
	v_add_f64 v[21:22], v[23:24], v[27:28]
	v_xor_b32_e32 v23, 1, v32
	v_cmp_gt_i32_e64 s4, 32, v23
	v_cndmask_b32_e64 v23, v32, v23, s4
	v_lshlrev_b32_e32 v24, 2, v23
	ds_bpermute_b32 v27, v24, v25
	ds_bpermute_b32 v28, v24, v26
	;; [unrolled: 1-line block ×4, first 2 shown]
	s_and_saveexec_b32 s4, s1
	s_cbranch_execz .LBB781_12
; %bb.9:
	s_waitcnt lgkmcnt(2)
	v_add_f64 v[25:26], v[25:26], v[27:28]
	v_add_co_u32 v12, s1, s12, v12
	v_add_co_ci_u32_e64 v13, null, s13, v13, s1
	s_and_saveexec_b32 s1, s0
	s_cbranch_execnz .LBB781_13
; %bb.10:
	s_or_b32 exec_lo, exec_lo, s1
	s_and_saveexec_b32 s3, vcc_lo
	s_cbranch_execnz .LBB781_14
.LBB781_11:
	s_or_b32 exec_lo, exec_lo, s3
	v_cmp_ne_u32_e64 s1, 1, v29
	s_and_b32 exec_lo, exec_lo, s1
	s_cbranch_execnz .LBB781_15
.LBB781_12:
	s_endpgm
.LBB781_13:
	v_fma_f64 v[4:5], -v[25:26], v[6:7], v[4:5]
	v_cndmask_b32_e64 v5, v5, 0, s3
	v_cndmask_b32_e64 v4, v4, 0, s3
	global_store_dwordx2 v[12:13], v[4:5], off
	s_or_b32 exec_lo, exec_lo, s1
	s_and_saveexec_b32 s3, vcc_lo
	s_cbranch_execz .LBB781_11
.LBB781_14:
	global_load_ubyte v4, v[18:19], off offset:32
	v_fma_f64 v[2:3], -v[25:26], v[16:17], v[2:3]
	s_waitcnt vmcnt(0)
	v_and_b32_e32 v4, 1, v4
	v_cmp_eq_u32_e64 s1, 1, v4
	v_cndmask_b32_e64 v3, v3, 0, s1
	v_cndmask_b32_e64 v2, v2, 0, s1
	global_store_dwordx2 v[12:13], v[2:3], off offset:256
	s_or_b32 exec_lo, exec_lo, s3
	v_cmp_ne_u32_e64 s1, 1, v29
	s_and_b32 exec_lo, exec_lo, s1
	s_cbranch_execz .LBB781_12
.LBB781_15:
	s_waitcnt lgkmcnt(0)
	v_add_f64 v[2:3], v[21:22], v[23:24]
	s_and_saveexec_b32 s1, s0
	s_cbranch_execz .LBB781_17
; %bb.16:
	v_add_co_ci_u32_e64 v21, null, 0, v19, s2
	v_fma_f64 v[4:5], -v[2:3], v[14:15], v[10:11]
	s_mov_b32 s11, 0
	s_lshl_b64 s[2:3], s[10:11], 3
	global_load_ubyte v6, v[20:21], off
	s_waitcnt vmcnt(0)
	v_and_b32_e32 v6, 1, v6
	v_cmp_eq_u32_e64 s0, 1, v6
	v_cndmask_b32_e64 v5, v5, 0, s0
	v_cndmask_b32_e64 v4, v4, 0, s0
	v_add_co_u32 v6, s0, v12, s2
	v_add_co_ci_u32_e64 v7, null, s3, v13, s0
	global_store_dwordx2 v[6:7], v[4:5], off
.LBB781_17:
	s_or_b32 exec_lo, exec_lo, s1
	s_and_b32 exec_lo, exec_lo, vcc_lo
	s_cbranch_execz .LBB781_12
; %bb.18:
	s_add_i32 s0, s10, 32
	v_fma_f64 v[0:1], -v[2:3], v[8:9], v[0:1]
	v_add_co_u32 v4, vcc_lo, v18, s0
	v_add_co_ci_u32_e64 v5, null, 0, v19, vcc_lo
	s_mov_b32 s1, 0
	s_lshl_b64 s[0:1], s[0:1], 3
	global_load_ubyte v4, v[4:5], off
	s_waitcnt vmcnt(0)
	v_and_b32_e32 v2, 1, v4
	v_cmp_eq_u32_e32 vcc_lo, 1, v2
	v_cndmask_b32_e64 v1, v1, 0, vcc_lo
	v_cndmask_b32_e64 v0, v0, 0, vcc_lo
	v_add_co_u32 v2, vcc_lo, v12, s0
	v_add_co_ci_u32_e64 v3, null, s1, v13, vcc_lo
	global_store_dwordx2 v[2:3], v[0:1], off
	s_endpgm
	.section	.rodata,"a",@progbits
	.p2align	6, 0x0
	.amdhsa_kernel _ZN12_GLOBAL__N_121softmax_warp_backwardIdddLi6ELb0ELb1ELi32EEEvPT0_PKT_S5_iiiPKb
		.amdhsa_group_segment_fixed_size 0
		.amdhsa_private_segment_fixed_size 0
		.amdhsa_kernarg_size 304
		.amdhsa_user_sgpr_count 6
		.amdhsa_user_sgpr_private_segment_buffer 1
		.amdhsa_user_sgpr_dispatch_ptr 0
		.amdhsa_user_sgpr_queue_ptr 0
		.amdhsa_user_sgpr_kernarg_segment_ptr 1
		.amdhsa_user_sgpr_dispatch_id 0
		.amdhsa_user_sgpr_flat_scratch_init 0
		.amdhsa_user_sgpr_private_segment_size 0
		.amdhsa_wavefront_size32 1
		.amdhsa_uses_dynamic_stack 0
		.amdhsa_system_sgpr_private_segment_wavefront_offset 0
		.amdhsa_system_sgpr_workgroup_id_x 1
		.amdhsa_system_sgpr_workgroup_id_y 0
		.amdhsa_system_sgpr_workgroup_id_z 0
		.amdhsa_system_sgpr_workgroup_info 0
		.amdhsa_system_vgpr_workitem_id 1
		.amdhsa_next_free_vgpr 34
		.amdhsa_next_free_sgpr 16
		.amdhsa_reserve_vcc 1
		.amdhsa_reserve_flat_scratch 0
		.amdhsa_float_round_mode_32 0
		.amdhsa_float_round_mode_16_64 0
		.amdhsa_float_denorm_mode_32 3
		.amdhsa_float_denorm_mode_16_64 3
		.amdhsa_dx10_clamp 1
		.amdhsa_ieee_mode 1
		.amdhsa_fp16_overflow 0
		.amdhsa_workgroup_processor_mode 1
		.amdhsa_memory_ordered 1
		.amdhsa_forward_progress 1
		.amdhsa_shared_vgpr_count 0
		.amdhsa_exception_fp_ieee_invalid_op 0
		.amdhsa_exception_fp_denorm_src 0
		.amdhsa_exception_fp_ieee_div_zero 0
		.amdhsa_exception_fp_ieee_overflow 0
		.amdhsa_exception_fp_ieee_underflow 0
		.amdhsa_exception_fp_ieee_inexact 0
		.amdhsa_exception_int_div_zero 0
	.end_amdhsa_kernel
	.section	.text._ZN12_GLOBAL__N_121softmax_warp_backwardIdddLi6ELb0ELb1ELi32EEEvPT0_PKT_S5_iiiPKb,"axG",@progbits,_ZN12_GLOBAL__N_121softmax_warp_backwardIdddLi6ELb0ELb1ELi32EEEvPT0_PKT_S5_iiiPKb,comdat
.Lfunc_end781:
	.size	_ZN12_GLOBAL__N_121softmax_warp_backwardIdddLi6ELb0ELb1ELi32EEEvPT0_PKT_S5_iiiPKb, .Lfunc_end781-_ZN12_GLOBAL__N_121softmax_warp_backwardIdddLi6ELb0ELb1ELi32EEEvPT0_PKT_S5_iiiPKb
                                        ; -- End function
	.set _ZN12_GLOBAL__N_121softmax_warp_backwardIdddLi6ELb0ELb1ELi32EEEvPT0_PKT_S5_iiiPKb.num_vgpr, 34
	.set _ZN12_GLOBAL__N_121softmax_warp_backwardIdddLi6ELb0ELb1ELi32EEEvPT0_PKT_S5_iiiPKb.num_agpr, 0
	.set _ZN12_GLOBAL__N_121softmax_warp_backwardIdddLi6ELb0ELb1ELi32EEEvPT0_PKT_S5_iiiPKb.numbered_sgpr, 16
	.set _ZN12_GLOBAL__N_121softmax_warp_backwardIdddLi6ELb0ELb1ELi32EEEvPT0_PKT_S5_iiiPKb.num_named_barrier, 0
	.set _ZN12_GLOBAL__N_121softmax_warp_backwardIdddLi6ELb0ELb1ELi32EEEvPT0_PKT_S5_iiiPKb.private_seg_size, 0
	.set _ZN12_GLOBAL__N_121softmax_warp_backwardIdddLi6ELb0ELb1ELi32EEEvPT0_PKT_S5_iiiPKb.uses_vcc, 1
	.set _ZN12_GLOBAL__N_121softmax_warp_backwardIdddLi6ELb0ELb1ELi32EEEvPT0_PKT_S5_iiiPKb.uses_flat_scratch, 0
	.set _ZN12_GLOBAL__N_121softmax_warp_backwardIdddLi6ELb0ELb1ELi32EEEvPT0_PKT_S5_iiiPKb.has_dyn_sized_stack, 0
	.set _ZN12_GLOBAL__N_121softmax_warp_backwardIdddLi6ELb0ELb1ELi32EEEvPT0_PKT_S5_iiiPKb.has_recursion, 0
	.set _ZN12_GLOBAL__N_121softmax_warp_backwardIdddLi6ELb0ELb1ELi32EEEvPT0_PKT_S5_iiiPKb.has_indirect_call, 0
	.section	.AMDGPU.csdata,"",@progbits
; Kernel info:
; codeLenInByte = 1484
; TotalNumSgprs: 18
; NumVgprs: 34
; ScratchSize: 0
; MemoryBound: 0
; FloatMode: 240
; IeeeMode: 1
; LDSByteSize: 0 bytes/workgroup (compile time only)
; SGPRBlocks: 0
; VGPRBlocks: 4
; NumSGPRsForWavesPerEU: 18
; NumVGPRsForWavesPerEU: 34
; Occupancy: 16
; WaveLimiterHint : 0
; COMPUTE_PGM_RSRC2:SCRATCH_EN: 0
; COMPUTE_PGM_RSRC2:USER_SGPR: 6
; COMPUTE_PGM_RSRC2:TRAP_HANDLER: 0
; COMPUTE_PGM_RSRC2:TGID_X_EN: 1
; COMPUTE_PGM_RSRC2:TGID_Y_EN: 0
; COMPUTE_PGM_RSRC2:TGID_Z_EN: 0
; COMPUTE_PGM_RSRC2:TIDIG_COMP_CNT: 1
	.section	.text._ZN12_GLOBAL__N_121softmax_warp_backwardIdddLi7ELb0ELb1ELi64EEEvPT0_PKT_S5_iiiPKb,"axG",@progbits,_ZN12_GLOBAL__N_121softmax_warp_backwardIdddLi7ELb0ELb1ELi64EEEvPT0_PKT_S5_iiiPKb,comdat
	.globl	_ZN12_GLOBAL__N_121softmax_warp_backwardIdddLi7ELb0ELb1ELi64EEEvPT0_PKT_S5_iiiPKb ; -- Begin function _ZN12_GLOBAL__N_121softmax_warp_backwardIdddLi7ELb0ELb1ELi64EEEvPT0_PKT_S5_iiiPKb
	.p2align	8
	.type	_ZN12_GLOBAL__N_121softmax_warp_backwardIdddLi7ELb0ELb1ELi64EEEvPT0_PKT_S5_iiiPKb,@function
_ZN12_GLOBAL__N_121softmax_warp_backwardIdddLi7ELb0ELb1ELi64EEEvPT0_PKT_S5_iiiPKb: ; @_ZN12_GLOBAL__N_121softmax_warp_backwardIdddLi7ELb0ELb1ELi64EEEvPT0_PKT_S5_iiiPKb
; %bb.0:
	s_clause 0x1
	s_load_dword s0, s[4:5], 0x3c
	s_load_dwordx4 s[8:11], s[4:5], 0x18
	v_and_b32_e32 v0, 63, v0
	s_clause 0x1
	s_load_dwordx4 s[12:15], s[4:5], 0x0
	s_load_dwordx2 s[2:3], s[4:5], 0x10
	v_mov_b32_e32 v2, 0
	v_mov_b32_e32 v4, 0
	;; [unrolled: 1-line block ×6, first 2 shown]
	s_waitcnt lgkmcnt(0)
	s_lshr_b32 s0, s0, 16
	s_and_b32 s0, s0, 0xffff
	s_mul_i32 s6, s6, s0
	v_cmp_gt_i32_e64 s0, s10, v0
	v_add_lshl_u32 v1, s6, v1, 1
	v_mad_u64_u32 v[18:19], null, v1, s9, v[0:1]
	v_sub_nc_u32_e32 v29, s8, v1
	v_cmp_lt_i32_e64 s1, 0, v29
	v_ashrrev_i32_e32 v19, 31, v18
	v_lshlrev_b64 v[12:13], 3, v[18:19]
	v_add_co_u32 v22, vcc_lo, s14, v12
	v_add_co_ci_u32_e64 v23, null, s15, v13, vcc_lo
	v_add_co_u32 v20, vcc_lo, s2, v12
	v_add_co_ci_u32_e64 v21, null, s3, v13, vcc_lo
	s_and_b32 s3, s1, s0
	s_and_saveexec_b32 s2, s3
	s_cbranch_execz .LBB782_2
; %bb.1:
	global_load_dwordx2 v[4:5], v[22:23], off
	global_load_dwordx2 v[6:7], v[20:21], off
.LBB782_2:
	s_or_b32 exec_lo, exec_lo, s2
	v_or_b32_e32 v0, 64, v0
	v_mov_b32_e32 v16, 0
	v_mov_b32_e32 v17, 0
	v_cmp_gt_i32_e32 vcc_lo, s10, v0
	s_and_b32 s3, s1, vcc_lo
	s_and_saveexec_b32 s2, s3
	s_cbranch_execz .LBB782_4
; %bb.3:
	global_load_dwordx2 v[2:3], v[22:23], off offset:512
	global_load_dwordx2 v[16:17], v[20:21], off offset:512
.LBB782_4:
	s_or_b32 exec_lo, exec_lo, s2
	v_cmp_lt_i32_e64 s2, 1, v29
	v_mov_b32_e32 v0, 0
	v_mov_b32_e32 v10, 0
	;; [unrolled: 1-line block ×6, first 2 shown]
	s_and_b32 s3, s2, s0
	s_and_saveexec_b32 s6, s3
	s_cbranch_execz .LBB782_6
; %bb.5:
	s_mov_b32 s11, 0
	s_lshl_b64 s[8:9], s[10:11], 3
	v_add_co_u32 v8, s3, v22, s8
	v_add_co_ci_u32_e64 v9, null, s9, v23, s3
	v_add_co_u32 v14, s3, v20, s8
	v_add_co_ci_u32_e64 v15, null, s9, v21, s3
	global_load_dwordx2 v[10:11], v[8:9], off
	global_load_dwordx2 v[14:15], v[14:15], off
.LBB782_6:
	s_or_b32 exec_lo, exec_lo, s6
	v_mov_b32_e32 v8, 0
	v_mov_b32_e32 v9, 0
	s_and_b32 s2, s2, vcc_lo
	s_and_saveexec_b32 s3, s2
	s_cbranch_execz .LBB782_8
; %bb.7:
	s_mov_b32 s11, 0
	s_lshl_b64 s[6:7], s[10:11], 3
	v_add_co_u32 v0, s2, v22, s6
	v_add_co_ci_u32_e64 v1, null, s7, v23, s2
	v_add_co_u32 v8, s2, v20, s6
	v_add_co_ci_u32_e64 v9, null, s7, v21, s2
	global_load_dwordx2 v[0:1], v[0:1], off offset:512
	global_load_dwordx2 v[8:9], v[8:9], off offset:512
.LBB782_8:
	s_or_b32 exec_lo, exec_lo, s3
	s_load_dwordx2 s[2:3], s[4:5], 0x28
	s_waitcnt vmcnt(1)
	v_add_f64 v[23:24], v[10:11], 0
	v_mbcnt_lo_u32_b32 v32, -1, 0
	v_or_b32_e32 v33, 32, v32
	s_waitcnt lgkmcnt(0)
	v_add_co_u32 v18, s2, s2, v18
	v_add_co_ci_u32_e64 v19, null, s3, v19, s2
	s_ashr_i32 s3, s10, 31
	v_add_co_u32 v20, s2, v18, s10
	v_add_co_ci_u32_e64 v21, null, s3, v19, s2
	s_clause 0x3
	global_load_ubyte v25, v[18:19], off
	global_load_ubyte v26, v[20:21], off
	global_load_ubyte v30, v[18:19], off offset:64
	global_load_ubyte v31, v[20:21], off offset:64
	v_add_f64 v[21:22], v[4:5], 0
	s_waitcnt vmcnt(3)
	v_and_b32_e32 v25, 1, v25
	s_waitcnt vmcnt(2)
	v_and_b32_e32 v26, 1, v26
	s_waitcnt vmcnt(1)
	v_and_b32_e32 v30, 1, v30
	s_waitcnt vmcnt(0)
	v_and_b32_e32 v31, 1, v31
	v_cmp_eq_u32_e64 s3, 1, v25
	v_cmp_eq_u32_e64 s4, 1, v26
	;; [unrolled: 1-line block ×3, first 2 shown]
	v_cndmask_b32_e64 v22, v22, 0, s3
	v_cndmask_b32_e64 v21, v21, 0, s3
	;; [unrolled: 1-line block ×4, first 2 shown]
	v_cmp_gt_i32_e64 s4, 64, v33
	v_add_f64 v[25:26], v[21:22], v[2:3]
	v_add_f64 v[27:28], v[23:24], v[0:1]
	v_cndmask_b32_e64 v33, v32, v33, s4
	v_cmp_eq_u32_e64 s4, 1, v30
	v_lshlrev_b32_e32 v30, 2, v33
	v_cndmask_b32_e64 v22, v26, v22, s4
	v_cndmask_b32_e64 v21, v25, v21, s4
	;; [unrolled: 1-line block ×4, first 2 shown]
	ds_bpermute_b32 v26, v30, v22
	ds_bpermute_b32 v25, v30, v21
	ds_bpermute_b32 v28, v30, v24
	ds_bpermute_b32 v27, v30, v23
	s_waitcnt lgkmcnt(2)
	v_add_f64 v[21:22], v[21:22], v[25:26]
	v_xor_b32_e32 v25, 16, v32
	s_waitcnt lgkmcnt(0)
	v_add_f64 v[23:24], v[23:24], v[27:28]
	v_cmp_gt_i32_e64 s4, 64, v25
	v_cndmask_b32_e64 v25, v32, v25, s4
	v_lshlrev_b32_e32 v28, 2, v25
	ds_bpermute_b32 v25, v28, v21
	ds_bpermute_b32 v26, v28, v22
	ds_bpermute_b32 v27, v28, v23
	ds_bpermute_b32 v28, v28, v24
	s_waitcnt lgkmcnt(2)
	v_add_f64 v[21:22], v[21:22], v[25:26]
	v_xor_b32_e32 v25, 8, v32
	s_waitcnt lgkmcnt(0)
	v_add_f64 v[23:24], v[23:24], v[27:28]
	v_cmp_gt_i32_e64 s4, 64, v25
	v_cndmask_b32_e64 v25, v32, v25, s4
	v_lshlrev_b32_e32 v28, 2, v25
	;; [unrolled: 12-line block ×4, first 2 shown]
	ds_bpermute_b32 v25, v28, v21
	ds_bpermute_b32 v26, v28, v22
	;; [unrolled: 1-line block ×4, first 2 shown]
	s_waitcnt lgkmcnt(2)
	v_add_f64 v[25:26], v[21:22], v[25:26]
	s_waitcnt lgkmcnt(0)
	v_add_f64 v[21:22], v[23:24], v[27:28]
	v_xor_b32_e32 v23, 1, v32
	v_cmp_gt_i32_e64 s4, 64, v23
	v_cndmask_b32_e64 v23, v32, v23, s4
	v_lshlrev_b32_e32 v24, 2, v23
	ds_bpermute_b32 v27, v24, v25
	ds_bpermute_b32 v28, v24, v26
	;; [unrolled: 1-line block ×4, first 2 shown]
	s_and_saveexec_b32 s4, s1
	s_cbranch_execz .LBB782_12
; %bb.9:
	s_waitcnt lgkmcnt(2)
	v_add_f64 v[25:26], v[25:26], v[27:28]
	v_add_co_u32 v12, s1, s12, v12
	v_add_co_ci_u32_e64 v13, null, s13, v13, s1
	s_and_saveexec_b32 s1, s0
	s_cbranch_execnz .LBB782_13
; %bb.10:
	s_or_b32 exec_lo, exec_lo, s1
	s_and_saveexec_b32 s3, vcc_lo
	s_cbranch_execnz .LBB782_14
.LBB782_11:
	s_or_b32 exec_lo, exec_lo, s3
	v_cmp_ne_u32_e64 s1, 1, v29
	s_and_b32 exec_lo, exec_lo, s1
	s_cbranch_execnz .LBB782_15
.LBB782_12:
	s_endpgm
.LBB782_13:
	v_fma_f64 v[4:5], -v[25:26], v[6:7], v[4:5]
	v_cndmask_b32_e64 v5, v5, 0, s3
	v_cndmask_b32_e64 v4, v4, 0, s3
	global_store_dwordx2 v[12:13], v[4:5], off
	s_or_b32 exec_lo, exec_lo, s1
	s_and_saveexec_b32 s3, vcc_lo
	s_cbranch_execz .LBB782_11
.LBB782_14:
	global_load_ubyte v4, v[18:19], off offset:64
	v_fma_f64 v[2:3], -v[25:26], v[16:17], v[2:3]
	s_waitcnt vmcnt(0)
	v_and_b32_e32 v4, 1, v4
	v_cmp_eq_u32_e64 s1, 1, v4
	v_cndmask_b32_e64 v3, v3, 0, s1
	v_cndmask_b32_e64 v2, v2, 0, s1
	global_store_dwordx2 v[12:13], v[2:3], off offset:512
	s_or_b32 exec_lo, exec_lo, s3
	v_cmp_ne_u32_e64 s1, 1, v29
	s_and_b32 exec_lo, exec_lo, s1
	s_cbranch_execz .LBB782_12
.LBB782_15:
	s_waitcnt lgkmcnt(0)
	v_add_f64 v[2:3], v[21:22], v[23:24]
	s_and_saveexec_b32 s1, s0
	s_cbranch_execz .LBB782_17
; %bb.16:
	v_add_co_ci_u32_e64 v21, null, 0, v19, s2
	v_fma_f64 v[4:5], -v[2:3], v[14:15], v[10:11]
	s_mov_b32 s11, 0
	s_lshl_b64 s[2:3], s[10:11], 3
	global_load_ubyte v6, v[20:21], off
	s_waitcnt vmcnt(0)
	v_and_b32_e32 v6, 1, v6
	v_cmp_eq_u32_e64 s0, 1, v6
	v_cndmask_b32_e64 v5, v5, 0, s0
	v_cndmask_b32_e64 v4, v4, 0, s0
	v_add_co_u32 v6, s0, v12, s2
	v_add_co_ci_u32_e64 v7, null, s3, v13, s0
	global_store_dwordx2 v[6:7], v[4:5], off
.LBB782_17:
	s_or_b32 exec_lo, exec_lo, s1
	s_and_b32 exec_lo, exec_lo, vcc_lo
	s_cbranch_execz .LBB782_12
; %bb.18:
	s_add_i32 s0, s10, 64
	v_fma_f64 v[0:1], -v[2:3], v[8:9], v[0:1]
	v_add_co_u32 v4, vcc_lo, v18, s0
	v_add_co_ci_u32_e64 v5, null, 0, v19, vcc_lo
	s_mov_b32 s1, 0
	s_lshl_b64 s[0:1], s[0:1], 3
	global_load_ubyte v4, v[4:5], off
	s_waitcnt vmcnt(0)
	v_and_b32_e32 v2, 1, v4
	v_cmp_eq_u32_e32 vcc_lo, 1, v2
	v_cndmask_b32_e64 v1, v1, 0, vcc_lo
	v_cndmask_b32_e64 v0, v0, 0, vcc_lo
	v_add_co_u32 v2, vcc_lo, v12, s0
	v_add_co_ci_u32_e64 v3, null, s1, v13, vcc_lo
	global_store_dwordx2 v[2:3], v[0:1], off
	s_endpgm
	.section	.rodata,"a",@progbits
	.p2align	6, 0x0
	.amdhsa_kernel _ZN12_GLOBAL__N_121softmax_warp_backwardIdddLi7ELb0ELb1ELi64EEEvPT0_PKT_S5_iiiPKb
		.amdhsa_group_segment_fixed_size 0
		.amdhsa_private_segment_fixed_size 0
		.amdhsa_kernarg_size 304
		.amdhsa_user_sgpr_count 6
		.amdhsa_user_sgpr_private_segment_buffer 1
		.amdhsa_user_sgpr_dispatch_ptr 0
		.amdhsa_user_sgpr_queue_ptr 0
		.amdhsa_user_sgpr_kernarg_segment_ptr 1
		.amdhsa_user_sgpr_dispatch_id 0
		.amdhsa_user_sgpr_flat_scratch_init 0
		.amdhsa_user_sgpr_private_segment_size 0
		.amdhsa_wavefront_size32 1
		.amdhsa_uses_dynamic_stack 0
		.amdhsa_system_sgpr_private_segment_wavefront_offset 0
		.amdhsa_system_sgpr_workgroup_id_x 1
		.amdhsa_system_sgpr_workgroup_id_y 0
		.amdhsa_system_sgpr_workgroup_id_z 0
		.amdhsa_system_sgpr_workgroup_info 0
		.amdhsa_system_vgpr_workitem_id 1
		.amdhsa_next_free_vgpr 34
		.amdhsa_next_free_sgpr 16
		.amdhsa_reserve_vcc 1
		.amdhsa_reserve_flat_scratch 0
		.amdhsa_float_round_mode_32 0
		.amdhsa_float_round_mode_16_64 0
		.amdhsa_float_denorm_mode_32 3
		.amdhsa_float_denorm_mode_16_64 3
		.amdhsa_dx10_clamp 1
		.amdhsa_ieee_mode 1
		.amdhsa_fp16_overflow 0
		.amdhsa_workgroup_processor_mode 1
		.amdhsa_memory_ordered 1
		.amdhsa_forward_progress 1
		.amdhsa_shared_vgpr_count 0
		.amdhsa_exception_fp_ieee_invalid_op 0
		.amdhsa_exception_fp_denorm_src 0
		.amdhsa_exception_fp_ieee_div_zero 0
		.amdhsa_exception_fp_ieee_overflow 0
		.amdhsa_exception_fp_ieee_underflow 0
		.amdhsa_exception_fp_ieee_inexact 0
		.amdhsa_exception_int_div_zero 0
	.end_amdhsa_kernel
	.section	.text._ZN12_GLOBAL__N_121softmax_warp_backwardIdddLi7ELb0ELb1ELi64EEEvPT0_PKT_S5_iiiPKb,"axG",@progbits,_ZN12_GLOBAL__N_121softmax_warp_backwardIdddLi7ELb0ELb1ELi64EEEvPT0_PKT_S5_iiiPKb,comdat
.Lfunc_end782:
	.size	_ZN12_GLOBAL__N_121softmax_warp_backwardIdddLi7ELb0ELb1ELi64EEEvPT0_PKT_S5_iiiPKb, .Lfunc_end782-_ZN12_GLOBAL__N_121softmax_warp_backwardIdddLi7ELb0ELb1ELi64EEEvPT0_PKT_S5_iiiPKb
                                        ; -- End function
	.set _ZN12_GLOBAL__N_121softmax_warp_backwardIdddLi7ELb0ELb1ELi64EEEvPT0_PKT_S5_iiiPKb.num_vgpr, 34
	.set _ZN12_GLOBAL__N_121softmax_warp_backwardIdddLi7ELb0ELb1ELi64EEEvPT0_PKT_S5_iiiPKb.num_agpr, 0
	.set _ZN12_GLOBAL__N_121softmax_warp_backwardIdddLi7ELb0ELb1ELi64EEEvPT0_PKT_S5_iiiPKb.numbered_sgpr, 16
	.set _ZN12_GLOBAL__N_121softmax_warp_backwardIdddLi7ELb0ELb1ELi64EEEvPT0_PKT_S5_iiiPKb.num_named_barrier, 0
	.set _ZN12_GLOBAL__N_121softmax_warp_backwardIdddLi7ELb0ELb1ELi64EEEvPT0_PKT_S5_iiiPKb.private_seg_size, 0
	.set _ZN12_GLOBAL__N_121softmax_warp_backwardIdddLi7ELb0ELb1ELi64EEEvPT0_PKT_S5_iiiPKb.uses_vcc, 1
	.set _ZN12_GLOBAL__N_121softmax_warp_backwardIdddLi7ELb0ELb1ELi64EEEvPT0_PKT_S5_iiiPKb.uses_flat_scratch, 0
	.set _ZN12_GLOBAL__N_121softmax_warp_backwardIdddLi7ELb0ELb1ELi64EEEvPT0_PKT_S5_iiiPKb.has_dyn_sized_stack, 0
	.set _ZN12_GLOBAL__N_121softmax_warp_backwardIdddLi7ELb0ELb1ELi64EEEvPT0_PKT_S5_iiiPKb.has_recursion, 0
	.set _ZN12_GLOBAL__N_121softmax_warp_backwardIdddLi7ELb0ELb1ELi64EEEvPT0_PKT_S5_iiiPKb.has_indirect_call, 0
	.section	.AMDGPU.csdata,"",@progbits
; Kernel info:
; codeLenInByte = 1564
; TotalNumSgprs: 18
; NumVgprs: 34
; ScratchSize: 0
; MemoryBound: 0
; FloatMode: 240
; IeeeMode: 1
; LDSByteSize: 0 bytes/workgroup (compile time only)
; SGPRBlocks: 0
; VGPRBlocks: 4
; NumSGPRsForWavesPerEU: 18
; NumVGPRsForWavesPerEU: 34
; Occupancy: 16
; WaveLimiterHint : 0
; COMPUTE_PGM_RSRC2:SCRATCH_EN: 0
; COMPUTE_PGM_RSRC2:USER_SGPR: 6
; COMPUTE_PGM_RSRC2:TRAP_HANDLER: 0
; COMPUTE_PGM_RSRC2:TGID_X_EN: 1
; COMPUTE_PGM_RSRC2:TGID_Y_EN: 0
; COMPUTE_PGM_RSRC2:TGID_Z_EN: 0
; COMPUTE_PGM_RSRC2:TIDIG_COMP_CNT: 1
	.section	.text._ZN12_GLOBAL__N_121softmax_warp_backwardIdddLi7ELb0ELb1ELi32EEEvPT0_PKT_S5_iiiPKb,"axG",@progbits,_ZN12_GLOBAL__N_121softmax_warp_backwardIdddLi7ELb0ELb1ELi32EEEvPT0_PKT_S5_iiiPKb,comdat
	.globl	_ZN12_GLOBAL__N_121softmax_warp_backwardIdddLi7ELb0ELb1ELi32EEEvPT0_PKT_S5_iiiPKb ; -- Begin function _ZN12_GLOBAL__N_121softmax_warp_backwardIdddLi7ELb0ELb1ELi32EEEvPT0_PKT_S5_iiiPKb
	.p2align	8
	.type	_ZN12_GLOBAL__N_121softmax_warp_backwardIdddLi7ELb0ELb1ELi32EEEvPT0_PKT_S5_iiiPKb,@function
_ZN12_GLOBAL__N_121softmax_warp_backwardIdddLi7ELb0ELb1ELi32EEEvPT0_PKT_S5_iiiPKb: ; @_ZN12_GLOBAL__N_121softmax_warp_backwardIdddLi7ELb0ELb1ELi32EEEvPT0_PKT_S5_iiiPKb
; %bb.0:
	s_clause 0x1
	s_load_dword s0, s[4:5], 0x3c
	s_load_dwordx4 s[8:11], s[4:5], 0x18
	v_and_b32_e32 v2, 31, v0
	s_load_dwordx4 s[12:15], s[4:5], 0x0
	v_mov_b32_e32 v8, 0
	v_mov_b32_e32 v10, 0
	;; [unrolled: 1-line block ×4, first 2 shown]
	s_waitcnt lgkmcnt(0)
	s_lshr_b32 s0, s0, 16
	v_cmp_gt_i32_e64 s2, s10, v2
	s_and_b32 s0, s0, 0xffff
	s_mul_i32 s6, s6, s0
	s_load_dwordx2 s[0:1], s[4:5], 0x10
	v_add_lshl_u32 v3, s6, v1, 1
	v_mov_b32_e32 v0, 0
	v_mov_b32_e32 v1, 0
	v_mad_u64_u32 v[34:35], null, v3, s9, v[2:3]
	v_sub_nc_u32_e32 v46, s8, v3
	v_cmp_lt_i32_e64 s3, 0, v46
	v_ashrrev_i32_e32 v35, 31, v34
	v_lshlrev_b64 v[12:13], 3, v[34:35]
	v_add_co_u32 v38, vcc_lo, s14, v12
	v_add_co_ci_u32_e64 v39, null, s15, v13, vcc_lo
	s_waitcnt lgkmcnt(0)
	v_add_co_u32 v36, vcc_lo, s0, v12
	v_add_co_ci_u32_e64 v37, null, s1, v13, vcc_lo
	s_and_b32 s1, s3, s2
	s_and_saveexec_b32 s0, s1
	s_cbranch_execz .LBB783_2
; %bb.1:
	global_load_dwordx2 v[8:9], v[38:39], off
	global_load_dwordx2 v[10:11], v[36:37], off
.LBB783_2:
	s_or_b32 exec_lo, exec_lo, s0
	v_or_b32_e32 v3, 32, v2
	v_mov_b32_e32 v14, 0
	v_mov_b32_e32 v15, 0
	v_cmp_gt_i32_e64 s1, s10, v3
	s_and_b32 s6, s3, s1
	s_and_saveexec_b32 s0, s6
	s_cbranch_execz .LBB783_4
; %bb.3:
	global_load_dwordx2 v[0:1], v[38:39], off offset:256
	global_load_dwordx2 v[14:15], v[36:37], off offset:256
.LBB783_4:
	s_or_b32 exec_lo, exec_lo, s0
	v_or_b32_e32 v3, 64, v2
	v_mov_b32_e32 v4, 0
	v_mov_b32_e32 v16, 0
	v_mov_b32_e32 v18, 0
	v_mov_b32_e32 v5, 0
	v_cmp_gt_i32_e64 s0, s10, v3
	v_mov_b32_e32 v17, 0
	v_mov_b32_e32 v19, 0
	s_and_b32 s7, s3, s0
	s_and_saveexec_b32 s6, s7
	s_cbranch_execz .LBB783_6
; %bb.5:
	global_load_dwordx2 v[16:17], v[38:39], off offset:512
	global_load_dwordx2 v[18:19], v[36:37], off offset:512
.LBB783_6:
	s_or_b32 exec_lo, exec_lo, s6
	v_or_b32_e32 v2, 0x60, v2
	v_mov_b32_e32 v20, 0
	v_mov_b32_e32 v21, 0
	v_cmp_gt_i32_e32 vcc_lo, s10, v2
	s_and_b32 s7, s3, vcc_lo
	s_and_saveexec_b32 s6, s7
	s_cbranch_execz .LBB783_8
; %bb.7:
	global_load_dwordx2 v[4:5], v[38:39], off offset:768
	global_load_dwordx2 v[20:21], v[36:37], off offset:768
.LBB783_8:
	s_or_b32 exec_lo, exec_lo, s6
	v_cmp_lt_i32_e64 s6, 1, v46
	v_mov_b32_e32 v2, 0
	v_mov_b32_e32 v22, 0
	;; [unrolled: 1-line block ×6, first 2 shown]
	s_and_b32 s7, s6, s2
	s_and_saveexec_b32 s8, s7
	s_cbranch_execz .LBB783_10
; %bb.9:
	s_mov_b32 s11, 0
	s_lshl_b64 s[14:15], s[10:11], 3
	v_add_co_u32 v6, s7, v38, s14
	v_add_co_ci_u32_e64 v7, null, s15, v39, s7
	v_add_co_u32 v24, s7, v36, s14
	v_add_co_ci_u32_e64 v25, null, s15, v37, s7
	global_load_dwordx2 v[22:23], v[6:7], off
	global_load_dwordx2 v[24:25], v[24:25], off
.LBB783_10:
	s_or_b32 exec_lo, exec_lo, s8
	v_mov_b32_e32 v26, 0
	v_mov_b32_e32 v27, 0
	s_and_b32 s7, s6, s1
	s_and_saveexec_b32 s8, s7
	s_cbranch_execz .LBB783_12
; %bb.11:
	s_mov_b32 s11, 0
	s_lshl_b64 s[14:15], s[10:11], 3
	v_add_co_u32 v2, s7, v38, s14
	v_add_co_ci_u32_e64 v3, null, s15, v39, s7
	v_add_co_u32 v6, s7, v36, s14
	v_add_co_ci_u32_e64 v7, null, s15, v37, s7
	global_load_dwordx2 v[2:3], v[2:3], off offset:256
	global_load_dwordx2 v[26:27], v[6:7], off offset:256
.LBB783_12:
	s_or_b32 exec_lo, exec_lo, s8
	v_mov_b32_e32 v6, 0
	v_mov_b32_e32 v28, 0
	;; [unrolled: 1-line block ×6, first 2 shown]
	s_and_b32 s7, s6, s0
	s_and_saveexec_b32 s8, s7
	s_cbranch_execz .LBB783_14
; %bb.13:
	s_mov_b32 s11, 0
	s_lshl_b64 s[14:15], s[10:11], 3
	v_add_co_u32 v28, s7, v38, s14
	v_add_co_ci_u32_e64 v29, null, s15, v39, s7
	v_add_co_u32 v30, s7, v36, s14
	v_add_co_ci_u32_e64 v31, null, s15, v37, s7
	global_load_dwordx2 v[28:29], v[28:29], off offset:512
	global_load_dwordx2 v[30:31], v[30:31], off offset:512
.LBB783_14:
	s_or_b32 exec_lo, exec_lo, s8
	v_mov_b32_e32 v32, 0
	v_mov_b32_e32 v33, 0
	s_and_b32 s6, s6, vcc_lo
	s_and_saveexec_b32 s7, s6
	s_cbranch_execz .LBB783_16
; %bb.15:
	s_mov_b32 s11, 0
	s_lshl_b64 s[8:9], s[10:11], 3
	v_add_co_u32 v6, s6, v38, s8
	v_add_co_ci_u32_e64 v7, null, s9, v39, s6
	v_add_co_u32 v32, s6, v36, s8
	v_add_co_ci_u32_e64 v33, null, s9, v37, s6
	global_load_dwordx2 v[6:7], v[6:7], off offset:768
	global_load_dwordx2 v[32:33], v[32:33], off offset:768
.LBB783_16:
	s_or_b32 exec_lo, exec_lo, s7
	s_load_dwordx2 s[4:5], s[4:5], 0x28
	s_ashr_i32 s11, s10, 31
	s_waitcnt vmcnt(1)
	v_add_f64 v[38:39], v[8:9], 0
	v_add_f64 v[40:41], v[22:23], 0
	s_waitcnt lgkmcnt(0)
	v_add_co_u32 v36, s4, s4, v34
	v_add_co_ci_u32_e64 v37, null, s5, v35, s4
	v_add_co_u32 v34, s4, v36, s10
	v_add_co_ci_u32_e64 v35, null, s11, v37, s4
	s_clause 0x7
	global_load_ubyte v42, v[36:37], off
	global_load_ubyte v43, v[34:35], off
	global_load_ubyte v47, v[36:37], off offset:32
	global_load_ubyte v48, v[34:35], off offset:32
	;; [unrolled: 1-line block ×6, first 2 shown]
	s_waitcnt vmcnt(7)
	v_and_b32_e32 v42, 1, v42
	s_waitcnt vmcnt(6)
	v_and_b32_e32 v43, 1, v43
	;; [unrolled: 2-line block ×4, first 2 shown]
	v_cmp_eq_u32_e64 s4, 1, v42
	v_cmp_eq_u32_e64 s5, 1, v43
	;; [unrolled: 1-line block ×3, first 2 shown]
	s_waitcnt vmcnt(2)
	v_and_b32_e32 v48, 1, v50
	v_cndmask_b32_e64 v39, v39, 0, s4
	v_cndmask_b32_e64 v38, v38, 0, s4
	v_cndmask_b32_e64 v41, v41, 0, s5
	v_cndmask_b32_e64 v40, v40, 0, s5
	v_cmp_eq_u32_e64 s5, 1, v47
	v_and_b32_e32 v47, 1, v49
	v_add_f64 v[42:43], v[38:39], v[0:1]
	s_waitcnt vmcnt(1)
	v_and_b32_e32 v49, 1, v51
	v_add_f64 v[44:45], v[40:41], v[2:3]
	s_waitcnt vmcnt(0)
	v_and_b32_e32 v50, 1, v52
	v_cndmask_b32_e64 v39, v43, v39, s5
	v_cndmask_b32_e64 v38, v42, v38, s5
	;; [unrolled: 1-line block ×4, first 2 shown]
	v_cmp_eq_u32_e64 s5, 1, v47
	v_cmp_eq_u32_e64 s6, 1, v48
	v_add_f64 v[42:43], v[38:39], v[16:17]
	v_mbcnt_lo_u32_b32 v47, -1, 0
	v_add_f64 v[44:45], v[40:41], v[28:29]
	v_xor_b32_e32 v48, 16, v47
	v_cndmask_b32_e64 v39, v43, v39, s5
	v_cndmask_b32_e64 v38, v42, v38, s5
	;; [unrolled: 1-line block ×4, first 2 shown]
	v_cmp_gt_i32_e64 s5, 32, v48
	v_cmp_eq_u32_e64 s6, 1, v50
	v_add_f64 v[42:43], v[38:39], v[4:5]
	v_add_f64 v[44:45], v[40:41], v[6:7]
	v_cndmask_b32_e64 v48, v47, v48, s5
	v_cmp_eq_u32_e64 s5, 1, v49
	v_lshlrev_b32_e32 v48, 2, v48
	v_cndmask_b32_e64 v39, v43, v39, s5
	v_cndmask_b32_e64 v38, v42, v38, s5
	;; [unrolled: 1-line block ×4, first 2 shown]
	ds_bpermute_b32 v43, v48, v39
	ds_bpermute_b32 v42, v48, v38
	ds_bpermute_b32 v45, v48, v41
	ds_bpermute_b32 v44, v48, v40
	s_waitcnt lgkmcnt(2)
	v_add_f64 v[38:39], v[38:39], v[42:43]
	v_xor_b32_e32 v42, 8, v47
	s_waitcnt lgkmcnt(0)
	v_add_f64 v[40:41], v[40:41], v[44:45]
	v_cmp_gt_i32_e64 s5, 32, v42
	v_cndmask_b32_e64 v42, v47, v42, s5
	v_lshlrev_b32_e32 v45, 2, v42
	ds_bpermute_b32 v42, v45, v38
	ds_bpermute_b32 v43, v45, v39
	ds_bpermute_b32 v44, v45, v40
	ds_bpermute_b32 v45, v45, v41
	s_waitcnt lgkmcnt(2)
	v_add_f64 v[38:39], v[38:39], v[42:43]
	v_xor_b32_e32 v42, 4, v47
	s_waitcnt lgkmcnt(0)
	v_add_f64 v[40:41], v[40:41], v[44:45]
	v_cmp_gt_i32_e64 s5, 32, v42
	v_cndmask_b32_e64 v42, v47, v42, s5
	v_lshlrev_b32_e32 v45, 2, v42
	;; [unrolled: 12-line block ×3, first 2 shown]
	ds_bpermute_b32 v42, v45, v38
	ds_bpermute_b32 v43, v45, v39
	;; [unrolled: 1-line block ×4, first 2 shown]
	s_waitcnt lgkmcnt(2)
	v_add_f64 v[42:43], v[38:39], v[42:43]
	s_waitcnt lgkmcnt(0)
	v_add_f64 v[38:39], v[40:41], v[44:45]
	v_xor_b32_e32 v40, 1, v47
	v_cmp_gt_i32_e64 s5, 32, v40
	v_cndmask_b32_e64 v40, v47, v40, s5
	v_lshlrev_b32_e32 v41, 2, v40
	ds_bpermute_b32 v44, v41, v42
	ds_bpermute_b32 v45, v41, v43
	;; [unrolled: 1-line block ×4, first 2 shown]
	s_and_saveexec_b32 s5, s3
	s_cbranch_execz .LBB783_22
; %bb.17:
	s_waitcnt lgkmcnt(2)
	v_add_f64 v[42:43], v[42:43], v[44:45]
	v_add_co_u32 v12, s3, s12, v12
	v_add_co_ci_u32_e64 v13, null, s13, v13, s3
	s_and_saveexec_b32 s3, s2
	s_cbranch_execnz .LBB783_23
; %bb.18:
	s_or_b32 exec_lo, exec_lo, s3
	s_and_saveexec_b32 s4, s1
	s_cbranch_execnz .LBB783_24
.LBB783_19:
	s_or_b32 exec_lo, exec_lo, s4
	s_and_saveexec_b32 s4, s0
	s_cbranch_execnz .LBB783_25
.LBB783_20:
	s_or_b32 exec_lo, exec_lo, s4
	s_and_saveexec_b32 s4, vcc_lo
	s_cbranch_execnz .LBB783_26
.LBB783_21:
	s_or_b32 exec_lo, exec_lo, s4
	v_cmp_ne_u32_e64 s3, 1, v46
	s_and_b32 exec_lo, exec_lo, s3
	s_cbranch_execnz .LBB783_27
.LBB783_22:
	s_endpgm
.LBB783_23:
	v_fma_f64 v[8:9], -v[42:43], v[10:11], v[8:9]
	v_cndmask_b32_e64 v9, v9, 0, s4
	v_cndmask_b32_e64 v8, v8, 0, s4
	global_store_dwordx2 v[12:13], v[8:9], off
	s_or_b32 exec_lo, exec_lo, s3
	s_and_saveexec_b32 s4, s1
	s_cbranch_execz .LBB783_19
.LBB783_24:
	global_load_ubyte v8, v[36:37], off offset:32
	v_fma_f64 v[0:1], -v[42:43], v[14:15], v[0:1]
	s_waitcnt vmcnt(0)
	v_and_b32_e32 v8, 1, v8
	v_cmp_eq_u32_e64 s3, 1, v8
	v_cndmask_b32_e64 v1, v1, 0, s3
	v_cndmask_b32_e64 v0, v0, 0, s3
	global_store_dwordx2 v[12:13], v[0:1], off offset:256
	s_or_b32 exec_lo, exec_lo, s4
	s_and_saveexec_b32 s4, s0
	s_cbranch_execz .LBB783_20
.LBB783_25:
	global_load_ubyte v8, v[36:37], off offset:64
	v_fma_f64 v[0:1], -v[42:43], v[18:19], v[16:17]
	s_waitcnt vmcnt(0)
	v_and_b32_e32 v8, 1, v8
	v_cmp_eq_u32_e64 s3, 1, v8
	v_cndmask_b32_e64 v1, v1, 0, s3
	v_cndmask_b32_e64 v0, v0, 0, s3
	global_store_dwordx2 v[12:13], v[0:1], off offset:512
	s_or_b32 exec_lo, exec_lo, s4
	s_and_saveexec_b32 s4, vcc_lo
	s_cbranch_execz .LBB783_21
.LBB783_26:
	global_load_ubyte v8, v[36:37], off offset:96
	v_fma_f64 v[0:1], -v[42:43], v[20:21], v[4:5]
	s_waitcnt vmcnt(0)
	v_and_b32_e32 v4, 1, v8
	v_cmp_eq_u32_e64 s3, 1, v4
	v_cndmask_b32_e64 v1, v1, 0, s3
	v_cndmask_b32_e64 v0, v0, 0, s3
	global_store_dwordx2 v[12:13], v[0:1], off offset:768
	s_or_b32 exec_lo, exec_lo, s4
	v_cmp_ne_u32_e64 s3, 1, v46
	s_and_b32 exec_lo, exec_lo, s3
	s_cbranch_execz .LBB783_22
.LBB783_27:
	s_waitcnt lgkmcnt(0)
	v_add_f64 v[0:1], v[38:39], v[40:41]
	s_and_saveexec_b32 s3, s2
	s_cbranch_execnz .LBB783_31
; %bb.28:
	s_or_b32 exec_lo, exec_lo, s3
	s_and_saveexec_b32 s2, s1
	s_cbranch_execnz .LBB783_32
.LBB783_29:
	s_or_b32 exec_lo, exec_lo, s2
	s_and_saveexec_b32 s1, s0
	s_cbranch_execnz .LBB783_33
.LBB783_30:
	s_or_b32 exec_lo, exec_lo, s1
	s_and_b32 exec_lo, exec_lo, vcc_lo
	s_cbranch_execz .LBB783_22
	s_branch .LBB783_34
.LBB783_31:
	global_load_ubyte v8, v[34:35], off
	v_fma_f64 v[4:5], -v[0:1], v[24:25], v[22:23]
	s_lshl_b64 s[4:5], s[10:11], 3
	s_waitcnt vmcnt(0)
	v_and_b32_e32 v8, 1, v8
	v_cmp_eq_u32_e64 s2, 1, v8
	v_cndmask_b32_e64 v5, v5, 0, s2
	v_cndmask_b32_e64 v4, v4, 0, s2
	v_add_co_u32 v8, s2, v12, s4
	v_add_co_ci_u32_e64 v9, null, s5, v13, s2
	global_store_dwordx2 v[8:9], v[4:5], off
	s_or_b32 exec_lo, exec_lo, s3
	s_and_saveexec_b32 s2, s1
	s_cbranch_execz .LBB783_29
.LBB783_32:
	global_load_ubyte v4, v[34:35], off offset:32
	v_fma_f64 v[2:3], -v[0:1], v[26:27], v[2:3]
	s_lshl_b64 s[4:5], s[10:11], 3
	s_waitcnt vmcnt(0)
	v_and_b32_e32 v4, 1, v4
	v_cmp_eq_u32_e64 s1, 1, v4
	v_cndmask_b32_e64 v3, v3, 0, s1
	v_cndmask_b32_e64 v2, v2, 0, s1
	v_add_co_u32 v4, s1, v12, s4
	v_add_co_ci_u32_e64 v5, null, s5, v13, s1
	global_store_dwordx2 v[4:5], v[2:3], off offset:256
	s_or_b32 exec_lo, exec_lo, s2
	s_and_saveexec_b32 s1, s0
	s_cbranch_execz .LBB783_30
.LBB783_33:
	global_load_ubyte v4, v[34:35], off offset:64
	v_fma_f64 v[2:3], -v[0:1], v[30:31], v[28:29]
	s_lshl_b64 s[2:3], s[10:11], 3
	s_waitcnt vmcnt(0)
	v_and_b32_e32 v4, 1, v4
	v_cmp_eq_u32_e64 s0, 1, v4
	v_cndmask_b32_e64 v3, v3, 0, s0
	v_cndmask_b32_e64 v2, v2, 0, s0
	v_add_co_u32 v4, s0, v12, s2
	v_add_co_ci_u32_e64 v5, null, s3, v13, s0
	global_store_dwordx2 v[4:5], v[2:3], off offset:512
	s_or_b32 exec_lo, exec_lo, s1
	s_and_b32 exec_lo, exec_lo, vcc_lo
	s_cbranch_execz .LBB783_22
.LBB783_34:
	global_load_ubyte v2, v[34:35], off offset:96
	v_fma_f64 v[0:1], -v[0:1], v[32:33], v[6:7]
	s_lshl_b64 s[0:1], s[10:11], 3
	s_waitcnt vmcnt(0)
	v_and_b32_e32 v2, 1, v2
	v_cmp_eq_u32_e32 vcc_lo, 1, v2
	v_cndmask_b32_e64 v1, v1, 0, vcc_lo
	v_cndmask_b32_e64 v0, v0, 0, vcc_lo
	v_add_co_u32 v2, vcc_lo, v12, s0
	v_add_co_ci_u32_e64 v3, null, s1, v13, vcc_lo
	global_store_dwordx2 v[2:3], v[0:1], off offset:768
	s_endpgm
	.section	.rodata,"a",@progbits
	.p2align	6, 0x0
	.amdhsa_kernel _ZN12_GLOBAL__N_121softmax_warp_backwardIdddLi7ELb0ELb1ELi32EEEvPT0_PKT_S5_iiiPKb
		.amdhsa_group_segment_fixed_size 0
		.amdhsa_private_segment_fixed_size 0
		.amdhsa_kernarg_size 304
		.amdhsa_user_sgpr_count 6
		.amdhsa_user_sgpr_private_segment_buffer 1
		.amdhsa_user_sgpr_dispatch_ptr 0
		.amdhsa_user_sgpr_queue_ptr 0
		.amdhsa_user_sgpr_kernarg_segment_ptr 1
		.amdhsa_user_sgpr_dispatch_id 0
		.amdhsa_user_sgpr_flat_scratch_init 0
		.amdhsa_user_sgpr_private_segment_size 0
		.amdhsa_wavefront_size32 1
		.amdhsa_uses_dynamic_stack 0
		.amdhsa_system_sgpr_private_segment_wavefront_offset 0
		.amdhsa_system_sgpr_workgroup_id_x 1
		.amdhsa_system_sgpr_workgroup_id_y 0
		.amdhsa_system_sgpr_workgroup_id_z 0
		.amdhsa_system_sgpr_workgroup_info 0
		.amdhsa_system_vgpr_workitem_id 1
		.amdhsa_next_free_vgpr 53
		.amdhsa_next_free_sgpr 16
		.amdhsa_reserve_vcc 1
		.amdhsa_reserve_flat_scratch 0
		.amdhsa_float_round_mode_32 0
		.amdhsa_float_round_mode_16_64 0
		.amdhsa_float_denorm_mode_32 3
		.amdhsa_float_denorm_mode_16_64 3
		.amdhsa_dx10_clamp 1
		.amdhsa_ieee_mode 1
		.amdhsa_fp16_overflow 0
		.amdhsa_workgroup_processor_mode 1
		.amdhsa_memory_ordered 1
		.amdhsa_forward_progress 1
		.amdhsa_shared_vgpr_count 0
		.amdhsa_exception_fp_ieee_invalid_op 0
		.amdhsa_exception_fp_denorm_src 0
		.amdhsa_exception_fp_ieee_div_zero 0
		.amdhsa_exception_fp_ieee_overflow 0
		.amdhsa_exception_fp_ieee_underflow 0
		.amdhsa_exception_fp_ieee_inexact 0
		.amdhsa_exception_int_div_zero 0
	.end_amdhsa_kernel
	.section	.text._ZN12_GLOBAL__N_121softmax_warp_backwardIdddLi7ELb0ELb1ELi32EEEvPT0_PKT_S5_iiiPKb,"axG",@progbits,_ZN12_GLOBAL__N_121softmax_warp_backwardIdddLi7ELb0ELb1ELi32EEEvPT0_PKT_S5_iiiPKb,comdat
.Lfunc_end783:
	.size	_ZN12_GLOBAL__N_121softmax_warp_backwardIdddLi7ELb0ELb1ELi32EEEvPT0_PKT_S5_iiiPKb, .Lfunc_end783-_ZN12_GLOBAL__N_121softmax_warp_backwardIdddLi7ELb0ELb1ELi32EEEvPT0_PKT_S5_iiiPKb
                                        ; -- End function
	.set _ZN12_GLOBAL__N_121softmax_warp_backwardIdddLi7ELb0ELb1ELi32EEEvPT0_PKT_S5_iiiPKb.num_vgpr, 53
	.set _ZN12_GLOBAL__N_121softmax_warp_backwardIdddLi7ELb0ELb1ELi32EEEvPT0_PKT_S5_iiiPKb.num_agpr, 0
	.set _ZN12_GLOBAL__N_121softmax_warp_backwardIdddLi7ELb0ELb1ELi32EEEvPT0_PKT_S5_iiiPKb.numbered_sgpr, 16
	.set _ZN12_GLOBAL__N_121softmax_warp_backwardIdddLi7ELb0ELb1ELi32EEEvPT0_PKT_S5_iiiPKb.num_named_barrier, 0
	.set _ZN12_GLOBAL__N_121softmax_warp_backwardIdddLi7ELb0ELb1ELi32EEEvPT0_PKT_S5_iiiPKb.private_seg_size, 0
	.set _ZN12_GLOBAL__N_121softmax_warp_backwardIdddLi7ELb0ELb1ELi32EEEvPT0_PKT_S5_iiiPKb.uses_vcc, 1
	.set _ZN12_GLOBAL__N_121softmax_warp_backwardIdddLi7ELb0ELb1ELi32EEEvPT0_PKT_S5_iiiPKb.uses_flat_scratch, 0
	.set _ZN12_GLOBAL__N_121softmax_warp_backwardIdddLi7ELb0ELb1ELi32EEEvPT0_PKT_S5_iiiPKb.has_dyn_sized_stack, 0
	.set _ZN12_GLOBAL__N_121softmax_warp_backwardIdddLi7ELb0ELb1ELi32EEEvPT0_PKT_S5_iiiPKb.has_recursion, 0
	.set _ZN12_GLOBAL__N_121softmax_warp_backwardIdddLi7ELb0ELb1ELi32EEEvPT0_PKT_S5_iiiPKb.has_indirect_call, 0
	.section	.AMDGPU.csdata,"",@progbits
; Kernel info:
; codeLenInByte = 2312
; TotalNumSgprs: 18
; NumVgprs: 53
; ScratchSize: 0
; MemoryBound: 0
; FloatMode: 240
; IeeeMode: 1
; LDSByteSize: 0 bytes/workgroup (compile time only)
; SGPRBlocks: 0
; VGPRBlocks: 6
; NumSGPRsForWavesPerEU: 18
; NumVGPRsForWavesPerEU: 53
; Occupancy: 16
; WaveLimiterHint : 0
; COMPUTE_PGM_RSRC2:SCRATCH_EN: 0
; COMPUTE_PGM_RSRC2:USER_SGPR: 6
; COMPUTE_PGM_RSRC2:TRAP_HANDLER: 0
; COMPUTE_PGM_RSRC2:TGID_X_EN: 1
; COMPUTE_PGM_RSRC2:TGID_Y_EN: 0
; COMPUTE_PGM_RSRC2:TGID_Z_EN: 0
; COMPUTE_PGM_RSRC2:TIDIG_COMP_CNT: 1
	.section	.text._ZN12_GLOBAL__N_121softmax_warp_backwardIdddLi8ELb0ELb1ELi64EEEvPT0_PKT_S5_iiiPKb,"axG",@progbits,_ZN12_GLOBAL__N_121softmax_warp_backwardIdddLi8ELb0ELb1ELi64EEEvPT0_PKT_S5_iiiPKb,comdat
	.globl	_ZN12_GLOBAL__N_121softmax_warp_backwardIdddLi8ELb0ELb1ELi64EEEvPT0_PKT_S5_iiiPKb ; -- Begin function _ZN12_GLOBAL__N_121softmax_warp_backwardIdddLi8ELb0ELb1ELi64EEEvPT0_PKT_S5_iiiPKb
	.p2align	8
	.type	_ZN12_GLOBAL__N_121softmax_warp_backwardIdddLi8ELb0ELb1ELi64EEEvPT0_PKT_S5_iiiPKb,@function
_ZN12_GLOBAL__N_121softmax_warp_backwardIdddLi8ELb0ELb1ELi64EEEvPT0_PKT_S5_iiiPKb: ; @_ZN12_GLOBAL__N_121softmax_warp_backwardIdddLi8ELb0ELb1ELi64EEEvPT0_PKT_S5_iiiPKb
; %bb.0:
	s_clause 0x1
	s_load_dword s7, s[4:5], 0x3c
	s_load_dwordx4 s[0:3], s[4:5], 0x18
	v_and_b32_e32 v16, 63, v0
	s_load_dwordx4 s[8:11], s[4:5], 0x0
	v_mov_b32_e32 v4, 0
	v_mov_b32_e32 v6, 0
	;; [unrolled: 1-line block ×4, first 2 shown]
	s_waitcnt lgkmcnt(0)
	s_lshr_b32 s3, s7, 16
	v_cmp_gt_i32_e32 vcc_lo, s2, v16
	v_mad_u64_u32 v[1:2], null, s6, s3, v[1:2]
	s_load_dwordx2 s[6:7], s[4:5], 0x10
	v_mad_u64_u32 v[18:19], null, v1, s1, v[16:17]
	v_sub_nc_u32_e32 v24, s0, v1
	v_cmp_lt_i32_e64 s3, 0, v24
	v_ashrrev_i32_e32 v19, 31, v18
	s_and_b32 s1, s3, vcc_lo
	v_lshlrev_b64 v[2:3], 3, v[18:19]
	v_add_co_u32 v22, s0, s10, v2
	v_add_co_ci_u32_e64 v23, null, s11, v3, s0
	s_waitcnt lgkmcnt(0)
	v_add_co_u32 v20, s0, s6, v2
	v_add_co_ci_u32_e64 v21, null, s7, v3, s0
	s_and_saveexec_b32 s0, s1
	s_cbranch_execz .LBB784_2
; %bb.1:
	global_load_dwordx2 v[6:7], v[22:23], off
	global_load_dwordx2 v[4:5], v[20:21], off
.LBB784_2:
	s_or_b32 exec_lo, exec_lo, s0
	v_or_b32_e32 v0, 64, v16
	v_cmp_gt_i32_e64 s0, s2, v0
	s_and_b32 s1, s3, s0
	s_xor_b32 s1, s1, -1
	s_and_saveexec_b32 s6, s1
	s_xor_b32 s1, exec_lo, s6
                                        ; implicit-def: $vgpr0_vgpr1
                                        ; implicit-def: $vgpr8_vgpr9
                                        ; implicit-def: $vgpr10_vgpr11
; %bb.3:
	s_mov_b32 s6, 0
                                        ; implicit-def: $vgpr0_vgpr1
                                        ; implicit-def: $vgpr8_vgpr9
	v_mov_b32_e32 v10, s6
	v_mov_b32_e32 v11, s6
; %bb.4:
	s_or_saveexec_b32 s1, s1
	v_mov_b32_e32 v12, 0
	v_mov_b32_e32 v13, 0
	s_xor_b32 exec_lo, exec_lo, s1
	s_cbranch_execz .LBB784_6
; %bb.5:
	global_load_dwordx2 v[10:11], v[22:23], off offset:512
	global_load_dwordx2 v[12:13], v[20:21], off offset:512
.LBB784_6:
	s_or_b32 exec_lo, exec_lo, s1
	v_or_b32_e32 v14, 0x80, v16
	v_cmp_gt_i32_e64 s1, s2, v14
	s_and_b32 s6, s3, s1
	s_xor_b32 s6, s6, -1
	s_and_saveexec_b32 s7, s6
	s_xor_b32 s6, exec_lo, s7
; %bb.7:
	s_mov_b32 s7, 0
	v_mov_b32_e32 v8, s7
	v_mov_b32_e32 v9, s7
; %bb.8:
	s_or_saveexec_b32 s6, s6
	v_mov_b32_e32 v14, 0
	v_mov_b32_e32 v15, 0
	s_xor_b32 exec_lo, exec_lo, s6
	s_cbranch_execz .LBB784_10
; %bb.9:
	global_load_dwordx2 v[8:9], v[22:23], off offset:1024
	global_load_dwordx2 v[14:15], v[20:21], off offset:1024
.LBB784_10:
	s_or_b32 exec_lo, exec_lo, s6
	v_or_b32_e32 v16, 0xc0, v16
	v_cmp_gt_i32_e64 s2, s2, v16
	s_and_b32 s3, s3, s2
	s_xor_b32 s3, s3, -1
	s_and_saveexec_b32 s6, s3
	s_xor_b32 s3, exec_lo, s6
; %bb.11:
	s_mov_b32 s6, 0
                                        ; implicit-def: $vgpr22_vgpr23
                                        ; implicit-def: $vgpr20_vgpr21
	v_mov_b32_e32 v0, s6
	v_mov_b32_e32 v1, s6
; %bb.12:
	s_or_saveexec_b32 s3, s3
	v_mov_b32_e32 v16, 0
	v_mov_b32_e32 v17, 0
	s_xor_b32 exec_lo, exec_lo, s3
	s_cbranch_execz .LBB784_14
; %bb.13:
	global_load_dwordx2 v[0:1], v[22:23], off offset:1536
	global_load_dwordx2 v[16:17], v[20:21], off offset:1536
.LBB784_14:
	s_or_b32 exec_lo, exec_lo, s3
	s_load_dwordx2 s[4:5], s[4:5], 0x28
	s_waitcnt vmcnt(1)
	v_add_f64 v[20:21], v[6:7], 0
	s_waitcnt lgkmcnt(0)
	v_add_co_u32 v18, s3, s4, v18
	v_add_co_ci_u32_e64 v19, null, s5, v19, s3
	s_mov_b32 s5, exec_lo
	s_clause 0x3
	global_load_ubyte v22, v[18:19], off
	global_load_ubyte v25, v[18:19], off offset:64
	global_load_ubyte v26, v[18:19], off offset:128
	;; [unrolled: 1-line block ×3, first 2 shown]
	s_waitcnt vmcnt(3)
	v_and_b32_e32 v22, 1, v22
	s_waitcnt vmcnt(2)
	v_and_b32_e32 v25, 1, v25
	;; [unrolled: 2-line block ×3, first 2 shown]
	v_cmp_eq_u32_e64 s3, 1, v22
	v_cmp_eq_u32_e64 s4, 1, v25
	v_and_b32_e32 v25, 1, v26
	v_cndmask_b32_e64 v21, v21, 0, s3
	v_cndmask_b32_e64 v20, v20, 0, s3
	v_add_f64 v[22:23], v[20:21], v[10:11]
	v_cndmask_b32_e64 v21, v23, v21, s4
	v_cndmask_b32_e64 v20, v22, v20, s4
	v_cmp_eq_u32_e64 s4, 1, v25
	v_mbcnt_lo_u32_b32 v25, -1, 0
	v_add_f64 v[22:23], v[20:21], v[8:9]
	v_or_b32_e32 v26, 32, v25
	v_cndmask_b32_e64 v21, v23, v21, s4
	v_cndmask_b32_e64 v20, v22, v20, s4
	v_cmp_gt_i32_e64 s4, 64, v26
	v_add_f64 v[22:23], v[20:21], v[0:1]
	v_cndmask_b32_e64 v26, v25, v26, s4
	v_cmp_eq_u32_e64 s4, 1, v27
	v_lshlrev_b32_e32 v26, 2, v26
	v_cndmask_b32_e64 v21, v23, v21, s4
	v_cndmask_b32_e64 v20, v22, v20, s4
	ds_bpermute_b32 v23, v26, v21
	ds_bpermute_b32 v22, v26, v20
	s_waitcnt lgkmcnt(0)
	v_add_f64 v[20:21], v[20:21], v[22:23]
	v_xor_b32_e32 v22, 16, v25
	v_cmp_gt_i32_e64 s4, 64, v22
	v_cndmask_b32_e64 v22, v25, v22, s4
	v_lshlrev_b32_e32 v23, 2, v22
	ds_bpermute_b32 v22, v23, v20
	ds_bpermute_b32 v23, v23, v21
	s_waitcnt lgkmcnt(0)
	v_add_f64 v[20:21], v[20:21], v[22:23]
	v_xor_b32_e32 v22, 8, v25
	v_cmp_gt_i32_e64 s4, 64, v22
	v_cndmask_b32_e64 v22, v25, v22, s4
	v_lshlrev_b32_e32 v23, 2, v22
	ds_bpermute_b32 v22, v23, v20
	ds_bpermute_b32 v23, v23, v21
	s_waitcnt lgkmcnt(0)
	v_add_f64 v[20:21], v[20:21], v[22:23]
	v_xor_b32_e32 v22, 4, v25
	v_cmp_gt_i32_e64 s4, 64, v22
	v_cndmask_b32_e64 v22, v25, v22, s4
	v_lshlrev_b32_e32 v23, 2, v22
	ds_bpermute_b32 v22, v23, v20
	ds_bpermute_b32 v23, v23, v21
	s_waitcnt lgkmcnt(0)
	v_add_f64 v[20:21], v[20:21], v[22:23]
	v_xor_b32_e32 v22, 2, v25
	v_cmp_gt_i32_e64 s4, 64, v22
	v_cndmask_b32_e64 v22, v25, v22, s4
	v_lshlrev_b32_e32 v23, 2, v22
	ds_bpermute_b32 v22, v23, v20
	ds_bpermute_b32 v23, v23, v21
	s_waitcnt lgkmcnt(0)
	v_add_f64 v[20:21], v[20:21], v[22:23]
	v_xor_b32_e32 v22, 1, v25
	v_cmp_gt_i32_e64 s4, 64, v22
	v_cndmask_b32_e64 v22, v25, v22, s4
	v_lshlrev_b32_e32 v23, 2, v22
	ds_bpermute_b32 v22, v23, v20
	ds_bpermute_b32 v23, v23, v21
	v_cmpx_lt_i32_e32 0, v24
	s_cbranch_execz .LBB784_20
; %bb.15:
	s_waitcnt lgkmcnt(0)
	v_add_f64 v[20:21], v[20:21], v[22:23]
	v_add_co_u32 v2, s4, s8, v2
	v_add_co_ci_u32_e64 v3, null, s9, v3, s4
	s_and_saveexec_b32 s4, vcc_lo
	s_cbranch_execnz .LBB784_21
; %bb.16:
	s_or_b32 exec_lo, exec_lo, s4
	s_and_saveexec_b32 s3, s0
	s_cbranch_execnz .LBB784_22
.LBB784_17:
	s_or_b32 exec_lo, exec_lo, s3
	s_and_saveexec_b32 s0, s1
	s_cbranch_execnz .LBB784_23
.LBB784_18:
	s_or_b32 exec_lo, exec_lo, s0
	s_and_b32 exec_lo, exec_lo, s2
	s_cbranch_execz .LBB784_20
.LBB784_19:
	global_load_ubyte v4, v[18:19], off offset:192
	v_fma_f64 v[0:1], -v[20:21], v[16:17], v[0:1]
	s_waitcnt vmcnt(0)
	v_and_b32_e32 v4, 1, v4
	v_cmp_eq_u32_e32 vcc_lo, 1, v4
	v_cndmask_b32_e64 v1, v1, 0, vcc_lo
	v_cndmask_b32_e64 v0, v0, 0, vcc_lo
	global_store_dwordx2 v[2:3], v[0:1], off offset:1536
.LBB784_20:
	s_endpgm
.LBB784_21:
	v_fma_f64 v[4:5], -v[20:21], v[4:5], v[6:7]
	v_cndmask_b32_e64 v5, v5, 0, s3
	v_cndmask_b32_e64 v4, v4, 0, s3
	global_store_dwordx2 v[2:3], v[4:5], off
	s_or_b32 exec_lo, exec_lo, s4
	s_and_saveexec_b32 s3, s0
	s_cbranch_execz .LBB784_17
.LBB784_22:
	global_load_ubyte v6, v[18:19], off offset:64
	v_fma_f64 v[4:5], -v[20:21], v[12:13], v[10:11]
	s_waitcnt vmcnt(0)
	v_and_b32_e32 v6, 1, v6
	v_cmp_eq_u32_e32 vcc_lo, 1, v6
	v_cndmask_b32_e64 v5, v5, 0, vcc_lo
	v_cndmask_b32_e64 v4, v4, 0, vcc_lo
	global_store_dwordx2 v[2:3], v[4:5], off offset:512
	s_or_b32 exec_lo, exec_lo, s3
	s_and_saveexec_b32 s0, s1
	s_cbranch_execz .LBB784_18
.LBB784_23:
	global_load_ubyte v6, v[18:19], off offset:128
	v_fma_f64 v[4:5], -v[20:21], v[14:15], v[8:9]
	s_waitcnt vmcnt(0)
	v_and_b32_e32 v6, 1, v6
	v_cmp_eq_u32_e32 vcc_lo, 1, v6
	v_cndmask_b32_e64 v5, v5, 0, vcc_lo
	v_cndmask_b32_e64 v4, v4, 0, vcc_lo
	global_store_dwordx2 v[2:3], v[4:5], off offset:1024
	s_or_b32 exec_lo, exec_lo, s0
	s_and_b32 exec_lo, exec_lo, s2
	s_cbranch_execnz .LBB784_19
	s_branch .LBB784_20
	.section	.rodata,"a",@progbits
	.p2align	6, 0x0
	.amdhsa_kernel _ZN12_GLOBAL__N_121softmax_warp_backwardIdddLi8ELb0ELb1ELi64EEEvPT0_PKT_S5_iiiPKb
		.amdhsa_group_segment_fixed_size 0
		.amdhsa_private_segment_fixed_size 0
		.amdhsa_kernarg_size 304
		.amdhsa_user_sgpr_count 6
		.amdhsa_user_sgpr_private_segment_buffer 1
		.amdhsa_user_sgpr_dispatch_ptr 0
		.amdhsa_user_sgpr_queue_ptr 0
		.amdhsa_user_sgpr_kernarg_segment_ptr 1
		.amdhsa_user_sgpr_dispatch_id 0
		.amdhsa_user_sgpr_flat_scratch_init 0
		.amdhsa_user_sgpr_private_segment_size 0
		.amdhsa_wavefront_size32 1
		.amdhsa_uses_dynamic_stack 0
		.amdhsa_system_sgpr_private_segment_wavefront_offset 0
		.amdhsa_system_sgpr_workgroup_id_x 1
		.amdhsa_system_sgpr_workgroup_id_y 0
		.amdhsa_system_sgpr_workgroup_id_z 0
		.amdhsa_system_sgpr_workgroup_info 0
		.amdhsa_system_vgpr_workitem_id 1
		.amdhsa_next_free_vgpr 28
		.amdhsa_next_free_sgpr 12
		.amdhsa_reserve_vcc 1
		.amdhsa_reserve_flat_scratch 0
		.amdhsa_float_round_mode_32 0
		.amdhsa_float_round_mode_16_64 0
		.amdhsa_float_denorm_mode_32 3
		.amdhsa_float_denorm_mode_16_64 3
		.amdhsa_dx10_clamp 1
		.amdhsa_ieee_mode 1
		.amdhsa_fp16_overflow 0
		.amdhsa_workgroup_processor_mode 1
		.amdhsa_memory_ordered 1
		.amdhsa_forward_progress 1
		.amdhsa_shared_vgpr_count 0
		.amdhsa_exception_fp_ieee_invalid_op 0
		.amdhsa_exception_fp_denorm_src 0
		.amdhsa_exception_fp_ieee_div_zero 0
		.amdhsa_exception_fp_ieee_overflow 0
		.amdhsa_exception_fp_ieee_underflow 0
		.amdhsa_exception_fp_ieee_inexact 0
		.amdhsa_exception_int_div_zero 0
	.end_amdhsa_kernel
	.section	.text._ZN12_GLOBAL__N_121softmax_warp_backwardIdddLi8ELb0ELb1ELi64EEEvPT0_PKT_S5_iiiPKb,"axG",@progbits,_ZN12_GLOBAL__N_121softmax_warp_backwardIdddLi8ELb0ELb1ELi64EEEvPT0_PKT_S5_iiiPKb,comdat
.Lfunc_end784:
	.size	_ZN12_GLOBAL__N_121softmax_warp_backwardIdddLi8ELb0ELb1ELi64EEEvPT0_PKT_S5_iiiPKb, .Lfunc_end784-_ZN12_GLOBAL__N_121softmax_warp_backwardIdddLi8ELb0ELb1ELi64EEEvPT0_PKT_S5_iiiPKb
                                        ; -- End function
	.set _ZN12_GLOBAL__N_121softmax_warp_backwardIdddLi8ELb0ELb1ELi64EEEvPT0_PKT_S5_iiiPKb.num_vgpr, 28
	.set _ZN12_GLOBAL__N_121softmax_warp_backwardIdddLi8ELb0ELb1ELi64EEEvPT0_PKT_S5_iiiPKb.num_agpr, 0
	.set _ZN12_GLOBAL__N_121softmax_warp_backwardIdddLi8ELb0ELb1ELi64EEEvPT0_PKT_S5_iiiPKb.numbered_sgpr, 12
	.set _ZN12_GLOBAL__N_121softmax_warp_backwardIdddLi8ELb0ELb1ELi64EEEvPT0_PKT_S5_iiiPKb.num_named_barrier, 0
	.set _ZN12_GLOBAL__N_121softmax_warp_backwardIdddLi8ELb0ELb1ELi64EEEvPT0_PKT_S5_iiiPKb.private_seg_size, 0
	.set _ZN12_GLOBAL__N_121softmax_warp_backwardIdddLi8ELb0ELb1ELi64EEEvPT0_PKT_S5_iiiPKb.uses_vcc, 1
	.set _ZN12_GLOBAL__N_121softmax_warp_backwardIdddLi8ELb0ELb1ELi64EEEvPT0_PKT_S5_iiiPKb.uses_flat_scratch, 0
	.set _ZN12_GLOBAL__N_121softmax_warp_backwardIdddLi8ELb0ELb1ELi64EEEvPT0_PKT_S5_iiiPKb.has_dyn_sized_stack, 0
	.set _ZN12_GLOBAL__N_121softmax_warp_backwardIdddLi8ELb0ELb1ELi64EEEvPT0_PKT_S5_iiiPKb.has_recursion, 0
	.set _ZN12_GLOBAL__N_121softmax_warp_backwardIdddLi8ELb0ELb1ELi64EEEvPT0_PKT_S5_iiiPKb.has_indirect_call, 0
	.section	.AMDGPU.csdata,"",@progbits
; Kernel info:
; codeLenInByte = 1272
; TotalNumSgprs: 14
; NumVgprs: 28
; ScratchSize: 0
; MemoryBound: 1
; FloatMode: 240
; IeeeMode: 1
; LDSByteSize: 0 bytes/workgroup (compile time only)
; SGPRBlocks: 0
; VGPRBlocks: 3
; NumSGPRsForWavesPerEU: 14
; NumVGPRsForWavesPerEU: 28
; Occupancy: 16
; WaveLimiterHint : 0
; COMPUTE_PGM_RSRC2:SCRATCH_EN: 0
; COMPUTE_PGM_RSRC2:USER_SGPR: 6
; COMPUTE_PGM_RSRC2:TRAP_HANDLER: 0
; COMPUTE_PGM_RSRC2:TGID_X_EN: 1
; COMPUTE_PGM_RSRC2:TGID_Y_EN: 0
; COMPUTE_PGM_RSRC2:TGID_Z_EN: 0
; COMPUTE_PGM_RSRC2:TIDIG_COMP_CNT: 1
	.section	.text._ZN12_GLOBAL__N_121softmax_warp_backwardIdddLi8ELb0ELb1ELi32EEEvPT0_PKT_S5_iiiPKb,"axG",@progbits,_ZN12_GLOBAL__N_121softmax_warp_backwardIdddLi8ELb0ELb1ELi32EEEvPT0_PKT_S5_iiiPKb,comdat
	.globl	_ZN12_GLOBAL__N_121softmax_warp_backwardIdddLi8ELb0ELb1ELi32EEEvPT0_PKT_S5_iiiPKb ; -- Begin function _ZN12_GLOBAL__N_121softmax_warp_backwardIdddLi8ELb0ELb1ELi32EEEvPT0_PKT_S5_iiiPKb
	.p2align	8
	.type	_ZN12_GLOBAL__N_121softmax_warp_backwardIdddLi8ELb0ELb1ELi32EEEvPT0_PKT_S5_iiiPKb,@function
_ZN12_GLOBAL__N_121softmax_warp_backwardIdddLi8ELb0ELb1ELi32EEEvPT0_PKT_S5_iiiPKb: ; @_ZN12_GLOBAL__N_121softmax_warp_backwardIdddLi8ELb0ELb1ELi32EEEvPT0_PKT_S5_iiiPKb
; %bb.0:
	s_clause 0x1
	s_load_dword s0, s[4:5], 0x3c
	s_load_dwordx4 s[8:11], s[4:5], 0x18
	v_and_b32_e32 v38, 31, v0
	s_clause 0x1
	s_load_dwordx4 s[12:15], s[4:5], 0x0
	s_load_dwordx2 s[2:3], s[4:5], 0x10
	v_mov_b32_e32 v12, 0
	v_mov_b32_e32 v14, 0
	;; [unrolled: 1-line block ×4, first 2 shown]
	s_waitcnt lgkmcnt(0)
	s_lshr_b32 s0, s0, 16
	v_cmp_gt_i32_e32 vcc_lo, s10, v38
	v_mad_u64_u32 v[1:2], null, s6, s0, v[1:2]
	v_mad_u64_u32 v[30:31], null, v1, s9, v[38:39]
	v_sub_nc_u32_e32 v40, s8, v1
	v_cmp_lt_i32_e64 s9, 0, v40
	v_ashrrev_i32_e32 v31, 31, v30
	s_and_b32 s1, s9, vcc_lo
	v_lshlrev_b64 v[8:9], 3, v[30:31]
	v_add_co_u32 v36, s0, s14, v8
	v_add_co_ci_u32_e64 v37, null, s15, v9, s0
	v_add_co_u32 v34, s0, s2, v8
	v_add_co_ci_u32_e64 v35, null, s3, v9, s0
	s_and_saveexec_b32 s0, s1
	s_cbranch_execz .LBB785_2
; %bb.1:
	global_load_dwordx2 v[14:15], v[36:37], off
	global_load_dwordx2 v[12:13], v[34:35], off
.LBB785_2:
	s_or_b32 exec_lo, exec_lo, s0
	v_or_b32_e32 v0, 32, v38
	v_cmp_gt_i32_e64 s0, s10, v0
	s_and_b32 s1, s9, s0
	s_xor_b32 s1, s1, -1
	s_and_saveexec_b32 s2, s1
	s_xor_b32 s1, exec_lo, s2
                                        ; implicit-def: $vgpr0_vgpr1
                                        ; implicit-def: $vgpr2_vgpr3
                                        ; implicit-def: $vgpr4_vgpr5
                                        ; implicit-def: $vgpr6_vgpr7
                                        ; implicit-def: $vgpr10_vgpr11
                                        ; implicit-def: $vgpr16_vgpr17
                                        ; implicit-def: $vgpr18_vgpr19
; %bb.3:
	s_mov_b32 s2, 0
                                        ; implicit-def: $vgpr0_vgpr1
                                        ; implicit-def: $vgpr2_vgpr3
                                        ; implicit-def: $vgpr4_vgpr5
                                        ; implicit-def: $vgpr6_vgpr7
                                        ; implicit-def: $vgpr10_vgpr11
                                        ; implicit-def: $vgpr16_vgpr17
	v_mov_b32_e32 v18, s2
	v_mov_b32_e32 v19, s2
; %bb.4:
	s_or_saveexec_b32 s1, s1
	v_mov_b32_e32 v20, 0
	v_mov_b32_e32 v21, 0
	s_xor_b32 exec_lo, exec_lo, s1
	s_cbranch_execz .LBB785_6
; %bb.5:
	global_load_dwordx2 v[18:19], v[36:37], off offset:256
	global_load_dwordx2 v[20:21], v[34:35], off offset:256
.LBB785_6:
	s_or_b32 exec_lo, exec_lo, s1
	v_or_b32_e32 v22, 64, v38
	v_cmp_gt_i32_e64 s1, s10, v22
	s_and_b32 s2, s9, s1
	s_xor_b32 s2, s2, -1
	s_and_saveexec_b32 s3, s2
	s_xor_b32 s2, exec_lo, s3
; %bb.7:
	s_mov_b32 s3, 0
	v_mov_b32_e32 v16, s3
	v_mov_b32_e32 v17, s3
; %bb.8:
	s_or_saveexec_b32 s2, s2
	v_mov_b32_e32 v22, 0
	v_mov_b32_e32 v23, 0
	s_xor_b32 exec_lo, exec_lo, s2
	s_cbranch_execz .LBB785_10
; %bb.9:
	global_load_dwordx2 v[16:17], v[36:37], off offset:512
	global_load_dwordx2 v[22:23], v[34:35], off offset:512
.LBB785_10:
	s_or_b32 exec_lo, exec_lo, s2
	v_or_b32_e32 v24, 0x60, v38
	v_cmp_gt_i32_e64 s2, s10, v24
	s_and_b32 s3, s9, s2
	s_xor_b32 s3, s3, -1
	s_and_saveexec_b32 s6, s3
	s_xor_b32 s3, exec_lo, s6
; %bb.11:
	s_mov_b32 s6, 0
	;; [unrolled: 21-line block ×6, first 2 shown]
                                        ; implicit-def: $vgpr36_vgpr37
                                        ; implicit-def: $vgpr34_vgpr35
	v_mov_b32_e32 v0, s10
	v_mov_b32_e32 v1, s10
; %bb.28:
	s_or_saveexec_b32 s9, s9
	v_mov_b32_e32 v38, 0
	v_mov_b32_e32 v39, 0
	s_xor_b32 exec_lo, exec_lo, s9
	s_cbranch_execz .LBB785_30
; %bb.29:
	global_load_dwordx2 v[0:1], v[36:37], off offset:1792
	global_load_dwordx2 v[38:39], v[34:35], off offset:1792
.LBB785_30:
	s_or_b32 exec_lo, exec_lo, s9
	s_load_dwordx2 s[4:5], s[4:5], 0x28
	s_waitcnt vmcnt(1)
	v_add_f64 v[34:35], v[14:15], 0
	s_mov_b32 s11, exec_lo
	s_waitcnt lgkmcnt(0)
	v_add_co_u32 v30, s4, s4, v30
	v_add_co_ci_u32_e64 v31, null, s5, v31, s4
	s_clause 0x7
	global_load_ubyte v36, v[30:31], off
	global_load_ubyte v41, v[30:31], off offset:32
	global_load_ubyte v42, v[30:31], off offset:64
	global_load_ubyte v43, v[30:31], off offset:96
	global_load_ubyte v44, v[30:31], off offset:128
	global_load_ubyte v45, v[30:31], off offset:160
	global_load_ubyte v46, v[30:31], off offset:192
	global_load_ubyte v47, v[30:31], off offset:224
	s_waitcnt vmcnt(7)
	v_and_b32_e32 v36, 1, v36
	s_waitcnt vmcnt(6)
	v_and_b32_e32 v41, 1, v41
	v_cmp_eq_u32_e64 s9, 1, v36
	v_cmp_eq_u32_e64 s4, 1, v41
	s_waitcnt vmcnt(5)
	v_and_b32_e32 v41, 1, v42
	v_cndmask_b32_e64 v35, v35, 0, s9
	v_cndmask_b32_e64 v34, v34, 0, s9
	v_add_f64 v[36:37], v[34:35], v[18:19]
	v_cndmask_b32_e64 v35, v37, v35, s4
	v_cndmask_b32_e64 v34, v36, v34, s4
	v_cmp_eq_u32_e64 s4, 1, v41
	s_waitcnt vmcnt(4)
	v_and_b32_e32 v41, 1, v43
	s_waitcnt vmcnt(0)
	v_and_b32_e32 v43, 1, v47
	v_add_f64 v[36:37], v[34:35], v[16:17]
	v_cndmask_b32_e64 v35, v37, v35, s4
	v_cndmask_b32_e64 v34, v36, v34, s4
	v_cmp_eq_u32_e64 s4, 1, v41
	v_and_b32_e32 v41, 1, v44
	v_add_f64 v[36:37], v[34:35], v[10:11]
	v_cndmask_b32_e64 v35, v37, v35, s4
	v_cndmask_b32_e64 v34, v36, v34, s4
	v_cmp_eq_u32_e64 s4, 1, v41
	;; [unrolled: 5-line block ×4, first 2 shown]
	v_mbcnt_lo_u32_b32 v41, -1, 0
	v_add_f64 v[36:37], v[34:35], v[2:3]
	v_xor_b32_e32 v42, 16, v41
	v_cmp_gt_i32_e64 s5, 32, v42
	v_cndmask_b32_e64 v42, v41, v42, s5
	v_cmp_eq_u32_e64 s5, 1, v43
	v_lshlrev_b32_e32 v42, 2, v42
	v_cndmask_b32_e64 v35, v37, v35, s4
	v_cndmask_b32_e64 v34, v36, v34, s4
	v_add_f64 v[36:37], v[34:35], v[0:1]
	v_cndmask_b32_e64 v35, v37, v35, s5
	v_cndmask_b32_e64 v34, v36, v34, s5
	ds_bpermute_b32 v37, v42, v35
	ds_bpermute_b32 v36, v42, v34
	s_waitcnt lgkmcnt(0)
	v_add_f64 v[34:35], v[34:35], v[36:37]
	v_xor_b32_e32 v36, 8, v41
	v_cmp_gt_i32_e64 s10, 32, v36
	v_cndmask_b32_e64 v36, v41, v36, s10
	v_lshlrev_b32_e32 v37, 2, v36
	ds_bpermute_b32 v36, v37, v34
	ds_bpermute_b32 v37, v37, v35
	s_waitcnt lgkmcnt(0)
	v_add_f64 v[34:35], v[34:35], v[36:37]
	v_xor_b32_e32 v36, 4, v41
	v_cmp_gt_i32_e64 s10, 32, v36
	v_cndmask_b32_e64 v36, v41, v36, s10
	v_lshlrev_b32_e32 v37, 2, v36
	;; [unrolled: 8-line block ×4, first 2 shown]
	ds_bpermute_b32 v36, v37, v34
	ds_bpermute_b32 v37, v37, v35
	v_cmpx_lt_i32_e32 0, v40
	s_cbranch_execz .LBB785_40
; %bb.31:
	s_waitcnt lgkmcnt(0)
	v_add_f64 v[34:35], v[34:35], v[36:37]
	v_add_co_u32 v8, s10, s12, v8
	v_add_co_ci_u32_e64 v9, null, s13, v9, s10
	s_and_saveexec_b32 s10, vcc_lo
	s_cbranch_execnz .LBB785_41
; %bb.32:
	s_or_b32 exec_lo, exec_lo, s10
	s_and_saveexec_b32 s9, s0
	s_cbranch_execnz .LBB785_42
.LBB785_33:
	s_or_b32 exec_lo, exec_lo, s9
	s_and_saveexec_b32 s0, s1
	s_cbranch_execnz .LBB785_43
.LBB785_34:
	s_or_b32 exec_lo, exec_lo, s0
	s_and_saveexec_b32 s0, s2
	s_cbranch_execnz .LBB785_44
.LBB785_35:
	s_or_b32 exec_lo, exec_lo, s0
	s_and_saveexec_b32 s0, s3
	s_cbranch_execnz .LBB785_45
.LBB785_36:
	s_or_b32 exec_lo, exec_lo, s0
	s_and_saveexec_b32 s0, s6
	s_cbranch_execnz .LBB785_46
.LBB785_37:
	s_or_b32 exec_lo, exec_lo, s0
	s_and_saveexec_b32 s0, s7
	s_cbranch_execnz .LBB785_47
.LBB785_38:
	s_or_b32 exec_lo, exec_lo, s0
	s_and_b32 exec_lo, exec_lo, s8
	s_cbranch_execz .LBB785_40
.LBB785_39:
	v_fma_f64 v[0:1], -v[34:35], v[38:39], v[0:1]
	v_cndmask_b32_e64 v1, v1, 0, s5
	v_cndmask_b32_e64 v0, v0, 0, s5
	global_store_dwordx2 v[8:9], v[0:1], off offset:1792
.LBB785_40:
	s_endpgm
.LBB785_41:
	v_fma_f64 v[12:13], -v[34:35], v[12:13], v[14:15]
	v_cndmask_b32_e64 v13, v13, 0, s9
	v_cndmask_b32_e64 v12, v12, 0, s9
	global_store_dwordx2 v[8:9], v[12:13], off
	s_or_b32 exec_lo, exec_lo, s10
	s_and_saveexec_b32 s9, s0
	s_cbranch_execz .LBB785_33
.LBB785_42:
	global_load_ubyte v14, v[30:31], off offset:32
	v_fma_f64 v[12:13], -v[34:35], v[20:21], v[18:19]
	s_waitcnt vmcnt(0)
	v_and_b32_e32 v14, 1, v14
	v_cmp_eq_u32_e32 vcc_lo, 1, v14
	v_cndmask_b32_e64 v13, v13, 0, vcc_lo
	v_cndmask_b32_e64 v12, v12, 0, vcc_lo
	global_store_dwordx2 v[8:9], v[12:13], off offset:256
	s_or_b32 exec_lo, exec_lo, s9
	s_and_saveexec_b32 s0, s1
	s_cbranch_execz .LBB785_34
.LBB785_43:
	global_load_ubyte v14, v[30:31], off offset:64
	v_fma_f64 v[12:13], -v[34:35], v[22:23], v[16:17]
	s_waitcnt vmcnt(0)
	v_and_b32_e32 v14, 1, v14
	v_cmp_eq_u32_e32 vcc_lo, 1, v14
	v_cndmask_b32_e64 v13, v13, 0, vcc_lo
	v_cndmask_b32_e64 v12, v12, 0, vcc_lo
	global_store_dwordx2 v[8:9], v[12:13], off offset:512
	s_or_b32 exec_lo, exec_lo, s0
	s_and_saveexec_b32 s0, s2
	s_cbranch_execz .LBB785_35
.LBB785_44:
	global_load_ubyte v12, v[30:31], off offset:96
	v_fma_f64 v[10:11], -v[34:35], v[24:25], v[10:11]
	s_waitcnt vmcnt(0)
	v_and_b32_e32 v12, 1, v12
	v_cmp_eq_u32_e32 vcc_lo, 1, v12
	v_cndmask_b32_e64 v11, v11, 0, vcc_lo
	v_cndmask_b32_e64 v10, v10, 0, vcc_lo
	global_store_dwordx2 v[8:9], v[10:11], off offset:768
	s_or_b32 exec_lo, exec_lo, s0
	s_and_saveexec_b32 s0, s3
	s_cbranch_execz .LBB785_36
.LBB785_45:
	global_load_ubyte v10, v[30:31], off offset:128
	v_fma_f64 v[6:7], -v[34:35], v[26:27], v[6:7]
	s_waitcnt vmcnt(0)
	v_and_b32_e32 v10, 1, v10
	v_cmp_eq_u32_e32 vcc_lo, 1, v10
	v_cndmask_b32_e64 v7, v7, 0, vcc_lo
	v_cndmask_b32_e64 v6, v6, 0, vcc_lo
	global_store_dwordx2 v[8:9], v[6:7], off offset:1024
	s_or_b32 exec_lo, exec_lo, s0
	s_and_saveexec_b32 s0, s6
	s_cbranch_execz .LBB785_37
.LBB785_46:
	global_load_ubyte v6, v[30:31], off offset:160
	v_fma_f64 v[4:5], -v[34:35], v[28:29], v[4:5]
	s_waitcnt vmcnt(0)
	v_and_b32_e32 v6, 1, v6
	v_cmp_eq_u32_e32 vcc_lo, 1, v6
	v_cndmask_b32_e64 v5, v5, 0, vcc_lo
	v_cndmask_b32_e64 v4, v4, 0, vcc_lo
	global_store_dwordx2 v[8:9], v[4:5], off offset:1280
	s_or_b32 exec_lo, exec_lo, s0
	s_and_saveexec_b32 s0, s7
	s_cbranch_execz .LBB785_38
.LBB785_47:
	v_fma_f64 v[2:3], -v[34:35], v[32:33], v[2:3]
	v_cndmask_b32_e64 v3, v3, 0, s4
	v_cndmask_b32_e64 v2, v2, 0, s4
	global_store_dwordx2 v[8:9], v[2:3], off offset:1536
	s_or_b32 exec_lo, exec_lo, s0
	s_and_b32 exec_lo, exec_lo, s8
	s_cbranch_execnz .LBB785_39
	s_branch .LBB785_40
	.section	.rodata,"a",@progbits
	.p2align	6, 0x0
	.amdhsa_kernel _ZN12_GLOBAL__N_121softmax_warp_backwardIdddLi8ELb0ELb1ELi32EEEvPT0_PKT_S5_iiiPKb
		.amdhsa_group_segment_fixed_size 0
		.amdhsa_private_segment_fixed_size 0
		.amdhsa_kernarg_size 304
		.amdhsa_user_sgpr_count 6
		.amdhsa_user_sgpr_private_segment_buffer 1
		.amdhsa_user_sgpr_dispatch_ptr 0
		.amdhsa_user_sgpr_queue_ptr 0
		.amdhsa_user_sgpr_kernarg_segment_ptr 1
		.amdhsa_user_sgpr_dispatch_id 0
		.amdhsa_user_sgpr_flat_scratch_init 0
		.amdhsa_user_sgpr_private_segment_size 0
		.amdhsa_wavefront_size32 1
		.amdhsa_uses_dynamic_stack 0
		.amdhsa_system_sgpr_private_segment_wavefront_offset 0
		.amdhsa_system_sgpr_workgroup_id_x 1
		.amdhsa_system_sgpr_workgroup_id_y 0
		.amdhsa_system_sgpr_workgroup_id_z 0
		.amdhsa_system_sgpr_workgroup_info 0
		.amdhsa_system_vgpr_workitem_id 1
		.amdhsa_next_free_vgpr 48
		.amdhsa_next_free_sgpr 16
		.amdhsa_reserve_vcc 1
		.amdhsa_reserve_flat_scratch 0
		.amdhsa_float_round_mode_32 0
		.amdhsa_float_round_mode_16_64 0
		.amdhsa_float_denorm_mode_32 3
		.amdhsa_float_denorm_mode_16_64 3
		.amdhsa_dx10_clamp 1
		.amdhsa_ieee_mode 1
		.amdhsa_fp16_overflow 0
		.amdhsa_workgroup_processor_mode 1
		.amdhsa_memory_ordered 1
		.amdhsa_forward_progress 1
		.amdhsa_shared_vgpr_count 0
		.amdhsa_exception_fp_ieee_invalid_op 0
		.amdhsa_exception_fp_denorm_src 0
		.amdhsa_exception_fp_ieee_div_zero 0
		.amdhsa_exception_fp_ieee_overflow 0
		.amdhsa_exception_fp_ieee_underflow 0
		.amdhsa_exception_fp_ieee_inexact 0
		.amdhsa_exception_int_div_zero 0
	.end_amdhsa_kernel
	.section	.text._ZN12_GLOBAL__N_121softmax_warp_backwardIdddLi8ELb0ELb1ELi32EEEvPT0_PKT_S5_iiiPKb,"axG",@progbits,_ZN12_GLOBAL__N_121softmax_warp_backwardIdddLi8ELb0ELb1ELi32EEEvPT0_PKT_S5_iiiPKb,comdat
.Lfunc_end785:
	.size	_ZN12_GLOBAL__N_121softmax_warp_backwardIdddLi8ELb0ELb1ELi32EEEvPT0_PKT_S5_iiiPKb, .Lfunc_end785-_ZN12_GLOBAL__N_121softmax_warp_backwardIdddLi8ELb0ELb1ELi32EEEvPT0_PKT_S5_iiiPKb
                                        ; -- End function
	.set _ZN12_GLOBAL__N_121softmax_warp_backwardIdddLi8ELb0ELb1ELi32EEEvPT0_PKT_S5_iiiPKb.num_vgpr, 48
	.set _ZN12_GLOBAL__N_121softmax_warp_backwardIdddLi8ELb0ELb1ELi32EEEvPT0_PKT_S5_iiiPKb.num_agpr, 0
	.set _ZN12_GLOBAL__N_121softmax_warp_backwardIdddLi8ELb0ELb1ELi32EEEvPT0_PKT_S5_iiiPKb.numbered_sgpr, 16
	.set _ZN12_GLOBAL__N_121softmax_warp_backwardIdddLi8ELb0ELb1ELi32EEEvPT0_PKT_S5_iiiPKb.num_named_barrier, 0
	.set _ZN12_GLOBAL__N_121softmax_warp_backwardIdddLi8ELb0ELb1ELi32EEEvPT0_PKT_S5_iiiPKb.private_seg_size, 0
	.set _ZN12_GLOBAL__N_121softmax_warp_backwardIdddLi8ELb0ELb1ELi32EEEvPT0_PKT_S5_iiiPKb.uses_vcc, 1
	.set _ZN12_GLOBAL__N_121softmax_warp_backwardIdddLi8ELb0ELb1ELi32EEEvPT0_PKT_S5_iiiPKb.uses_flat_scratch, 0
	.set _ZN12_GLOBAL__N_121softmax_warp_backwardIdddLi8ELb0ELb1ELi32EEEvPT0_PKT_S5_iiiPKb.has_dyn_sized_stack, 0
	.set _ZN12_GLOBAL__N_121softmax_warp_backwardIdddLi8ELb0ELb1ELi32EEEvPT0_PKT_S5_iiiPKb.has_recursion, 0
	.set _ZN12_GLOBAL__N_121softmax_warp_backwardIdddLi8ELb0ELb1ELi32EEEvPT0_PKT_S5_iiiPKb.has_indirect_call, 0
	.section	.AMDGPU.csdata,"",@progbits
; Kernel info:
; codeLenInByte = 2000
; TotalNumSgprs: 18
; NumVgprs: 48
; ScratchSize: 0
; MemoryBound: 1
; FloatMode: 240
; IeeeMode: 1
; LDSByteSize: 0 bytes/workgroup (compile time only)
; SGPRBlocks: 0
; VGPRBlocks: 5
; NumSGPRsForWavesPerEU: 18
; NumVGPRsForWavesPerEU: 48
; Occupancy: 16
; WaveLimiterHint : 0
; COMPUTE_PGM_RSRC2:SCRATCH_EN: 0
; COMPUTE_PGM_RSRC2:USER_SGPR: 6
; COMPUTE_PGM_RSRC2:TRAP_HANDLER: 0
; COMPUTE_PGM_RSRC2:TGID_X_EN: 1
; COMPUTE_PGM_RSRC2:TGID_Y_EN: 0
; COMPUTE_PGM_RSRC2:TGID_Z_EN: 0
; COMPUTE_PGM_RSRC2:TIDIG_COMP_CNT: 1
	.section	.text._ZN12_GLOBAL__N_121softmax_warp_backwardIdddLi9ELb0ELb1ELi64EEEvPT0_PKT_S5_iiiPKb,"axG",@progbits,_ZN12_GLOBAL__N_121softmax_warp_backwardIdddLi9ELb0ELb1ELi64EEEvPT0_PKT_S5_iiiPKb,comdat
	.globl	_ZN12_GLOBAL__N_121softmax_warp_backwardIdddLi9ELb0ELb1ELi64EEEvPT0_PKT_S5_iiiPKb ; -- Begin function _ZN12_GLOBAL__N_121softmax_warp_backwardIdddLi9ELb0ELb1ELi64EEEvPT0_PKT_S5_iiiPKb
	.p2align	8
	.type	_ZN12_GLOBAL__N_121softmax_warp_backwardIdddLi9ELb0ELb1ELi64EEEvPT0_PKT_S5_iiiPKb,@function
_ZN12_GLOBAL__N_121softmax_warp_backwardIdddLi9ELb0ELb1ELi64EEEvPT0_PKT_S5_iiiPKb: ; @_ZN12_GLOBAL__N_121softmax_warp_backwardIdddLi9ELb0ELb1ELi64EEEvPT0_PKT_S5_iiiPKb
; %bb.0:
	s_clause 0x1
	s_load_dword s0, s[4:5], 0x3c
	s_load_dwordx4 s[8:11], s[4:5], 0x18
	v_and_b32_e32 v38, 63, v0
	s_clause 0x1
	s_load_dwordx4 s[12:15], s[4:5], 0x0
	s_load_dwordx2 s[2:3], s[4:5], 0x10
	v_mov_b32_e32 v12, 0
	v_mov_b32_e32 v14, 0
	;; [unrolled: 1-line block ×4, first 2 shown]
	s_waitcnt lgkmcnt(0)
	s_lshr_b32 s0, s0, 16
	v_cmp_gt_i32_e32 vcc_lo, s10, v38
	v_mad_u64_u32 v[1:2], null, s6, s0, v[1:2]
	v_mad_u64_u32 v[30:31], null, v1, s9, v[38:39]
	v_sub_nc_u32_e32 v40, s8, v1
	v_cmp_lt_i32_e64 s9, 0, v40
	v_ashrrev_i32_e32 v31, 31, v30
	s_and_b32 s1, s9, vcc_lo
	v_lshlrev_b64 v[8:9], 3, v[30:31]
	v_add_co_u32 v36, s0, s14, v8
	v_add_co_ci_u32_e64 v37, null, s15, v9, s0
	v_add_co_u32 v34, s0, s2, v8
	v_add_co_ci_u32_e64 v35, null, s3, v9, s0
	s_and_saveexec_b32 s0, s1
	s_cbranch_execz .LBB786_2
; %bb.1:
	global_load_dwordx2 v[14:15], v[36:37], off
	global_load_dwordx2 v[12:13], v[34:35], off
.LBB786_2:
	s_or_b32 exec_lo, exec_lo, s0
	v_or_b32_e32 v0, 64, v38
	v_cmp_gt_i32_e64 s0, s10, v0
	s_and_b32 s1, s9, s0
	s_xor_b32 s1, s1, -1
	s_and_saveexec_b32 s2, s1
	s_xor_b32 s1, exec_lo, s2
                                        ; implicit-def: $vgpr0_vgpr1
                                        ; implicit-def: $vgpr2_vgpr3
                                        ; implicit-def: $vgpr4_vgpr5
                                        ; implicit-def: $vgpr6_vgpr7
                                        ; implicit-def: $vgpr10_vgpr11
                                        ; implicit-def: $vgpr16_vgpr17
                                        ; implicit-def: $vgpr18_vgpr19
; %bb.3:
	s_mov_b32 s2, 0
                                        ; implicit-def: $vgpr0_vgpr1
                                        ; implicit-def: $vgpr2_vgpr3
                                        ; implicit-def: $vgpr4_vgpr5
                                        ; implicit-def: $vgpr6_vgpr7
                                        ; implicit-def: $vgpr10_vgpr11
                                        ; implicit-def: $vgpr16_vgpr17
	v_mov_b32_e32 v18, s2
	v_mov_b32_e32 v19, s2
; %bb.4:
	s_or_saveexec_b32 s1, s1
	v_mov_b32_e32 v20, 0
	v_mov_b32_e32 v21, 0
	s_xor_b32 exec_lo, exec_lo, s1
	s_cbranch_execz .LBB786_6
; %bb.5:
	global_load_dwordx2 v[18:19], v[36:37], off offset:512
	global_load_dwordx2 v[20:21], v[34:35], off offset:512
.LBB786_6:
	s_or_b32 exec_lo, exec_lo, s1
	v_or_b32_e32 v22, 0x80, v38
	v_cmp_gt_i32_e64 s1, s10, v22
	s_and_b32 s2, s9, s1
	s_xor_b32 s2, s2, -1
	s_and_saveexec_b32 s3, s2
	s_xor_b32 s2, exec_lo, s3
; %bb.7:
	s_mov_b32 s3, 0
	v_mov_b32_e32 v16, s3
	v_mov_b32_e32 v17, s3
; %bb.8:
	s_or_saveexec_b32 s2, s2
	v_mov_b32_e32 v22, 0
	v_mov_b32_e32 v23, 0
	s_xor_b32 exec_lo, exec_lo, s2
	s_cbranch_execz .LBB786_10
; %bb.9:
	global_load_dwordx2 v[16:17], v[36:37], off offset:1024
	global_load_dwordx2 v[22:23], v[34:35], off offset:1024
.LBB786_10:
	s_or_b32 exec_lo, exec_lo, s2
	v_or_b32_e32 v24, 0xc0, v38
	v_cmp_gt_i32_e64 s2, s10, v24
	s_and_b32 s3, s9, s2
	s_xor_b32 s3, s3, -1
	s_and_saveexec_b32 s6, s3
	s_xor_b32 s3, exec_lo, s6
; %bb.11:
	s_mov_b32 s6, 0
	;; [unrolled: 21-line block ×3, first 2 shown]
	v_mov_b32_e32 v6, s7
	v_mov_b32_e32 v7, s7
; %bb.16:
	s_or_saveexec_b32 s7, s6
	v_mov_b32_e32 v26, 0
	v_mov_b32_e32 v27, 0
	s_xor_b32 exec_lo, exec_lo, s7
	s_cbranch_execz .LBB786_18
; %bb.17:
	v_add_co_u32 v6, s6, 0x800, v36
	v_add_co_ci_u32_e64 v7, null, 0, v37, s6
	v_add_co_u32 v26, s6, 0x800, v34
	v_add_co_ci_u32_e64 v27, null, 0, v35, s6
	global_load_dwordx2 v[6:7], v[6:7], off
	global_load_dwordx2 v[26:27], v[26:27], off
.LBB786_18:
	s_or_b32 exec_lo, exec_lo, s7
	v_or_b32_e32 v28, 0x140, v38
	v_cmp_gt_i32_e64 s6, s10, v28
	s_and_b32 s7, s9, s6
	s_xor_b32 s7, s7, -1
	s_and_saveexec_b32 s8, s7
	s_xor_b32 s7, exec_lo, s8
; %bb.19:
	s_mov_b32 s8, 0
	v_mov_b32_e32 v4, s8
	v_mov_b32_e32 v5, s8
; %bb.20:
	s_or_saveexec_b32 s8, s7
	v_mov_b32_e32 v28, 0
	v_mov_b32_e32 v29, 0
	s_xor_b32 exec_lo, exec_lo, s8
	s_cbranch_execz .LBB786_22
; %bb.21:
	v_add_co_u32 v4, s7, 0x800, v36
	v_add_co_ci_u32_e64 v5, null, 0, v37, s7
	v_add_co_u32 v28, s7, 0x800, v34
	v_add_co_ci_u32_e64 v29, null, 0, v35, s7
	global_load_dwordx2 v[4:5], v[4:5], off offset:512
	global_load_dwordx2 v[28:29], v[28:29], off offset:512
.LBB786_22:
	s_or_b32 exec_lo, exec_lo, s8
	v_or_b32_e32 v32, 0x180, v38
	v_cmp_gt_i32_e64 s7, s10, v32
	s_and_b32 s8, s9, s7
	s_xor_b32 s8, s8, -1
	s_and_saveexec_b32 s11, s8
	s_xor_b32 s8, exec_lo, s11
; %bb.23:
	s_mov_b32 s11, 0
	v_mov_b32_e32 v2, s11
	v_mov_b32_e32 v3, s11
; %bb.24:
	s_or_saveexec_b32 s11, s8
	v_mov_b32_e32 v32, 0
	v_mov_b32_e32 v33, 0
	s_xor_b32 exec_lo, exec_lo, s11
	s_cbranch_execz .LBB786_26
; %bb.25:
	v_add_co_u32 v2, s8, 0x800, v36
	v_add_co_ci_u32_e64 v3, null, 0, v37, s8
	v_add_co_u32 v32, s8, 0x800, v34
	v_add_co_ci_u32_e64 v33, null, 0, v35, s8
	global_load_dwordx2 v[2:3], v[2:3], off offset:1024
	global_load_dwordx2 v[32:33], v[32:33], off offset:1024
.LBB786_26:
	s_or_b32 exec_lo, exec_lo, s11
	v_or_b32_e32 v38, 0x1c0, v38
	v_cmp_gt_i32_e64 s8, s10, v38
	s_and_b32 s9, s9, s8
	s_xor_b32 s9, s9, -1
	s_and_saveexec_b32 s10, s9
	s_xor_b32 s9, exec_lo, s10
; %bb.27:
	s_mov_b32 s10, 0
                                        ; implicit-def: $vgpr36
                                        ; implicit-def: $vgpr34
	v_mov_b32_e32 v0, s10
	v_mov_b32_e32 v1, s10
; %bb.28:
	s_or_saveexec_b32 s10, s9
	v_mov_b32_e32 v38, 0
	v_mov_b32_e32 v39, 0
	s_xor_b32 exec_lo, exec_lo, s10
	s_cbranch_execz .LBB786_30
; %bb.29:
	v_add_co_u32 v0, s9, 0x800, v36
	v_add_co_ci_u32_e64 v1, null, 0, v37, s9
	v_add_co_u32 v34, s9, 0x800, v34
	v_add_co_ci_u32_e64 v35, null, 0, v35, s9
	global_load_dwordx2 v[0:1], v[0:1], off offset:1536
	global_load_dwordx2 v[38:39], v[34:35], off offset:1536
.LBB786_30:
	s_or_b32 exec_lo, exec_lo, s10
	s_load_dwordx2 s[4:5], s[4:5], 0x28
	s_waitcnt vmcnt(1)
	v_add_f64 v[34:35], v[14:15], 0
	s_mov_b32 s9, exec_lo
	s_waitcnt lgkmcnt(0)
	v_add_co_u32 v30, s4, s4, v30
	v_add_co_ci_u32_e64 v31, null, s5, v31, s4
	s_clause 0x7
	global_load_ubyte v36, v[30:31], off
	global_load_ubyte v41, v[30:31], off offset:64
	global_load_ubyte v42, v[30:31], off offset:128
	;; [unrolled: 1-line block ×7, first 2 shown]
	s_waitcnt vmcnt(7)
	v_and_b32_e32 v36, 1, v36
	s_waitcnt vmcnt(6)
	v_and_b32_e32 v41, 1, v41
	v_cmp_eq_u32_e64 s4, 1, v36
	v_cmp_eq_u32_e64 s5, 1, v41
	s_waitcnt vmcnt(5)
	v_and_b32_e32 v41, 1, v42
	v_cndmask_b32_e64 v35, v35, 0, s4
	v_cndmask_b32_e64 v34, v34, 0, s4
	v_add_f64 v[36:37], v[34:35], v[18:19]
	v_cndmask_b32_e64 v35, v37, v35, s5
	v_cndmask_b32_e64 v34, v36, v34, s5
	v_cmp_eq_u32_e64 s5, 1, v41
	s_waitcnt vmcnt(4)
	v_and_b32_e32 v41, 1, v43
	s_waitcnt vmcnt(0)
	v_and_b32_e32 v43, 1, v47
	v_add_f64 v[36:37], v[34:35], v[16:17]
	v_cndmask_b32_e64 v35, v37, v35, s5
	v_cndmask_b32_e64 v34, v36, v34, s5
	v_cmp_eq_u32_e64 s5, 1, v41
	v_and_b32_e32 v41, 1, v44
	v_add_f64 v[36:37], v[34:35], v[10:11]
	v_cndmask_b32_e64 v35, v37, v35, s5
	v_cndmask_b32_e64 v34, v36, v34, s5
	v_cmp_eq_u32_e64 s5, 1, v41
	v_and_b32_e32 v41, 1, v45
	v_add_f64 v[36:37], v[34:35], v[6:7]
	v_cndmask_b32_e64 v35, v37, v35, s5
	v_cndmask_b32_e64 v34, v36, v34, s5
	v_cmp_eq_u32_e64 s5, 1, v41
	v_and_b32_e32 v41, 1, v46
	v_add_f64 v[36:37], v[34:35], v[4:5]
	v_cndmask_b32_e64 v35, v37, v35, s5
	v_cndmask_b32_e64 v34, v36, v34, s5
	v_cmp_eq_u32_e64 s5, 1, v41
	v_mbcnt_lo_u32_b32 v41, -1, 0
	v_add_f64 v[36:37], v[34:35], v[2:3]
	v_or_b32_e32 v42, 32, v41
	v_cndmask_b32_e64 v35, v37, v35, s5
	v_cndmask_b32_e64 v34, v36, v34, s5
	v_cmp_gt_i32_e64 s5, 64, v42
	v_add_f64 v[36:37], v[34:35], v[0:1]
	v_cndmask_b32_e64 v42, v41, v42, s5
	v_cmp_eq_u32_e64 s5, 1, v43
	v_lshlrev_b32_e32 v42, 2, v42
	v_cndmask_b32_e64 v35, v37, v35, s5
	v_cndmask_b32_e64 v34, v36, v34, s5
	ds_bpermute_b32 v37, v42, v35
	ds_bpermute_b32 v36, v42, v34
	s_waitcnt lgkmcnt(0)
	v_add_f64 v[34:35], v[34:35], v[36:37]
	v_xor_b32_e32 v36, 16, v41
	v_cmp_gt_i32_e64 s5, 64, v36
	v_cndmask_b32_e64 v36, v41, v36, s5
	v_lshlrev_b32_e32 v37, 2, v36
	ds_bpermute_b32 v36, v37, v34
	ds_bpermute_b32 v37, v37, v35
	s_waitcnt lgkmcnt(0)
	v_add_f64 v[34:35], v[34:35], v[36:37]
	v_xor_b32_e32 v36, 8, v41
	v_cmp_gt_i32_e64 s5, 64, v36
	v_cndmask_b32_e64 v36, v41, v36, s5
	v_lshlrev_b32_e32 v37, 2, v36
	;; [unrolled: 8-line block ×5, first 2 shown]
	ds_bpermute_b32 v36, v37, v34
	ds_bpermute_b32 v37, v37, v35
	v_cmpx_lt_i32_e32 0, v40
	s_cbranch_execz .LBB786_40
; %bb.31:
	s_waitcnt lgkmcnt(0)
	v_add_f64 v[34:35], v[34:35], v[36:37]
	v_add_co_u32 v8, s5, s12, v8
	v_add_co_ci_u32_e64 v9, null, s13, v9, s5
	s_and_saveexec_b32 s5, vcc_lo
	s_cbranch_execnz .LBB786_41
; %bb.32:
	s_or_b32 exec_lo, exec_lo, s5
	s_and_saveexec_b32 s4, s0
	s_cbranch_execnz .LBB786_42
.LBB786_33:
	s_or_b32 exec_lo, exec_lo, s4
	s_and_saveexec_b32 s0, s1
	s_cbranch_execnz .LBB786_43
.LBB786_34:
	s_or_b32 exec_lo, exec_lo, s0
	s_and_saveexec_b32 s0, s2
	s_cbranch_execnz .LBB786_44
.LBB786_35:
	s_or_b32 exec_lo, exec_lo, s0
	s_and_saveexec_b32 s0, s3
	s_cbranch_execnz .LBB786_45
.LBB786_36:
	s_or_b32 exec_lo, exec_lo, s0
	s_and_saveexec_b32 s0, s6
	s_cbranch_execnz .LBB786_46
.LBB786_37:
	s_or_b32 exec_lo, exec_lo, s0
	s_and_saveexec_b32 s0, s7
	s_cbranch_execnz .LBB786_47
.LBB786_38:
	s_or_b32 exec_lo, exec_lo, s0
	s_and_b32 exec_lo, exec_lo, s8
	s_cbranch_execz .LBB786_40
.LBB786_39:
	global_load_ubyte v2, v[30:31], off offset:448
	v_fma_f64 v[0:1], -v[34:35], v[38:39], v[0:1]
	s_waitcnt vmcnt(0)
	v_and_b32_e32 v2, 1, v2
	v_cmp_eq_u32_e32 vcc_lo, 1, v2
	v_cndmask_b32_e64 v1, v1, 0, vcc_lo
	v_cndmask_b32_e64 v0, v0, 0, vcc_lo
	v_add_co_u32 v2, vcc_lo, 0x800, v8
	v_add_co_ci_u32_e64 v3, null, 0, v9, vcc_lo
	global_store_dwordx2 v[2:3], v[0:1], off offset:1536
.LBB786_40:
	s_endpgm
.LBB786_41:
	v_fma_f64 v[12:13], -v[34:35], v[12:13], v[14:15]
	v_cndmask_b32_e64 v13, v13, 0, s4
	v_cndmask_b32_e64 v12, v12, 0, s4
	global_store_dwordx2 v[8:9], v[12:13], off
	s_or_b32 exec_lo, exec_lo, s5
	s_and_saveexec_b32 s4, s0
	s_cbranch_execz .LBB786_33
.LBB786_42:
	global_load_ubyte v14, v[30:31], off offset:64
	v_fma_f64 v[12:13], -v[34:35], v[20:21], v[18:19]
	s_waitcnt vmcnt(0)
	v_and_b32_e32 v14, 1, v14
	v_cmp_eq_u32_e32 vcc_lo, 1, v14
	v_cndmask_b32_e64 v13, v13, 0, vcc_lo
	v_cndmask_b32_e64 v12, v12, 0, vcc_lo
	global_store_dwordx2 v[8:9], v[12:13], off offset:512
	s_or_b32 exec_lo, exec_lo, s4
	s_and_saveexec_b32 s0, s1
	s_cbranch_execz .LBB786_34
.LBB786_43:
	global_load_ubyte v14, v[30:31], off offset:128
	v_fma_f64 v[12:13], -v[34:35], v[22:23], v[16:17]
	s_waitcnt vmcnt(0)
	v_and_b32_e32 v14, 1, v14
	v_cmp_eq_u32_e32 vcc_lo, 1, v14
	v_cndmask_b32_e64 v13, v13, 0, vcc_lo
	v_cndmask_b32_e64 v12, v12, 0, vcc_lo
	global_store_dwordx2 v[8:9], v[12:13], off offset:1024
	s_or_b32 exec_lo, exec_lo, s0
	s_and_saveexec_b32 s0, s2
	s_cbranch_execz .LBB786_35
.LBB786_44:
	global_load_ubyte v12, v[30:31], off offset:192
	v_fma_f64 v[10:11], -v[34:35], v[24:25], v[10:11]
	s_waitcnt vmcnt(0)
	v_and_b32_e32 v12, 1, v12
	v_cmp_eq_u32_e32 vcc_lo, 1, v12
	v_cndmask_b32_e64 v11, v11, 0, vcc_lo
	v_cndmask_b32_e64 v10, v10, 0, vcc_lo
	global_store_dwordx2 v[8:9], v[10:11], off offset:1536
	s_or_b32 exec_lo, exec_lo, s0
	s_and_saveexec_b32 s0, s3
	s_cbranch_execz .LBB786_36
.LBB786_45:
	global_load_ubyte v10, v[30:31], off offset:256
	v_fma_f64 v[6:7], -v[34:35], v[26:27], v[6:7]
	s_waitcnt vmcnt(0)
	v_and_b32_e32 v10, 1, v10
	v_cmp_eq_u32_e32 vcc_lo, 1, v10
	v_cndmask_b32_e64 v7, v7, 0, vcc_lo
	v_cndmask_b32_e64 v6, v6, 0, vcc_lo
	v_add_co_u32 v10, vcc_lo, 0x800, v8
	v_add_co_ci_u32_e64 v11, null, 0, v9, vcc_lo
	global_store_dwordx2 v[10:11], v[6:7], off
	s_or_b32 exec_lo, exec_lo, s0
	s_and_saveexec_b32 s0, s6
	s_cbranch_execz .LBB786_37
.LBB786_46:
	global_load_ubyte v6, v[30:31], off offset:320
	v_fma_f64 v[4:5], -v[34:35], v[28:29], v[4:5]
	s_waitcnt vmcnt(0)
	v_and_b32_e32 v6, 1, v6
	v_cmp_eq_u32_e32 vcc_lo, 1, v6
	v_cndmask_b32_e64 v5, v5, 0, vcc_lo
	v_cndmask_b32_e64 v4, v4, 0, vcc_lo
	v_add_co_u32 v6, vcc_lo, 0x800, v8
	v_add_co_ci_u32_e64 v7, null, 0, v9, vcc_lo
	global_store_dwordx2 v[6:7], v[4:5], off offset:512
	s_or_b32 exec_lo, exec_lo, s0
	s_and_saveexec_b32 s0, s7
	s_cbranch_execz .LBB786_38
.LBB786_47:
	global_load_ubyte v4, v[30:31], off offset:384
	v_fma_f64 v[2:3], -v[34:35], v[32:33], v[2:3]
	s_waitcnt vmcnt(0)
	v_and_b32_e32 v4, 1, v4
	v_cmp_eq_u32_e32 vcc_lo, 1, v4
	v_cndmask_b32_e64 v3, v3, 0, vcc_lo
	v_cndmask_b32_e64 v2, v2, 0, vcc_lo
	v_add_co_u32 v4, vcc_lo, 0x800, v8
	v_add_co_ci_u32_e64 v5, null, 0, v9, vcc_lo
	global_store_dwordx2 v[4:5], v[2:3], off offset:1024
	s_or_b32 exec_lo, exec_lo, s0
	s_and_b32 exec_lo, exec_lo, s8
	s_cbranch_execnz .LBB786_39
	s_branch .LBB786_40
	.section	.rodata,"a",@progbits
	.p2align	6, 0x0
	.amdhsa_kernel _ZN12_GLOBAL__N_121softmax_warp_backwardIdddLi9ELb0ELb1ELi64EEEvPT0_PKT_S5_iiiPKb
		.amdhsa_group_segment_fixed_size 0
		.amdhsa_private_segment_fixed_size 0
		.amdhsa_kernarg_size 304
		.amdhsa_user_sgpr_count 6
		.amdhsa_user_sgpr_private_segment_buffer 1
		.amdhsa_user_sgpr_dispatch_ptr 0
		.amdhsa_user_sgpr_queue_ptr 0
		.amdhsa_user_sgpr_kernarg_segment_ptr 1
		.amdhsa_user_sgpr_dispatch_id 0
		.amdhsa_user_sgpr_flat_scratch_init 0
		.amdhsa_user_sgpr_private_segment_size 0
		.amdhsa_wavefront_size32 1
		.amdhsa_uses_dynamic_stack 0
		.amdhsa_system_sgpr_private_segment_wavefront_offset 0
		.amdhsa_system_sgpr_workgroup_id_x 1
		.amdhsa_system_sgpr_workgroup_id_y 0
		.amdhsa_system_sgpr_workgroup_id_z 0
		.amdhsa_system_sgpr_workgroup_info 0
		.amdhsa_system_vgpr_workitem_id 1
		.amdhsa_next_free_vgpr 48
		.amdhsa_next_free_sgpr 16
		.amdhsa_reserve_vcc 1
		.amdhsa_reserve_flat_scratch 0
		.amdhsa_float_round_mode_32 0
		.amdhsa_float_round_mode_16_64 0
		.amdhsa_float_denorm_mode_32 3
		.amdhsa_float_denorm_mode_16_64 3
		.amdhsa_dx10_clamp 1
		.amdhsa_ieee_mode 1
		.amdhsa_fp16_overflow 0
		.amdhsa_workgroup_processor_mode 1
		.amdhsa_memory_ordered 1
		.amdhsa_forward_progress 1
		.amdhsa_shared_vgpr_count 0
		.amdhsa_exception_fp_ieee_invalid_op 0
		.amdhsa_exception_fp_denorm_src 0
		.amdhsa_exception_fp_ieee_div_zero 0
		.amdhsa_exception_fp_ieee_overflow 0
		.amdhsa_exception_fp_ieee_underflow 0
		.amdhsa_exception_fp_ieee_inexact 0
		.amdhsa_exception_int_div_zero 0
	.end_amdhsa_kernel
	.section	.text._ZN12_GLOBAL__N_121softmax_warp_backwardIdddLi9ELb0ELb1ELi64EEEvPT0_PKT_S5_iiiPKb,"axG",@progbits,_ZN12_GLOBAL__N_121softmax_warp_backwardIdddLi9ELb0ELb1ELi64EEEvPT0_PKT_S5_iiiPKb,comdat
.Lfunc_end786:
	.size	_ZN12_GLOBAL__N_121softmax_warp_backwardIdddLi9ELb0ELb1ELi64EEEvPT0_PKT_S5_iiiPKb, .Lfunc_end786-_ZN12_GLOBAL__N_121softmax_warp_backwardIdddLi9ELb0ELb1ELi64EEEvPT0_PKT_S5_iiiPKb
                                        ; -- End function
	.set _ZN12_GLOBAL__N_121softmax_warp_backwardIdddLi9ELb0ELb1ELi64EEEvPT0_PKT_S5_iiiPKb.num_vgpr, 48
	.set _ZN12_GLOBAL__N_121softmax_warp_backwardIdddLi9ELb0ELb1ELi64EEEvPT0_PKT_S5_iiiPKb.num_agpr, 0
	.set _ZN12_GLOBAL__N_121softmax_warp_backwardIdddLi9ELb0ELb1ELi64EEEvPT0_PKT_S5_iiiPKb.numbered_sgpr, 16
	.set _ZN12_GLOBAL__N_121softmax_warp_backwardIdddLi9ELb0ELb1ELi64EEEvPT0_PKT_S5_iiiPKb.num_named_barrier, 0
	.set _ZN12_GLOBAL__N_121softmax_warp_backwardIdddLi9ELb0ELb1ELi64EEEvPT0_PKT_S5_iiiPKb.private_seg_size, 0
	.set _ZN12_GLOBAL__N_121softmax_warp_backwardIdddLi9ELb0ELb1ELi64EEEvPT0_PKT_S5_iiiPKb.uses_vcc, 1
	.set _ZN12_GLOBAL__N_121softmax_warp_backwardIdddLi9ELb0ELb1ELi64EEEvPT0_PKT_S5_iiiPKb.uses_flat_scratch, 0
	.set _ZN12_GLOBAL__N_121softmax_warp_backwardIdddLi9ELb0ELb1ELi64EEEvPT0_PKT_S5_iiiPKb.has_dyn_sized_stack, 0
	.set _ZN12_GLOBAL__N_121softmax_warp_backwardIdddLi9ELb0ELb1ELi64EEEvPT0_PKT_S5_iiiPKb.has_recursion, 0
	.set _ZN12_GLOBAL__N_121softmax_warp_backwardIdddLi9ELb0ELb1ELi64EEEvPT0_PKT_S5_iiiPKb.has_indirect_call, 0
	.section	.AMDGPU.csdata,"",@progbits
; Kernel info:
; codeLenInByte = 2336
; TotalNumSgprs: 18
; NumVgprs: 48
; ScratchSize: 0
; MemoryBound: 1
; FloatMode: 240
; IeeeMode: 1
; LDSByteSize: 0 bytes/workgroup (compile time only)
; SGPRBlocks: 0
; VGPRBlocks: 5
; NumSGPRsForWavesPerEU: 18
; NumVGPRsForWavesPerEU: 48
; Occupancy: 16
; WaveLimiterHint : 0
; COMPUTE_PGM_RSRC2:SCRATCH_EN: 0
; COMPUTE_PGM_RSRC2:USER_SGPR: 6
; COMPUTE_PGM_RSRC2:TRAP_HANDLER: 0
; COMPUTE_PGM_RSRC2:TGID_X_EN: 1
; COMPUTE_PGM_RSRC2:TGID_Y_EN: 0
; COMPUTE_PGM_RSRC2:TGID_Z_EN: 0
; COMPUTE_PGM_RSRC2:TIDIG_COMP_CNT: 1
	.section	.text._ZN12_GLOBAL__N_121softmax_warp_backwardIdddLi9ELb0ELb1ELi32EEEvPT0_PKT_S5_iiiPKb,"axG",@progbits,_ZN12_GLOBAL__N_121softmax_warp_backwardIdddLi9ELb0ELb1ELi32EEEvPT0_PKT_S5_iiiPKb,comdat
	.globl	_ZN12_GLOBAL__N_121softmax_warp_backwardIdddLi9ELb0ELb1ELi32EEEvPT0_PKT_S5_iiiPKb ; -- Begin function _ZN12_GLOBAL__N_121softmax_warp_backwardIdddLi9ELb0ELb1ELi32EEEvPT0_PKT_S5_iiiPKb
	.p2align	8
	.type	_ZN12_GLOBAL__N_121softmax_warp_backwardIdddLi9ELb0ELb1ELi32EEEvPT0_PKT_S5_iiiPKb,@function
_ZN12_GLOBAL__N_121softmax_warp_backwardIdddLi9ELb0ELb1ELi32EEEvPT0_PKT_S5_iiiPKb: ; @_ZN12_GLOBAL__N_121softmax_warp_backwardIdddLi9ELb0ELb1ELi32EEEvPT0_PKT_S5_iiiPKb
; %bb.0:
	s_clause 0x1
	s_load_dword s0, s[4:5], 0x3c
	s_load_dwordx4 s[16:19], s[4:5], 0x18
	v_and_b32_e32 v68, 31, v0
	s_clause 0x1
	s_load_dwordx4 s[20:23], s[4:5], 0x0
	s_load_dwordx2 s[2:3], s[4:5], 0x10
	v_mov_b32_e32 v26, 0
	v_mov_b32_e32 v28, 0
	;; [unrolled: 1-line block ×4, first 2 shown]
	s_waitcnt lgkmcnt(0)
	s_lshr_b32 s0, s0, 16
	v_cmp_gt_i32_e32 vcc_lo, s18, v68
	v_mad_u64_u32 v[1:2], null, s6, s0, v[1:2]
	v_mad_u64_u32 v[58:59], null, v1, s17, v[68:69]
	v_sub_nc_u32_e32 v73, s16, v1
	v_cmp_lt_i32_e64 s17, 0, v73
	v_ashrrev_i32_e32 v59, 31, v58
	s_and_b32 s1, s17, vcc_lo
	v_lshlrev_b64 v[24:25], 3, v[58:59]
	v_add_co_u32 v66, s0, s22, v24
	v_add_co_ci_u32_e64 v67, null, s23, v25, s0
	v_add_co_u32 v64, s0, s2, v24
	v_add_co_ci_u32_e64 v65, null, s3, v25, s0
	s_and_saveexec_b32 s0, s1
	s_cbranch_execz .LBB787_2
; %bb.1:
	global_load_dwordx2 v[28:29], v[66:67], off
	global_load_dwordx2 v[26:27], v[64:65], off
.LBB787_2:
	s_or_b32 exec_lo, exec_lo, s0
	v_or_b32_e32 v0, 32, v68
	v_cmp_gt_i32_e64 s0, s18, v0
	s_and_b32 s1, s17, s0
	s_xor_b32 s1, s1, -1
	s_and_saveexec_b32 s2, s1
	s_xor_b32 s1, exec_lo, s2
                                        ; implicit-def: $vgpr0_vgpr1
                                        ; implicit-def: $vgpr2_vgpr3
                                        ; implicit-def: $vgpr4_vgpr5
                                        ; implicit-def: $vgpr6_vgpr7
                                        ; implicit-def: $vgpr8_vgpr9
                                        ; implicit-def: $vgpr10_vgpr11
                                        ; implicit-def: $vgpr12_vgpr13
                                        ; implicit-def: $vgpr14_vgpr15
                                        ; implicit-def: $vgpr16_vgpr17
                                        ; implicit-def: $vgpr18_vgpr19
                                        ; implicit-def: $vgpr20_vgpr21
                                        ; implicit-def: $vgpr22_vgpr23
                                        ; implicit-def: $vgpr30_vgpr31
                                        ; implicit-def: $vgpr32_vgpr33
                                        ; implicit-def: $vgpr34_vgpr35
; %bb.3:
	s_mov_b32 s2, 0
                                        ; implicit-def: $vgpr0_vgpr1
                                        ; implicit-def: $vgpr2_vgpr3
                                        ; implicit-def: $vgpr4_vgpr5
                                        ; implicit-def: $vgpr6_vgpr7
                                        ; implicit-def: $vgpr8_vgpr9
                                        ; implicit-def: $vgpr10_vgpr11
                                        ; implicit-def: $vgpr12_vgpr13
                                        ; implicit-def: $vgpr14_vgpr15
                                        ; implicit-def: $vgpr16_vgpr17
                                        ; implicit-def: $vgpr18_vgpr19
                                        ; implicit-def: $vgpr20_vgpr21
                                        ; implicit-def: $vgpr22_vgpr23
                                        ; implicit-def: $vgpr30_vgpr31
                                        ; implicit-def: $vgpr32_vgpr33
	v_mov_b32_e32 v34, s2
	v_mov_b32_e32 v35, s2
; %bb.4:
	s_or_saveexec_b32 s1, s1
	v_mov_b32_e32 v36, 0
	v_mov_b32_e32 v37, 0
	s_xor_b32 exec_lo, exec_lo, s1
	s_cbranch_execz .LBB787_6
; %bb.5:
	global_load_dwordx2 v[34:35], v[66:67], off offset:256
	global_load_dwordx2 v[36:37], v[64:65], off offset:256
.LBB787_6:
	s_or_b32 exec_lo, exec_lo, s1
	v_or_b32_e32 v38, 64, v68
	v_cmp_gt_i32_e64 s1, s18, v38
	s_and_b32 s2, s17, s1
	s_xor_b32 s2, s2, -1
	s_and_saveexec_b32 s3, s2
	s_xor_b32 s2, exec_lo, s3
; %bb.7:
	s_mov_b32 s3, 0
	v_mov_b32_e32 v32, s3
	v_mov_b32_e32 v33, s3
; %bb.8:
	s_or_saveexec_b32 s2, s2
	v_mov_b32_e32 v38, 0
	v_mov_b32_e32 v39, 0
	s_xor_b32 exec_lo, exec_lo, s2
	s_cbranch_execz .LBB787_10
; %bb.9:
	global_load_dwordx2 v[32:33], v[66:67], off offset:512
	global_load_dwordx2 v[38:39], v[64:65], off offset:512
.LBB787_10:
	s_or_b32 exec_lo, exec_lo, s2
	v_or_b32_e32 v40, 0x60, v68
	v_cmp_gt_i32_e64 s2, s18, v40
	s_and_b32 s3, s17, s2
	s_xor_b32 s3, s3, -1
	s_and_saveexec_b32 s6, s3
	s_xor_b32 s3, exec_lo, s6
; %bb.11:
	s_mov_b32 s6, 0
	;; [unrolled: 21-line block ×7, first 2 shown]
	v_mov_b32_e32 v14, s11
	v_mov_b32_e32 v15, s11
; %bb.32:
	s_or_saveexec_b32 s11, s10
	v_mov_b32_e32 v50, 0
	v_mov_b32_e32 v51, 0
	s_xor_b32 exec_lo, exec_lo, s11
	s_cbranch_execz .LBB787_34
; %bb.33:
	v_add_co_u32 v14, s10, 0x800, v66
	v_add_co_ci_u32_e64 v15, null, 0, v67, s10
	v_add_co_u32 v50, s10, 0x800, v64
	v_add_co_ci_u32_e64 v51, null, 0, v65, s10
	global_load_dwordx2 v[14:15], v[14:15], off
	global_load_dwordx2 v[50:51], v[50:51], off
.LBB787_34:
	s_or_b32 exec_lo, exec_lo, s11
	v_or_b32_e32 v52, 0x120, v68
	v_cmp_gt_i32_e64 s10, s18, v52
	s_and_b32 s11, s17, s10
	s_xor_b32 s11, s11, -1
	s_and_saveexec_b32 s12, s11
	s_xor_b32 s11, exec_lo, s12
; %bb.35:
	s_mov_b32 s12, 0
	v_mov_b32_e32 v12, s12
	v_mov_b32_e32 v13, s12
; %bb.36:
	s_or_saveexec_b32 s12, s11
	v_mov_b32_e32 v52, 0
	v_mov_b32_e32 v53, 0
	s_xor_b32 exec_lo, exec_lo, s12
	s_cbranch_execz .LBB787_38
; %bb.37:
	v_add_co_u32 v12, s11, 0x800, v66
	v_add_co_ci_u32_e64 v13, null, 0, v67, s11
	v_add_co_u32 v52, s11, 0x800, v64
	v_add_co_ci_u32_e64 v53, null, 0, v65, s11
	global_load_dwordx2 v[12:13], v[12:13], off offset:256
	global_load_dwordx2 v[52:53], v[52:53], off offset:256
.LBB787_38:
	s_or_b32 exec_lo, exec_lo, s12
	v_or_b32_e32 v54, 0x140, v68
	v_cmp_gt_i32_e64 s11, s18, v54
	s_and_b32 s12, s17, s11
	s_xor_b32 s12, s12, -1
	s_and_saveexec_b32 s13, s12
	s_xor_b32 s12, exec_lo, s13
; %bb.39:
	s_mov_b32 s13, 0
	v_mov_b32_e32 v10, s13
	v_mov_b32_e32 v11, s13
; %bb.40:
	s_or_saveexec_b32 s13, s12
	v_mov_b32_e32 v54, 0
	v_mov_b32_e32 v55, 0
	s_xor_b32 exec_lo, exec_lo, s13
	s_cbranch_execz .LBB787_42
; %bb.41:
	v_add_co_u32 v10, s12, 0x800, v66
	v_add_co_ci_u32_e64 v11, null, 0, v67, s12
	v_add_co_u32 v54, s12, 0x800, v64
	v_add_co_ci_u32_e64 v55, null, 0, v65, s12
	global_load_dwordx2 v[10:11], v[10:11], off offset:512
	global_load_dwordx2 v[54:55], v[54:55], off offset:512
.LBB787_42:
	;; [unrolled: 25-line block ×6, first 2 shown]
	s_or_b32 exec_lo, exec_lo, s19
	v_or_b32_e32 v68, 0x1e0, v68
	v_cmp_gt_i32_e64 s16, s18, v68
	s_and_b32 s17, s17, s16
	s_xor_b32 s17, s17, -1
	s_and_saveexec_b32 s18, s17
	s_xor_b32 s17, exec_lo, s18
; %bb.59:
	s_mov_b32 s18, 0
                                        ; implicit-def: $vgpr66
                                        ; implicit-def: $vgpr64
	v_mov_b32_e32 v0, s18
	v_mov_b32_e32 v1, s18
; %bb.60:
	s_or_saveexec_b32 s18, s17
	v_mov_b32_e32 v71, 0
	v_mov_b32_e32 v72, 0
	s_xor_b32 exec_lo, exec_lo, s18
	s_cbranch_execz .LBB787_62
; %bb.61:
	v_add_co_u32 v0, s17, 0x800, v66
	v_add_co_ci_u32_e64 v1, null, 0, v67, s17
	v_add_co_u32 v64, s17, 0x800, v64
	v_add_co_ci_u32_e64 v65, null, 0, v65, s17
	global_load_dwordx2 v[0:1], v[0:1], off offset:1792
	global_load_dwordx2 v[71:72], v[64:65], off offset:1792
.LBB787_62:
	s_or_b32 exec_lo, exec_lo, s18
	s_load_dwordx2 s[4:5], s[4:5], 0x28
	v_mbcnt_lo_u32_b32 v68, -1, 0
	s_mov_b32 s19, exec_lo
	s_waitcnt lgkmcnt(0)
	v_add_co_u32 v58, s4, s4, v58
	v_add_co_ci_u32_e64 v59, null, s5, v59, s4
	s_clause 0x1
	global_load_ubyte v64, v[58:59], off
	global_load_ubyte v66, v[58:59], off offset:32
	s_waitcnt vmcnt(1)
	v_and_b32_e32 v64, 1, v64
	s_waitcnt vmcnt(0)
	v_and_b32_e32 v66, 1, v66
	v_cmp_eq_u32_e64 s17, 1, v64
	v_add_f64 v[64:65], v[28:29], 0
	v_cmp_eq_u32_e64 s4, 1, v66
	v_cndmask_b32_e64 v65, v65, 0, s17
	v_cndmask_b32_e64 v64, v64, 0, s17
	v_add_f64 v[66:67], v[64:65], v[34:35]
	v_cndmask_b32_e64 v64, v66, v64, s4
	global_load_ubyte v66, v[58:59], off offset:64
	v_cndmask_b32_e64 v65, v67, v65, s4
	s_waitcnt vmcnt(0)
	v_and_b32_e32 v66, 1, v66
	v_cmp_eq_u32_e64 s4, 1, v66
	v_add_f64 v[66:67], v[64:65], v[32:33]
	v_cndmask_b32_e64 v64, v66, v64, s4
	global_load_ubyte v66, v[58:59], off offset:96
	v_cndmask_b32_e64 v65, v67, v65, s4
	s_waitcnt vmcnt(0)
	v_and_b32_e32 v66, 1, v66
	v_cmp_eq_u32_e64 s4, 1, v66
	;; [unrolled: 7-line block ×14, first 2 shown]
	v_add_f64 v[66:67], v[64:65], v[0:1]
	v_cndmask_b32_e64 v64, v66, v64, s5
	v_xor_b32_e32 v66, 16, v68
	v_cndmask_b32_e64 v65, v67, v65, s5
	v_cmp_gt_i32_e64 s18, 32, v66
	v_cndmask_b32_e64 v66, v68, v66, s18
	v_lshlrev_b32_e32 v67, 2, v66
	ds_bpermute_b32 v66, v67, v64
	ds_bpermute_b32 v67, v67, v65
	s_waitcnt lgkmcnt(0)
	v_add_f64 v[64:65], v[64:65], v[66:67]
	v_xor_b32_e32 v66, 8, v68
	v_cmp_gt_i32_e64 s18, 32, v66
	v_cndmask_b32_e64 v66, v68, v66, s18
	v_lshlrev_b32_e32 v67, 2, v66
	ds_bpermute_b32 v66, v67, v64
	ds_bpermute_b32 v67, v67, v65
	s_waitcnt lgkmcnt(0)
	v_add_f64 v[64:65], v[64:65], v[66:67]
	v_xor_b32_e32 v66, 4, v68
	v_cmp_gt_i32_e64 s18, 32, v66
	v_cndmask_b32_e64 v66, v68, v66, s18
	v_lshlrev_b32_e32 v67, 2, v66
	ds_bpermute_b32 v66, v67, v64
	ds_bpermute_b32 v67, v67, v65
	s_waitcnt lgkmcnt(0)
	v_add_f64 v[64:65], v[64:65], v[66:67]
	v_xor_b32_e32 v66, 2, v68
	v_cmp_gt_i32_e64 s18, 32, v66
	v_cndmask_b32_e64 v66, v68, v66, s18
	v_lshlrev_b32_e32 v67, 2, v66
	ds_bpermute_b32 v66, v67, v64
	ds_bpermute_b32 v67, v67, v65
	s_waitcnt lgkmcnt(0)
	v_add_f64 v[64:65], v[64:65], v[66:67]
	v_xor_b32_e32 v66, 1, v68
	v_cmp_gt_i32_e64 s18, 32, v66
	v_cndmask_b32_e64 v66, v68, v66, s18
	v_lshlrev_b32_e32 v67, 2, v66
	ds_bpermute_b32 v66, v67, v64
	ds_bpermute_b32 v67, v67, v65
	v_cmpx_lt_i32_e32 0, v73
	s_cbranch_execz .LBB787_80
; %bb.63:
	s_waitcnt lgkmcnt(0)
	v_add_f64 v[64:65], v[64:65], v[66:67]
	v_add_co_u32 v24, s18, s20, v24
	v_add_co_ci_u32_e64 v25, null, s21, v25, s18
	s_and_saveexec_b32 s18, vcc_lo
	s_cbranch_execnz .LBB787_81
; %bb.64:
	s_or_b32 exec_lo, exec_lo, s18
	s_and_saveexec_b32 s17, s0
	s_cbranch_execnz .LBB787_82
.LBB787_65:
	s_or_b32 exec_lo, exec_lo, s17
	s_and_saveexec_b32 s0, s1
	s_cbranch_execnz .LBB787_83
.LBB787_66:
	s_or_b32 exec_lo, exec_lo, s0
	s_and_saveexec_b32 s0, s2
	s_cbranch_execnz .LBB787_84
.LBB787_67:
	s_or_b32 exec_lo, exec_lo, s0
	s_and_saveexec_b32 s0, s3
	s_cbranch_execnz .LBB787_85
.LBB787_68:
	s_or_b32 exec_lo, exec_lo, s0
	s_and_saveexec_b32 s0, s6
	s_cbranch_execnz .LBB787_86
.LBB787_69:
	s_or_b32 exec_lo, exec_lo, s0
	s_and_saveexec_b32 s0, s7
	s_cbranch_execnz .LBB787_87
.LBB787_70:
	s_or_b32 exec_lo, exec_lo, s0
	s_and_saveexec_b32 s0, s8
	s_cbranch_execnz .LBB787_88
.LBB787_71:
	s_or_b32 exec_lo, exec_lo, s0
	s_and_saveexec_b32 s0, s9
	s_cbranch_execnz .LBB787_89
.LBB787_72:
	s_or_b32 exec_lo, exec_lo, s0
	s_and_saveexec_b32 s0, s10
	s_cbranch_execnz .LBB787_90
.LBB787_73:
	s_or_b32 exec_lo, exec_lo, s0
	s_and_saveexec_b32 s0, s11
	s_cbranch_execnz .LBB787_91
.LBB787_74:
	s_or_b32 exec_lo, exec_lo, s0
	s_and_saveexec_b32 s0, s12
	s_cbranch_execnz .LBB787_92
.LBB787_75:
	s_or_b32 exec_lo, exec_lo, s0
	s_and_saveexec_b32 s0, s13
	s_cbranch_execnz .LBB787_93
.LBB787_76:
	s_or_b32 exec_lo, exec_lo, s0
	s_and_saveexec_b32 s0, s14
	s_cbranch_execnz .LBB787_94
.LBB787_77:
	s_or_b32 exec_lo, exec_lo, s0
	s_and_saveexec_b32 s0, s15
	s_cbranch_execnz .LBB787_95
.LBB787_78:
	s_or_b32 exec_lo, exec_lo, s0
	s_and_b32 exec_lo, exec_lo, s16
	s_cbranch_execz .LBB787_80
.LBB787_79:
	v_fma_f64 v[0:1], -v[64:65], v[71:72], v[0:1]
	v_add_co_u32 v2, vcc_lo, 0x800, v24
	v_add_co_ci_u32_e64 v3, null, 0, v25, vcc_lo
	v_cndmask_b32_e64 v1, v1, 0, s5
	v_cndmask_b32_e64 v0, v0, 0, s5
	global_store_dwordx2 v[2:3], v[0:1], off offset:1792
.LBB787_80:
	s_endpgm
.LBB787_81:
	v_fma_f64 v[26:27], -v[64:65], v[26:27], v[28:29]
	v_cndmask_b32_e64 v27, v27, 0, s17
	v_cndmask_b32_e64 v26, v26, 0, s17
	global_store_dwordx2 v[24:25], v[26:27], off
	s_or_b32 exec_lo, exec_lo, s18
	s_and_saveexec_b32 s17, s0
	s_cbranch_execz .LBB787_65
.LBB787_82:
	global_load_ubyte v28, v[58:59], off offset:32
	v_fma_f64 v[26:27], -v[64:65], v[36:37], v[34:35]
	s_waitcnt vmcnt(0)
	v_and_b32_e32 v28, 1, v28
	v_cmp_eq_u32_e32 vcc_lo, 1, v28
	v_cndmask_b32_e64 v27, v27, 0, vcc_lo
	v_cndmask_b32_e64 v26, v26, 0, vcc_lo
	global_store_dwordx2 v[24:25], v[26:27], off offset:256
	s_or_b32 exec_lo, exec_lo, s17
	s_and_saveexec_b32 s0, s1
	s_cbranch_execz .LBB787_66
.LBB787_83:
	global_load_ubyte v28, v[58:59], off offset:64
	v_fma_f64 v[26:27], -v[64:65], v[38:39], v[32:33]
	s_waitcnt vmcnt(0)
	v_and_b32_e32 v28, 1, v28
	v_cmp_eq_u32_e32 vcc_lo, 1, v28
	v_cndmask_b32_e64 v27, v27, 0, vcc_lo
	v_cndmask_b32_e64 v26, v26, 0, vcc_lo
	global_store_dwordx2 v[24:25], v[26:27], off offset:512
	s_or_b32 exec_lo, exec_lo, s0
	s_and_saveexec_b32 s0, s2
	s_cbranch_execz .LBB787_67
.LBB787_84:
	global_load_ubyte v28, v[58:59], off offset:96
	v_fma_f64 v[26:27], -v[64:65], v[40:41], v[30:31]
	s_waitcnt vmcnt(0)
	v_and_b32_e32 v28, 1, v28
	v_cmp_eq_u32_e32 vcc_lo, 1, v28
	v_cndmask_b32_e64 v27, v27, 0, vcc_lo
	v_cndmask_b32_e64 v26, v26, 0, vcc_lo
	global_store_dwordx2 v[24:25], v[26:27], off offset:768
	s_or_b32 exec_lo, exec_lo, s0
	s_and_saveexec_b32 s0, s3
	s_cbranch_execz .LBB787_68
.LBB787_85:
	global_load_ubyte v26, v[58:59], off offset:128
	v_fma_f64 v[22:23], -v[64:65], v[42:43], v[22:23]
	s_waitcnt vmcnt(0)
	v_and_b32_e32 v26, 1, v26
	v_cmp_eq_u32_e32 vcc_lo, 1, v26
	v_cndmask_b32_e64 v23, v23, 0, vcc_lo
	v_cndmask_b32_e64 v22, v22, 0, vcc_lo
	global_store_dwordx2 v[24:25], v[22:23], off offset:1024
	s_or_b32 exec_lo, exec_lo, s0
	s_and_saveexec_b32 s0, s6
	s_cbranch_execz .LBB787_69
.LBB787_86:
	global_load_ubyte v22, v[58:59], off offset:160
	v_fma_f64 v[20:21], -v[64:65], v[44:45], v[20:21]
	s_waitcnt vmcnt(0)
	v_and_b32_e32 v22, 1, v22
	v_cmp_eq_u32_e32 vcc_lo, 1, v22
	v_cndmask_b32_e64 v21, v21, 0, vcc_lo
	v_cndmask_b32_e64 v20, v20, 0, vcc_lo
	global_store_dwordx2 v[24:25], v[20:21], off offset:1280
	s_or_b32 exec_lo, exec_lo, s0
	s_and_saveexec_b32 s0, s7
	s_cbranch_execz .LBB787_70
.LBB787_87:
	global_load_ubyte v20, v[58:59], off offset:192
	v_fma_f64 v[18:19], -v[64:65], v[46:47], v[18:19]
	s_waitcnt vmcnt(0)
	v_and_b32_e32 v20, 1, v20
	v_cmp_eq_u32_e32 vcc_lo, 1, v20
	v_cndmask_b32_e64 v19, v19, 0, vcc_lo
	v_cndmask_b32_e64 v18, v18, 0, vcc_lo
	global_store_dwordx2 v[24:25], v[18:19], off offset:1536
	s_or_b32 exec_lo, exec_lo, s0
	s_and_saveexec_b32 s0, s8
	s_cbranch_execz .LBB787_71
.LBB787_88:
	global_load_ubyte v18, v[58:59], off offset:224
	v_fma_f64 v[16:17], -v[64:65], v[48:49], v[16:17]
	s_waitcnt vmcnt(0)
	v_and_b32_e32 v18, 1, v18
	v_cmp_eq_u32_e32 vcc_lo, 1, v18
	v_cndmask_b32_e64 v17, v17, 0, vcc_lo
	v_cndmask_b32_e64 v16, v16, 0, vcc_lo
	global_store_dwordx2 v[24:25], v[16:17], off offset:1792
	s_or_b32 exec_lo, exec_lo, s0
	s_and_saveexec_b32 s0, s9
	s_cbranch_execz .LBB787_72
.LBB787_89:
	global_load_ubyte v16, v[58:59], off offset:256
	v_fma_f64 v[14:15], -v[64:65], v[50:51], v[14:15]
	s_waitcnt vmcnt(0)
	v_and_b32_e32 v16, 1, v16
	v_cmp_eq_u32_e32 vcc_lo, 1, v16
	v_cndmask_b32_e64 v15, v15, 0, vcc_lo
	v_cndmask_b32_e64 v14, v14, 0, vcc_lo
	v_add_co_u32 v16, vcc_lo, 0x800, v24
	v_add_co_ci_u32_e64 v17, null, 0, v25, vcc_lo
	global_store_dwordx2 v[16:17], v[14:15], off
	s_or_b32 exec_lo, exec_lo, s0
	s_and_saveexec_b32 s0, s10
	s_cbranch_execz .LBB787_73
.LBB787_90:
	global_load_ubyte v14, v[58:59], off offset:288
	v_fma_f64 v[12:13], -v[64:65], v[52:53], v[12:13]
	s_waitcnt vmcnt(0)
	v_and_b32_e32 v14, 1, v14
	v_cmp_eq_u32_e32 vcc_lo, 1, v14
	v_cndmask_b32_e64 v13, v13, 0, vcc_lo
	v_cndmask_b32_e64 v12, v12, 0, vcc_lo
	v_add_co_u32 v14, vcc_lo, 0x800, v24
	v_add_co_ci_u32_e64 v15, null, 0, v25, vcc_lo
	global_store_dwordx2 v[14:15], v[12:13], off offset:256
	s_or_b32 exec_lo, exec_lo, s0
	s_and_saveexec_b32 s0, s11
	s_cbranch_execz .LBB787_74
.LBB787_91:
	global_load_ubyte v12, v[58:59], off offset:320
	v_fma_f64 v[10:11], -v[64:65], v[54:55], v[10:11]
	s_waitcnt vmcnt(0)
	v_and_b32_e32 v12, 1, v12
	v_cmp_eq_u32_e32 vcc_lo, 1, v12
	v_cndmask_b32_e64 v11, v11, 0, vcc_lo
	v_cndmask_b32_e64 v10, v10, 0, vcc_lo
	v_add_co_u32 v12, vcc_lo, 0x800, v24
	v_add_co_ci_u32_e64 v13, null, 0, v25, vcc_lo
	global_store_dwordx2 v[12:13], v[10:11], off offset:512
	s_or_b32 exec_lo, exec_lo, s0
	s_and_saveexec_b32 s0, s12
	s_cbranch_execz .LBB787_75
.LBB787_92:
	global_load_ubyte v10, v[58:59], off offset:352
	v_fma_f64 v[8:9], -v[64:65], v[56:57], v[8:9]
	s_waitcnt vmcnt(0)
	v_and_b32_e32 v10, 1, v10
	v_cmp_eq_u32_e32 vcc_lo, 1, v10
	v_cndmask_b32_e64 v9, v9, 0, vcc_lo
	v_cndmask_b32_e64 v8, v8, 0, vcc_lo
	v_add_co_u32 v10, vcc_lo, 0x800, v24
	v_add_co_ci_u32_e64 v11, null, 0, v25, vcc_lo
	global_store_dwordx2 v[10:11], v[8:9], off offset:768
	s_or_b32 exec_lo, exec_lo, s0
	s_and_saveexec_b32 s0, s13
	s_cbranch_execz .LBB787_76
.LBB787_93:
	global_load_ubyte v8, v[58:59], off offset:384
	v_fma_f64 v[6:7], -v[64:65], v[60:61], v[6:7]
	s_waitcnt vmcnt(0)
	v_and_b32_e32 v8, 1, v8
	v_cmp_eq_u32_e32 vcc_lo, 1, v8
	v_cndmask_b32_e64 v7, v7, 0, vcc_lo
	v_cndmask_b32_e64 v6, v6, 0, vcc_lo
	v_add_co_u32 v8, vcc_lo, 0x800, v24
	v_add_co_ci_u32_e64 v9, null, 0, v25, vcc_lo
	global_store_dwordx2 v[8:9], v[6:7], off offset:1024
	s_or_b32 exec_lo, exec_lo, s0
	s_and_saveexec_b32 s0, s14
	s_cbranch_execz .LBB787_77
.LBB787_94:
	global_load_ubyte v6, v[58:59], off offset:416
	v_fma_f64 v[4:5], -v[64:65], v[62:63], v[4:5]
	s_waitcnt vmcnt(0)
	v_and_b32_e32 v6, 1, v6
	v_cmp_eq_u32_e32 vcc_lo, 1, v6
	v_cndmask_b32_e64 v5, v5, 0, vcc_lo
	v_cndmask_b32_e64 v4, v4, 0, vcc_lo
	v_add_co_u32 v6, vcc_lo, 0x800, v24
	v_add_co_ci_u32_e64 v7, null, 0, v25, vcc_lo
	global_store_dwordx2 v[6:7], v[4:5], off offset:1280
	s_or_b32 exec_lo, exec_lo, s0
	s_and_saveexec_b32 s0, s15
	s_cbranch_execz .LBB787_78
.LBB787_95:
	v_fma_f64 v[2:3], -v[64:65], v[69:70], v[2:3]
	v_add_co_u32 v4, vcc_lo, 0x800, v24
	v_add_co_ci_u32_e64 v5, null, 0, v25, vcc_lo
	v_cndmask_b32_e64 v3, v3, 0, s4
	v_cndmask_b32_e64 v2, v2, 0, s4
	global_store_dwordx2 v[4:5], v[2:3], off offset:1536
	s_or_b32 exec_lo, exec_lo, s0
	s_and_b32 exec_lo, exec_lo, s16
	s_cbranch_execnz .LBB787_79
	s_branch .LBB787_80
	.section	.rodata,"a",@progbits
	.p2align	6, 0x0
	.amdhsa_kernel _ZN12_GLOBAL__N_121softmax_warp_backwardIdddLi9ELb0ELb1ELi32EEEvPT0_PKT_S5_iiiPKb
		.amdhsa_group_segment_fixed_size 0
		.amdhsa_private_segment_fixed_size 0
		.amdhsa_kernarg_size 304
		.amdhsa_user_sgpr_count 6
		.amdhsa_user_sgpr_private_segment_buffer 1
		.amdhsa_user_sgpr_dispatch_ptr 0
		.amdhsa_user_sgpr_queue_ptr 0
		.amdhsa_user_sgpr_kernarg_segment_ptr 1
		.amdhsa_user_sgpr_dispatch_id 0
		.amdhsa_user_sgpr_flat_scratch_init 0
		.amdhsa_user_sgpr_private_segment_size 0
		.amdhsa_wavefront_size32 1
		.amdhsa_uses_dynamic_stack 0
		.amdhsa_system_sgpr_private_segment_wavefront_offset 0
		.amdhsa_system_sgpr_workgroup_id_x 1
		.amdhsa_system_sgpr_workgroup_id_y 0
		.amdhsa_system_sgpr_workgroup_id_z 0
		.amdhsa_system_sgpr_workgroup_info 0
		.amdhsa_system_vgpr_workitem_id 1
		.amdhsa_next_free_vgpr 74
		.amdhsa_next_free_sgpr 24
		.amdhsa_reserve_vcc 1
		.amdhsa_reserve_flat_scratch 0
		.amdhsa_float_round_mode_32 0
		.amdhsa_float_round_mode_16_64 0
		.amdhsa_float_denorm_mode_32 3
		.amdhsa_float_denorm_mode_16_64 3
		.amdhsa_dx10_clamp 1
		.amdhsa_ieee_mode 1
		.amdhsa_fp16_overflow 0
		.amdhsa_workgroup_processor_mode 1
		.amdhsa_memory_ordered 1
		.amdhsa_forward_progress 1
		.amdhsa_shared_vgpr_count 0
		.amdhsa_exception_fp_ieee_invalid_op 0
		.amdhsa_exception_fp_denorm_src 0
		.amdhsa_exception_fp_ieee_div_zero 0
		.amdhsa_exception_fp_ieee_overflow 0
		.amdhsa_exception_fp_ieee_underflow 0
		.amdhsa_exception_fp_ieee_inexact 0
		.amdhsa_exception_int_div_zero 0
	.end_amdhsa_kernel
	.section	.text._ZN12_GLOBAL__N_121softmax_warp_backwardIdddLi9ELb0ELb1ELi32EEEvPT0_PKT_S5_iiiPKb,"axG",@progbits,_ZN12_GLOBAL__N_121softmax_warp_backwardIdddLi9ELb0ELb1ELi32EEEvPT0_PKT_S5_iiiPKb,comdat
.Lfunc_end787:
	.size	_ZN12_GLOBAL__N_121softmax_warp_backwardIdddLi9ELb0ELb1ELi32EEEvPT0_PKT_S5_iiiPKb, .Lfunc_end787-_ZN12_GLOBAL__N_121softmax_warp_backwardIdddLi9ELb0ELb1ELi32EEEvPT0_PKT_S5_iiiPKb
                                        ; -- End function
	.set _ZN12_GLOBAL__N_121softmax_warp_backwardIdddLi9ELb0ELb1ELi32EEEvPT0_PKT_S5_iiiPKb.num_vgpr, 74
	.set _ZN12_GLOBAL__N_121softmax_warp_backwardIdddLi9ELb0ELb1ELi32EEEvPT0_PKT_S5_iiiPKb.num_agpr, 0
	.set _ZN12_GLOBAL__N_121softmax_warp_backwardIdddLi9ELb0ELb1ELi32EEEvPT0_PKT_S5_iiiPKb.numbered_sgpr, 24
	.set _ZN12_GLOBAL__N_121softmax_warp_backwardIdddLi9ELb0ELb1ELi32EEEvPT0_PKT_S5_iiiPKb.num_named_barrier, 0
	.set _ZN12_GLOBAL__N_121softmax_warp_backwardIdddLi9ELb0ELb1ELi32EEEvPT0_PKT_S5_iiiPKb.private_seg_size, 0
	.set _ZN12_GLOBAL__N_121softmax_warp_backwardIdddLi9ELb0ELb1ELi32EEEvPT0_PKT_S5_iiiPKb.uses_vcc, 1
	.set _ZN12_GLOBAL__N_121softmax_warp_backwardIdddLi9ELb0ELb1ELi32EEEvPT0_PKT_S5_iiiPKb.uses_flat_scratch, 0
	.set _ZN12_GLOBAL__N_121softmax_warp_backwardIdddLi9ELb0ELb1ELi32EEEvPT0_PKT_S5_iiiPKb.has_dyn_sized_stack, 0
	.set _ZN12_GLOBAL__N_121softmax_warp_backwardIdddLi9ELb0ELb1ELi32EEEvPT0_PKT_S5_iiiPKb.has_recursion, 0
	.set _ZN12_GLOBAL__N_121softmax_warp_backwardIdddLi9ELb0ELb1ELi32EEEvPT0_PKT_S5_iiiPKb.has_indirect_call, 0
	.section	.AMDGPU.csdata,"",@progbits
; Kernel info:
; codeLenInByte = 4152
; TotalNumSgprs: 26
; NumVgprs: 74
; ScratchSize: 0
; MemoryBound: 0
; FloatMode: 240
; IeeeMode: 1
; LDSByteSize: 0 bytes/workgroup (compile time only)
; SGPRBlocks: 0
; VGPRBlocks: 9
; NumSGPRsForWavesPerEU: 26
; NumVGPRsForWavesPerEU: 74
; Occupancy: 12
; WaveLimiterHint : 0
; COMPUTE_PGM_RSRC2:SCRATCH_EN: 0
; COMPUTE_PGM_RSRC2:USER_SGPR: 6
; COMPUTE_PGM_RSRC2:TRAP_HANDLER: 0
; COMPUTE_PGM_RSRC2:TGID_X_EN: 1
; COMPUTE_PGM_RSRC2:TGID_Y_EN: 0
; COMPUTE_PGM_RSRC2:TGID_Z_EN: 0
; COMPUTE_PGM_RSRC2:TIDIG_COMP_CNT: 1
	.section	.text._ZN12_GLOBAL__N_121softmax_warp_backwardIdddLi10ELb0ELb1ELi64EEEvPT0_PKT_S5_iiiPKb,"axG",@progbits,_ZN12_GLOBAL__N_121softmax_warp_backwardIdddLi10ELb0ELb1ELi64EEEvPT0_PKT_S5_iiiPKb,comdat
	.globl	_ZN12_GLOBAL__N_121softmax_warp_backwardIdddLi10ELb0ELb1ELi64EEEvPT0_PKT_S5_iiiPKb ; -- Begin function _ZN12_GLOBAL__N_121softmax_warp_backwardIdddLi10ELb0ELb1ELi64EEEvPT0_PKT_S5_iiiPKb
	.p2align	8
	.type	_ZN12_GLOBAL__N_121softmax_warp_backwardIdddLi10ELb0ELb1ELi64EEEvPT0_PKT_S5_iiiPKb,@function
_ZN12_GLOBAL__N_121softmax_warp_backwardIdddLi10ELb0ELb1ELi64EEEvPT0_PKT_S5_iiiPKb: ; @_ZN12_GLOBAL__N_121softmax_warp_backwardIdddLi10ELb0ELb1ELi64EEEvPT0_PKT_S5_iiiPKb
; %bb.0:
	s_clause 0x1
	s_load_dword s0, s[4:5], 0x3c
	s_load_dwordx4 s[16:19], s[4:5], 0x18
	v_and_b32_e32 v69, 63, v0
	s_clause 0x1
	s_load_dwordx4 s[20:23], s[4:5], 0x0
	s_load_dwordx2 s[2:3], s[4:5], 0x10
	v_mov_b32_e32 v25, 0
	v_mov_b32_e32 v27, 0
	;; [unrolled: 1-line block ×4, first 2 shown]
	s_waitcnt lgkmcnt(0)
	s_lshr_b32 s0, s0, 16
	v_cmp_gt_i32_e32 vcc_lo, s18, v69
	v_mad_u64_u32 v[1:2], null, s6, s0, v[1:2]
	v_mad_u64_u32 v[59:60], null, v1, s17, v[69:70]
	v_sub_nc_u32_e32 v73, s16, v1
	v_cmp_lt_i32_e64 s17, 0, v73
	v_ashrrev_i32_e32 v60, 31, v59
	s_and_b32 s1, s17, vcc_lo
	v_lshlrev_b64 v[23:24], 3, v[59:60]
	v_add_co_u32 v65, s0, s22, v23
	v_add_co_ci_u32_e64 v66, null, s23, v24, s0
	v_add_co_u32 v63, s0, s2, v23
	v_add_co_ci_u32_e64 v64, null, s3, v24, s0
	s_and_saveexec_b32 s0, s1
	s_cbranch_execz .LBB788_2
; %bb.1:
	global_load_dwordx2 v[27:28], v[65:66], off
	global_load_dwordx2 v[25:26], v[63:64], off
.LBB788_2:
	s_or_b32 exec_lo, exec_lo, s0
	v_or_b32_e32 v1, 64, v69
	v_cmp_gt_i32_e64 s0, s18, v1
	s_and_b32 s1, s17, s0
	s_xor_b32 s1, s1, -1
	s_and_saveexec_b32 s2, s1
	s_xor_b32 s1, exec_lo, s2
                                        ; implicit-def: $vgpr1_vgpr2
                                        ; implicit-def: $vgpr3_vgpr4
                                        ; implicit-def: $vgpr5_vgpr6
                                        ; implicit-def: $vgpr7_vgpr8
                                        ; implicit-def: $vgpr9_vgpr10
                                        ; implicit-def: $vgpr11_vgpr12
                                        ; implicit-def: $vgpr13_vgpr14
                                        ; implicit-def: $vgpr15_vgpr16
                                        ; implicit-def: $vgpr17_vgpr18
                                        ; implicit-def: $vgpr19_vgpr20
                                        ; implicit-def: $vgpr21_vgpr22
                                        ; implicit-def: $vgpr29_vgpr30
                                        ; implicit-def: $vgpr31_vgpr32
                                        ; implicit-def: $vgpr33_vgpr34
                                        ; implicit-def: $vgpr35_vgpr36
; %bb.3:
	s_mov_b32 s2, 0
                                        ; implicit-def: $vgpr1_vgpr2
                                        ; implicit-def: $vgpr3_vgpr4
                                        ; implicit-def: $vgpr5_vgpr6
                                        ; implicit-def: $vgpr7_vgpr8
                                        ; implicit-def: $vgpr9_vgpr10
                                        ; implicit-def: $vgpr11_vgpr12
                                        ; implicit-def: $vgpr13_vgpr14
                                        ; implicit-def: $vgpr15_vgpr16
                                        ; implicit-def: $vgpr17_vgpr18
                                        ; implicit-def: $vgpr19_vgpr20
                                        ; implicit-def: $vgpr21_vgpr22
                                        ; implicit-def: $vgpr29_vgpr30
                                        ; implicit-def: $vgpr31_vgpr32
                                        ; implicit-def: $vgpr33_vgpr34
	v_mov_b32_e32 v35, s2
	v_mov_b32_e32 v36, s2
; %bb.4:
	s_or_saveexec_b32 s1, s1
	v_mov_b32_e32 v37, 0
	v_mov_b32_e32 v38, 0
	s_xor_b32 exec_lo, exec_lo, s1
	s_cbranch_execz .LBB788_6
; %bb.5:
	global_load_dwordx2 v[35:36], v[65:66], off offset:512
	global_load_dwordx2 v[37:38], v[63:64], off offset:512
.LBB788_6:
	s_or_b32 exec_lo, exec_lo, s1
	v_or_b32_e32 v39, 0x80, v69
	v_cmp_gt_i32_e64 s1, s18, v39
	s_and_b32 s2, s17, s1
	s_xor_b32 s2, s2, -1
	s_and_saveexec_b32 s3, s2
	s_xor_b32 s2, exec_lo, s3
; %bb.7:
	s_mov_b32 s3, 0
	v_mov_b32_e32 v33, s3
	v_mov_b32_e32 v34, s3
; %bb.8:
	s_or_saveexec_b32 s2, s2
	v_mov_b32_e32 v39, 0
	v_mov_b32_e32 v40, 0
	s_xor_b32 exec_lo, exec_lo, s2
	s_cbranch_execz .LBB788_10
; %bb.9:
	global_load_dwordx2 v[33:34], v[65:66], off offset:1024
	global_load_dwordx2 v[39:40], v[63:64], off offset:1024
.LBB788_10:
	s_or_b32 exec_lo, exec_lo, s2
	v_or_b32_e32 v41, 0xc0, v69
	v_cmp_gt_i32_e64 s2, s18, v41
	s_and_b32 s3, s17, s2
	s_xor_b32 s3, s3, -1
	s_and_saveexec_b32 s6, s3
	s_xor_b32 s3, exec_lo, s6
; %bb.11:
	s_mov_b32 s6, 0
	;; [unrolled: 21-line block ×3, first 2 shown]
	v_mov_b32_e32 v29, s7
	v_mov_b32_e32 v30, s7
; %bb.16:
	s_or_saveexec_b32 s7, s6
	v_mov_b32_e32 v43, 0
	v_mov_b32_e32 v44, 0
	s_xor_b32 exec_lo, exec_lo, s7
	s_cbranch_execz .LBB788_18
; %bb.17:
	v_add_co_u32 v29, s6, 0x800, v65
	v_add_co_ci_u32_e64 v30, null, 0, v66, s6
	v_add_co_u32 v43, s6, 0x800, v63
	v_add_co_ci_u32_e64 v44, null, 0, v64, s6
	global_load_dwordx2 v[29:30], v[29:30], off
	global_load_dwordx2 v[43:44], v[43:44], off
.LBB788_18:
	s_or_b32 exec_lo, exec_lo, s7
	v_or_b32_e32 v45, 0x140, v69
	v_cmp_gt_i32_e64 s6, s18, v45
	s_and_b32 s7, s17, s6
	s_xor_b32 s7, s7, -1
	s_and_saveexec_b32 s8, s7
	s_xor_b32 s7, exec_lo, s8
; %bb.19:
	s_mov_b32 s8, 0
	v_mov_b32_e32 v21, s8
	v_mov_b32_e32 v22, s8
; %bb.20:
	s_or_saveexec_b32 s8, s7
	v_mov_b32_e32 v45, 0
	v_mov_b32_e32 v46, 0
	s_xor_b32 exec_lo, exec_lo, s8
	s_cbranch_execz .LBB788_22
; %bb.21:
	v_add_co_u32 v21, s7, 0x800, v65
	v_add_co_ci_u32_e64 v22, null, 0, v66, s7
	v_add_co_u32 v45, s7, 0x800, v63
	v_add_co_ci_u32_e64 v46, null, 0, v64, s7
	global_load_dwordx2 v[21:22], v[21:22], off offset:512
	global_load_dwordx2 v[45:46], v[45:46], off offset:512
.LBB788_22:
	s_or_b32 exec_lo, exec_lo, s8
	v_or_b32_e32 v47, 0x180, v69
	v_cmp_gt_i32_e64 s7, s18, v47
	s_and_b32 s8, s17, s7
	s_xor_b32 s8, s8, -1
	s_and_saveexec_b32 s9, s8
	s_xor_b32 s8, exec_lo, s9
; %bb.23:
	s_mov_b32 s9, 0
	v_mov_b32_e32 v19, s9
	v_mov_b32_e32 v20, s9
; %bb.24:
	s_or_saveexec_b32 s9, s8
	v_mov_b32_e32 v47, 0
	v_mov_b32_e32 v48, 0
	s_xor_b32 exec_lo, exec_lo, s9
	s_cbranch_execz .LBB788_26
; %bb.25:
	v_add_co_u32 v19, s8, 0x800, v65
	v_add_co_ci_u32_e64 v20, null, 0, v66, s8
	v_add_co_u32 v47, s8, 0x800, v63
	v_add_co_ci_u32_e64 v48, null, 0, v64, s8
	global_load_dwordx2 v[19:20], v[19:20], off offset:1024
	global_load_dwordx2 v[47:48], v[47:48], off offset:1024
.LBB788_26:
	;; [unrolled: 25-line block ×3, first 2 shown]
	s_or_b32 exec_lo, exec_lo, s10
	v_or_b32_e32 v51, 0x200, v69
	v_cmp_gt_i32_e64 s9, s18, v51
	s_and_b32 s10, s17, s9
	s_xor_b32 s10, s10, -1
	s_and_saveexec_b32 s11, s10
	s_xor_b32 s10, exec_lo, s11
; %bb.31:
	s_mov_b32 s11, 0
	v_mov_b32_e32 v15, s11
	v_mov_b32_e32 v16, s11
; %bb.32:
	s_or_saveexec_b32 s11, s10
	v_mov_b32_e32 v51, 0
	v_mov_b32_e32 v52, 0
	s_xor_b32 exec_lo, exec_lo, s11
	s_cbranch_execz .LBB788_34
; %bb.33:
	v_add_co_u32 v15, s10, 0x1000, v65
	v_add_co_ci_u32_e64 v16, null, 0, v66, s10
	v_add_co_u32 v51, s10, 0x1000, v63
	v_add_co_ci_u32_e64 v52, null, 0, v64, s10
	global_load_dwordx2 v[15:16], v[15:16], off
	global_load_dwordx2 v[51:52], v[51:52], off
.LBB788_34:
	s_or_b32 exec_lo, exec_lo, s11
	v_or_b32_e32 v53, 0x240, v69
	v_cmp_gt_i32_e64 s10, s18, v53
	s_and_b32 s11, s17, s10
	s_xor_b32 s11, s11, -1
	s_and_saveexec_b32 s12, s11
	s_xor_b32 s11, exec_lo, s12
; %bb.35:
	s_mov_b32 s12, 0
	v_mov_b32_e32 v13, s12
	v_mov_b32_e32 v14, s12
; %bb.36:
	s_or_saveexec_b32 s12, s11
	v_mov_b32_e32 v53, 0
	v_mov_b32_e32 v54, 0
	s_xor_b32 exec_lo, exec_lo, s12
	s_cbranch_execz .LBB788_38
; %bb.37:
	v_add_co_u32 v13, s11, 0x1000, v65
	v_add_co_ci_u32_e64 v14, null, 0, v66, s11
	v_add_co_u32 v53, s11, 0x1000, v63
	v_add_co_ci_u32_e64 v54, null, 0, v64, s11
	global_load_dwordx2 v[13:14], v[13:14], off offset:512
	global_load_dwordx2 v[53:54], v[53:54], off offset:512
.LBB788_38:
	s_or_b32 exec_lo, exec_lo, s12
	v_or_b32_e32 v55, 0x280, v69
	v_cmp_gt_i32_e64 s11, s18, v55
	s_and_b32 s12, s17, s11
	s_xor_b32 s12, s12, -1
	s_and_saveexec_b32 s13, s12
	s_xor_b32 s12, exec_lo, s13
; %bb.39:
	s_mov_b32 s13, 0
	v_mov_b32_e32 v11, s13
	v_mov_b32_e32 v12, s13
; %bb.40:
	s_or_saveexec_b32 s13, s12
	v_mov_b32_e32 v55, 0
	v_mov_b32_e32 v56, 0
	s_xor_b32 exec_lo, exec_lo, s13
	s_cbranch_execz .LBB788_42
; %bb.41:
	v_add_co_u32 v11, s12, 0x1000, v65
	v_add_co_ci_u32_e64 v12, null, 0, v66, s12
	v_add_co_u32 v55, s12, 0x1000, v63
	v_add_co_ci_u32_e64 v56, null, 0, v64, s12
	global_load_dwordx2 v[11:12], v[11:12], off offset:1024
	global_load_dwordx2 v[55:56], v[55:56], off offset:1024
.LBB788_42:
	;; [unrolled: 25-line block ×3, first 2 shown]
	s_or_b32 exec_lo, exec_lo, s14
	v_or_b32_e32 v61, 0x300, v69
	v_cmp_gt_i32_e64 s13, s18, v61
	s_and_b32 s14, s17, s13
	s_xor_b32 s14, s14, -1
	s_and_saveexec_b32 s15, s14
	s_xor_b32 s14, exec_lo, s15
; %bb.47:
	s_mov_b32 s15, 0
	v_mov_b32_e32 v7, s15
	v_mov_b32_e32 v8, s15
; %bb.48:
	s_or_saveexec_b32 s15, s14
	v_mov_b32_e32 v61, 0
	v_mov_b32_e32 v62, 0
	s_xor_b32 exec_lo, exec_lo, s15
	s_cbranch_execz .LBB788_50
; %bb.49:
	v_add_co_u32 v7, s14, 0x1800, v65
	v_add_co_ci_u32_e64 v8, null, 0, v66, s14
	v_add_co_u32 v61, s14, 0x1800, v63
	v_add_co_ci_u32_e64 v62, null, 0, v64, s14
	global_load_dwordx2 v[7:8], v[7:8], off
	global_load_dwordx2 v[61:62], v[61:62], off
.LBB788_50:
	s_or_b32 exec_lo, exec_lo, s15
	v_or_b32_e32 v67, 0x340, v69
	v_cmp_gt_i32_e64 s14, s18, v67
	s_and_b32 s15, s17, s14
	s_xor_b32 s15, s15, -1
	s_and_saveexec_b32 s16, s15
	s_xor_b32 s15, exec_lo, s16
; %bb.51:
	s_mov_b32 s16, 0
	v_mov_b32_e32 v5, s16
	v_mov_b32_e32 v6, s16
; %bb.52:
	s_or_saveexec_b32 s16, s15
	v_mov_b32_e32 v67, 0
	v_mov_b32_e32 v68, 0
	s_xor_b32 exec_lo, exec_lo, s16
	s_cbranch_execz .LBB788_54
; %bb.53:
	v_add_co_u32 v5, s15, 0x1800, v65
	v_add_co_ci_u32_e64 v6, null, 0, v66, s15
	v_add_co_u32 v67, s15, 0x1800, v63
	v_add_co_ci_u32_e64 v68, null, 0, v64, s15
	global_load_dwordx2 v[5:6], v[5:6], off offset:512
	global_load_dwordx2 v[67:68], v[67:68], off offset:512
.LBB788_54:
	s_or_b32 exec_lo, exec_lo, s16
	v_or_b32_e32 v69, 0x380, v69
	v_cmp_gt_i32_e64 s15, s18, v69
	s_and_b32 s16, s17, s15
	s_xor_b32 s16, s16, -1
	s_and_saveexec_b32 s19, s16
	s_xor_b32 s16, exec_lo, s19
; %bb.55:
	s_mov_b32 s19, 0
	v_mov_b32_e32 v3, s19
	v_mov_b32_e32 v4, s19
; %bb.56:
	s_or_saveexec_b32 s19, s16
	v_mov_b32_e32 v69, 0
	v_mov_b32_e32 v70, 0
	s_xor_b32 exec_lo, exec_lo, s19
	s_cbranch_execz .LBB788_58
; %bb.57:
	v_add_co_u32 v3, s16, 0x1800, v65
	v_add_co_ci_u32_e64 v4, null, 0, v66, s16
	v_add_co_u32 v69, s16, 0x1800, v63
	v_add_co_ci_u32_e64 v70, null, 0, v64, s16
	global_load_dwordx2 v[3:4], v[3:4], off offset:1024
	global_load_dwordx2 v[69:70], v[69:70], off offset:1024
.LBB788_58:
	s_or_b32 exec_lo, exec_lo, s19
	v_or_b32_e32 v0, 0x3c0, v0
	v_cmp_gt_i32_e64 s16, s18, v0
	s_and_b32 s17, s17, s16
	s_xor_b32 s17, s17, -1
	s_and_saveexec_b32 s18, s17
	s_xor_b32 s17, exec_lo, s18
; %bb.59:
	s_mov_b32 s18, 0
                                        ; implicit-def: $vgpr65
                                        ; implicit-def: $vgpr63
	v_mov_b32_e32 v1, s18
	v_mov_b32_e32 v2, s18
; %bb.60:
	s_or_saveexec_b32 s18, s17
	v_mov_b32_e32 v71, 0
	v_mov_b32_e32 v72, 0
	s_xor_b32 exec_lo, exec_lo, s18
	s_cbranch_execz .LBB788_62
; %bb.61:
	v_add_co_u32 v0, s17, 0x1800, v65
	v_add_co_ci_u32_e64 v1, null, 0, v66, s17
	v_add_co_u32 v63, s17, 0x1800, v63
	v_add_co_ci_u32_e64 v64, null, 0, v64, s17
	global_load_dwordx2 v[1:2], v[0:1], off offset:1536
	global_load_dwordx2 v[71:72], v[63:64], off offset:1536
.LBB788_62:
	s_or_b32 exec_lo, exec_lo, s18
	s_load_dwordx2 s[4:5], s[4:5], 0x28
	s_waitcnt vmcnt(1)
	v_add_f64 v[63:64], v[27:28], 0
	s_mov_b32 s17, exec_lo
	s_waitcnt lgkmcnt(0)
	v_add_co_u32 v59, s4, s4, v59
	v_add_co_ci_u32_e64 v60, null, s5, v60, s4
	global_load_ubyte v0, v[59:60], off
	s_waitcnt vmcnt(0)
	v_and_b32_e32 v0, 1, v0
	v_cmp_eq_u32_e64 s4, 1, v0
	global_load_ubyte v0, v[59:60], off offset:64
	v_cndmask_b32_e64 v64, v64, 0, s4
	v_cndmask_b32_e64 v63, v63, 0, s4
	v_add_f64 v[65:66], v[63:64], v[35:36]
	s_waitcnt vmcnt(0)
	v_and_b32_e32 v0, 1, v0
	v_cmp_eq_u32_e64 s5, 1, v0
	global_load_ubyte v0, v[59:60], off offset:128
	v_cndmask_b32_e64 v64, v66, v64, s5
	v_cndmask_b32_e64 v63, v65, v63, s5
	v_add_f64 v[65:66], v[63:64], v[33:34]
	;; [unrolled: 7-line block ×15, first 2 shown]
	s_waitcnt vmcnt(0)
	v_and_b32_e32 v0, 1, v0
	v_cmp_eq_u32_e64 s5, 1, v0
	v_mbcnt_lo_u32_b32 v0, -1, 0
	v_cndmask_b32_e64 v63, v65, v63, s5
	v_or_b32_e32 v65, 32, v0
	v_cndmask_b32_e64 v64, v66, v64, s5
	v_cmp_gt_i32_e64 s5, 64, v65
	v_cndmask_b32_e64 v65, v0, v65, s5
	v_lshlrev_b32_e32 v66, 2, v65
	ds_bpermute_b32 v65, v66, v63
	ds_bpermute_b32 v66, v66, v64
	s_waitcnt lgkmcnt(0)
	v_add_f64 v[63:64], v[63:64], v[65:66]
	v_xor_b32_e32 v65, 16, v0
	v_cmp_gt_i32_e64 s5, 64, v65
	v_cndmask_b32_e64 v65, v0, v65, s5
	v_lshlrev_b32_e32 v66, 2, v65
	ds_bpermute_b32 v65, v66, v63
	ds_bpermute_b32 v66, v66, v64
	s_waitcnt lgkmcnt(0)
	v_add_f64 v[63:64], v[63:64], v[65:66]
	v_xor_b32_e32 v65, 8, v0
	v_cmp_gt_i32_e64 s5, 64, v65
	v_cndmask_b32_e64 v65, v0, v65, s5
	v_lshlrev_b32_e32 v66, 2, v65
	ds_bpermute_b32 v65, v66, v63
	ds_bpermute_b32 v66, v66, v64
	s_waitcnt lgkmcnt(0)
	v_add_f64 v[63:64], v[63:64], v[65:66]
	v_xor_b32_e32 v65, 4, v0
	v_cmp_gt_i32_e64 s5, 64, v65
	v_cndmask_b32_e64 v65, v0, v65, s5
	v_lshlrev_b32_e32 v66, 2, v65
	ds_bpermute_b32 v65, v66, v63
	ds_bpermute_b32 v66, v66, v64
	s_waitcnt lgkmcnt(0)
	v_add_f64 v[63:64], v[63:64], v[65:66]
	v_xor_b32_e32 v65, 2, v0
	v_cmp_gt_i32_e64 s5, 64, v65
	v_cndmask_b32_e64 v65, v0, v65, s5
	v_lshlrev_b32_e32 v66, 2, v65
	ds_bpermute_b32 v65, v66, v63
	ds_bpermute_b32 v66, v66, v64
	s_waitcnt lgkmcnt(0)
	v_add_f64 v[63:64], v[63:64], v[65:66]
	v_xor_b32_e32 v65, 1, v0
	v_cmp_gt_i32_e64 s5, 64, v65
	v_cndmask_b32_e64 v0, v0, v65, s5
	v_lshlrev_b32_e32 v0, 2, v0
	ds_bpermute_b32 v65, v0, v63
	ds_bpermute_b32 v66, v0, v64
	v_cmpx_lt_i32_e32 0, v73
	s_cbranch_execz .LBB788_80
; %bb.63:
	s_waitcnt lgkmcnt(0)
	v_add_f64 v[63:64], v[63:64], v[65:66]
	v_add_co_u32 v23, s5, s20, v23
	v_add_co_ci_u32_e64 v24, null, s21, v24, s5
	s_and_saveexec_b32 s5, vcc_lo
	s_cbranch_execnz .LBB788_81
; %bb.64:
	s_or_b32 exec_lo, exec_lo, s5
	s_and_saveexec_b32 s4, s0
	s_cbranch_execnz .LBB788_82
.LBB788_65:
	s_or_b32 exec_lo, exec_lo, s4
	s_and_saveexec_b32 s0, s1
	s_cbranch_execnz .LBB788_83
.LBB788_66:
	s_or_b32 exec_lo, exec_lo, s0
	s_and_saveexec_b32 s0, s2
	s_cbranch_execnz .LBB788_84
.LBB788_67:
	s_or_b32 exec_lo, exec_lo, s0
	s_and_saveexec_b32 s0, s3
	s_cbranch_execnz .LBB788_85
.LBB788_68:
	s_or_b32 exec_lo, exec_lo, s0
	s_and_saveexec_b32 s0, s6
	s_cbranch_execnz .LBB788_86
.LBB788_69:
	s_or_b32 exec_lo, exec_lo, s0
	s_and_saveexec_b32 s0, s7
	s_cbranch_execnz .LBB788_87
.LBB788_70:
	s_or_b32 exec_lo, exec_lo, s0
	s_and_saveexec_b32 s0, s8
	s_cbranch_execnz .LBB788_88
.LBB788_71:
	s_or_b32 exec_lo, exec_lo, s0
	s_and_saveexec_b32 s0, s9
	s_cbranch_execnz .LBB788_89
.LBB788_72:
	s_or_b32 exec_lo, exec_lo, s0
	s_and_saveexec_b32 s0, s10
	s_cbranch_execnz .LBB788_90
.LBB788_73:
	s_or_b32 exec_lo, exec_lo, s0
	s_and_saveexec_b32 s0, s11
	s_cbranch_execnz .LBB788_91
.LBB788_74:
	s_or_b32 exec_lo, exec_lo, s0
	s_and_saveexec_b32 s0, s12
	s_cbranch_execnz .LBB788_92
.LBB788_75:
	s_or_b32 exec_lo, exec_lo, s0
	s_and_saveexec_b32 s0, s13
	s_cbranch_execnz .LBB788_93
.LBB788_76:
	s_or_b32 exec_lo, exec_lo, s0
	s_and_saveexec_b32 s0, s14
	s_cbranch_execnz .LBB788_94
.LBB788_77:
	s_or_b32 exec_lo, exec_lo, s0
	s_and_saveexec_b32 s0, s15
	s_cbranch_execnz .LBB788_95
.LBB788_78:
	s_or_b32 exec_lo, exec_lo, s0
	s_and_b32 exec_lo, exec_lo, s16
	s_cbranch_execz .LBB788_80
.LBB788_79:
	global_load_ubyte v3, v[59:60], off offset:960
	v_fma_f64 v[0:1], -v[63:64], v[71:72], v[1:2]
	s_waitcnt vmcnt(0)
	v_and_b32_e32 v2, 1, v3
	v_cmp_eq_u32_e32 vcc_lo, 1, v2
	v_cndmask_b32_e64 v1, v1, 0, vcc_lo
	v_cndmask_b32_e64 v0, v0, 0, vcc_lo
	v_add_co_u32 v2, vcc_lo, 0x1800, v23
	v_add_co_ci_u32_e64 v3, null, 0, v24, vcc_lo
	global_store_dwordx2 v[2:3], v[0:1], off offset:1536
.LBB788_80:
	s_endpgm
.LBB788_81:
	v_fma_f64 v[25:26], -v[63:64], v[25:26], v[27:28]
	v_cndmask_b32_e64 v26, v26, 0, s4
	v_cndmask_b32_e64 v25, v25, 0, s4
	global_store_dwordx2 v[23:24], v[25:26], off
	s_or_b32 exec_lo, exec_lo, s5
	s_and_saveexec_b32 s4, s0
	s_cbranch_execz .LBB788_65
.LBB788_82:
	global_load_ubyte v0, v[59:60], off offset:64
	v_fma_f64 v[25:26], -v[63:64], v[37:38], v[35:36]
	s_waitcnt vmcnt(0)
	v_and_b32_e32 v0, 1, v0
	v_cmp_eq_u32_e32 vcc_lo, 1, v0
	v_cndmask_b32_e64 v26, v26, 0, vcc_lo
	v_cndmask_b32_e64 v25, v25, 0, vcc_lo
	global_store_dwordx2 v[23:24], v[25:26], off offset:512
	s_or_b32 exec_lo, exec_lo, s4
	s_and_saveexec_b32 s0, s1
	s_cbranch_execz .LBB788_66
.LBB788_83:
	global_load_ubyte v0, v[59:60], off offset:128
	v_fma_f64 v[25:26], -v[63:64], v[39:40], v[33:34]
	s_waitcnt vmcnt(0)
	v_and_b32_e32 v0, 1, v0
	v_cmp_eq_u32_e32 vcc_lo, 1, v0
	v_cndmask_b32_e64 v26, v26, 0, vcc_lo
	v_cndmask_b32_e64 v25, v25, 0, vcc_lo
	global_store_dwordx2 v[23:24], v[25:26], off offset:1024
	s_or_b32 exec_lo, exec_lo, s0
	s_and_saveexec_b32 s0, s2
	s_cbranch_execz .LBB788_67
.LBB788_84:
	global_load_ubyte v0, v[59:60], off offset:192
	v_fma_f64 v[25:26], -v[63:64], v[41:42], v[31:32]
	s_waitcnt vmcnt(0)
	v_and_b32_e32 v0, 1, v0
	v_cmp_eq_u32_e32 vcc_lo, 1, v0
	v_cndmask_b32_e64 v26, v26, 0, vcc_lo
	v_cndmask_b32_e64 v25, v25, 0, vcc_lo
	global_store_dwordx2 v[23:24], v[25:26], off offset:1536
	s_or_b32 exec_lo, exec_lo, s0
	s_and_saveexec_b32 s0, s3
	s_cbranch_execz .LBB788_68
.LBB788_85:
	global_load_ubyte v0, v[59:60], off offset:256
	v_fma_f64 v[25:26], -v[63:64], v[43:44], v[29:30]
	s_waitcnt vmcnt(0)
	v_and_b32_e32 v0, 1, v0
	v_cmp_eq_u32_e32 vcc_lo, 1, v0
	v_cndmask_b32_e64 v26, v26, 0, vcc_lo
	v_cndmask_b32_e64 v25, v25, 0, vcc_lo
	v_add_co_u32 v27, vcc_lo, 0x800, v23
	v_add_co_ci_u32_e64 v28, null, 0, v24, vcc_lo
	global_store_dwordx2 v[27:28], v[25:26], off
	s_or_b32 exec_lo, exec_lo, s0
	s_and_saveexec_b32 s0, s6
	s_cbranch_execz .LBB788_69
.LBB788_86:
	global_load_ubyte v0, v[59:60], off offset:320
	v_fma_f64 v[21:22], -v[63:64], v[45:46], v[21:22]
	s_waitcnt vmcnt(0)
	v_and_b32_e32 v0, 1, v0
	v_cmp_eq_u32_e32 vcc_lo, 1, v0
	v_cndmask_b32_e64 v22, v22, 0, vcc_lo
	v_cndmask_b32_e64 v21, v21, 0, vcc_lo
	v_add_co_u32 v25, vcc_lo, 0x800, v23
	v_add_co_ci_u32_e64 v26, null, 0, v24, vcc_lo
	global_store_dwordx2 v[25:26], v[21:22], off offset:512
	s_or_b32 exec_lo, exec_lo, s0
	s_and_saveexec_b32 s0, s7
	s_cbranch_execz .LBB788_70
.LBB788_87:
	global_load_ubyte v0, v[59:60], off offset:384
	v_fma_f64 v[19:20], -v[63:64], v[47:48], v[19:20]
	s_waitcnt vmcnt(0)
	v_and_b32_e32 v0, 1, v0
	v_cmp_eq_u32_e32 vcc_lo, 1, v0
	v_cndmask_b32_e64 v20, v20, 0, vcc_lo
	v_cndmask_b32_e64 v19, v19, 0, vcc_lo
	v_add_co_u32 v21, vcc_lo, 0x800, v23
	v_add_co_ci_u32_e64 v22, null, 0, v24, vcc_lo
	global_store_dwordx2 v[21:22], v[19:20], off offset:1024
	s_or_b32 exec_lo, exec_lo, s0
	s_and_saveexec_b32 s0, s8
	s_cbranch_execz .LBB788_71
.LBB788_88:
	global_load_ubyte v0, v[59:60], off offset:448
	v_fma_f64 v[17:18], -v[63:64], v[49:50], v[17:18]
	s_waitcnt vmcnt(0)
	v_and_b32_e32 v0, 1, v0
	v_cmp_eq_u32_e32 vcc_lo, 1, v0
	v_cndmask_b32_e64 v18, v18, 0, vcc_lo
	v_cndmask_b32_e64 v17, v17, 0, vcc_lo
	v_add_co_u32 v19, vcc_lo, 0x800, v23
	v_add_co_ci_u32_e64 v20, null, 0, v24, vcc_lo
	global_store_dwordx2 v[19:20], v[17:18], off offset:1536
	s_or_b32 exec_lo, exec_lo, s0
	s_and_saveexec_b32 s0, s9
	s_cbranch_execz .LBB788_72
.LBB788_89:
	global_load_ubyte v0, v[59:60], off offset:512
	v_fma_f64 v[15:16], -v[63:64], v[51:52], v[15:16]
	s_waitcnt vmcnt(0)
	v_and_b32_e32 v0, 1, v0
	v_cmp_eq_u32_e32 vcc_lo, 1, v0
	v_cndmask_b32_e64 v16, v16, 0, vcc_lo
	v_cndmask_b32_e64 v15, v15, 0, vcc_lo
	v_add_co_u32 v17, vcc_lo, 0x1000, v23
	v_add_co_ci_u32_e64 v18, null, 0, v24, vcc_lo
	global_store_dwordx2 v[17:18], v[15:16], off
	s_or_b32 exec_lo, exec_lo, s0
	s_and_saveexec_b32 s0, s10
	s_cbranch_execz .LBB788_73
.LBB788_90:
	global_load_ubyte v0, v[59:60], off offset:576
	v_fma_f64 v[13:14], -v[63:64], v[53:54], v[13:14]
	s_waitcnt vmcnt(0)
	v_and_b32_e32 v0, 1, v0
	v_cmp_eq_u32_e32 vcc_lo, 1, v0
	v_cndmask_b32_e64 v14, v14, 0, vcc_lo
	v_cndmask_b32_e64 v13, v13, 0, vcc_lo
	v_add_co_u32 v15, vcc_lo, 0x1000, v23
	v_add_co_ci_u32_e64 v16, null, 0, v24, vcc_lo
	global_store_dwordx2 v[15:16], v[13:14], off offset:512
	s_or_b32 exec_lo, exec_lo, s0
	s_and_saveexec_b32 s0, s11
	s_cbranch_execz .LBB788_74
.LBB788_91:
	global_load_ubyte v0, v[59:60], off offset:640
	v_fma_f64 v[11:12], -v[63:64], v[55:56], v[11:12]
	s_waitcnt vmcnt(0)
	v_and_b32_e32 v0, 1, v0
	v_cmp_eq_u32_e32 vcc_lo, 1, v0
	v_cndmask_b32_e64 v12, v12, 0, vcc_lo
	v_cndmask_b32_e64 v11, v11, 0, vcc_lo
	v_add_co_u32 v13, vcc_lo, 0x1000, v23
	v_add_co_ci_u32_e64 v14, null, 0, v24, vcc_lo
	global_store_dwordx2 v[13:14], v[11:12], off offset:1024
	s_or_b32 exec_lo, exec_lo, s0
	s_and_saveexec_b32 s0, s12
	s_cbranch_execz .LBB788_75
.LBB788_92:
	global_load_ubyte v0, v[59:60], off offset:704
	v_fma_f64 v[9:10], -v[63:64], v[57:58], v[9:10]
	s_waitcnt vmcnt(0)
	v_and_b32_e32 v0, 1, v0
	v_cmp_eq_u32_e32 vcc_lo, 1, v0
	v_cndmask_b32_e64 v10, v10, 0, vcc_lo
	v_cndmask_b32_e64 v9, v9, 0, vcc_lo
	v_add_co_u32 v11, vcc_lo, 0x1000, v23
	v_add_co_ci_u32_e64 v12, null, 0, v24, vcc_lo
	global_store_dwordx2 v[11:12], v[9:10], off offset:1536
	s_or_b32 exec_lo, exec_lo, s0
	s_and_saveexec_b32 s0, s13
	s_cbranch_execz .LBB788_76
.LBB788_93:
	global_load_ubyte v0, v[59:60], off offset:768
	v_fma_f64 v[7:8], -v[63:64], v[61:62], v[7:8]
	s_waitcnt vmcnt(0)
	v_and_b32_e32 v0, 1, v0
	v_cmp_eq_u32_e32 vcc_lo, 1, v0
	v_cndmask_b32_e64 v8, v8, 0, vcc_lo
	v_cndmask_b32_e64 v7, v7, 0, vcc_lo
	v_add_co_u32 v9, vcc_lo, 0x1800, v23
	v_add_co_ci_u32_e64 v10, null, 0, v24, vcc_lo
	global_store_dwordx2 v[9:10], v[7:8], off
	s_or_b32 exec_lo, exec_lo, s0
	s_and_saveexec_b32 s0, s14
	s_cbranch_execz .LBB788_77
.LBB788_94:
	global_load_ubyte v0, v[59:60], off offset:832
	v_fma_f64 v[5:6], -v[63:64], v[67:68], v[5:6]
	s_waitcnt vmcnt(0)
	v_and_b32_e32 v0, 1, v0
	v_cmp_eq_u32_e32 vcc_lo, 1, v0
	v_cndmask_b32_e64 v6, v6, 0, vcc_lo
	v_cndmask_b32_e64 v5, v5, 0, vcc_lo
	v_add_co_u32 v7, vcc_lo, 0x1800, v23
	v_add_co_ci_u32_e64 v8, null, 0, v24, vcc_lo
	global_store_dwordx2 v[7:8], v[5:6], off offset:512
	s_or_b32 exec_lo, exec_lo, s0
	s_and_saveexec_b32 s0, s15
	s_cbranch_execz .LBB788_78
.LBB788_95:
	global_load_ubyte v0, v[59:60], off offset:896
	v_fma_f64 v[3:4], -v[63:64], v[69:70], v[3:4]
	s_waitcnt vmcnt(0)
	v_and_b32_e32 v0, 1, v0
	v_cmp_eq_u32_e32 vcc_lo, 1, v0
	v_cndmask_b32_e64 v4, v4, 0, vcc_lo
	v_cndmask_b32_e64 v3, v3, 0, vcc_lo
	v_add_co_u32 v5, vcc_lo, 0x1800, v23
	v_add_co_ci_u32_e64 v6, null, 0, v24, vcc_lo
	global_store_dwordx2 v[5:6], v[3:4], off offset:1024
	s_or_b32 exec_lo, exec_lo, s0
	s_and_b32 exec_lo, exec_lo, s16
	s_cbranch_execnz .LBB788_79
	s_branch .LBB788_80
	.section	.rodata,"a",@progbits
	.p2align	6, 0x0
	.amdhsa_kernel _ZN12_GLOBAL__N_121softmax_warp_backwardIdddLi10ELb0ELb1ELi64EEEvPT0_PKT_S5_iiiPKb
		.amdhsa_group_segment_fixed_size 0
		.amdhsa_private_segment_fixed_size 0
		.amdhsa_kernarg_size 304
		.amdhsa_user_sgpr_count 6
		.amdhsa_user_sgpr_private_segment_buffer 1
		.amdhsa_user_sgpr_dispatch_ptr 0
		.amdhsa_user_sgpr_queue_ptr 0
		.amdhsa_user_sgpr_kernarg_segment_ptr 1
		.amdhsa_user_sgpr_dispatch_id 0
		.amdhsa_user_sgpr_flat_scratch_init 0
		.amdhsa_user_sgpr_private_segment_size 0
		.amdhsa_wavefront_size32 1
		.amdhsa_uses_dynamic_stack 0
		.amdhsa_system_sgpr_private_segment_wavefront_offset 0
		.amdhsa_system_sgpr_workgroup_id_x 1
		.amdhsa_system_sgpr_workgroup_id_y 0
		.amdhsa_system_sgpr_workgroup_id_z 0
		.amdhsa_system_sgpr_workgroup_info 0
		.amdhsa_system_vgpr_workitem_id 1
		.amdhsa_next_free_vgpr 74
		.amdhsa_next_free_sgpr 24
		.amdhsa_reserve_vcc 1
		.amdhsa_reserve_flat_scratch 0
		.amdhsa_float_round_mode_32 0
		.amdhsa_float_round_mode_16_64 0
		.amdhsa_float_denorm_mode_32 3
		.amdhsa_float_denorm_mode_16_64 3
		.amdhsa_dx10_clamp 1
		.amdhsa_ieee_mode 1
		.amdhsa_fp16_overflow 0
		.amdhsa_workgroup_processor_mode 1
		.amdhsa_memory_ordered 1
		.amdhsa_forward_progress 1
		.amdhsa_shared_vgpr_count 0
		.amdhsa_exception_fp_ieee_invalid_op 0
		.amdhsa_exception_fp_denorm_src 0
		.amdhsa_exception_fp_ieee_div_zero 0
		.amdhsa_exception_fp_ieee_overflow 0
		.amdhsa_exception_fp_ieee_underflow 0
		.amdhsa_exception_fp_ieee_inexact 0
		.amdhsa_exception_int_div_zero 0
	.end_amdhsa_kernel
	.section	.text._ZN12_GLOBAL__N_121softmax_warp_backwardIdddLi10ELb0ELb1ELi64EEEvPT0_PKT_S5_iiiPKb,"axG",@progbits,_ZN12_GLOBAL__N_121softmax_warp_backwardIdddLi10ELb0ELb1ELi64EEEvPT0_PKT_S5_iiiPKb,comdat
.Lfunc_end788:
	.size	_ZN12_GLOBAL__N_121softmax_warp_backwardIdddLi10ELb0ELb1ELi64EEEvPT0_PKT_S5_iiiPKb, .Lfunc_end788-_ZN12_GLOBAL__N_121softmax_warp_backwardIdddLi10ELb0ELb1ELi64EEEvPT0_PKT_S5_iiiPKb
                                        ; -- End function
	.set _ZN12_GLOBAL__N_121softmax_warp_backwardIdddLi10ELb0ELb1ELi64EEEvPT0_PKT_S5_iiiPKb.num_vgpr, 74
	.set _ZN12_GLOBAL__N_121softmax_warp_backwardIdddLi10ELb0ELb1ELi64EEEvPT0_PKT_S5_iiiPKb.num_agpr, 0
	.set _ZN12_GLOBAL__N_121softmax_warp_backwardIdddLi10ELb0ELb1ELi64EEEvPT0_PKT_S5_iiiPKb.numbered_sgpr, 24
	.set _ZN12_GLOBAL__N_121softmax_warp_backwardIdddLi10ELb0ELb1ELi64EEEvPT0_PKT_S5_iiiPKb.num_named_barrier, 0
	.set _ZN12_GLOBAL__N_121softmax_warp_backwardIdddLi10ELb0ELb1ELi64EEEvPT0_PKT_S5_iiiPKb.private_seg_size, 0
	.set _ZN12_GLOBAL__N_121softmax_warp_backwardIdddLi10ELb0ELb1ELi64EEEvPT0_PKT_S5_iiiPKb.uses_vcc, 1
	.set _ZN12_GLOBAL__N_121softmax_warp_backwardIdddLi10ELb0ELb1ELi64EEEvPT0_PKT_S5_iiiPKb.uses_flat_scratch, 0
	.set _ZN12_GLOBAL__N_121softmax_warp_backwardIdddLi10ELb0ELb1ELi64EEEvPT0_PKT_S5_iiiPKb.has_dyn_sized_stack, 0
	.set _ZN12_GLOBAL__N_121softmax_warp_backwardIdddLi10ELb0ELb1ELi64EEEvPT0_PKT_S5_iiiPKb.has_recursion, 0
	.set _ZN12_GLOBAL__N_121softmax_warp_backwardIdddLi10ELb0ELb1ELi64EEEvPT0_PKT_S5_iiiPKb.has_indirect_call, 0
	.section	.AMDGPU.csdata,"",@progbits
; Kernel info:
; codeLenInByte = 4488
; TotalNumSgprs: 26
; NumVgprs: 74
; ScratchSize: 0
; MemoryBound: 0
; FloatMode: 240
; IeeeMode: 1
; LDSByteSize: 0 bytes/workgroup (compile time only)
; SGPRBlocks: 0
; VGPRBlocks: 9
; NumSGPRsForWavesPerEU: 26
; NumVGPRsForWavesPerEU: 74
; Occupancy: 12
; WaveLimiterHint : 0
; COMPUTE_PGM_RSRC2:SCRATCH_EN: 0
; COMPUTE_PGM_RSRC2:USER_SGPR: 6
; COMPUTE_PGM_RSRC2:TRAP_HANDLER: 0
; COMPUTE_PGM_RSRC2:TGID_X_EN: 1
; COMPUTE_PGM_RSRC2:TGID_Y_EN: 0
; COMPUTE_PGM_RSRC2:TGID_Z_EN: 0
; COMPUTE_PGM_RSRC2:TIDIG_COMP_CNT: 1
	.section	.text._ZN12_GLOBAL__N_121softmax_warp_backwardIdddLi10ELb0ELb1ELi32EEEvPT0_PKT_S5_iiiPKb,"axG",@progbits,_ZN12_GLOBAL__N_121softmax_warp_backwardIdddLi10ELb0ELb1ELi32EEEvPT0_PKT_S5_iiiPKb,comdat
	.globl	_ZN12_GLOBAL__N_121softmax_warp_backwardIdddLi10ELb0ELb1ELi32EEEvPT0_PKT_S5_iiiPKb ; -- Begin function _ZN12_GLOBAL__N_121softmax_warp_backwardIdddLi10ELb0ELb1ELi32EEEvPT0_PKT_S5_iiiPKb
	.p2align	8
	.type	_ZN12_GLOBAL__N_121softmax_warp_backwardIdddLi10ELb0ELb1ELi32EEEvPT0_PKT_S5_iiiPKb,@function
_ZN12_GLOBAL__N_121softmax_warp_backwardIdddLi10ELb0ELb1ELi32EEEvPT0_PKT_S5_iiiPKb: ; @_ZN12_GLOBAL__N_121softmax_warp_backwardIdddLi10ELb0ELb1ELi32EEEvPT0_PKT_S5_iiiPKb
; %bb.0:
	s_mov_b64 s[74:75], s[2:3]
	s_mov_b64 s[72:73], s[0:1]
	s_clause 0x1
	s_load_dword s0, s[4:5], 0x3c
	s_load_dwordx4 s[36:39], s[4:5], 0x18
	s_add_u32 s72, s72, s7
	s_addc_u32 s73, s73, 0
	v_and_b32_e32 v5, 31, v0
	s_clause 0x1
	s_load_dwordx4 s[68:71], s[4:5], 0x0
	s_load_dwordx2 s[2:3], s[4:5], 0x10
	s_waitcnt lgkmcnt(0)
	s_lshr_b32 s0, s0, 16
	v_cmp_gt_i32_e32 vcc_lo, s38, v5
	v_mad_u64_u32 v[3:4], null, s6, s0, v[1:2]
	v_mov_b32_e32 v1, 0
	v_mov_b32_e32 v2, 0
	v_mad_u64_u32 v[17:18], null, v3, s37, v[5:6]
	v_sub_nc_u32_e32 v127, s36, v3
	v_mov_b32_e32 v3, 0
	v_mov_b32_e32 v6, 0
	;; [unrolled: 1-line block ×4, first 2 shown]
	v_cmp_lt_i32_e64 s34, 0, v127
	v_ashrrev_i32_e32 v18, 31, v17
	buffer_store_dword v6, off, s[72:75], 0 ; 4-byte Folded Spill
	buffer_store_dword v7, off, s[72:75], 0 offset:4 ; 4-byte Folded Spill
	s_and_b32 s1, s34, vcc_lo
	v_lshlrev_b64 v[9:10], 3, v[17:18]
	v_add_co_u32 v25, s0, s70, v9
	v_add_co_ci_u32_e64 v26, null, s71, v10, s0
	v_add_co_u32 v19, s0, s2, v9
	v_add_co_ci_u32_e64 v20, null, s3, v10, s0
	s_and_saveexec_b32 s0, s1
	s_cbranch_execz .LBB789_2
; %bb.1:
	global_load_dwordx2 v[3:4], v[25:26], off
	global_load_dwordx2 v[6:7], v[19:20], off
	s_waitcnt vmcnt(0)
	buffer_store_dword v6, off, s[72:75], 0 ; 4-byte Folded Spill
	buffer_store_dword v7, off, s[72:75], 0 offset:4 ; 4-byte Folded Spill
.LBB789_2:
	s_or_b32 exec_lo, exec_lo, s0
	v_or_b32_e32 v6, 32, v5
	v_cmp_gt_i32_e64 s0, s38, v6
	v_mov_b32_e32 v6, 0
	v_mov_b32_e32 v7, 0
	buffer_store_dword v6, off, s[72:75], 0 offset:8 ; 4-byte Folded Spill
	buffer_store_dword v7, off, s[72:75], 0 offset:12 ; 4-byte Folded Spill
	s_and_b32 s2, s34, s0
	s_and_saveexec_b32 s1, s2
	s_cbranch_execz .LBB789_4
; %bb.3:
	global_load_dwordx2 v[1:2], v[25:26], off offset:256
	global_load_dwordx2 v[6:7], v[19:20], off offset:256
	s_waitcnt vmcnt(0)
	buffer_store_dword v6, off, s[72:75], 0 offset:8 ; 4-byte Folded Spill
	buffer_store_dword v7, off, s[72:75], 0 offset:12 ; 4-byte Folded Spill
.LBB789_4:
	s_or_b32 exec_lo, exec_lo, s1
	v_or_b32_e32 v6, 64, v5
	v_mov_b32_e32 v7, 0
	v_mov_b32_e32 v15, 0
	;; [unrolled: 1-line block ×4, first 2 shown]
	v_cmp_gt_i32_e64 s1, s38, v6
	v_mov_b32_e32 v16, 0
	v_mov_b32_e32 v12, 0
	buffer_store_dword v11, off, s[72:75], 0 offset:16 ; 4-byte Folded Spill
	buffer_store_dword v12, off, s[72:75], 0 offset:20 ; 4-byte Folded Spill
	s_and_b32 s3, s34, s1
	s_and_saveexec_b32 s2, s3
	s_cbranch_execz .LBB789_6
; %bb.5:
	global_load_dwordx2 v[15:16], v[25:26], off offset:512
	global_load_dwordx2 v[11:12], v[19:20], off offset:512
	s_waitcnt vmcnt(0)
	buffer_store_dword v11, off, s[72:75], 0 offset:16 ; 4-byte Folded Spill
	buffer_store_dword v12, off, s[72:75], 0 offset:20 ; 4-byte Folded Spill
.LBB789_6:
	s_or_b32 exec_lo, exec_lo, s2
	v_or_b32_e32 v6, 0x60, v5
	v_mov_b32_e32 v11, 0
	v_mov_b32_e32 v12, 0
	buffer_store_dword v11, off, s[72:75], 0 offset:24 ; 4-byte Folded Spill
	buffer_store_dword v12, off, s[72:75], 0 offset:28 ; 4-byte Folded Spill
	v_cmp_gt_i32_e64 s2, s38, v6
	s_and_b32 s6, s34, s2
	s_and_saveexec_b32 s3, s6
	s_cbranch_execz .LBB789_8
; %bb.7:
	global_load_dwordx2 v[7:8], v[25:26], off offset:768
	global_load_dwordx2 v[11:12], v[19:20], off offset:768
	s_waitcnt vmcnt(0)
	buffer_store_dword v11, off, s[72:75], 0 offset:24 ; 4-byte Folded Spill
	buffer_store_dword v12, off, s[72:75], 0 offset:28 ; 4-byte Folded Spill
.LBB789_8:
	s_or_b32 exec_lo, exec_lo, s3
	v_or_b32_e32 v6, 0x80, v5
	v_mov_b32_e32 v13, 0
	v_mov_b32_e32 v23, 0
	;; [unrolled: 1-line block ×4, first 2 shown]
	v_cmp_gt_i32_e64 s3, s38, v6
	v_mov_b32_e32 v24, 0
	v_mov_b32_e32 v12, 0
	buffer_store_dword v11, off, s[72:75], 0 offset:32 ; 4-byte Folded Spill
	buffer_store_dword v12, off, s[72:75], 0 offset:36 ; 4-byte Folded Spill
	s_and_b32 s7, s34, s3
	s_and_saveexec_b32 s6, s7
	s_cbranch_execz .LBB789_10
; %bb.9:
	global_load_dwordx2 v[23:24], v[25:26], off offset:1024
	global_load_dwordx2 v[11:12], v[19:20], off offset:1024
	s_waitcnt vmcnt(0)
	buffer_store_dword v11, off, s[72:75], 0 offset:32 ; 4-byte Folded Spill
	buffer_store_dword v12, off, s[72:75], 0 offset:36 ; 4-byte Folded Spill
.LBB789_10:
	s_or_b32 exec_lo, exec_lo, s6
	v_or_b32_e32 v6, 0xa0, v5
	v_mov_b32_e32 v27, 0
	v_mov_b32_e32 v28, 0
	v_cmp_gt_i32_e64 s6, s38, v6
	s_and_b32 s8, s34, s6
	s_and_saveexec_b32 s7, s8
	s_cbranch_execz .LBB789_12
; %bb.11:
	global_load_dwordx2 v[13:14], v[25:26], off offset:1280
	global_load_dwordx2 v[27:28], v[19:20], off offset:1280
.LBB789_12:
	s_or_b32 exec_lo, exec_lo, s7
	v_or_b32_e32 v6, 0xc0, v5
	v_mov_b32_e32 v21, 0
	v_mov_b32_e32 v29, 0
	;; [unrolled: 1-line block ×4, first 2 shown]
	v_cmp_gt_i32_e64 s7, s38, v6
	v_mov_b32_e32 v30, 0
	v_mov_b32_e32 v34, 0
	s_and_b32 s9, s34, s7
	s_and_saveexec_b32 s8, s9
	s_cbranch_execz .LBB789_14
; %bb.13:
	global_load_dwordx2 v[29:30], v[25:26], off offset:1536
	global_load_dwordx2 v[33:34], v[19:20], off offset:1536
.LBB789_14:
	s_or_b32 exec_lo, exec_lo, s8
	v_or_b32_e32 v6, 0xe0, v5
	v_mov_b32_e32 v35, 0
	v_mov_b32_e32 v36, 0
	v_cmp_gt_i32_e64 s8, s38, v6
	s_and_b32 s10, s34, s8
	s_and_saveexec_b32 s9, s10
	s_cbranch_execz .LBB789_16
; %bb.15:
	global_load_dwordx2 v[21:22], v[25:26], off offset:1792
	global_load_dwordx2 v[35:36], v[19:20], off offset:1792
.LBB789_16:
	s_or_b32 exec_lo, exec_lo, s9
	v_or_b32_e32 v6, 0x100, v5
	v_mov_b32_e32 v31, 0
	v_mov_b32_e32 v37, 0
	;; [unrolled: 1-line block ×4, first 2 shown]
	v_cmp_gt_i32_e64 s9, s38, v6
	v_mov_b32_e32 v38, 0
	v_mov_b32_e32 v40, 0
	s_and_b32 s10, s34, s9
	s_and_saveexec_b32 s11, s10
	s_cbranch_execz .LBB789_18
; %bb.17:
	v_add_co_u32 v11, s10, 0x800, v25
	v_add_co_ci_u32_e64 v12, null, 0, v26, s10
	v_add_co_u32 v39, s10, 0x800, v19
	v_add_co_ci_u32_e64 v40, null, 0, v20, s10
	global_load_dwordx2 v[37:38], v[11:12], off
	global_load_dwordx2 v[39:40], v[39:40], off
.LBB789_18:
	s_or_b32 exec_lo, exec_lo, s11
	v_or_b32_e32 v6, 0x120, v5
	v_mov_b32_e32 v43, 0
	v_mov_b32_e32 v44, 0
	v_cmp_gt_i32_e64 s10, s38, v6
	s_and_b32 s11, s34, s10
	s_and_saveexec_b32 s12, s11
	s_cbranch_execz .LBB789_20
; %bb.19:
	v_add_co_u32 v11, s11, 0x800, v25
	v_add_co_ci_u32_e64 v12, null, 0, v26, s11
	v_add_co_u32 v41, s11, 0x800, v19
	v_add_co_ci_u32_e64 v42, null, 0, v20, s11
	global_load_dwordx2 v[31:32], v[11:12], off offset:256
	global_load_dwordx2 v[43:44], v[41:42], off offset:256
.LBB789_20:
	s_or_b32 exec_lo, exec_lo, s12
	v_or_b32_e32 v6, 0x140, v5
	v_mov_b32_e32 v41, 0
	v_mov_b32_e32 v45, 0
	v_mov_b32_e32 v47, 0
	v_mov_b32_e32 v42, 0
	v_cmp_gt_i32_e64 s11, s38, v6
	v_mov_b32_e32 v46, 0
	v_mov_b32_e32 v48, 0
	s_and_b32 s12, s34, s11
	s_and_saveexec_b32 s13, s12
	s_cbranch_execz .LBB789_22
; %bb.21:
	v_add_co_u32 v11, s12, 0x800, v25
	v_add_co_ci_u32_e64 v12, null, 0, v26, s12
	v_add_co_u32 v47, s12, 0x800, v19
	v_add_co_ci_u32_e64 v48, null, 0, v20, s12
	global_load_dwordx2 v[45:46], v[11:12], off offset:512
	global_load_dwordx2 v[47:48], v[47:48], off offset:512
.LBB789_22:
	s_or_b32 exec_lo, exec_lo, s13
	v_or_b32_e32 v6, 0x160, v5
	v_mov_b32_e32 v51, 0
	v_mov_b32_e32 v52, 0
	v_cmp_gt_i32_e64 s12, s38, v6
	s_and_b32 s13, s34, s12
	s_and_saveexec_b32 s14, s13
	s_cbranch_execz .LBB789_24
; %bb.23:
	v_add_co_u32 v11, s13, 0x800, v25
	v_add_co_ci_u32_e64 v12, null, 0, v26, s13
	v_add_co_u32 v49, s13, 0x800, v19
	v_add_co_ci_u32_e64 v50, null, 0, v20, s13
	global_load_dwordx2 v[41:42], v[11:12], off offset:768
	global_load_dwordx2 v[51:52], v[49:50], off offset:768
.LBB789_24:
	s_or_b32 exec_lo, exec_lo, s14
	v_or_b32_e32 v6, 0x180, v5
	v_mov_b32_e32 v49, 0
	v_mov_b32_e32 v53, 0
	v_mov_b32_e32 v55, 0
	v_mov_b32_e32 v50, 0
	v_cmp_gt_i32_e64 s13, s38, v6
	v_mov_b32_e32 v54, 0
	v_mov_b32_e32 v56, 0
	s_and_b32 s14, s34, s13
	s_and_saveexec_b32 s15, s14
	s_cbranch_execz .LBB789_26
; %bb.25:
	v_add_co_u32 v11, s14, 0x800, v25
	v_add_co_ci_u32_e64 v12, null, 0, v26, s14
	v_add_co_u32 v55, s14, 0x800, v19
	v_add_co_ci_u32_e64 v56, null, 0, v20, s14
	global_load_dwordx2 v[53:54], v[11:12], off offset:1024
	global_load_dwordx2 v[55:56], v[55:56], off offset:1024
.LBB789_26:
	;; [unrolled: 36-line block ×3, first 2 shown]
	s_or_b32 exec_lo, exec_lo, s17
	v_or_b32_e32 v6, 0x1e0, v5
	v_mov_b32_e32 v67, 0
	v_mov_b32_e32 v68, 0
	v_cmp_gt_i32_e64 s16, s38, v6
	s_and_b32 s17, s34, s16
	s_and_saveexec_b32 s18, s17
	s_cbranch_execz .LBB789_32
; %bb.31:
	v_add_co_u32 v11, s17, 0x800, v25
	v_add_co_ci_u32_e64 v12, null, 0, v26, s17
	v_add_co_u32 v65, s17, 0x800, v19
	v_add_co_ci_u32_e64 v66, null, 0, v20, s17
	global_load_dwordx2 v[57:58], v[11:12], off offset:1792
	global_load_dwordx2 v[67:68], v[65:66], off offset:1792
.LBB789_32:
	s_or_b32 exec_lo, exec_lo, s18
	v_or_b32_e32 v6, 0x200, v5
	v_mov_b32_e32 v65, 0
	v_mov_b32_e32 v69, 0
	v_mov_b32_e32 v71, 0
	v_mov_b32_e32 v66, 0
	v_cmp_gt_i32_e64 s17, s38, v6
	v_mov_b32_e32 v70, 0
	v_mov_b32_e32 v72, 0
	s_and_b32 s18, s34, s17
	s_and_saveexec_b32 s19, s18
	s_cbranch_execz .LBB789_34
; %bb.33:
	v_add_co_u32 v11, s18, 0x1000, v25
	v_add_co_ci_u32_e64 v12, null, 0, v26, s18
	v_add_co_u32 v71, s18, 0x1000, v19
	v_add_co_ci_u32_e64 v72, null, 0, v20, s18
	global_load_dwordx2 v[69:70], v[11:12], off
	global_load_dwordx2 v[71:72], v[71:72], off
.LBB789_34:
	s_or_b32 exec_lo, exec_lo, s19
	v_or_b32_e32 v6, 0x220, v5
	v_mov_b32_e32 v75, 0
	v_mov_b32_e32 v76, 0
	v_cmp_gt_i32_e64 s18, s38, v6
	s_and_b32 s19, s34, s18
	s_and_saveexec_b32 s20, s19
	s_cbranch_execz .LBB789_36
; %bb.35:
	v_add_co_u32 v11, s19, 0x1000, v25
	v_add_co_ci_u32_e64 v12, null, 0, v26, s19
	v_add_co_u32 v73, s19, 0x1000, v19
	v_add_co_ci_u32_e64 v74, null, 0, v20, s19
	global_load_dwordx2 v[65:66], v[11:12], off offset:256
	global_load_dwordx2 v[75:76], v[73:74], off offset:256
.LBB789_36:
	s_or_b32 exec_lo, exec_lo, s20
	v_or_b32_e32 v6, 0x240, v5
	v_mov_b32_e32 v73, 0
	v_mov_b32_e32 v77, 0
	v_mov_b32_e32 v79, 0
	v_mov_b32_e32 v74, 0
	v_cmp_gt_i32_e64 s19, s38, v6
	v_mov_b32_e32 v78, 0
	v_mov_b32_e32 v80, 0
	s_and_b32 s20, s34, s19
	s_and_saveexec_b32 s21, s20
	s_cbranch_execz .LBB789_38
; %bb.37:
	v_add_co_u32 v11, s20, 0x1000, v25
	v_add_co_ci_u32_e64 v12, null, 0, v26, s20
	v_add_co_u32 v79, s20, 0x1000, v19
	v_add_co_ci_u32_e64 v80, null, 0, v20, s20
	global_load_dwordx2 v[77:78], v[11:12], off offset:512
	global_load_dwordx2 v[79:80], v[79:80], off offset:512
.LBB789_38:
	s_or_b32 exec_lo, exec_lo, s21
	v_or_b32_e32 v6, 0x260, v5
	v_mov_b32_e32 v83, 0
	v_mov_b32_e32 v84, 0
	v_cmp_gt_i32_e64 s20, s38, v6
	s_and_b32 s21, s34, s20
	s_and_saveexec_b32 s22, s21
	s_cbranch_execz .LBB789_40
; %bb.39:
	v_add_co_u32 v11, s21, 0x1000, v25
	v_add_co_ci_u32_e64 v12, null, 0, v26, s21
	v_add_co_u32 v81, s21, 0x1000, v19
	v_add_co_ci_u32_e64 v82, null, 0, v20, s21
	global_load_dwordx2 v[73:74], v[11:12], off offset:768
	global_load_dwordx2 v[83:84], v[81:82], off offset:768
.LBB789_40:
	s_or_b32 exec_lo, exec_lo, s22
	v_or_b32_e32 v6, 0x280, v5
	v_mov_b32_e32 v81, 0
	v_mov_b32_e32 v85, 0
	v_mov_b32_e32 v87, 0
	v_mov_b32_e32 v82, 0
	v_cmp_gt_i32_e64 s21, s38, v6
	v_mov_b32_e32 v86, 0
	v_mov_b32_e32 v88, 0
	s_and_b32 s22, s34, s21
	s_and_saveexec_b32 s23, s22
	s_cbranch_execz .LBB789_42
; %bb.41:
	v_add_co_u32 v11, s22, 0x1000, v25
	v_add_co_ci_u32_e64 v12, null, 0, v26, s22
	v_add_co_u32 v87, s22, 0x1000, v19
	v_add_co_ci_u32_e64 v88, null, 0, v20, s22
	global_load_dwordx2 v[85:86], v[11:12], off offset:1024
	global_load_dwordx2 v[87:88], v[87:88], off offset:1024
.LBB789_42:
	;; [unrolled: 36-line block ×3, first 2 shown]
	s_or_b32 exec_lo, exec_lo, s25
	v_or_b32_e32 v6, 0x2e0, v5
	v_mov_b32_e32 v99, 0
	v_mov_b32_e32 v100, 0
	v_cmp_gt_i32_e64 s24, s38, v6
	s_and_b32 s25, s34, s24
	s_and_saveexec_b32 s26, s25
	s_cbranch_execz .LBB789_48
; %bb.47:
	v_add_co_u32 v11, s25, 0x1000, v25
	v_add_co_ci_u32_e64 v12, null, 0, v26, s25
	v_add_co_u32 v97, s25, 0x1000, v19
	v_add_co_ci_u32_e64 v98, null, 0, v20, s25
	global_load_dwordx2 v[89:90], v[11:12], off offset:1792
	global_load_dwordx2 v[99:100], v[97:98], off offset:1792
.LBB789_48:
	s_or_b32 exec_lo, exec_lo, s26
	v_or_b32_e32 v6, 0x300, v5
	v_mov_b32_e32 v97, 0
	v_mov_b32_e32 v101, 0
	;; [unrolled: 1-line block ×4, first 2 shown]
	v_cmp_gt_i32_e64 s25, s38, v6
	v_mov_b32_e32 v102, 0
	v_mov_b32_e32 v104, 0
	s_and_b32 s26, s34, s25
	s_and_saveexec_b32 s27, s26
	s_cbranch_execz .LBB789_50
; %bb.49:
	v_add_co_u32 v11, s26, 0x1800, v25
	v_add_co_ci_u32_e64 v12, null, 0, v26, s26
	v_add_co_u32 v103, s26, 0x1800, v19
	v_add_co_ci_u32_e64 v104, null, 0, v20, s26
	global_load_dwordx2 v[101:102], v[11:12], off
	global_load_dwordx2 v[103:104], v[103:104], off
.LBB789_50:
	s_or_b32 exec_lo, exec_lo, s27
	v_or_b32_e32 v6, 0x320, v5
	v_mov_b32_e32 v107, 0
	v_mov_b32_e32 v108, 0
	v_cmp_gt_i32_e64 s26, s38, v6
	s_and_b32 s27, s34, s26
	s_and_saveexec_b32 s28, s27
	s_cbranch_execz .LBB789_52
; %bb.51:
	v_add_co_u32 v11, s27, 0x1800, v25
	v_add_co_ci_u32_e64 v12, null, 0, v26, s27
	v_add_co_u32 v105, s27, 0x1800, v19
	v_add_co_ci_u32_e64 v106, null, 0, v20, s27
	global_load_dwordx2 v[97:98], v[11:12], off offset:256
	global_load_dwordx2 v[107:108], v[105:106], off offset:256
.LBB789_52:
	s_or_b32 exec_lo, exec_lo, s28
	v_or_b32_e32 v6, 0x340, v5
	v_mov_b32_e32 v105, 0
	v_mov_b32_e32 v109, 0
	v_mov_b32_e32 v111, 0
	v_mov_b32_e32 v106, 0
	v_cmp_gt_i32_e64 s27, s38, v6
	v_mov_b32_e32 v110, 0
	v_mov_b32_e32 v112, 0
	s_and_b32 s28, s34, s27
	s_and_saveexec_b32 s29, s28
	s_cbranch_execz .LBB789_54
; %bb.53:
	v_add_co_u32 v11, s28, 0x1800, v25
	v_add_co_ci_u32_e64 v12, null, 0, v26, s28
	v_add_co_u32 v111, s28, 0x1800, v19
	v_add_co_ci_u32_e64 v112, null, 0, v20, s28
	global_load_dwordx2 v[109:110], v[11:12], off offset:512
	global_load_dwordx2 v[111:112], v[111:112], off offset:512
.LBB789_54:
	s_or_b32 exec_lo, exec_lo, s29
	v_or_b32_e32 v6, 0x360, v5
	v_mov_b32_e32 v115, 0
	v_mov_b32_e32 v116, 0
	v_cmp_gt_i32_e64 s28, s38, v6
	s_and_b32 s29, s34, s28
	s_and_saveexec_b32 s30, s29
	s_cbranch_execz .LBB789_56
; %bb.55:
	v_add_co_u32 v11, s29, 0x1800, v25
	v_add_co_ci_u32_e64 v12, null, 0, v26, s29
	v_add_co_u32 v113, s29, 0x1800, v19
	v_add_co_ci_u32_e64 v114, null, 0, v20, s29
	global_load_dwordx2 v[105:106], v[11:12], off offset:768
	global_load_dwordx2 v[115:116], v[113:114], off offset:768
.LBB789_56:
	s_or_b32 exec_lo, exec_lo, s30
	v_or_b32_e32 v6, 0x380, v5
	v_mov_b32_e32 v113, 0
	v_mov_b32_e32 v117, 0
	v_mov_b32_e32 v119, 0
	v_mov_b32_e32 v114, 0
	v_cmp_gt_i32_e64 s29, s38, v6
	v_mov_b32_e32 v118, 0
	v_mov_b32_e32 v120, 0
	s_and_b32 s30, s34, s29
	s_and_saveexec_b32 s31, s30
	s_cbranch_execz .LBB789_58
; %bb.57:
	v_add_co_u32 v11, s30, 0x1800, v25
	v_add_co_ci_u32_e64 v12, null, 0, v26, s30
	v_add_co_u32 v119, s30, 0x1800, v19
	v_add_co_ci_u32_e64 v120, null, 0, v20, s30
	global_load_dwordx2 v[117:118], v[11:12], off offset:1024
	global_load_dwordx2 v[119:120], v[119:120], off offset:1024
.LBB789_58:
	;; [unrolled: 36-line block ×3, first 2 shown]
	s_or_b32 exec_lo, exec_lo, s35
	v_or_b32_e32 v0, 0x3e0, v0
	v_mov_b32_e32 v11, 0
	v_mov_b32_e32 v12, 0
	v_cmp_gt_i32_e64 s33, s38, v0
	s_and_b32 s34, s34, s33
	s_and_saveexec_b32 s35, s34
	s_cbranch_execz .LBB789_64
; %bb.63:
	v_add_co_u32 v11, s34, 0x1800, v25
	v_add_co_ci_u32_e64 v12, null, 0, v26, s34
	v_add_co_u32 v19, s34, 0x1800, v19
	v_add_co_ci_u32_e64 v20, null, 0, v20, s34
	global_load_dwordx2 v[121:122], v[11:12], off offset:1792
	global_load_dwordx2 v[11:12], v[19:20], off offset:1792
.LBB789_64:
	s_or_b32 exec_lo, exec_lo, s35
	s_load_dwordx2 s[4:5], s[4:5], 0x28
	v_add_f64 v[19:20], v[3:4], 0
	s_mov_b32 s65, exec_lo
	s_waitcnt lgkmcnt(0)
	v_add_co_u32 v17, s4, s4, v17
	v_add_co_ci_u32_e64 v18, null, s5, v18, s4
	global_load_ubyte v0, v[17:18], off
	s_waitcnt vmcnt(0)
	v_and_b32_e32 v0, 1, v0
	v_cmp_eq_u32_e64 s4, 1, v0
	global_load_ubyte v0, v[17:18], off offset:32
	v_cndmask_b32_e64 v20, v20, 0, s4
	v_cndmask_b32_e64 v19, v19, 0, s4
	v_add_f64 v[25:26], v[19:20], v[1:2]
	s_waitcnt vmcnt(0)
	v_and_b32_e32 v0, 1, v0
	v_cmp_eq_u32_e64 s5, 1, v0
	global_load_ubyte v0, v[17:18], off offset:64
	v_cndmask_b32_e64 v20, v26, v20, s5
	v_cndmask_b32_e64 v19, v25, v19, s5
	v_add_f64 v[25:26], v[19:20], v[15:16]
	;; [unrolled: 7-line block ×31, first 2 shown]
	s_waitcnt vmcnt(0)
	v_and_b32_e32 v0, 1, v0
	v_cmp_eq_u32_e64 s63, 1, v0
	v_mbcnt_lo_u32_b32 v0, -1, 0
	v_cndmask_b32_e64 v17, v17, v19, s63
	v_xor_b32_e32 v19, 16, v0
	v_cndmask_b32_e64 v18, v18, v20, s63
	v_cmp_gt_i32_e64 s64, 32, v19
	v_cndmask_b32_e64 v19, v0, v19, s64
	v_lshlrev_b32_e32 v20, 2, v19
	ds_bpermute_b32 v19, v20, v17
	ds_bpermute_b32 v20, v20, v18
	s_waitcnt lgkmcnt(0)
	v_add_f64 v[17:18], v[17:18], v[19:20]
	v_xor_b32_e32 v19, 8, v0
	v_cmp_gt_i32_e64 s64, 32, v19
	v_cndmask_b32_e64 v19, v0, v19, s64
	v_lshlrev_b32_e32 v20, 2, v19
	ds_bpermute_b32 v19, v20, v17
	ds_bpermute_b32 v20, v20, v18
	s_waitcnt lgkmcnt(0)
	v_add_f64 v[17:18], v[17:18], v[19:20]
	v_xor_b32_e32 v19, 4, v0
	;; [unrolled: 8-line block ×4, first 2 shown]
	v_cmp_gt_i32_e64 s64, 32, v19
	v_cndmask_b32_e64 v0, v0, v19, s64
	v_lshlrev_b32_e32 v0, 2, v0
	ds_bpermute_b32 v19, v0, v17
	ds_bpermute_b32 v20, v0, v18
	v_cmpx_lt_i32_e32 0, v127
	s_cbranch_execz .LBB789_98
; %bb.65:
	s_waitcnt lgkmcnt(0)
	v_add_f64 v[17:18], v[17:18], v[19:20]
	v_add_co_u32 v9, s64, s68, v9
	v_add_co_ci_u32_e64 v10, null, s69, v10, s64
	s_and_saveexec_b32 s64, vcc_lo
	s_cbranch_execnz .LBB789_99
; %bb.66:
	s_or_b32 exec_lo, exec_lo, s64
	s_and_saveexec_b32 s4, s0
	s_cbranch_execnz .LBB789_100
.LBB789_67:
	s_or_b32 exec_lo, exec_lo, s4
	s_and_saveexec_b32 s0, s1
	s_cbranch_execnz .LBB789_101
.LBB789_68:
	s_or_b32 exec_lo, exec_lo, s0
	s_and_saveexec_b32 s0, s2
	s_cbranch_execnz .LBB789_102
.LBB789_69:
	s_or_b32 exec_lo, exec_lo, s0
	s_and_saveexec_b32 s0, s3
	s_cbranch_execnz .LBB789_103
.LBB789_70:
	s_or_b32 exec_lo, exec_lo, s0
	s_and_saveexec_b32 s0, s6
	s_cbranch_execnz .LBB789_104
.LBB789_71:
	s_or_b32 exec_lo, exec_lo, s0
	s_and_saveexec_b32 s0, s7
	s_cbranch_execnz .LBB789_105
.LBB789_72:
	s_or_b32 exec_lo, exec_lo, s0
	s_and_saveexec_b32 s0, s8
	s_cbranch_execnz .LBB789_106
.LBB789_73:
	s_or_b32 exec_lo, exec_lo, s0
	s_and_saveexec_b32 s0, s9
	s_cbranch_execnz .LBB789_107
.LBB789_74:
	s_or_b32 exec_lo, exec_lo, s0
	s_and_saveexec_b32 s0, s10
	s_cbranch_execnz .LBB789_108
.LBB789_75:
	s_or_b32 exec_lo, exec_lo, s0
	s_and_saveexec_b32 s0, s11
	s_cbranch_execnz .LBB789_109
.LBB789_76:
	s_or_b32 exec_lo, exec_lo, s0
	s_and_saveexec_b32 s0, s12
	s_cbranch_execnz .LBB789_110
.LBB789_77:
	s_or_b32 exec_lo, exec_lo, s0
	s_and_saveexec_b32 s0, s13
	s_cbranch_execnz .LBB789_111
.LBB789_78:
	s_or_b32 exec_lo, exec_lo, s0
	s_and_saveexec_b32 s0, s14
	s_cbranch_execnz .LBB789_112
.LBB789_79:
	s_or_b32 exec_lo, exec_lo, s0
	s_and_saveexec_b32 s0, s15
	s_cbranch_execnz .LBB789_113
.LBB789_80:
	s_or_b32 exec_lo, exec_lo, s0
	s_and_saveexec_b32 s0, s16
	s_cbranch_execnz .LBB789_114
.LBB789_81:
	s_or_b32 exec_lo, exec_lo, s0
	s_and_saveexec_b32 s0, s17
	s_cbranch_execnz .LBB789_115
.LBB789_82:
	s_or_b32 exec_lo, exec_lo, s0
	s_and_saveexec_b32 s0, s18
	s_cbranch_execnz .LBB789_116
.LBB789_83:
	s_or_b32 exec_lo, exec_lo, s0
	s_and_saveexec_b32 s0, s19
	s_cbranch_execnz .LBB789_117
.LBB789_84:
	s_or_b32 exec_lo, exec_lo, s0
	s_and_saveexec_b32 s0, s20
	s_cbranch_execnz .LBB789_118
.LBB789_85:
	s_or_b32 exec_lo, exec_lo, s0
	s_and_saveexec_b32 s0, s21
	s_cbranch_execnz .LBB789_119
.LBB789_86:
	s_or_b32 exec_lo, exec_lo, s0
	s_and_saveexec_b32 s0, s22
	s_cbranch_execnz .LBB789_120
.LBB789_87:
	s_or_b32 exec_lo, exec_lo, s0
	s_and_saveexec_b32 s0, s23
	s_cbranch_execnz .LBB789_121
.LBB789_88:
	s_or_b32 exec_lo, exec_lo, s0
	s_and_saveexec_b32 s0, s24
	s_cbranch_execnz .LBB789_122
.LBB789_89:
	s_or_b32 exec_lo, exec_lo, s0
	s_and_saveexec_b32 s0, s25
	s_cbranch_execnz .LBB789_123
.LBB789_90:
	s_or_b32 exec_lo, exec_lo, s0
	s_and_saveexec_b32 s0, s26
	s_cbranch_execnz .LBB789_124
.LBB789_91:
	s_or_b32 exec_lo, exec_lo, s0
	s_and_saveexec_b32 s0, s27
	s_cbranch_execnz .LBB789_125
.LBB789_92:
	s_or_b32 exec_lo, exec_lo, s0
	s_and_saveexec_b32 s0, s28
	s_cbranch_execnz .LBB789_126
.LBB789_93:
	s_or_b32 exec_lo, exec_lo, s0
	s_and_saveexec_b32 s0, s29
	s_cbranch_execnz .LBB789_127
.LBB789_94:
	s_or_b32 exec_lo, exec_lo, s0
	s_and_saveexec_b32 s0, s30
	s_cbranch_execnz .LBB789_128
.LBB789_95:
	s_or_b32 exec_lo, exec_lo, s0
	s_and_saveexec_b32 s0, s31
	s_cbranch_execnz .LBB789_129
.LBB789_96:
	s_or_b32 exec_lo, exec_lo, s0
	s_and_b32 exec_lo, exec_lo, s33
	s_cbranch_execz .LBB789_98
.LBB789_97:
	v_fma_f64 v[0:1], -v[17:18], v[11:12], v[121:122]
	v_add_co_u32 v2, vcc_lo, 0x1800, v9
	v_add_co_ci_u32_e64 v3, null, 0, v10, vcc_lo
	v_cndmask_b32_e64 v1, v1, 0, s63
	v_cndmask_b32_e64 v0, v0, 0, s63
	global_store_dwordx2 v[2:3], v[0:1], off offset:1792
.LBB789_98:
	s_endpgm
.LBB789_99:
	s_clause 0x1
	buffer_load_dword v19, off, s[72:75], 0
	buffer_load_dword v20, off, s[72:75], 0 offset:4
	s_waitcnt vmcnt(0)
	v_fma_f64 v[3:4], -v[17:18], v[19:20], v[3:4]
	v_cndmask_b32_e64 v4, v4, 0, s4
	v_cndmask_b32_e64 v3, v3, 0, s4
	global_store_dwordx2 v[9:10], v[3:4], off
	s_or_b32 exec_lo, exec_lo, s64
	s_and_saveexec_b32 s4, s0
	s_cbranch_execz .LBB789_67
.LBB789_100:
	s_clause 0x1
	buffer_load_dword v3, off, s[72:75], 0 offset:8
	buffer_load_dword v4, off, s[72:75], 0 offset:12
	s_waitcnt vmcnt(0)
	v_fma_f64 v[0:1], -v[17:18], v[3:4], v[1:2]
	v_cndmask_b32_e64 v1, v1, 0, s5
	v_cndmask_b32_e64 v0, v0, 0, s5
	global_store_dwordx2 v[9:10], v[0:1], off offset:256
	s_or_b32 exec_lo, exec_lo, s4
	s_and_saveexec_b32 s0, s1
	s_cbranch_execz .LBB789_68
.LBB789_101:
	s_clause 0x1
	buffer_load_dword v0, off, s[72:75], 0 offset:16
	buffer_load_dword v1, off, s[72:75], 0 offset:20
	s_waitcnt vmcnt(0)
	v_fma_f64 v[0:1], -v[17:18], v[0:1], v[15:16]
	v_cndmask_b32_e64 v1, v1, 0, s34
	v_cndmask_b32_e64 v0, v0, 0, s34
	global_store_dwordx2 v[9:10], v[0:1], off offset:512
	s_or_b32 exec_lo, exec_lo, s0
	s_and_saveexec_b32 s0, s2
	s_cbranch_execz .LBB789_69
.LBB789_102:
	s_clause 0x1
	buffer_load_dword v0, off, s[72:75], 0 offset:24
	buffer_load_dword v1, off, s[72:75], 0 offset:28
	s_waitcnt vmcnt(0)
	v_fma_f64 v[0:1], -v[17:18], v[0:1], v[7:8]
	v_cndmask_b32_e64 v1, v1, 0, s35
	v_cndmask_b32_e64 v0, v0, 0, s35
	global_store_dwordx2 v[9:10], v[0:1], off offset:768
	s_or_b32 exec_lo, exec_lo, s0
	s_and_saveexec_b32 s0, s3
	s_cbranch_execz .LBB789_70
.LBB789_103:
	s_clause 0x1
	buffer_load_dword v0, off, s[72:75], 0 offset:32
	buffer_load_dword v1, off, s[72:75], 0 offset:36
	s_waitcnt vmcnt(0)
	v_fma_f64 v[0:1], -v[17:18], v[0:1], v[23:24]
	v_cndmask_b32_e64 v1, v1, 0, s36
	v_cndmask_b32_e64 v0, v0, 0, s36
	global_store_dwordx2 v[9:10], v[0:1], off offset:1024
	s_or_b32 exec_lo, exec_lo, s0
	s_and_saveexec_b32 s0, s6
	s_cbranch_execz .LBB789_71
.LBB789_104:
	v_fma_f64 v[0:1], -v[17:18], v[27:28], v[13:14]
	v_cndmask_b32_e64 v1, v1, 0, s37
	v_cndmask_b32_e64 v0, v0, 0, s37
	global_store_dwordx2 v[9:10], v[0:1], off offset:1280
	s_or_b32 exec_lo, exec_lo, s0
	s_and_saveexec_b32 s0, s7
	s_cbranch_execz .LBB789_72
.LBB789_105:
	v_fma_f64 v[0:1], -v[17:18], v[33:34], v[29:30]
	v_cndmask_b32_e64 v1, v1, 0, s38
	v_cndmask_b32_e64 v0, v0, 0, s38
	global_store_dwordx2 v[9:10], v[0:1], off offset:1536
	s_or_b32 exec_lo, exec_lo, s0
	s_and_saveexec_b32 s0, s8
	s_cbranch_execz .LBB789_73
.LBB789_106:
	v_fma_f64 v[0:1], -v[17:18], v[35:36], v[21:22]
	v_cndmask_b32_e64 v1, v1, 0, s39
	v_cndmask_b32_e64 v0, v0, 0, s39
	global_store_dwordx2 v[9:10], v[0:1], off offset:1792
	s_or_b32 exec_lo, exec_lo, s0
	s_and_saveexec_b32 s0, s9
	s_cbranch_execz .LBB789_74
.LBB789_107:
	v_fma_f64 v[0:1], -v[17:18], v[39:40], v[37:38]
	v_add_co_u32 v2, vcc_lo, 0x800, v9
	v_add_co_ci_u32_e64 v3, null, 0, v10, vcc_lo
	v_cndmask_b32_e64 v1, v1, 0, s40
	v_cndmask_b32_e64 v0, v0, 0, s40
	global_store_dwordx2 v[2:3], v[0:1], off
	s_or_b32 exec_lo, exec_lo, s0
	s_and_saveexec_b32 s0, s10
	s_cbranch_execz .LBB789_75
.LBB789_108:
	v_fma_f64 v[0:1], -v[17:18], v[43:44], v[31:32]
	v_add_co_u32 v2, vcc_lo, 0x800, v9
	v_add_co_ci_u32_e64 v3, null, 0, v10, vcc_lo
	v_cndmask_b32_e64 v1, v1, 0, s41
	v_cndmask_b32_e64 v0, v0, 0, s41
	global_store_dwordx2 v[2:3], v[0:1], off offset:256
	s_or_b32 exec_lo, exec_lo, s0
	s_and_saveexec_b32 s0, s11
	s_cbranch_execz .LBB789_76
.LBB789_109:
	v_fma_f64 v[0:1], -v[17:18], v[47:48], v[45:46]
	v_add_co_u32 v2, vcc_lo, 0x800, v9
	v_add_co_ci_u32_e64 v3, null, 0, v10, vcc_lo
	v_cndmask_b32_e64 v1, v1, 0, s42
	v_cndmask_b32_e64 v0, v0, 0, s42
	global_store_dwordx2 v[2:3], v[0:1], off offset:512
	s_or_b32 exec_lo, exec_lo, s0
	s_and_saveexec_b32 s0, s12
	s_cbranch_execz .LBB789_77
.LBB789_110:
	v_fma_f64 v[0:1], -v[17:18], v[51:52], v[41:42]
	v_add_co_u32 v2, vcc_lo, 0x800, v9
	v_add_co_ci_u32_e64 v3, null, 0, v10, vcc_lo
	v_cndmask_b32_e64 v1, v1, 0, s43
	v_cndmask_b32_e64 v0, v0, 0, s43
	global_store_dwordx2 v[2:3], v[0:1], off offset:768
	s_or_b32 exec_lo, exec_lo, s0
	s_and_saveexec_b32 s0, s13
	s_cbranch_execz .LBB789_78
.LBB789_111:
	v_fma_f64 v[0:1], -v[17:18], v[55:56], v[53:54]
	v_add_co_u32 v2, vcc_lo, 0x800, v9
	v_add_co_ci_u32_e64 v3, null, 0, v10, vcc_lo
	v_cndmask_b32_e64 v1, v1, 0, s44
	v_cndmask_b32_e64 v0, v0, 0, s44
	global_store_dwordx2 v[2:3], v[0:1], off offset:1024
	s_or_b32 exec_lo, exec_lo, s0
	s_and_saveexec_b32 s0, s14
	s_cbranch_execz .LBB789_79
.LBB789_112:
	v_fma_f64 v[0:1], -v[17:18], v[59:60], v[49:50]
	v_add_co_u32 v2, vcc_lo, 0x800, v9
	v_add_co_ci_u32_e64 v3, null, 0, v10, vcc_lo
	v_cndmask_b32_e64 v1, v1, 0, s45
	v_cndmask_b32_e64 v0, v0, 0, s45
	global_store_dwordx2 v[2:3], v[0:1], off offset:1280
	s_or_b32 exec_lo, exec_lo, s0
	s_and_saveexec_b32 s0, s15
	s_cbranch_execz .LBB789_80
.LBB789_113:
	v_fma_f64 v[0:1], -v[17:18], v[63:64], v[61:62]
	v_add_co_u32 v2, vcc_lo, 0x800, v9
	v_add_co_ci_u32_e64 v3, null, 0, v10, vcc_lo
	v_cndmask_b32_e64 v1, v1, 0, s46
	v_cndmask_b32_e64 v0, v0, 0, s46
	global_store_dwordx2 v[2:3], v[0:1], off offset:1536
	s_or_b32 exec_lo, exec_lo, s0
	s_and_saveexec_b32 s0, s16
	s_cbranch_execz .LBB789_81
.LBB789_114:
	v_fma_f64 v[0:1], -v[17:18], v[67:68], v[57:58]
	v_add_co_u32 v2, vcc_lo, 0x800, v9
	v_add_co_ci_u32_e64 v3, null, 0, v10, vcc_lo
	v_cndmask_b32_e64 v1, v1, 0, s47
	v_cndmask_b32_e64 v0, v0, 0, s47
	global_store_dwordx2 v[2:3], v[0:1], off offset:1792
	s_or_b32 exec_lo, exec_lo, s0
	s_and_saveexec_b32 s0, s17
	s_cbranch_execz .LBB789_82
.LBB789_115:
	v_fma_f64 v[0:1], -v[17:18], v[71:72], v[69:70]
	v_add_co_u32 v2, vcc_lo, 0x1000, v9
	v_add_co_ci_u32_e64 v3, null, 0, v10, vcc_lo
	v_cndmask_b32_e64 v1, v1, 0, s48
	v_cndmask_b32_e64 v0, v0, 0, s48
	global_store_dwordx2 v[2:3], v[0:1], off
	s_or_b32 exec_lo, exec_lo, s0
	s_and_saveexec_b32 s0, s18
	s_cbranch_execz .LBB789_83
.LBB789_116:
	v_fma_f64 v[0:1], -v[17:18], v[75:76], v[65:66]
	v_add_co_u32 v2, vcc_lo, 0x1000, v9
	v_add_co_ci_u32_e64 v3, null, 0, v10, vcc_lo
	v_cndmask_b32_e64 v1, v1, 0, s49
	v_cndmask_b32_e64 v0, v0, 0, s49
	global_store_dwordx2 v[2:3], v[0:1], off offset:256
	s_or_b32 exec_lo, exec_lo, s0
	s_and_saveexec_b32 s0, s19
	s_cbranch_execz .LBB789_84
.LBB789_117:
	v_fma_f64 v[0:1], -v[17:18], v[79:80], v[77:78]
	v_add_co_u32 v2, vcc_lo, 0x1000, v9
	v_add_co_ci_u32_e64 v3, null, 0, v10, vcc_lo
	v_cndmask_b32_e64 v1, v1, 0, s50
	v_cndmask_b32_e64 v0, v0, 0, s50
	global_store_dwordx2 v[2:3], v[0:1], off offset:512
	s_or_b32 exec_lo, exec_lo, s0
	s_and_saveexec_b32 s0, s20
	s_cbranch_execz .LBB789_85
.LBB789_118:
	v_fma_f64 v[0:1], -v[17:18], v[83:84], v[73:74]
	v_add_co_u32 v2, vcc_lo, 0x1000, v9
	v_add_co_ci_u32_e64 v3, null, 0, v10, vcc_lo
	v_cndmask_b32_e64 v1, v1, 0, s51
	v_cndmask_b32_e64 v0, v0, 0, s51
	global_store_dwordx2 v[2:3], v[0:1], off offset:768
	s_or_b32 exec_lo, exec_lo, s0
	s_and_saveexec_b32 s0, s21
	s_cbranch_execz .LBB789_86
.LBB789_119:
	v_fma_f64 v[0:1], -v[17:18], v[87:88], v[85:86]
	v_add_co_u32 v2, vcc_lo, 0x1000, v9
	v_add_co_ci_u32_e64 v3, null, 0, v10, vcc_lo
	v_cndmask_b32_e64 v1, v1, 0, s52
	v_cndmask_b32_e64 v0, v0, 0, s52
	global_store_dwordx2 v[2:3], v[0:1], off offset:1024
	s_or_b32 exec_lo, exec_lo, s0
	s_and_saveexec_b32 s0, s22
	s_cbranch_execz .LBB789_87
.LBB789_120:
	v_fma_f64 v[0:1], -v[17:18], v[91:92], v[81:82]
	v_add_co_u32 v2, vcc_lo, 0x1000, v9
	v_add_co_ci_u32_e64 v3, null, 0, v10, vcc_lo
	v_cndmask_b32_e64 v1, v1, 0, s53
	v_cndmask_b32_e64 v0, v0, 0, s53
	global_store_dwordx2 v[2:3], v[0:1], off offset:1280
	s_or_b32 exec_lo, exec_lo, s0
	s_and_saveexec_b32 s0, s23
	s_cbranch_execz .LBB789_88
.LBB789_121:
	v_fma_f64 v[0:1], -v[17:18], v[95:96], v[93:94]
	v_add_co_u32 v2, vcc_lo, 0x1000, v9
	v_add_co_ci_u32_e64 v3, null, 0, v10, vcc_lo
	v_cndmask_b32_e64 v1, v1, 0, s54
	v_cndmask_b32_e64 v0, v0, 0, s54
	global_store_dwordx2 v[2:3], v[0:1], off offset:1536
	s_or_b32 exec_lo, exec_lo, s0
	s_and_saveexec_b32 s0, s24
	s_cbranch_execz .LBB789_89
.LBB789_122:
	v_fma_f64 v[0:1], -v[17:18], v[99:100], v[89:90]
	v_add_co_u32 v2, vcc_lo, 0x1000, v9
	v_add_co_ci_u32_e64 v3, null, 0, v10, vcc_lo
	v_cndmask_b32_e64 v1, v1, 0, s55
	v_cndmask_b32_e64 v0, v0, 0, s55
	global_store_dwordx2 v[2:3], v[0:1], off offset:1792
	s_or_b32 exec_lo, exec_lo, s0
	s_and_saveexec_b32 s0, s25
	s_cbranch_execz .LBB789_90
.LBB789_123:
	v_fma_f64 v[0:1], -v[17:18], v[103:104], v[101:102]
	v_add_co_u32 v2, vcc_lo, 0x1800, v9
	v_add_co_ci_u32_e64 v3, null, 0, v10, vcc_lo
	v_cndmask_b32_e64 v1, v1, 0, s56
	v_cndmask_b32_e64 v0, v0, 0, s56
	global_store_dwordx2 v[2:3], v[0:1], off
	s_or_b32 exec_lo, exec_lo, s0
	s_and_saveexec_b32 s0, s26
	s_cbranch_execz .LBB789_91
.LBB789_124:
	v_fma_f64 v[0:1], -v[17:18], v[107:108], v[97:98]
	v_add_co_u32 v2, vcc_lo, 0x1800, v9
	v_add_co_ci_u32_e64 v3, null, 0, v10, vcc_lo
	v_cndmask_b32_e64 v1, v1, 0, s57
	v_cndmask_b32_e64 v0, v0, 0, s57
	global_store_dwordx2 v[2:3], v[0:1], off offset:256
	s_or_b32 exec_lo, exec_lo, s0
	s_and_saveexec_b32 s0, s27
	s_cbranch_execz .LBB789_92
.LBB789_125:
	v_fma_f64 v[0:1], -v[17:18], v[111:112], v[109:110]
	v_add_co_u32 v2, vcc_lo, 0x1800, v9
	v_add_co_ci_u32_e64 v3, null, 0, v10, vcc_lo
	v_cndmask_b32_e64 v1, v1, 0, s58
	v_cndmask_b32_e64 v0, v0, 0, s58
	global_store_dwordx2 v[2:3], v[0:1], off offset:512
	s_or_b32 exec_lo, exec_lo, s0
	s_and_saveexec_b32 s0, s28
	s_cbranch_execz .LBB789_93
.LBB789_126:
	v_fma_f64 v[0:1], -v[17:18], v[115:116], v[105:106]
	v_add_co_u32 v2, vcc_lo, 0x1800, v9
	v_add_co_ci_u32_e64 v3, null, 0, v10, vcc_lo
	v_cndmask_b32_e64 v1, v1, 0, s59
	v_cndmask_b32_e64 v0, v0, 0, s59
	global_store_dwordx2 v[2:3], v[0:1], off offset:768
	s_or_b32 exec_lo, exec_lo, s0
	s_and_saveexec_b32 s0, s29
	s_cbranch_execz .LBB789_94
.LBB789_127:
	v_fma_f64 v[0:1], -v[17:18], v[119:120], v[117:118]
	v_add_co_u32 v2, vcc_lo, 0x1800, v9
	v_add_co_ci_u32_e64 v3, null, 0, v10, vcc_lo
	v_cndmask_b32_e64 v1, v1, 0, s60
	v_cndmask_b32_e64 v0, v0, 0, s60
	global_store_dwordx2 v[2:3], v[0:1], off offset:1024
	s_or_b32 exec_lo, exec_lo, s0
	s_and_saveexec_b32 s0, s30
	s_cbranch_execz .LBB789_95
.LBB789_128:
	v_fma_f64 v[0:1], -v[17:18], v[123:124], v[113:114]
	v_add_co_u32 v2, vcc_lo, 0x1800, v9
	v_add_co_ci_u32_e64 v3, null, 0, v10, vcc_lo
	v_cndmask_b32_e64 v1, v1, 0, s61
	v_cndmask_b32_e64 v0, v0, 0, s61
	global_store_dwordx2 v[2:3], v[0:1], off offset:1280
	s_or_b32 exec_lo, exec_lo, s0
	s_and_saveexec_b32 s0, s31
	s_cbranch_execz .LBB789_96
.LBB789_129:
	v_fma_f64 v[0:1], -v[17:18], v[5:6], v[125:126]
	v_add_co_u32 v2, vcc_lo, 0x1800, v9
	v_add_co_ci_u32_e64 v3, null, 0, v10, vcc_lo
	v_cndmask_b32_e64 v1, v1, 0, s62
	v_cndmask_b32_e64 v0, v0, 0, s62
	global_store_dwordx2 v[2:3], v[0:1], off offset:1536
	s_or_b32 exec_lo, exec_lo, s0
	s_and_b32 exec_lo, exec_lo, s33
	s_cbranch_execnz .LBB789_97
	s_branch .LBB789_98
	.section	.rodata,"a",@progbits
	.p2align	6, 0x0
	.amdhsa_kernel _ZN12_GLOBAL__N_121softmax_warp_backwardIdddLi10ELb0ELb1ELi32EEEvPT0_PKT_S5_iiiPKb
		.amdhsa_group_segment_fixed_size 0
		.amdhsa_private_segment_fixed_size 44
		.amdhsa_kernarg_size 304
		.amdhsa_user_sgpr_count 6
		.amdhsa_user_sgpr_private_segment_buffer 1
		.amdhsa_user_sgpr_dispatch_ptr 0
		.amdhsa_user_sgpr_queue_ptr 0
		.amdhsa_user_sgpr_kernarg_segment_ptr 1
		.amdhsa_user_sgpr_dispatch_id 0
		.amdhsa_user_sgpr_flat_scratch_init 0
		.amdhsa_user_sgpr_private_segment_size 0
		.amdhsa_wavefront_size32 1
		.amdhsa_uses_dynamic_stack 0
		.amdhsa_system_sgpr_private_segment_wavefront_offset 1
		.amdhsa_system_sgpr_workgroup_id_x 1
		.amdhsa_system_sgpr_workgroup_id_y 0
		.amdhsa_system_sgpr_workgroup_id_z 0
		.amdhsa_system_sgpr_workgroup_info 0
		.amdhsa_system_vgpr_workitem_id 1
		.amdhsa_next_free_vgpr 128
		.amdhsa_next_free_sgpr 76
		.amdhsa_reserve_vcc 1
		.amdhsa_reserve_flat_scratch 0
		.amdhsa_float_round_mode_32 0
		.amdhsa_float_round_mode_16_64 0
		.amdhsa_float_denorm_mode_32 3
		.amdhsa_float_denorm_mode_16_64 3
		.amdhsa_dx10_clamp 1
		.amdhsa_ieee_mode 1
		.amdhsa_fp16_overflow 0
		.amdhsa_workgroup_processor_mode 1
		.amdhsa_memory_ordered 1
		.amdhsa_forward_progress 1
		.amdhsa_shared_vgpr_count 0
		.amdhsa_exception_fp_ieee_invalid_op 0
		.amdhsa_exception_fp_denorm_src 0
		.amdhsa_exception_fp_ieee_div_zero 0
		.amdhsa_exception_fp_ieee_overflow 0
		.amdhsa_exception_fp_ieee_underflow 0
		.amdhsa_exception_fp_ieee_inexact 0
		.amdhsa_exception_int_div_zero 0
	.end_amdhsa_kernel
	.section	.text._ZN12_GLOBAL__N_121softmax_warp_backwardIdddLi10ELb0ELb1ELi32EEEvPT0_PKT_S5_iiiPKb,"axG",@progbits,_ZN12_GLOBAL__N_121softmax_warp_backwardIdddLi10ELb0ELb1ELi32EEEvPT0_PKT_S5_iiiPKb,comdat
.Lfunc_end789:
	.size	_ZN12_GLOBAL__N_121softmax_warp_backwardIdddLi10ELb0ELb1ELi32EEEvPT0_PKT_S5_iiiPKb, .Lfunc_end789-_ZN12_GLOBAL__N_121softmax_warp_backwardIdddLi10ELb0ELb1ELi32EEEvPT0_PKT_S5_iiiPKb
                                        ; -- End function
	.set _ZN12_GLOBAL__N_121softmax_warp_backwardIdddLi10ELb0ELb1ELi32EEEvPT0_PKT_S5_iiiPKb.num_vgpr, 128
	.set _ZN12_GLOBAL__N_121softmax_warp_backwardIdddLi10ELb0ELb1ELi32EEEvPT0_PKT_S5_iiiPKb.num_agpr, 0
	.set _ZN12_GLOBAL__N_121softmax_warp_backwardIdddLi10ELb0ELb1ELi32EEEvPT0_PKT_S5_iiiPKb.numbered_sgpr, 76
	.set _ZN12_GLOBAL__N_121softmax_warp_backwardIdddLi10ELb0ELb1ELi32EEEvPT0_PKT_S5_iiiPKb.num_named_barrier, 0
	.set _ZN12_GLOBAL__N_121softmax_warp_backwardIdddLi10ELb0ELb1ELi32EEEvPT0_PKT_S5_iiiPKb.private_seg_size, 44
	.set _ZN12_GLOBAL__N_121softmax_warp_backwardIdddLi10ELb0ELb1ELi32EEEvPT0_PKT_S5_iiiPKb.uses_vcc, 1
	.set _ZN12_GLOBAL__N_121softmax_warp_backwardIdddLi10ELb0ELb1ELi32EEEvPT0_PKT_S5_iiiPKb.uses_flat_scratch, 0
	.set _ZN12_GLOBAL__N_121softmax_warp_backwardIdddLi10ELb0ELb1ELi32EEEvPT0_PKT_S5_iiiPKb.has_dyn_sized_stack, 0
	.set _ZN12_GLOBAL__N_121softmax_warp_backwardIdddLi10ELb0ELb1ELi32EEEvPT0_PKT_S5_iiiPKb.has_recursion, 0
	.set _ZN12_GLOBAL__N_121softmax_warp_backwardIdddLi10ELb0ELb1ELi32EEEvPT0_PKT_S5_iiiPKb.has_indirect_call, 0
	.section	.AMDGPU.csdata,"",@progbits
; Kernel info:
; codeLenInByte = 7552
; TotalNumSgprs: 78
; NumVgprs: 128
; ScratchSize: 44
; MemoryBound: 0
; FloatMode: 240
; IeeeMode: 1
; LDSByteSize: 0 bytes/workgroup (compile time only)
; SGPRBlocks: 0
; VGPRBlocks: 15
; NumSGPRsForWavesPerEU: 78
; NumVGPRsForWavesPerEU: 128
; Occupancy: 8
; WaveLimiterHint : 0
; COMPUTE_PGM_RSRC2:SCRATCH_EN: 1
; COMPUTE_PGM_RSRC2:USER_SGPR: 6
; COMPUTE_PGM_RSRC2:TRAP_HANDLER: 0
; COMPUTE_PGM_RSRC2:TGID_X_EN: 1
; COMPUTE_PGM_RSRC2:TGID_Y_EN: 0
; COMPUTE_PGM_RSRC2:TGID_Z_EN: 0
; COMPUTE_PGM_RSRC2:TIDIG_COMP_CNT: 1
	.section	.text._ZN12_GLOBAL__N_121softmax_warp_backwardIfffLi0ELb0ELb1ELi64EEEvPT0_PKT_S5_iiiPKb,"axG",@progbits,_ZN12_GLOBAL__N_121softmax_warp_backwardIfffLi0ELb0ELb1ELi64EEEvPT0_PKT_S5_iiiPKb,comdat
	.globl	_ZN12_GLOBAL__N_121softmax_warp_backwardIfffLi0ELb0ELb1ELi64EEEvPT0_PKT_S5_iiiPKb ; -- Begin function _ZN12_GLOBAL__N_121softmax_warp_backwardIfffLi0ELb0ELb1ELi64EEEvPT0_PKT_S5_iiiPKb
	.p2align	8
	.type	_ZN12_GLOBAL__N_121softmax_warp_backwardIfffLi0ELb0ELb1ELi64EEEvPT0_PKT_S5_iiiPKb,@function
_ZN12_GLOBAL__N_121softmax_warp_backwardIfffLi0ELb0ELb1ELi64EEEvPT0_PKT_S5_iiiPKb: ; @_ZN12_GLOBAL__N_121softmax_warp_backwardIfffLi0ELb0ELb1ELi64EEEvPT0_PKT_S5_iiiPKb
; %bb.0:
	s_clause 0x2
	s_load_dword s7, s[4:5], 0x3c
	s_load_dwordx4 s[0:3], s[4:5], 0x18
	s_load_dwordx4 s[8:11], s[4:5], 0x0
	v_mov_b32_e32 v9, 0
	v_mov_b32_e32 v10, 0
	s_waitcnt lgkmcnt(0)
	s_lshr_b32 s3, s7, 16
	s_and_b32 s3, s3, 0xffff
	s_cmp_gt_i32 s2, 0
	s_mul_i32 s6, s6, s3
	v_add_lshl_u32 v0, s6, v1, 1
	s_load_dwordx2 s[6:7], s[4:5], 0x10
	v_mul_lo_u32 v2, v0, s1
	v_sub_nc_u32_e32 v8, s0, v0
	v_cmp_lt_i32_e32 vcc_lo, 0, v8
	v_ashrrev_i32_e32 v3, 31, v2
	v_lshlrev_b64 v[0:1], 2, v[2:3]
	v_add_co_u32 v6, s0, s10, v0
	v_add_co_ci_u32_e64 v7, null, s11, v1, s0
	s_waitcnt lgkmcnt(0)
	v_add_co_u32 v4, s0, s6, v0
	v_add_co_ci_u32_e64 v5, null, s7, v1, s0
	s_cselect_b32 s6, -1, 0
	s_and_b32 s1, s6, vcc_lo
	s_and_saveexec_b32 s0, s1
	s_cbranch_execz .LBB790_2
; %bb.1:
	global_load_dword v10, v[6:7], off
	global_load_dword v9, v[4:5], off
.LBB790_2:
	s_or_b32 exec_lo, exec_lo, s0
	v_cmp_gt_i32_e64 s0, 2, v8
	s_xor_b32 s1, s6, -1
	s_or_b32 s0, s1, s0
	s_and_saveexec_b32 s1, s0
	s_xor_b32 s0, exec_lo, s1
                                        ; implicit-def: $vgpr11
	s_cbranch_execnz .LBB790_6
; %bb.3:
	s_or_saveexec_b32 s1, s0
	v_mov_b32_e32 v12, 0
	s_xor_b32 exec_lo, exec_lo, s1
	s_cbranch_execnz .LBB790_7
.LBB790_4:
	s_or_b32 exec_lo, exec_lo, s1
	s_and_saveexec_b32 s0, vcc_lo
	s_cbranch_execnz .LBB790_8
.LBB790_5:
	s_endpgm
.LBB790_6:
	v_mov_b32_e32 v11, 0
                                        ; implicit-def: $vgpr4
                                        ; implicit-def: $vgpr6
	s_or_saveexec_b32 s1, s0
	v_mov_b32_e32 v12, 0
	s_xor_b32 exec_lo, exec_lo, s1
	s_cbranch_execz .LBB790_4
.LBB790_7:
	s_mov_b32 s3, 0
	s_lshl_b64 s[10:11], s[2:3], 2
	v_add_co_u32 v6, s0, v6, s10
	v_add_co_ci_u32_e64 v7, null, s11, v7, s0
	v_add_co_u32 v4, s0, v4, s10
	v_add_co_ci_u32_e64 v5, null, s11, v5, s0
	global_load_dword v11, v[6:7], off
	global_load_dword v12, v[4:5], off
	s_or_b32 exec_lo, exec_lo, s1
	s_and_saveexec_b32 s0, vcc_lo
	s_cbranch_execz .LBB790_5
.LBB790_8:
	s_load_dwordx2 s[0:1], s[4:5], 0x28
	s_waitcnt vmcnt(1)
	v_add_f32_e32 v6, 0, v11
	s_waitcnt lgkmcnt(0)
	v_add_co_u32 v2, vcc_lo, s0, v2
	v_add_co_ci_u32_e64 v3, null, s1, v3, vcc_lo
	s_ashr_i32 s0, s2, 31
	v_add_co_u32 v4, vcc_lo, v2, s2
	v_add_co_ci_u32_e64 v5, null, s0, v3, vcc_lo
	v_add_co_u32 v0, vcc_lo, s8, v0
	s_clause 0x1
	global_load_ubyte v2, v[2:3], off
	global_load_ubyte v3, v[4:5], off
	v_add_f32_e32 v4, 0, v10
	v_add_co_ci_u32_e64 v1, null, s9, v1, vcc_lo
	s_andn2_b32 vcc_lo, exec_lo, s6
	s_waitcnt vmcnt(1)
	v_and_b32_e32 v2, 1, v2
	s_waitcnt vmcnt(0)
	v_and_b32_e32 v5, 1, v3
	v_cmp_eq_u32_e64 s1, 1, v2
	v_cmp_eq_u32_e64 s0, 1, v5
	v_cndmask_b32_e64 v3, v4, 0, s1
	v_cndmask_b32_e64 v2, v6, 0, s0
	s_cbranch_vccnz .LBB790_10
; %bb.9:
	v_fma_f32 v3, -v9, v3, v10
	v_cndmask_b32_e64 v3, v3, 0, s1
	global_store_dword v[0:1], v3, off
.LBB790_10:
	v_cmp_ne_u32_e32 vcc_lo, 1, v8
	s_and_b32 s1, vcc_lo, s6
	s_and_b32 exec_lo, exec_lo, s1
	s_cbranch_execz .LBB790_5
; %bb.11:
	s_mov_b32 s3, 0
	v_fma_f32 v2, -v12, v2, v11
	s_lshl_b64 s[2:3], s[2:3], 2
	v_add_co_u32 v0, vcc_lo, v0, s2
	v_add_co_ci_u32_e64 v1, null, s3, v1, vcc_lo
	v_cndmask_b32_e64 v2, v2, 0, s0
	global_store_dword v[0:1], v2, off
	s_endpgm
	.section	.rodata,"a",@progbits
	.p2align	6, 0x0
	.amdhsa_kernel _ZN12_GLOBAL__N_121softmax_warp_backwardIfffLi0ELb0ELb1ELi64EEEvPT0_PKT_S5_iiiPKb
		.amdhsa_group_segment_fixed_size 0
		.amdhsa_private_segment_fixed_size 0
		.amdhsa_kernarg_size 304
		.amdhsa_user_sgpr_count 6
		.amdhsa_user_sgpr_private_segment_buffer 1
		.amdhsa_user_sgpr_dispatch_ptr 0
		.amdhsa_user_sgpr_queue_ptr 0
		.amdhsa_user_sgpr_kernarg_segment_ptr 1
		.amdhsa_user_sgpr_dispatch_id 0
		.amdhsa_user_sgpr_flat_scratch_init 0
		.amdhsa_user_sgpr_private_segment_size 0
		.amdhsa_wavefront_size32 1
		.amdhsa_uses_dynamic_stack 0
		.amdhsa_system_sgpr_private_segment_wavefront_offset 0
		.amdhsa_system_sgpr_workgroup_id_x 1
		.amdhsa_system_sgpr_workgroup_id_y 0
		.amdhsa_system_sgpr_workgroup_id_z 0
		.amdhsa_system_sgpr_workgroup_info 0
		.amdhsa_system_vgpr_workitem_id 1
		.amdhsa_next_free_vgpr 13
		.amdhsa_next_free_sgpr 12
		.amdhsa_reserve_vcc 1
		.amdhsa_reserve_flat_scratch 0
		.amdhsa_float_round_mode_32 0
		.amdhsa_float_round_mode_16_64 0
		.amdhsa_float_denorm_mode_32 3
		.amdhsa_float_denorm_mode_16_64 3
		.amdhsa_dx10_clamp 1
		.amdhsa_ieee_mode 1
		.amdhsa_fp16_overflow 0
		.amdhsa_workgroup_processor_mode 1
		.amdhsa_memory_ordered 1
		.amdhsa_forward_progress 1
		.amdhsa_shared_vgpr_count 0
		.amdhsa_exception_fp_ieee_invalid_op 0
		.amdhsa_exception_fp_denorm_src 0
		.amdhsa_exception_fp_ieee_div_zero 0
		.amdhsa_exception_fp_ieee_overflow 0
		.amdhsa_exception_fp_ieee_underflow 0
		.amdhsa_exception_fp_ieee_inexact 0
		.amdhsa_exception_int_div_zero 0
	.end_amdhsa_kernel
	.section	.text._ZN12_GLOBAL__N_121softmax_warp_backwardIfffLi0ELb0ELb1ELi64EEEvPT0_PKT_S5_iiiPKb,"axG",@progbits,_ZN12_GLOBAL__N_121softmax_warp_backwardIfffLi0ELb0ELb1ELi64EEEvPT0_PKT_S5_iiiPKb,comdat
.Lfunc_end790:
	.size	_ZN12_GLOBAL__N_121softmax_warp_backwardIfffLi0ELb0ELb1ELi64EEEvPT0_PKT_S5_iiiPKb, .Lfunc_end790-_ZN12_GLOBAL__N_121softmax_warp_backwardIfffLi0ELb0ELb1ELi64EEEvPT0_PKT_S5_iiiPKb
                                        ; -- End function
	.set _ZN12_GLOBAL__N_121softmax_warp_backwardIfffLi0ELb0ELb1ELi64EEEvPT0_PKT_S5_iiiPKb.num_vgpr, 13
	.set _ZN12_GLOBAL__N_121softmax_warp_backwardIfffLi0ELb0ELb1ELi64EEEvPT0_PKT_S5_iiiPKb.num_agpr, 0
	.set _ZN12_GLOBAL__N_121softmax_warp_backwardIfffLi0ELb0ELb1ELi64EEEvPT0_PKT_S5_iiiPKb.numbered_sgpr, 12
	.set _ZN12_GLOBAL__N_121softmax_warp_backwardIfffLi0ELb0ELb1ELi64EEEvPT0_PKT_S5_iiiPKb.num_named_barrier, 0
	.set _ZN12_GLOBAL__N_121softmax_warp_backwardIfffLi0ELb0ELb1ELi64EEEvPT0_PKT_S5_iiiPKb.private_seg_size, 0
	.set _ZN12_GLOBAL__N_121softmax_warp_backwardIfffLi0ELb0ELb1ELi64EEEvPT0_PKT_S5_iiiPKb.uses_vcc, 1
	.set _ZN12_GLOBAL__N_121softmax_warp_backwardIfffLi0ELb0ELb1ELi64EEEvPT0_PKT_S5_iiiPKb.uses_flat_scratch, 0
	.set _ZN12_GLOBAL__N_121softmax_warp_backwardIfffLi0ELb0ELb1ELi64EEEvPT0_PKT_S5_iiiPKb.has_dyn_sized_stack, 0
	.set _ZN12_GLOBAL__N_121softmax_warp_backwardIfffLi0ELb0ELb1ELi64EEEvPT0_PKT_S5_iiiPKb.has_recursion, 0
	.set _ZN12_GLOBAL__N_121softmax_warp_backwardIfffLi0ELb0ELb1ELi64EEEvPT0_PKT_S5_iiiPKb.has_indirect_call, 0
	.section	.AMDGPU.csdata,"",@progbits
; Kernel info:
; codeLenInByte = 568
; TotalNumSgprs: 14
; NumVgprs: 13
; ScratchSize: 0
; MemoryBound: 0
; FloatMode: 240
; IeeeMode: 1
; LDSByteSize: 0 bytes/workgroup (compile time only)
; SGPRBlocks: 0
; VGPRBlocks: 1
; NumSGPRsForWavesPerEU: 14
; NumVGPRsForWavesPerEU: 13
; Occupancy: 16
; WaveLimiterHint : 0
; COMPUTE_PGM_RSRC2:SCRATCH_EN: 0
; COMPUTE_PGM_RSRC2:USER_SGPR: 6
; COMPUTE_PGM_RSRC2:TRAP_HANDLER: 0
; COMPUTE_PGM_RSRC2:TGID_X_EN: 1
; COMPUTE_PGM_RSRC2:TGID_Y_EN: 0
; COMPUTE_PGM_RSRC2:TGID_Z_EN: 0
; COMPUTE_PGM_RSRC2:TIDIG_COMP_CNT: 1
	.section	.text._ZN12_GLOBAL__N_121softmax_warp_backwardIfffLi0ELb0ELb1ELi32EEEvPT0_PKT_S5_iiiPKb,"axG",@progbits,_ZN12_GLOBAL__N_121softmax_warp_backwardIfffLi0ELb0ELb1ELi32EEEvPT0_PKT_S5_iiiPKb,comdat
	.globl	_ZN12_GLOBAL__N_121softmax_warp_backwardIfffLi0ELb0ELb1ELi32EEEvPT0_PKT_S5_iiiPKb ; -- Begin function _ZN12_GLOBAL__N_121softmax_warp_backwardIfffLi0ELb0ELb1ELi32EEEvPT0_PKT_S5_iiiPKb
	.p2align	8
	.type	_ZN12_GLOBAL__N_121softmax_warp_backwardIfffLi0ELb0ELb1ELi32EEEvPT0_PKT_S5_iiiPKb,@function
_ZN12_GLOBAL__N_121softmax_warp_backwardIfffLi0ELb0ELb1ELi32EEEvPT0_PKT_S5_iiiPKb: ; @_ZN12_GLOBAL__N_121softmax_warp_backwardIfffLi0ELb0ELb1ELi32EEEvPT0_PKT_S5_iiiPKb
; %bb.0:
	s_clause 0x2
	s_load_dword s7, s[4:5], 0x3c
	s_load_dwordx4 s[0:3], s[4:5], 0x18
	s_load_dwordx4 s[8:11], s[4:5], 0x0
	v_mov_b32_e32 v9, 0
	v_mov_b32_e32 v10, 0
	s_waitcnt lgkmcnt(0)
	s_lshr_b32 s3, s7, 16
	s_and_b32 s3, s3, 0xffff
	s_cmp_gt_i32 s2, 0
	s_mul_i32 s6, s6, s3
	v_add_lshl_u32 v0, s6, v1, 1
	s_load_dwordx2 s[6:7], s[4:5], 0x10
	v_mul_lo_u32 v2, v0, s1
	v_sub_nc_u32_e32 v8, s0, v0
	v_cmp_lt_i32_e32 vcc_lo, 0, v8
	v_ashrrev_i32_e32 v3, 31, v2
	v_lshlrev_b64 v[0:1], 2, v[2:3]
	v_add_co_u32 v6, s0, s10, v0
	v_add_co_ci_u32_e64 v7, null, s11, v1, s0
	s_waitcnt lgkmcnt(0)
	v_add_co_u32 v4, s0, s6, v0
	v_add_co_ci_u32_e64 v5, null, s7, v1, s0
	s_cselect_b32 s6, -1, 0
	s_and_b32 s1, s6, vcc_lo
	s_and_saveexec_b32 s0, s1
	s_cbranch_execz .LBB791_2
; %bb.1:
	global_load_dword v10, v[6:7], off
	global_load_dword v9, v[4:5], off
.LBB791_2:
	s_or_b32 exec_lo, exec_lo, s0
	v_cmp_gt_i32_e64 s0, 2, v8
	s_xor_b32 s1, s6, -1
	s_or_b32 s0, s1, s0
	s_and_saveexec_b32 s1, s0
	s_xor_b32 s0, exec_lo, s1
                                        ; implicit-def: $vgpr11
	s_cbranch_execnz .LBB791_6
; %bb.3:
	s_or_saveexec_b32 s1, s0
	v_mov_b32_e32 v12, 0
	s_xor_b32 exec_lo, exec_lo, s1
	s_cbranch_execnz .LBB791_7
.LBB791_4:
	s_or_b32 exec_lo, exec_lo, s1
	s_and_saveexec_b32 s0, vcc_lo
	s_cbranch_execnz .LBB791_8
.LBB791_5:
	s_endpgm
.LBB791_6:
	v_mov_b32_e32 v11, 0
                                        ; implicit-def: $vgpr4
                                        ; implicit-def: $vgpr6
	s_or_saveexec_b32 s1, s0
	v_mov_b32_e32 v12, 0
	s_xor_b32 exec_lo, exec_lo, s1
	s_cbranch_execz .LBB791_4
.LBB791_7:
	s_mov_b32 s3, 0
	s_lshl_b64 s[10:11], s[2:3], 2
	v_add_co_u32 v6, s0, v6, s10
	v_add_co_ci_u32_e64 v7, null, s11, v7, s0
	v_add_co_u32 v4, s0, v4, s10
	v_add_co_ci_u32_e64 v5, null, s11, v5, s0
	global_load_dword v11, v[6:7], off
	global_load_dword v12, v[4:5], off
	s_or_b32 exec_lo, exec_lo, s1
	s_and_saveexec_b32 s0, vcc_lo
	s_cbranch_execz .LBB791_5
.LBB791_8:
	s_load_dwordx2 s[0:1], s[4:5], 0x28
	s_waitcnt vmcnt(1)
	v_add_f32_e32 v6, 0, v11
	s_waitcnt lgkmcnt(0)
	v_add_co_u32 v2, vcc_lo, s0, v2
	v_add_co_ci_u32_e64 v3, null, s1, v3, vcc_lo
	s_ashr_i32 s0, s2, 31
	v_add_co_u32 v4, vcc_lo, v2, s2
	v_add_co_ci_u32_e64 v5, null, s0, v3, vcc_lo
	v_add_co_u32 v0, vcc_lo, s8, v0
	s_clause 0x1
	global_load_ubyte v2, v[2:3], off
	global_load_ubyte v3, v[4:5], off
	v_add_f32_e32 v4, 0, v10
	v_add_co_ci_u32_e64 v1, null, s9, v1, vcc_lo
	s_andn2_b32 vcc_lo, exec_lo, s6
	s_waitcnt vmcnt(1)
	v_and_b32_e32 v2, 1, v2
	s_waitcnt vmcnt(0)
	v_and_b32_e32 v5, 1, v3
	v_cmp_eq_u32_e64 s1, 1, v2
	v_cmp_eq_u32_e64 s0, 1, v5
	v_cndmask_b32_e64 v3, v4, 0, s1
	v_cndmask_b32_e64 v2, v6, 0, s0
	s_cbranch_vccnz .LBB791_10
; %bb.9:
	v_fma_f32 v3, -v9, v3, v10
	v_cndmask_b32_e64 v3, v3, 0, s1
	global_store_dword v[0:1], v3, off
.LBB791_10:
	v_cmp_ne_u32_e32 vcc_lo, 1, v8
	s_and_b32 s1, vcc_lo, s6
	s_and_b32 exec_lo, exec_lo, s1
	s_cbranch_execz .LBB791_5
; %bb.11:
	s_mov_b32 s3, 0
	v_fma_f32 v2, -v12, v2, v11
	s_lshl_b64 s[2:3], s[2:3], 2
	v_add_co_u32 v0, vcc_lo, v0, s2
	v_add_co_ci_u32_e64 v1, null, s3, v1, vcc_lo
	v_cndmask_b32_e64 v2, v2, 0, s0
	global_store_dword v[0:1], v2, off
	s_endpgm
	.section	.rodata,"a",@progbits
	.p2align	6, 0x0
	.amdhsa_kernel _ZN12_GLOBAL__N_121softmax_warp_backwardIfffLi0ELb0ELb1ELi32EEEvPT0_PKT_S5_iiiPKb
		.amdhsa_group_segment_fixed_size 0
		.amdhsa_private_segment_fixed_size 0
		.amdhsa_kernarg_size 304
		.amdhsa_user_sgpr_count 6
		.amdhsa_user_sgpr_private_segment_buffer 1
		.amdhsa_user_sgpr_dispatch_ptr 0
		.amdhsa_user_sgpr_queue_ptr 0
		.amdhsa_user_sgpr_kernarg_segment_ptr 1
		.amdhsa_user_sgpr_dispatch_id 0
		.amdhsa_user_sgpr_flat_scratch_init 0
		.amdhsa_user_sgpr_private_segment_size 0
		.amdhsa_wavefront_size32 1
		.amdhsa_uses_dynamic_stack 0
		.amdhsa_system_sgpr_private_segment_wavefront_offset 0
		.amdhsa_system_sgpr_workgroup_id_x 1
		.amdhsa_system_sgpr_workgroup_id_y 0
		.amdhsa_system_sgpr_workgroup_id_z 0
		.amdhsa_system_sgpr_workgroup_info 0
		.amdhsa_system_vgpr_workitem_id 1
		.amdhsa_next_free_vgpr 13
		.amdhsa_next_free_sgpr 12
		.amdhsa_reserve_vcc 1
		.amdhsa_reserve_flat_scratch 0
		.amdhsa_float_round_mode_32 0
		.amdhsa_float_round_mode_16_64 0
		.amdhsa_float_denorm_mode_32 3
		.amdhsa_float_denorm_mode_16_64 3
		.amdhsa_dx10_clamp 1
		.amdhsa_ieee_mode 1
		.amdhsa_fp16_overflow 0
		.amdhsa_workgroup_processor_mode 1
		.amdhsa_memory_ordered 1
		.amdhsa_forward_progress 1
		.amdhsa_shared_vgpr_count 0
		.amdhsa_exception_fp_ieee_invalid_op 0
		.amdhsa_exception_fp_denorm_src 0
		.amdhsa_exception_fp_ieee_div_zero 0
		.amdhsa_exception_fp_ieee_overflow 0
		.amdhsa_exception_fp_ieee_underflow 0
		.amdhsa_exception_fp_ieee_inexact 0
		.amdhsa_exception_int_div_zero 0
	.end_amdhsa_kernel
	.section	.text._ZN12_GLOBAL__N_121softmax_warp_backwardIfffLi0ELb0ELb1ELi32EEEvPT0_PKT_S5_iiiPKb,"axG",@progbits,_ZN12_GLOBAL__N_121softmax_warp_backwardIfffLi0ELb0ELb1ELi32EEEvPT0_PKT_S5_iiiPKb,comdat
.Lfunc_end791:
	.size	_ZN12_GLOBAL__N_121softmax_warp_backwardIfffLi0ELb0ELb1ELi32EEEvPT0_PKT_S5_iiiPKb, .Lfunc_end791-_ZN12_GLOBAL__N_121softmax_warp_backwardIfffLi0ELb0ELb1ELi32EEEvPT0_PKT_S5_iiiPKb
                                        ; -- End function
	.set _ZN12_GLOBAL__N_121softmax_warp_backwardIfffLi0ELb0ELb1ELi32EEEvPT0_PKT_S5_iiiPKb.num_vgpr, 13
	.set _ZN12_GLOBAL__N_121softmax_warp_backwardIfffLi0ELb0ELb1ELi32EEEvPT0_PKT_S5_iiiPKb.num_agpr, 0
	.set _ZN12_GLOBAL__N_121softmax_warp_backwardIfffLi0ELb0ELb1ELi32EEEvPT0_PKT_S5_iiiPKb.numbered_sgpr, 12
	.set _ZN12_GLOBAL__N_121softmax_warp_backwardIfffLi0ELb0ELb1ELi32EEEvPT0_PKT_S5_iiiPKb.num_named_barrier, 0
	.set _ZN12_GLOBAL__N_121softmax_warp_backwardIfffLi0ELb0ELb1ELi32EEEvPT0_PKT_S5_iiiPKb.private_seg_size, 0
	.set _ZN12_GLOBAL__N_121softmax_warp_backwardIfffLi0ELb0ELb1ELi32EEEvPT0_PKT_S5_iiiPKb.uses_vcc, 1
	.set _ZN12_GLOBAL__N_121softmax_warp_backwardIfffLi0ELb0ELb1ELi32EEEvPT0_PKT_S5_iiiPKb.uses_flat_scratch, 0
	.set _ZN12_GLOBAL__N_121softmax_warp_backwardIfffLi0ELb0ELb1ELi32EEEvPT0_PKT_S5_iiiPKb.has_dyn_sized_stack, 0
	.set _ZN12_GLOBAL__N_121softmax_warp_backwardIfffLi0ELb0ELb1ELi32EEEvPT0_PKT_S5_iiiPKb.has_recursion, 0
	.set _ZN12_GLOBAL__N_121softmax_warp_backwardIfffLi0ELb0ELb1ELi32EEEvPT0_PKT_S5_iiiPKb.has_indirect_call, 0
	.section	.AMDGPU.csdata,"",@progbits
; Kernel info:
; codeLenInByte = 568
; TotalNumSgprs: 14
; NumVgprs: 13
; ScratchSize: 0
; MemoryBound: 0
; FloatMode: 240
; IeeeMode: 1
; LDSByteSize: 0 bytes/workgroup (compile time only)
; SGPRBlocks: 0
; VGPRBlocks: 1
; NumSGPRsForWavesPerEU: 14
; NumVGPRsForWavesPerEU: 13
; Occupancy: 16
; WaveLimiterHint : 0
; COMPUTE_PGM_RSRC2:SCRATCH_EN: 0
; COMPUTE_PGM_RSRC2:USER_SGPR: 6
; COMPUTE_PGM_RSRC2:TRAP_HANDLER: 0
; COMPUTE_PGM_RSRC2:TGID_X_EN: 1
; COMPUTE_PGM_RSRC2:TGID_Y_EN: 0
; COMPUTE_PGM_RSRC2:TGID_Z_EN: 0
; COMPUTE_PGM_RSRC2:TIDIG_COMP_CNT: 1
	.section	.text._ZN12_GLOBAL__N_121softmax_warp_backwardIfffLi1ELb0ELb1ELi64EEEvPT0_PKT_S5_iiiPKb,"axG",@progbits,_ZN12_GLOBAL__N_121softmax_warp_backwardIfffLi1ELb0ELb1ELi64EEEvPT0_PKT_S5_iiiPKb,comdat
	.globl	_ZN12_GLOBAL__N_121softmax_warp_backwardIfffLi1ELb0ELb1ELi64EEEvPT0_PKT_S5_iiiPKb ; -- Begin function _ZN12_GLOBAL__N_121softmax_warp_backwardIfffLi1ELb0ELb1ELi64EEEvPT0_PKT_S5_iiiPKb
	.p2align	8
	.type	_ZN12_GLOBAL__N_121softmax_warp_backwardIfffLi1ELb0ELb1ELi64EEEvPT0_PKT_S5_iiiPKb,@function
_ZN12_GLOBAL__N_121softmax_warp_backwardIfffLi1ELb0ELb1ELi64EEEvPT0_PKT_S5_iiiPKb: ; @_ZN12_GLOBAL__N_121softmax_warp_backwardIfffLi1ELb0ELb1ELi64EEEvPT0_PKT_S5_iiiPKb
; %bb.0:
	s_clause 0x1
	s_load_dword s0, s[4:5], 0x3c
	s_load_dwordx4 s[8:11], s[4:5], 0x18
	v_and_b32_e32 v4, 1, v0
	s_clause 0x1
	s_load_dwordx4 s[12:15], s[4:5], 0x0
	s_load_dwordx2 s[2:3], s[4:5], 0x10
	v_mov_b32_e32 v11, 0
	v_mov_b32_e32 v12, 0
	s_waitcnt lgkmcnt(0)
	s_mov_b32 s11, 0
	s_lshr_b32 s0, s0, 16
	v_cmp_gt_i32_e32 vcc_lo, s10, v4
	s_and_b32 s0, s0, 0xffff
	s_mul_i32 s6, s6, s0
	v_add_lshl_u32 v1, s6, v1, 1
	v_mul_lo_u32 v2, v1, s9
	v_sub_nc_u32_e32 v10, s8, v1
	v_cmp_lt_i32_e64 s0, 0, v10
	v_or_b32_e32 v2, v2, v4
	v_ashrrev_i32_e32 v3, 31, v2
	v_lshlrev_b64 v[0:1], 2, v[2:3]
	v_add_co_u32 v8, s1, s14, v0
	v_add_co_ci_u32_e64 v9, null, s15, v1, s1
	v_add_co_u32 v6, s1, s2, v0
	v_add_co_ci_u32_e64 v7, null, s3, v1, s1
	s_and_b32 s2, vcc_lo, s0
	s_and_saveexec_b32 s1, s2
	s_cbranch_execz .LBB792_2
; %bb.1:
	global_load_dword v12, v[8:9], off
	global_load_dword v11, v[6:7], off
.LBB792_2:
	s_or_b32 exec_lo, exec_lo, s1
	v_cmp_gt_i32_e64 s1, 2, v10
	v_mov_b32_e32 v4, s10
	v_mov_b32_e32 v5, s11
	s_xor_b32 s2, vcc_lo, -1
	s_or_b32 s1, s2, s1
	s_and_saveexec_b32 s2, s1
	s_xor_b32 s1, exec_lo, s2
                                        ; implicit-def: $vgpr14
                                        ; implicit-def: $vgpr13
; %bb.3:
	v_mov_b32_e32 v13, 0
	s_ashr_i32 s3, s10, 31
	s_mov_b32 s2, s10
	v_mov_b32_e32 v5, s3
	v_mov_b32_e32 v4, s2
	;; [unrolled: 1-line block ×3, first 2 shown]
                                        ; implicit-def: $vgpr6
                                        ; implicit-def: $vgpr8
; %bb.4:
	s_andn2_saveexec_b32 s2, s1
	s_cbranch_execz .LBB792_6
; %bb.5:
	s_lshl_b64 s[6:7], s[10:11], 2
	v_add_co_u32 v8, s1, v8, s6
	v_add_co_ci_u32_e64 v9, null, s7, v9, s1
	v_add_co_u32 v6, s1, v6, s6
	v_add_co_ci_u32_e64 v7, null, s7, v7, s1
	global_load_dword v13, v[8:9], off
	global_load_dword v14, v[6:7], off
.LBB792_6:
	s_or_b32 exec_lo, exec_lo, s2
	s_load_dwordx2 s[2:3], s[4:5], 0x28
	s_waitcnt lgkmcnt(0)
	v_add_co_u32 v2, s1, s2, v2
	v_add_co_ci_u32_e64 v3, null, s3, v3, s1
	v_add_co_u32 v4, s1, v2, v4
	v_add_co_ci_u32_e64 v5, null, v3, v5, s1
	s_clause 0x1
	global_load_ubyte v2, v[2:3], off
	global_load_ubyte v3, v[4:5], off
	v_mbcnt_lo_u32_b32 v4, -1, 0
	v_and_b32_e32 v5, 30, v4
	v_xor_b32_e32 v6, 1, v4
	v_add_nc_u32_e32 v5, 2, v5
	v_cmp_lt_i32_e64 s1, v6, v5
	s_waitcnt vmcnt(3)
	v_add_f32_e32 v5, 0, v12
	v_cndmask_b32_e64 v4, v4, v6, s1
	v_add_f32_e32 v6, 0, v13
	v_lshlrev_b32_e32 v7, 2, v4
	s_waitcnt vmcnt(1)
	v_and_b32_e32 v2, 1, v2
	s_waitcnt vmcnt(0)
	v_and_b32_e32 v3, 1, v3
	v_cmp_eq_u32_e64 s2, 1, v2
	v_cmp_eq_u32_e64 s1, 1, v3
	v_cndmask_b32_e64 v4, v5, 0, s2
	v_cndmask_b32_e64 v2, v6, 0, s1
	ds_bpermute_b32 v5, v7, v4
	ds_bpermute_b32 v3, v7, v2
	s_and_saveexec_b32 s3, s0
	s_cbranch_execz .LBB792_11
; %bb.7:
	v_add_co_u32 v0, s0, s12, v0
	v_add_co_ci_u32_e64 v1, null, s13, v1, s0
	s_and_saveexec_b32 s0, vcc_lo
	s_cbranch_execz .LBB792_9
; %bb.8:
	s_waitcnt lgkmcnt(1)
	v_add_f32_e32 v4, v4, v5
	v_fma_f32 v4, -v11, v4, v12
	v_cndmask_b32_e64 v4, v4, 0, s2
	global_store_dword v[0:1], v4, off
.LBB792_9:
	s_or_b32 exec_lo, exec_lo, s0
	v_cmp_ne_u32_e64 s0, 1, v10
	s_and_b32 s0, s0, vcc_lo
	s_and_b32 exec_lo, exec_lo, s0
	s_cbranch_execz .LBB792_11
; %bb.10:
	s_waitcnt lgkmcnt(0)
	v_add_f32_e32 v2, v2, v3
	s_lshl_b64 s[2:3], s[10:11], 2
	v_add_co_u32 v0, vcc_lo, v0, s2
	v_fma_f32 v2, -v14, v2, v13
	v_add_co_ci_u32_e64 v1, null, s3, v1, vcc_lo
	v_cndmask_b32_e64 v2, v2, 0, s1
	global_store_dword v[0:1], v2, off
.LBB792_11:
	s_endpgm
	.section	.rodata,"a",@progbits
	.p2align	6, 0x0
	.amdhsa_kernel _ZN12_GLOBAL__N_121softmax_warp_backwardIfffLi1ELb0ELb1ELi64EEEvPT0_PKT_S5_iiiPKb
		.amdhsa_group_segment_fixed_size 0
		.amdhsa_private_segment_fixed_size 0
		.amdhsa_kernarg_size 304
		.amdhsa_user_sgpr_count 6
		.amdhsa_user_sgpr_private_segment_buffer 1
		.amdhsa_user_sgpr_dispatch_ptr 0
		.amdhsa_user_sgpr_queue_ptr 0
		.amdhsa_user_sgpr_kernarg_segment_ptr 1
		.amdhsa_user_sgpr_dispatch_id 0
		.amdhsa_user_sgpr_flat_scratch_init 0
		.amdhsa_user_sgpr_private_segment_size 0
		.amdhsa_wavefront_size32 1
		.amdhsa_uses_dynamic_stack 0
		.amdhsa_system_sgpr_private_segment_wavefront_offset 0
		.amdhsa_system_sgpr_workgroup_id_x 1
		.amdhsa_system_sgpr_workgroup_id_y 0
		.amdhsa_system_sgpr_workgroup_id_z 0
		.amdhsa_system_sgpr_workgroup_info 0
		.amdhsa_system_vgpr_workitem_id 1
		.amdhsa_next_free_vgpr 15
		.amdhsa_next_free_sgpr 16
		.amdhsa_reserve_vcc 1
		.amdhsa_reserve_flat_scratch 0
		.amdhsa_float_round_mode_32 0
		.amdhsa_float_round_mode_16_64 0
		.amdhsa_float_denorm_mode_32 3
		.amdhsa_float_denorm_mode_16_64 3
		.amdhsa_dx10_clamp 1
		.amdhsa_ieee_mode 1
		.amdhsa_fp16_overflow 0
		.amdhsa_workgroup_processor_mode 1
		.amdhsa_memory_ordered 1
		.amdhsa_forward_progress 1
		.amdhsa_shared_vgpr_count 0
		.amdhsa_exception_fp_ieee_invalid_op 0
		.amdhsa_exception_fp_denorm_src 0
		.amdhsa_exception_fp_ieee_div_zero 0
		.amdhsa_exception_fp_ieee_overflow 0
		.amdhsa_exception_fp_ieee_underflow 0
		.amdhsa_exception_fp_ieee_inexact 0
		.amdhsa_exception_int_div_zero 0
	.end_amdhsa_kernel
	.section	.text._ZN12_GLOBAL__N_121softmax_warp_backwardIfffLi1ELb0ELb1ELi64EEEvPT0_PKT_S5_iiiPKb,"axG",@progbits,_ZN12_GLOBAL__N_121softmax_warp_backwardIfffLi1ELb0ELb1ELi64EEEvPT0_PKT_S5_iiiPKb,comdat
.Lfunc_end792:
	.size	_ZN12_GLOBAL__N_121softmax_warp_backwardIfffLi1ELb0ELb1ELi64EEEvPT0_PKT_S5_iiiPKb, .Lfunc_end792-_ZN12_GLOBAL__N_121softmax_warp_backwardIfffLi1ELb0ELb1ELi64EEEvPT0_PKT_S5_iiiPKb
                                        ; -- End function
	.set _ZN12_GLOBAL__N_121softmax_warp_backwardIfffLi1ELb0ELb1ELi64EEEvPT0_PKT_S5_iiiPKb.num_vgpr, 15
	.set _ZN12_GLOBAL__N_121softmax_warp_backwardIfffLi1ELb0ELb1ELi64EEEvPT0_PKT_S5_iiiPKb.num_agpr, 0
	.set _ZN12_GLOBAL__N_121softmax_warp_backwardIfffLi1ELb0ELb1ELi64EEEvPT0_PKT_S5_iiiPKb.numbered_sgpr, 16
	.set _ZN12_GLOBAL__N_121softmax_warp_backwardIfffLi1ELb0ELb1ELi64EEEvPT0_PKT_S5_iiiPKb.num_named_barrier, 0
	.set _ZN12_GLOBAL__N_121softmax_warp_backwardIfffLi1ELb0ELb1ELi64EEEvPT0_PKT_S5_iiiPKb.private_seg_size, 0
	.set _ZN12_GLOBAL__N_121softmax_warp_backwardIfffLi1ELb0ELb1ELi64EEEvPT0_PKT_S5_iiiPKb.uses_vcc, 1
	.set _ZN12_GLOBAL__N_121softmax_warp_backwardIfffLi1ELb0ELb1ELi64EEEvPT0_PKT_S5_iiiPKb.uses_flat_scratch, 0
	.set _ZN12_GLOBAL__N_121softmax_warp_backwardIfffLi1ELb0ELb1ELi64EEEvPT0_PKT_S5_iiiPKb.has_dyn_sized_stack, 0
	.set _ZN12_GLOBAL__N_121softmax_warp_backwardIfffLi1ELb0ELb1ELi64EEEvPT0_PKT_S5_iiiPKb.has_recursion, 0
	.set _ZN12_GLOBAL__N_121softmax_warp_backwardIfffLi1ELb0ELb1ELi64EEEvPT0_PKT_S5_iiiPKb.has_indirect_call, 0
	.section	.AMDGPU.csdata,"",@progbits
; Kernel info:
; codeLenInByte = 632
; TotalNumSgprs: 18
; NumVgprs: 15
; ScratchSize: 0
; MemoryBound: 0
; FloatMode: 240
; IeeeMode: 1
; LDSByteSize: 0 bytes/workgroup (compile time only)
; SGPRBlocks: 0
; VGPRBlocks: 1
; NumSGPRsForWavesPerEU: 18
; NumVGPRsForWavesPerEU: 15
; Occupancy: 16
; WaveLimiterHint : 0
; COMPUTE_PGM_RSRC2:SCRATCH_EN: 0
; COMPUTE_PGM_RSRC2:USER_SGPR: 6
; COMPUTE_PGM_RSRC2:TRAP_HANDLER: 0
; COMPUTE_PGM_RSRC2:TGID_X_EN: 1
; COMPUTE_PGM_RSRC2:TGID_Y_EN: 0
; COMPUTE_PGM_RSRC2:TGID_Z_EN: 0
; COMPUTE_PGM_RSRC2:TIDIG_COMP_CNT: 1
	.section	.text._ZN12_GLOBAL__N_121softmax_warp_backwardIfffLi1ELb0ELb1ELi32EEEvPT0_PKT_S5_iiiPKb,"axG",@progbits,_ZN12_GLOBAL__N_121softmax_warp_backwardIfffLi1ELb0ELb1ELi32EEEvPT0_PKT_S5_iiiPKb,comdat
	.globl	_ZN12_GLOBAL__N_121softmax_warp_backwardIfffLi1ELb0ELb1ELi32EEEvPT0_PKT_S5_iiiPKb ; -- Begin function _ZN12_GLOBAL__N_121softmax_warp_backwardIfffLi1ELb0ELb1ELi32EEEvPT0_PKT_S5_iiiPKb
	.p2align	8
	.type	_ZN12_GLOBAL__N_121softmax_warp_backwardIfffLi1ELb0ELb1ELi32EEEvPT0_PKT_S5_iiiPKb,@function
_ZN12_GLOBAL__N_121softmax_warp_backwardIfffLi1ELb0ELb1ELi32EEEvPT0_PKT_S5_iiiPKb: ; @_ZN12_GLOBAL__N_121softmax_warp_backwardIfffLi1ELb0ELb1ELi32EEEvPT0_PKT_S5_iiiPKb
; %bb.0:
	s_clause 0x1
	s_load_dword s0, s[4:5], 0x3c
	s_load_dwordx4 s[8:11], s[4:5], 0x18
	v_and_b32_e32 v4, 1, v0
	s_clause 0x1
	s_load_dwordx4 s[12:15], s[4:5], 0x0
	s_load_dwordx2 s[2:3], s[4:5], 0x10
	v_mov_b32_e32 v11, 0
	v_mov_b32_e32 v12, 0
	s_waitcnt lgkmcnt(0)
	s_mov_b32 s11, 0
	s_lshr_b32 s0, s0, 16
	v_cmp_gt_i32_e32 vcc_lo, s10, v4
	s_and_b32 s0, s0, 0xffff
	s_mul_i32 s6, s6, s0
	v_add_lshl_u32 v1, s6, v1, 1
	v_mul_lo_u32 v2, v1, s9
	v_sub_nc_u32_e32 v10, s8, v1
	v_cmp_lt_i32_e64 s0, 0, v10
	v_or_b32_e32 v2, v2, v4
	v_ashrrev_i32_e32 v3, 31, v2
	v_lshlrev_b64 v[0:1], 2, v[2:3]
	v_add_co_u32 v8, s1, s14, v0
	v_add_co_ci_u32_e64 v9, null, s15, v1, s1
	v_add_co_u32 v6, s1, s2, v0
	v_add_co_ci_u32_e64 v7, null, s3, v1, s1
	s_and_b32 s2, vcc_lo, s0
	s_and_saveexec_b32 s1, s2
	s_cbranch_execz .LBB793_2
; %bb.1:
	global_load_dword v12, v[8:9], off
	global_load_dword v11, v[6:7], off
.LBB793_2:
	s_or_b32 exec_lo, exec_lo, s1
	v_cmp_gt_i32_e64 s1, 2, v10
	v_mov_b32_e32 v4, s10
	v_mov_b32_e32 v5, s11
	s_xor_b32 s2, vcc_lo, -1
	s_or_b32 s1, s2, s1
	s_and_saveexec_b32 s2, s1
	s_xor_b32 s1, exec_lo, s2
                                        ; implicit-def: $vgpr14
                                        ; implicit-def: $vgpr13
; %bb.3:
	v_mov_b32_e32 v13, 0
	s_ashr_i32 s3, s10, 31
	s_mov_b32 s2, s10
	v_mov_b32_e32 v5, s3
	v_mov_b32_e32 v4, s2
	;; [unrolled: 1-line block ×3, first 2 shown]
                                        ; implicit-def: $vgpr6
                                        ; implicit-def: $vgpr8
; %bb.4:
	s_andn2_saveexec_b32 s2, s1
	s_cbranch_execz .LBB793_6
; %bb.5:
	s_lshl_b64 s[6:7], s[10:11], 2
	v_add_co_u32 v8, s1, v8, s6
	v_add_co_ci_u32_e64 v9, null, s7, v9, s1
	v_add_co_u32 v6, s1, v6, s6
	v_add_co_ci_u32_e64 v7, null, s7, v7, s1
	global_load_dword v13, v[8:9], off
	global_load_dword v14, v[6:7], off
.LBB793_6:
	s_or_b32 exec_lo, exec_lo, s2
	s_load_dwordx2 s[2:3], s[4:5], 0x28
	s_waitcnt lgkmcnt(0)
	v_add_co_u32 v2, s1, s2, v2
	v_add_co_ci_u32_e64 v3, null, s3, v3, s1
	v_add_co_u32 v4, s1, v2, v4
	v_add_co_ci_u32_e64 v5, null, v3, v5, s1
	s_clause 0x1
	global_load_ubyte v2, v[2:3], off
	global_load_ubyte v3, v[4:5], off
	v_mbcnt_lo_u32_b32 v4, -1, 0
	v_and_b32_e32 v5, 30, v4
	v_xor_b32_e32 v6, 1, v4
	v_add_nc_u32_e32 v5, 2, v5
	v_cmp_lt_i32_e64 s1, v6, v5
	s_waitcnt vmcnt(3)
	v_add_f32_e32 v5, 0, v12
	v_cndmask_b32_e64 v4, v4, v6, s1
	v_add_f32_e32 v6, 0, v13
	v_lshlrev_b32_e32 v7, 2, v4
	s_waitcnt vmcnt(1)
	v_and_b32_e32 v2, 1, v2
	s_waitcnt vmcnt(0)
	v_and_b32_e32 v3, 1, v3
	v_cmp_eq_u32_e64 s2, 1, v2
	v_cmp_eq_u32_e64 s1, 1, v3
	v_cndmask_b32_e64 v4, v5, 0, s2
	v_cndmask_b32_e64 v2, v6, 0, s1
	ds_bpermute_b32 v5, v7, v4
	ds_bpermute_b32 v3, v7, v2
	s_and_saveexec_b32 s3, s0
	s_cbranch_execz .LBB793_11
; %bb.7:
	v_add_co_u32 v0, s0, s12, v0
	v_add_co_ci_u32_e64 v1, null, s13, v1, s0
	s_and_saveexec_b32 s0, vcc_lo
	s_cbranch_execz .LBB793_9
; %bb.8:
	s_waitcnt lgkmcnt(1)
	v_add_f32_e32 v4, v4, v5
	v_fma_f32 v4, -v11, v4, v12
	v_cndmask_b32_e64 v4, v4, 0, s2
	global_store_dword v[0:1], v4, off
.LBB793_9:
	s_or_b32 exec_lo, exec_lo, s0
	v_cmp_ne_u32_e64 s0, 1, v10
	s_and_b32 s0, s0, vcc_lo
	s_and_b32 exec_lo, exec_lo, s0
	s_cbranch_execz .LBB793_11
; %bb.10:
	s_waitcnt lgkmcnt(0)
	v_add_f32_e32 v2, v2, v3
	s_lshl_b64 s[2:3], s[10:11], 2
	v_add_co_u32 v0, vcc_lo, v0, s2
	v_fma_f32 v2, -v14, v2, v13
	v_add_co_ci_u32_e64 v1, null, s3, v1, vcc_lo
	v_cndmask_b32_e64 v2, v2, 0, s1
	global_store_dword v[0:1], v2, off
.LBB793_11:
	s_endpgm
	.section	.rodata,"a",@progbits
	.p2align	6, 0x0
	.amdhsa_kernel _ZN12_GLOBAL__N_121softmax_warp_backwardIfffLi1ELb0ELb1ELi32EEEvPT0_PKT_S5_iiiPKb
		.amdhsa_group_segment_fixed_size 0
		.amdhsa_private_segment_fixed_size 0
		.amdhsa_kernarg_size 304
		.amdhsa_user_sgpr_count 6
		.amdhsa_user_sgpr_private_segment_buffer 1
		.amdhsa_user_sgpr_dispatch_ptr 0
		.amdhsa_user_sgpr_queue_ptr 0
		.amdhsa_user_sgpr_kernarg_segment_ptr 1
		.amdhsa_user_sgpr_dispatch_id 0
		.amdhsa_user_sgpr_flat_scratch_init 0
		.amdhsa_user_sgpr_private_segment_size 0
		.amdhsa_wavefront_size32 1
		.amdhsa_uses_dynamic_stack 0
		.amdhsa_system_sgpr_private_segment_wavefront_offset 0
		.amdhsa_system_sgpr_workgroup_id_x 1
		.amdhsa_system_sgpr_workgroup_id_y 0
		.amdhsa_system_sgpr_workgroup_id_z 0
		.amdhsa_system_sgpr_workgroup_info 0
		.amdhsa_system_vgpr_workitem_id 1
		.amdhsa_next_free_vgpr 15
		.amdhsa_next_free_sgpr 16
		.amdhsa_reserve_vcc 1
		.amdhsa_reserve_flat_scratch 0
		.amdhsa_float_round_mode_32 0
		.amdhsa_float_round_mode_16_64 0
		.amdhsa_float_denorm_mode_32 3
		.amdhsa_float_denorm_mode_16_64 3
		.amdhsa_dx10_clamp 1
		.amdhsa_ieee_mode 1
		.amdhsa_fp16_overflow 0
		.amdhsa_workgroup_processor_mode 1
		.amdhsa_memory_ordered 1
		.amdhsa_forward_progress 1
		.amdhsa_shared_vgpr_count 0
		.amdhsa_exception_fp_ieee_invalid_op 0
		.amdhsa_exception_fp_denorm_src 0
		.amdhsa_exception_fp_ieee_div_zero 0
		.amdhsa_exception_fp_ieee_overflow 0
		.amdhsa_exception_fp_ieee_underflow 0
		.amdhsa_exception_fp_ieee_inexact 0
		.amdhsa_exception_int_div_zero 0
	.end_amdhsa_kernel
	.section	.text._ZN12_GLOBAL__N_121softmax_warp_backwardIfffLi1ELb0ELb1ELi32EEEvPT0_PKT_S5_iiiPKb,"axG",@progbits,_ZN12_GLOBAL__N_121softmax_warp_backwardIfffLi1ELb0ELb1ELi32EEEvPT0_PKT_S5_iiiPKb,comdat
.Lfunc_end793:
	.size	_ZN12_GLOBAL__N_121softmax_warp_backwardIfffLi1ELb0ELb1ELi32EEEvPT0_PKT_S5_iiiPKb, .Lfunc_end793-_ZN12_GLOBAL__N_121softmax_warp_backwardIfffLi1ELb0ELb1ELi32EEEvPT0_PKT_S5_iiiPKb
                                        ; -- End function
	.set _ZN12_GLOBAL__N_121softmax_warp_backwardIfffLi1ELb0ELb1ELi32EEEvPT0_PKT_S5_iiiPKb.num_vgpr, 15
	.set _ZN12_GLOBAL__N_121softmax_warp_backwardIfffLi1ELb0ELb1ELi32EEEvPT0_PKT_S5_iiiPKb.num_agpr, 0
	.set _ZN12_GLOBAL__N_121softmax_warp_backwardIfffLi1ELb0ELb1ELi32EEEvPT0_PKT_S5_iiiPKb.numbered_sgpr, 16
	.set _ZN12_GLOBAL__N_121softmax_warp_backwardIfffLi1ELb0ELb1ELi32EEEvPT0_PKT_S5_iiiPKb.num_named_barrier, 0
	.set _ZN12_GLOBAL__N_121softmax_warp_backwardIfffLi1ELb0ELb1ELi32EEEvPT0_PKT_S5_iiiPKb.private_seg_size, 0
	.set _ZN12_GLOBAL__N_121softmax_warp_backwardIfffLi1ELb0ELb1ELi32EEEvPT0_PKT_S5_iiiPKb.uses_vcc, 1
	.set _ZN12_GLOBAL__N_121softmax_warp_backwardIfffLi1ELb0ELb1ELi32EEEvPT0_PKT_S5_iiiPKb.uses_flat_scratch, 0
	.set _ZN12_GLOBAL__N_121softmax_warp_backwardIfffLi1ELb0ELb1ELi32EEEvPT0_PKT_S5_iiiPKb.has_dyn_sized_stack, 0
	.set _ZN12_GLOBAL__N_121softmax_warp_backwardIfffLi1ELb0ELb1ELi32EEEvPT0_PKT_S5_iiiPKb.has_recursion, 0
	.set _ZN12_GLOBAL__N_121softmax_warp_backwardIfffLi1ELb0ELb1ELi32EEEvPT0_PKT_S5_iiiPKb.has_indirect_call, 0
	.section	.AMDGPU.csdata,"",@progbits
; Kernel info:
; codeLenInByte = 632
; TotalNumSgprs: 18
; NumVgprs: 15
; ScratchSize: 0
; MemoryBound: 0
; FloatMode: 240
; IeeeMode: 1
; LDSByteSize: 0 bytes/workgroup (compile time only)
; SGPRBlocks: 0
; VGPRBlocks: 1
; NumSGPRsForWavesPerEU: 18
; NumVGPRsForWavesPerEU: 15
; Occupancy: 16
; WaveLimiterHint : 0
; COMPUTE_PGM_RSRC2:SCRATCH_EN: 0
; COMPUTE_PGM_RSRC2:USER_SGPR: 6
; COMPUTE_PGM_RSRC2:TRAP_HANDLER: 0
; COMPUTE_PGM_RSRC2:TGID_X_EN: 1
; COMPUTE_PGM_RSRC2:TGID_Y_EN: 0
; COMPUTE_PGM_RSRC2:TGID_Z_EN: 0
; COMPUTE_PGM_RSRC2:TIDIG_COMP_CNT: 1
	.section	.text._ZN12_GLOBAL__N_121softmax_warp_backwardIfffLi2ELb0ELb1ELi64EEEvPT0_PKT_S5_iiiPKb,"axG",@progbits,_ZN12_GLOBAL__N_121softmax_warp_backwardIfffLi2ELb0ELb1ELi64EEEvPT0_PKT_S5_iiiPKb,comdat
	.globl	_ZN12_GLOBAL__N_121softmax_warp_backwardIfffLi2ELb0ELb1ELi64EEEvPT0_PKT_S5_iiiPKb ; -- Begin function _ZN12_GLOBAL__N_121softmax_warp_backwardIfffLi2ELb0ELb1ELi64EEEvPT0_PKT_S5_iiiPKb
	.p2align	8
	.type	_ZN12_GLOBAL__N_121softmax_warp_backwardIfffLi2ELb0ELb1ELi64EEEvPT0_PKT_S5_iiiPKb,@function
_ZN12_GLOBAL__N_121softmax_warp_backwardIfffLi2ELb0ELb1ELi64EEEvPT0_PKT_S5_iiiPKb: ; @_ZN12_GLOBAL__N_121softmax_warp_backwardIfffLi2ELb0ELb1ELi64EEEvPT0_PKT_S5_iiiPKb
; %bb.0:
	s_clause 0x1
	s_load_dword s0, s[4:5], 0x3c
	s_load_dwordx4 s[8:11], s[4:5], 0x18
	v_and_b32_e32 v4, 3, v0
	s_clause 0x1
	s_load_dwordx4 s[12:15], s[4:5], 0x0
	s_load_dwordx2 s[2:3], s[4:5], 0x10
	v_mov_b32_e32 v11, 0
	v_mov_b32_e32 v12, 0
	s_waitcnt lgkmcnt(0)
	s_mov_b32 s11, 0
	s_lshr_b32 s0, s0, 16
	v_cmp_gt_i32_e32 vcc_lo, s10, v4
	s_and_b32 s0, s0, 0xffff
	s_mul_i32 s6, s6, s0
	v_add_lshl_u32 v0, s6, v1, 1
	v_mad_u64_u32 v[2:3], null, v0, s9, v[4:5]
	v_sub_nc_u32_e32 v10, s8, v0
	v_cmp_lt_i32_e64 s0, 0, v10
	v_ashrrev_i32_e32 v3, 31, v2
	v_lshlrev_b64 v[0:1], 2, v[2:3]
	v_add_co_u32 v8, s1, s14, v0
	v_add_co_ci_u32_e64 v9, null, s15, v1, s1
	v_add_co_u32 v6, s1, s2, v0
	v_add_co_ci_u32_e64 v7, null, s3, v1, s1
	s_and_b32 s2, vcc_lo, s0
	s_and_saveexec_b32 s1, s2
	s_cbranch_execz .LBB794_2
; %bb.1:
	global_load_dword v12, v[8:9], off
	global_load_dword v11, v[6:7], off
.LBB794_2:
	s_or_b32 exec_lo, exec_lo, s1
	v_cmp_gt_i32_e64 s1, 2, v10
	v_mov_b32_e32 v4, s10
	v_mov_b32_e32 v5, s11
	s_xor_b32 s2, vcc_lo, -1
	s_or_b32 s1, s2, s1
	s_and_saveexec_b32 s2, s1
	s_xor_b32 s1, exec_lo, s2
                                        ; implicit-def: $vgpr14
                                        ; implicit-def: $vgpr13
; %bb.3:
	v_mov_b32_e32 v13, 0
	s_ashr_i32 s3, s10, 31
	s_mov_b32 s2, s10
	v_mov_b32_e32 v5, s3
	v_mov_b32_e32 v4, s2
	;; [unrolled: 1-line block ×3, first 2 shown]
                                        ; implicit-def: $vgpr6
                                        ; implicit-def: $vgpr8
; %bb.4:
	s_andn2_saveexec_b32 s2, s1
	s_cbranch_execz .LBB794_6
; %bb.5:
	s_lshl_b64 s[6:7], s[10:11], 2
	v_add_co_u32 v8, s1, v8, s6
	v_add_co_ci_u32_e64 v9, null, s7, v9, s1
	v_add_co_u32 v6, s1, v6, s6
	v_add_co_ci_u32_e64 v7, null, s7, v7, s1
	global_load_dword v13, v[8:9], off
	global_load_dword v14, v[6:7], off
.LBB794_6:
	s_or_b32 exec_lo, exec_lo, s2
	s_load_dwordx2 s[2:3], s[4:5], 0x28
	s_waitcnt vmcnt(1)
	v_add_f32_e32 v7, 0, v12
	v_add_f32_e32 v8, 0, v13
	s_waitcnt lgkmcnt(0)
	v_add_co_u32 v2, s1, s2, v2
	v_add_co_ci_u32_e64 v3, null, s3, v3, s1
	v_add_co_u32 v4, s1, v2, v4
	v_add_co_ci_u32_e64 v5, null, v3, v5, s1
	s_clause 0x1
	global_load_ubyte v2, v[2:3], off
	global_load_ubyte v3, v[4:5], off
	v_mbcnt_lo_u32_b32 v4, -1, 0
	v_and_b32_e32 v5, 28, v4
	v_xor_b32_e32 v6, 2, v4
	v_add_nc_u32_e32 v5, 4, v5
	v_cmp_lt_i32_e64 s1, v6, v5
	v_cndmask_b32_e64 v6, v4, v6, s1
	v_lshlrev_b32_e32 v6, 2, v6
	s_waitcnt vmcnt(1)
	v_and_b32_e32 v2, 1, v2
	s_waitcnt vmcnt(0)
	v_and_b32_e32 v3, 1, v3
	v_cmp_eq_u32_e64 s2, 1, v2
	v_cmp_eq_u32_e64 s1, 1, v3
	v_cndmask_b32_e64 v2, v7, 0, s2
	v_cndmask_b32_e64 v3, v8, 0, s1
	v_xor_b32_e32 v8, 1, v4
	ds_bpermute_b32 v7, v6, v2
	ds_bpermute_b32 v6, v6, v3
	v_cmp_lt_i32_e64 s3, v8, v5
	v_cndmask_b32_e64 v5, v4, v8, s3
	s_waitcnt lgkmcnt(1)
	v_add_f32_e32 v4, v2, v7
	v_lshlrev_b32_e32 v7, 2, v5
	s_waitcnt lgkmcnt(0)
	v_add_f32_e32 v2, v3, v6
	ds_bpermute_b32 v5, v7, v4
	ds_bpermute_b32 v3, v7, v2
	s_and_saveexec_b32 s3, s0
	s_cbranch_execz .LBB794_11
; %bb.7:
	v_add_co_u32 v0, s0, s12, v0
	v_add_co_ci_u32_e64 v1, null, s13, v1, s0
	s_and_saveexec_b32 s0, vcc_lo
	s_cbranch_execz .LBB794_9
; %bb.8:
	s_waitcnt lgkmcnt(1)
	v_add_f32_e32 v4, v4, v5
	v_fma_f32 v4, -v11, v4, v12
	v_cndmask_b32_e64 v4, v4, 0, s2
	global_store_dword v[0:1], v4, off
.LBB794_9:
	s_or_b32 exec_lo, exec_lo, s0
	v_cmp_ne_u32_e64 s0, 1, v10
	s_and_b32 s0, s0, vcc_lo
	s_and_b32 exec_lo, exec_lo, s0
	s_cbranch_execz .LBB794_11
; %bb.10:
	s_waitcnt lgkmcnt(0)
	v_add_f32_e32 v2, v2, v3
	s_lshl_b64 s[2:3], s[10:11], 2
	v_add_co_u32 v0, vcc_lo, v0, s2
	v_fma_f32 v2, -v14, v2, v13
	v_add_co_ci_u32_e64 v1, null, s3, v1, vcc_lo
	v_cndmask_b32_e64 v2, v2, 0, s1
	global_store_dword v[0:1], v2, off
.LBB794_11:
	s_endpgm
	.section	.rodata,"a",@progbits
	.p2align	6, 0x0
	.amdhsa_kernel _ZN12_GLOBAL__N_121softmax_warp_backwardIfffLi2ELb0ELb1ELi64EEEvPT0_PKT_S5_iiiPKb
		.amdhsa_group_segment_fixed_size 0
		.amdhsa_private_segment_fixed_size 0
		.amdhsa_kernarg_size 304
		.amdhsa_user_sgpr_count 6
		.amdhsa_user_sgpr_private_segment_buffer 1
		.amdhsa_user_sgpr_dispatch_ptr 0
		.amdhsa_user_sgpr_queue_ptr 0
		.amdhsa_user_sgpr_kernarg_segment_ptr 1
		.amdhsa_user_sgpr_dispatch_id 0
		.amdhsa_user_sgpr_flat_scratch_init 0
		.amdhsa_user_sgpr_private_segment_size 0
		.amdhsa_wavefront_size32 1
		.amdhsa_uses_dynamic_stack 0
		.amdhsa_system_sgpr_private_segment_wavefront_offset 0
		.amdhsa_system_sgpr_workgroup_id_x 1
		.amdhsa_system_sgpr_workgroup_id_y 0
		.amdhsa_system_sgpr_workgroup_id_z 0
		.amdhsa_system_sgpr_workgroup_info 0
		.amdhsa_system_vgpr_workitem_id 1
		.amdhsa_next_free_vgpr 15
		.amdhsa_next_free_sgpr 16
		.amdhsa_reserve_vcc 1
		.amdhsa_reserve_flat_scratch 0
		.amdhsa_float_round_mode_32 0
		.amdhsa_float_round_mode_16_64 0
		.amdhsa_float_denorm_mode_32 3
		.amdhsa_float_denorm_mode_16_64 3
		.amdhsa_dx10_clamp 1
		.amdhsa_ieee_mode 1
		.amdhsa_fp16_overflow 0
		.amdhsa_workgroup_processor_mode 1
		.amdhsa_memory_ordered 1
		.amdhsa_forward_progress 1
		.amdhsa_shared_vgpr_count 0
		.amdhsa_exception_fp_ieee_invalid_op 0
		.amdhsa_exception_fp_denorm_src 0
		.amdhsa_exception_fp_ieee_div_zero 0
		.amdhsa_exception_fp_ieee_overflow 0
		.amdhsa_exception_fp_ieee_underflow 0
		.amdhsa_exception_fp_ieee_inexact 0
		.amdhsa_exception_int_div_zero 0
	.end_amdhsa_kernel
	.section	.text._ZN12_GLOBAL__N_121softmax_warp_backwardIfffLi2ELb0ELb1ELi64EEEvPT0_PKT_S5_iiiPKb,"axG",@progbits,_ZN12_GLOBAL__N_121softmax_warp_backwardIfffLi2ELb0ELb1ELi64EEEvPT0_PKT_S5_iiiPKb,comdat
.Lfunc_end794:
	.size	_ZN12_GLOBAL__N_121softmax_warp_backwardIfffLi2ELb0ELb1ELi64EEEvPT0_PKT_S5_iiiPKb, .Lfunc_end794-_ZN12_GLOBAL__N_121softmax_warp_backwardIfffLi2ELb0ELb1ELi64EEEvPT0_PKT_S5_iiiPKb
                                        ; -- End function
	.set _ZN12_GLOBAL__N_121softmax_warp_backwardIfffLi2ELb0ELb1ELi64EEEvPT0_PKT_S5_iiiPKb.num_vgpr, 15
	.set _ZN12_GLOBAL__N_121softmax_warp_backwardIfffLi2ELb0ELb1ELi64EEEvPT0_PKT_S5_iiiPKb.num_agpr, 0
	.set _ZN12_GLOBAL__N_121softmax_warp_backwardIfffLi2ELb0ELb1ELi64EEEvPT0_PKT_S5_iiiPKb.numbered_sgpr, 16
	.set _ZN12_GLOBAL__N_121softmax_warp_backwardIfffLi2ELb0ELb1ELi64EEEvPT0_PKT_S5_iiiPKb.num_named_barrier, 0
	.set _ZN12_GLOBAL__N_121softmax_warp_backwardIfffLi2ELb0ELb1ELi64EEEvPT0_PKT_S5_iiiPKb.private_seg_size, 0
	.set _ZN12_GLOBAL__N_121softmax_warp_backwardIfffLi2ELb0ELb1ELi64EEEvPT0_PKT_S5_iiiPKb.uses_vcc, 1
	.set _ZN12_GLOBAL__N_121softmax_warp_backwardIfffLi2ELb0ELb1ELi64EEEvPT0_PKT_S5_iiiPKb.uses_flat_scratch, 0
	.set _ZN12_GLOBAL__N_121softmax_warp_backwardIfffLi2ELb0ELb1ELi64EEEvPT0_PKT_S5_iiiPKb.has_dyn_sized_stack, 0
	.set _ZN12_GLOBAL__N_121softmax_warp_backwardIfffLi2ELb0ELb1ELi64EEEvPT0_PKT_S5_iiiPKb.has_recursion, 0
	.set _ZN12_GLOBAL__N_121softmax_warp_backwardIfffLi2ELb0ELb1ELi64EEEvPT0_PKT_S5_iiiPKb.has_indirect_call, 0
	.section	.AMDGPU.csdata,"",@progbits
; Kernel info:
; codeLenInByte = 684
; TotalNumSgprs: 18
; NumVgprs: 15
; ScratchSize: 0
; MemoryBound: 0
; FloatMode: 240
; IeeeMode: 1
; LDSByteSize: 0 bytes/workgroup (compile time only)
; SGPRBlocks: 0
; VGPRBlocks: 1
; NumSGPRsForWavesPerEU: 18
; NumVGPRsForWavesPerEU: 15
; Occupancy: 16
; WaveLimiterHint : 0
; COMPUTE_PGM_RSRC2:SCRATCH_EN: 0
; COMPUTE_PGM_RSRC2:USER_SGPR: 6
; COMPUTE_PGM_RSRC2:TRAP_HANDLER: 0
; COMPUTE_PGM_RSRC2:TGID_X_EN: 1
; COMPUTE_PGM_RSRC2:TGID_Y_EN: 0
; COMPUTE_PGM_RSRC2:TGID_Z_EN: 0
; COMPUTE_PGM_RSRC2:TIDIG_COMP_CNT: 1
	.section	.text._ZN12_GLOBAL__N_121softmax_warp_backwardIfffLi2ELb0ELb1ELi32EEEvPT0_PKT_S5_iiiPKb,"axG",@progbits,_ZN12_GLOBAL__N_121softmax_warp_backwardIfffLi2ELb0ELb1ELi32EEEvPT0_PKT_S5_iiiPKb,comdat
	.globl	_ZN12_GLOBAL__N_121softmax_warp_backwardIfffLi2ELb0ELb1ELi32EEEvPT0_PKT_S5_iiiPKb ; -- Begin function _ZN12_GLOBAL__N_121softmax_warp_backwardIfffLi2ELb0ELb1ELi32EEEvPT0_PKT_S5_iiiPKb
	.p2align	8
	.type	_ZN12_GLOBAL__N_121softmax_warp_backwardIfffLi2ELb0ELb1ELi32EEEvPT0_PKT_S5_iiiPKb,@function
_ZN12_GLOBAL__N_121softmax_warp_backwardIfffLi2ELb0ELb1ELi32EEEvPT0_PKT_S5_iiiPKb: ; @_ZN12_GLOBAL__N_121softmax_warp_backwardIfffLi2ELb0ELb1ELi32EEEvPT0_PKT_S5_iiiPKb
; %bb.0:
	s_clause 0x1
	s_load_dword s0, s[4:5], 0x3c
	s_load_dwordx4 s[8:11], s[4:5], 0x18
	v_and_b32_e32 v4, 3, v0
	s_clause 0x1
	s_load_dwordx4 s[12:15], s[4:5], 0x0
	s_load_dwordx2 s[2:3], s[4:5], 0x10
	v_mov_b32_e32 v11, 0
	v_mov_b32_e32 v12, 0
	s_waitcnt lgkmcnt(0)
	s_mov_b32 s11, 0
	s_lshr_b32 s0, s0, 16
	v_cmp_gt_i32_e32 vcc_lo, s10, v4
	s_and_b32 s0, s0, 0xffff
	s_mul_i32 s6, s6, s0
	v_add_lshl_u32 v0, s6, v1, 1
	v_mad_u64_u32 v[2:3], null, v0, s9, v[4:5]
	v_sub_nc_u32_e32 v10, s8, v0
	v_cmp_lt_i32_e64 s0, 0, v10
	v_ashrrev_i32_e32 v3, 31, v2
	v_lshlrev_b64 v[0:1], 2, v[2:3]
	v_add_co_u32 v8, s1, s14, v0
	v_add_co_ci_u32_e64 v9, null, s15, v1, s1
	v_add_co_u32 v6, s1, s2, v0
	v_add_co_ci_u32_e64 v7, null, s3, v1, s1
	s_and_b32 s2, vcc_lo, s0
	s_and_saveexec_b32 s1, s2
	s_cbranch_execz .LBB795_2
; %bb.1:
	global_load_dword v12, v[8:9], off
	global_load_dword v11, v[6:7], off
.LBB795_2:
	s_or_b32 exec_lo, exec_lo, s1
	v_cmp_gt_i32_e64 s1, 2, v10
	v_mov_b32_e32 v4, s10
	v_mov_b32_e32 v5, s11
	s_xor_b32 s2, vcc_lo, -1
	s_or_b32 s1, s2, s1
	s_and_saveexec_b32 s2, s1
	s_xor_b32 s1, exec_lo, s2
                                        ; implicit-def: $vgpr14
                                        ; implicit-def: $vgpr13
; %bb.3:
	v_mov_b32_e32 v13, 0
	s_ashr_i32 s3, s10, 31
	s_mov_b32 s2, s10
	v_mov_b32_e32 v5, s3
	v_mov_b32_e32 v4, s2
	v_mov_b32_e32 v14, v13
                                        ; implicit-def: $vgpr6
                                        ; implicit-def: $vgpr8
; %bb.4:
	s_andn2_saveexec_b32 s2, s1
	s_cbranch_execz .LBB795_6
; %bb.5:
	s_lshl_b64 s[6:7], s[10:11], 2
	v_add_co_u32 v8, s1, v8, s6
	v_add_co_ci_u32_e64 v9, null, s7, v9, s1
	v_add_co_u32 v6, s1, v6, s6
	v_add_co_ci_u32_e64 v7, null, s7, v7, s1
	global_load_dword v13, v[8:9], off
	global_load_dword v14, v[6:7], off
.LBB795_6:
	s_or_b32 exec_lo, exec_lo, s2
	s_load_dwordx2 s[2:3], s[4:5], 0x28
	s_waitcnt vmcnt(1)
	v_add_f32_e32 v7, 0, v12
	v_add_f32_e32 v8, 0, v13
	s_waitcnt lgkmcnt(0)
	v_add_co_u32 v2, s1, s2, v2
	v_add_co_ci_u32_e64 v3, null, s3, v3, s1
	v_add_co_u32 v4, s1, v2, v4
	v_add_co_ci_u32_e64 v5, null, v3, v5, s1
	s_clause 0x1
	global_load_ubyte v2, v[2:3], off
	global_load_ubyte v3, v[4:5], off
	v_mbcnt_lo_u32_b32 v4, -1, 0
	v_and_b32_e32 v5, 28, v4
	v_xor_b32_e32 v6, 2, v4
	v_add_nc_u32_e32 v5, 4, v5
	v_cmp_lt_i32_e64 s1, v6, v5
	v_cndmask_b32_e64 v6, v4, v6, s1
	v_lshlrev_b32_e32 v6, 2, v6
	s_waitcnt vmcnt(1)
	v_and_b32_e32 v2, 1, v2
	s_waitcnt vmcnt(0)
	v_and_b32_e32 v3, 1, v3
	v_cmp_eq_u32_e64 s2, 1, v2
	v_cmp_eq_u32_e64 s1, 1, v3
	v_cndmask_b32_e64 v2, v7, 0, s2
	v_cndmask_b32_e64 v3, v8, 0, s1
	v_xor_b32_e32 v8, 1, v4
	ds_bpermute_b32 v7, v6, v2
	ds_bpermute_b32 v6, v6, v3
	v_cmp_lt_i32_e64 s3, v8, v5
	v_cndmask_b32_e64 v5, v4, v8, s3
	s_waitcnt lgkmcnt(1)
	v_add_f32_e32 v4, v2, v7
	v_lshlrev_b32_e32 v7, 2, v5
	s_waitcnt lgkmcnt(0)
	v_add_f32_e32 v2, v3, v6
	ds_bpermute_b32 v5, v7, v4
	ds_bpermute_b32 v3, v7, v2
	s_and_saveexec_b32 s3, s0
	s_cbranch_execz .LBB795_11
; %bb.7:
	v_add_co_u32 v0, s0, s12, v0
	v_add_co_ci_u32_e64 v1, null, s13, v1, s0
	s_and_saveexec_b32 s0, vcc_lo
	s_cbranch_execz .LBB795_9
; %bb.8:
	s_waitcnt lgkmcnt(1)
	v_add_f32_e32 v4, v4, v5
	v_fma_f32 v4, -v11, v4, v12
	v_cndmask_b32_e64 v4, v4, 0, s2
	global_store_dword v[0:1], v4, off
.LBB795_9:
	s_or_b32 exec_lo, exec_lo, s0
	v_cmp_ne_u32_e64 s0, 1, v10
	s_and_b32 s0, s0, vcc_lo
	s_and_b32 exec_lo, exec_lo, s0
	s_cbranch_execz .LBB795_11
; %bb.10:
	s_waitcnt lgkmcnt(0)
	v_add_f32_e32 v2, v2, v3
	s_lshl_b64 s[2:3], s[10:11], 2
	v_add_co_u32 v0, vcc_lo, v0, s2
	v_fma_f32 v2, -v14, v2, v13
	v_add_co_ci_u32_e64 v1, null, s3, v1, vcc_lo
	v_cndmask_b32_e64 v2, v2, 0, s1
	global_store_dword v[0:1], v2, off
.LBB795_11:
	s_endpgm
	.section	.rodata,"a",@progbits
	.p2align	6, 0x0
	.amdhsa_kernel _ZN12_GLOBAL__N_121softmax_warp_backwardIfffLi2ELb0ELb1ELi32EEEvPT0_PKT_S5_iiiPKb
		.amdhsa_group_segment_fixed_size 0
		.amdhsa_private_segment_fixed_size 0
		.amdhsa_kernarg_size 304
		.amdhsa_user_sgpr_count 6
		.amdhsa_user_sgpr_private_segment_buffer 1
		.amdhsa_user_sgpr_dispatch_ptr 0
		.amdhsa_user_sgpr_queue_ptr 0
		.amdhsa_user_sgpr_kernarg_segment_ptr 1
		.amdhsa_user_sgpr_dispatch_id 0
		.amdhsa_user_sgpr_flat_scratch_init 0
		.amdhsa_user_sgpr_private_segment_size 0
		.amdhsa_wavefront_size32 1
		.amdhsa_uses_dynamic_stack 0
		.amdhsa_system_sgpr_private_segment_wavefront_offset 0
		.amdhsa_system_sgpr_workgroup_id_x 1
		.amdhsa_system_sgpr_workgroup_id_y 0
		.amdhsa_system_sgpr_workgroup_id_z 0
		.amdhsa_system_sgpr_workgroup_info 0
		.amdhsa_system_vgpr_workitem_id 1
		.amdhsa_next_free_vgpr 15
		.amdhsa_next_free_sgpr 16
		.amdhsa_reserve_vcc 1
		.amdhsa_reserve_flat_scratch 0
		.amdhsa_float_round_mode_32 0
		.amdhsa_float_round_mode_16_64 0
		.amdhsa_float_denorm_mode_32 3
		.amdhsa_float_denorm_mode_16_64 3
		.amdhsa_dx10_clamp 1
		.amdhsa_ieee_mode 1
		.amdhsa_fp16_overflow 0
		.amdhsa_workgroup_processor_mode 1
		.amdhsa_memory_ordered 1
		.amdhsa_forward_progress 1
		.amdhsa_shared_vgpr_count 0
		.amdhsa_exception_fp_ieee_invalid_op 0
		.amdhsa_exception_fp_denorm_src 0
		.amdhsa_exception_fp_ieee_div_zero 0
		.amdhsa_exception_fp_ieee_overflow 0
		.amdhsa_exception_fp_ieee_underflow 0
		.amdhsa_exception_fp_ieee_inexact 0
		.amdhsa_exception_int_div_zero 0
	.end_amdhsa_kernel
	.section	.text._ZN12_GLOBAL__N_121softmax_warp_backwardIfffLi2ELb0ELb1ELi32EEEvPT0_PKT_S5_iiiPKb,"axG",@progbits,_ZN12_GLOBAL__N_121softmax_warp_backwardIfffLi2ELb0ELb1ELi32EEEvPT0_PKT_S5_iiiPKb,comdat
.Lfunc_end795:
	.size	_ZN12_GLOBAL__N_121softmax_warp_backwardIfffLi2ELb0ELb1ELi32EEEvPT0_PKT_S5_iiiPKb, .Lfunc_end795-_ZN12_GLOBAL__N_121softmax_warp_backwardIfffLi2ELb0ELb1ELi32EEEvPT0_PKT_S5_iiiPKb
                                        ; -- End function
	.set _ZN12_GLOBAL__N_121softmax_warp_backwardIfffLi2ELb0ELb1ELi32EEEvPT0_PKT_S5_iiiPKb.num_vgpr, 15
	.set _ZN12_GLOBAL__N_121softmax_warp_backwardIfffLi2ELb0ELb1ELi32EEEvPT0_PKT_S5_iiiPKb.num_agpr, 0
	.set _ZN12_GLOBAL__N_121softmax_warp_backwardIfffLi2ELb0ELb1ELi32EEEvPT0_PKT_S5_iiiPKb.numbered_sgpr, 16
	.set _ZN12_GLOBAL__N_121softmax_warp_backwardIfffLi2ELb0ELb1ELi32EEEvPT0_PKT_S5_iiiPKb.num_named_barrier, 0
	.set _ZN12_GLOBAL__N_121softmax_warp_backwardIfffLi2ELb0ELb1ELi32EEEvPT0_PKT_S5_iiiPKb.private_seg_size, 0
	.set _ZN12_GLOBAL__N_121softmax_warp_backwardIfffLi2ELb0ELb1ELi32EEEvPT0_PKT_S5_iiiPKb.uses_vcc, 1
	.set _ZN12_GLOBAL__N_121softmax_warp_backwardIfffLi2ELb0ELb1ELi32EEEvPT0_PKT_S5_iiiPKb.uses_flat_scratch, 0
	.set _ZN12_GLOBAL__N_121softmax_warp_backwardIfffLi2ELb0ELb1ELi32EEEvPT0_PKT_S5_iiiPKb.has_dyn_sized_stack, 0
	.set _ZN12_GLOBAL__N_121softmax_warp_backwardIfffLi2ELb0ELb1ELi32EEEvPT0_PKT_S5_iiiPKb.has_recursion, 0
	.set _ZN12_GLOBAL__N_121softmax_warp_backwardIfffLi2ELb0ELb1ELi32EEEvPT0_PKT_S5_iiiPKb.has_indirect_call, 0
	.section	.AMDGPU.csdata,"",@progbits
; Kernel info:
; codeLenInByte = 684
; TotalNumSgprs: 18
; NumVgprs: 15
; ScratchSize: 0
; MemoryBound: 0
; FloatMode: 240
; IeeeMode: 1
; LDSByteSize: 0 bytes/workgroup (compile time only)
; SGPRBlocks: 0
; VGPRBlocks: 1
; NumSGPRsForWavesPerEU: 18
; NumVGPRsForWavesPerEU: 15
; Occupancy: 16
; WaveLimiterHint : 0
; COMPUTE_PGM_RSRC2:SCRATCH_EN: 0
; COMPUTE_PGM_RSRC2:USER_SGPR: 6
; COMPUTE_PGM_RSRC2:TRAP_HANDLER: 0
; COMPUTE_PGM_RSRC2:TGID_X_EN: 1
; COMPUTE_PGM_RSRC2:TGID_Y_EN: 0
; COMPUTE_PGM_RSRC2:TGID_Z_EN: 0
; COMPUTE_PGM_RSRC2:TIDIG_COMP_CNT: 1
	.section	.text._ZN12_GLOBAL__N_121softmax_warp_backwardIfffLi3ELb0ELb1ELi64EEEvPT0_PKT_S5_iiiPKb,"axG",@progbits,_ZN12_GLOBAL__N_121softmax_warp_backwardIfffLi3ELb0ELb1ELi64EEEvPT0_PKT_S5_iiiPKb,comdat
	.globl	_ZN12_GLOBAL__N_121softmax_warp_backwardIfffLi3ELb0ELb1ELi64EEEvPT0_PKT_S5_iiiPKb ; -- Begin function _ZN12_GLOBAL__N_121softmax_warp_backwardIfffLi3ELb0ELb1ELi64EEEvPT0_PKT_S5_iiiPKb
	.p2align	8
	.type	_ZN12_GLOBAL__N_121softmax_warp_backwardIfffLi3ELb0ELb1ELi64EEEvPT0_PKT_S5_iiiPKb,@function
_ZN12_GLOBAL__N_121softmax_warp_backwardIfffLi3ELb0ELb1ELi64EEEvPT0_PKT_S5_iiiPKb: ; @_ZN12_GLOBAL__N_121softmax_warp_backwardIfffLi3ELb0ELb1ELi64EEEvPT0_PKT_S5_iiiPKb
; %bb.0:
	s_clause 0x1
	s_load_dword s0, s[4:5], 0x3c
	s_load_dwordx4 s[8:11], s[4:5], 0x18
	v_and_b32_e32 v4, 7, v0
	s_clause 0x1
	s_load_dwordx4 s[12:15], s[4:5], 0x0
	s_load_dwordx2 s[2:3], s[4:5], 0x10
	v_mov_b32_e32 v11, 0
	v_mov_b32_e32 v12, 0
	s_waitcnt lgkmcnt(0)
	s_mov_b32 s11, 0
	s_lshr_b32 s0, s0, 16
	v_cmp_gt_i32_e32 vcc_lo, s10, v4
	s_and_b32 s0, s0, 0xffff
	s_mul_i32 s6, s6, s0
	v_add_lshl_u32 v0, s6, v1, 1
	v_mad_u64_u32 v[2:3], null, v0, s9, v[4:5]
	v_sub_nc_u32_e32 v10, s8, v0
	v_cmp_lt_i32_e64 s0, 0, v10
	v_ashrrev_i32_e32 v3, 31, v2
	v_lshlrev_b64 v[0:1], 2, v[2:3]
	v_add_co_u32 v8, s1, s14, v0
	v_add_co_ci_u32_e64 v9, null, s15, v1, s1
	v_add_co_u32 v6, s1, s2, v0
	v_add_co_ci_u32_e64 v7, null, s3, v1, s1
	s_and_b32 s2, vcc_lo, s0
	s_and_saveexec_b32 s1, s2
	s_cbranch_execz .LBB796_2
; %bb.1:
	global_load_dword v12, v[8:9], off
	global_load_dword v11, v[6:7], off
.LBB796_2:
	s_or_b32 exec_lo, exec_lo, s1
	v_cmp_gt_i32_e64 s1, 2, v10
	v_mov_b32_e32 v4, s10
	v_mov_b32_e32 v5, s11
	s_xor_b32 s2, vcc_lo, -1
	s_or_b32 s1, s2, s1
	s_and_saveexec_b32 s2, s1
	s_xor_b32 s1, exec_lo, s2
                                        ; implicit-def: $vgpr14
                                        ; implicit-def: $vgpr13
; %bb.3:
	v_mov_b32_e32 v13, 0
	s_ashr_i32 s3, s10, 31
	s_mov_b32 s2, s10
	v_mov_b32_e32 v5, s3
	v_mov_b32_e32 v4, s2
	v_mov_b32_e32 v14, v13
                                        ; implicit-def: $vgpr6
                                        ; implicit-def: $vgpr8
; %bb.4:
	s_andn2_saveexec_b32 s2, s1
	s_cbranch_execz .LBB796_6
; %bb.5:
	s_lshl_b64 s[6:7], s[10:11], 2
	v_add_co_u32 v8, s1, v8, s6
	v_add_co_ci_u32_e64 v9, null, s7, v9, s1
	v_add_co_u32 v6, s1, v6, s6
	v_add_co_ci_u32_e64 v7, null, s7, v7, s1
	global_load_dword v13, v[8:9], off
	global_load_dword v14, v[6:7], off
.LBB796_6:
	s_or_b32 exec_lo, exec_lo, s2
	s_load_dwordx2 s[2:3], s[4:5], 0x28
	s_waitcnt vmcnt(1)
	v_add_f32_e32 v7, 0, v12
	v_add_f32_e32 v8, 0, v13
	s_waitcnt lgkmcnt(0)
	v_add_co_u32 v2, s1, s2, v2
	v_add_co_ci_u32_e64 v3, null, s3, v3, s1
	v_add_co_u32 v4, s1, v2, v4
	v_add_co_ci_u32_e64 v5, null, v3, v5, s1
	s_clause 0x1
	global_load_ubyte v2, v[2:3], off
	global_load_ubyte v3, v[4:5], off
	v_mbcnt_lo_u32_b32 v4, -1, 0
	v_and_b32_e32 v5, 24, v4
	v_xor_b32_e32 v6, 4, v4
	v_add_nc_u32_e32 v5, 8, v5
	v_cmp_lt_i32_e64 s1, v6, v5
	v_cndmask_b32_e64 v6, v4, v6, s1
	v_lshlrev_b32_e32 v6, 2, v6
	s_waitcnt vmcnt(1)
	v_and_b32_e32 v2, 1, v2
	s_waitcnt vmcnt(0)
	v_and_b32_e32 v3, 1, v3
	v_cmp_eq_u32_e64 s2, 1, v2
	v_cmp_eq_u32_e64 s1, 1, v3
	v_cndmask_b32_e64 v2, v7, 0, s2
	v_cndmask_b32_e64 v3, v8, 0, s1
	v_xor_b32_e32 v8, 2, v4
	ds_bpermute_b32 v7, v6, v2
	ds_bpermute_b32 v6, v6, v3
	v_cmp_lt_i32_e64 s3, v8, v5
	v_cndmask_b32_e64 v8, v4, v8, s3
	s_waitcnt lgkmcnt(1)
	v_add_f32_e32 v2, v2, v7
	v_lshlrev_b32_e32 v7, 2, v8
	s_waitcnt lgkmcnt(0)
	v_add_f32_e32 v3, v3, v6
	v_xor_b32_e32 v8, 1, v4
	ds_bpermute_b32 v6, v7, v2
	ds_bpermute_b32 v7, v7, v3
	v_cmp_lt_i32_e64 s3, v8, v5
	v_cndmask_b32_e64 v5, v4, v8, s3
	s_waitcnt lgkmcnt(1)
	v_add_f32_e32 v4, v2, v6
	v_lshlrev_b32_e32 v6, 2, v5
	s_waitcnt lgkmcnt(0)
	v_add_f32_e32 v2, v3, v7
	ds_bpermute_b32 v5, v6, v4
	ds_bpermute_b32 v3, v6, v2
	s_and_saveexec_b32 s3, s0
	s_cbranch_execz .LBB796_11
; %bb.7:
	v_add_co_u32 v0, s0, s12, v0
	v_add_co_ci_u32_e64 v1, null, s13, v1, s0
	s_and_saveexec_b32 s0, vcc_lo
	s_cbranch_execz .LBB796_9
; %bb.8:
	s_waitcnt lgkmcnt(1)
	v_add_f32_e32 v4, v4, v5
	v_fma_f32 v4, -v11, v4, v12
	v_cndmask_b32_e64 v4, v4, 0, s2
	global_store_dword v[0:1], v4, off
.LBB796_9:
	s_or_b32 exec_lo, exec_lo, s0
	v_cmp_ne_u32_e64 s0, 1, v10
	s_and_b32 s0, s0, vcc_lo
	s_and_b32 exec_lo, exec_lo, s0
	s_cbranch_execz .LBB796_11
; %bb.10:
	s_waitcnt lgkmcnt(0)
	v_add_f32_e32 v2, v2, v3
	s_lshl_b64 s[2:3], s[10:11], 2
	v_add_co_u32 v0, vcc_lo, v0, s2
	v_fma_f32 v2, -v14, v2, v13
	v_add_co_ci_u32_e64 v1, null, s3, v1, vcc_lo
	v_cndmask_b32_e64 v2, v2, 0, s1
	global_store_dword v[0:1], v2, off
.LBB796_11:
	s_endpgm
	.section	.rodata,"a",@progbits
	.p2align	6, 0x0
	.amdhsa_kernel _ZN12_GLOBAL__N_121softmax_warp_backwardIfffLi3ELb0ELb1ELi64EEEvPT0_PKT_S5_iiiPKb
		.amdhsa_group_segment_fixed_size 0
		.amdhsa_private_segment_fixed_size 0
		.amdhsa_kernarg_size 304
		.amdhsa_user_sgpr_count 6
		.amdhsa_user_sgpr_private_segment_buffer 1
		.amdhsa_user_sgpr_dispatch_ptr 0
		.amdhsa_user_sgpr_queue_ptr 0
		.amdhsa_user_sgpr_kernarg_segment_ptr 1
		.amdhsa_user_sgpr_dispatch_id 0
		.amdhsa_user_sgpr_flat_scratch_init 0
		.amdhsa_user_sgpr_private_segment_size 0
		.amdhsa_wavefront_size32 1
		.amdhsa_uses_dynamic_stack 0
		.amdhsa_system_sgpr_private_segment_wavefront_offset 0
		.amdhsa_system_sgpr_workgroup_id_x 1
		.amdhsa_system_sgpr_workgroup_id_y 0
		.amdhsa_system_sgpr_workgroup_id_z 0
		.amdhsa_system_sgpr_workgroup_info 0
		.amdhsa_system_vgpr_workitem_id 1
		.amdhsa_next_free_vgpr 15
		.amdhsa_next_free_sgpr 16
		.amdhsa_reserve_vcc 1
		.amdhsa_reserve_flat_scratch 0
		.amdhsa_float_round_mode_32 0
		.amdhsa_float_round_mode_16_64 0
		.amdhsa_float_denorm_mode_32 3
		.amdhsa_float_denorm_mode_16_64 3
		.amdhsa_dx10_clamp 1
		.amdhsa_ieee_mode 1
		.amdhsa_fp16_overflow 0
		.amdhsa_workgroup_processor_mode 1
		.amdhsa_memory_ordered 1
		.amdhsa_forward_progress 1
		.amdhsa_shared_vgpr_count 0
		.amdhsa_exception_fp_ieee_invalid_op 0
		.amdhsa_exception_fp_denorm_src 0
		.amdhsa_exception_fp_ieee_div_zero 0
		.amdhsa_exception_fp_ieee_overflow 0
		.amdhsa_exception_fp_ieee_underflow 0
		.amdhsa_exception_fp_ieee_inexact 0
		.amdhsa_exception_int_div_zero 0
	.end_amdhsa_kernel
	.section	.text._ZN12_GLOBAL__N_121softmax_warp_backwardIfffLi3ELb0ELb1ELi64EEEvPT0_PKT_S5_iiiPKb,"axG",@progbits,_ZN12_GLOBAL__N_121softmax_warp_backwardIfffLi3ELb0ELb1ELi64EEEvPT0_PKT_S5_iiiPKb,comdat
.Lfunc_end796:
	.size	_ZN12_GLOBAL__N_121softmax_warp_backwardIfffLi3ELb0ELb1ELi64EEEvPT0_PKT_S5_iiiPKb, .Lfunc_end796-_ZN12_GLOBAL__N_121softmax_warp_backwardIfffLi3ELb0ELb1ELi64EEEvPT0_PKT_S5_iiiPKb
                                        ; -- End function
	.set _ZN12_GLOBAL__N_121softmax_warp_backwardIfffLi3ELb0ELb1ELi64EEEvPT0_PKT_S5_iiiPKb.num_vgpr, 15
	.set _ZN12_GLOBAL__N_121softmax_warp_backwardIfffLi3ELb0ELb1ELi64EEEvPT0_PKT_S5_iiiPKb.num_agpr, 0
	.set _ZN12_GLOBAL__N_121softmax_warp_backwardIfffLi3ELb0ELb1ELi64EEEvPT0_PKT_S5_iiiPKb.numbered_sgpr, 16
	.set _ZN12_GLOBAL__N_121softmax_warp_backwardIfffLi3ELb0ELb1ELi64EEEvPT0_PKT_S5_iiiPKb.num_named_barrier, 0
	.set _ZN12_GLOBAL__N_121softmax_warp_backwardIfffLi3ELb0ELb1ELi64EEEvPT0_PKT_S5_iiiPKb.private_seg_size, 0
	.set _ZN12_GLOBAL__N_121softmax_warp_backwardIfffLi3ELb0ELb1ELi64EEEvPT0_PKT_S5_iiiPKb.uses_vcc, 1
	.set _ZN12_GLOBAL__N_121softmax_warp_backwardIfffLi3ELb0ELb1ELi64EEEvPT0_PKT_S5_iiiPKb.uses_flat_scratch, 0
	.set _ZN12_GLOBAL__N_121softmax_warp_backwardIfffLi3ELb0ELb1ELi64EEEvPT0_PKT_S5_iiiPKb.has_dyn_sized_stack, 0
	.set _ZN12_GLOBAL__N_121softmax_warp_backwardIfffLi3ELb0ELb1ELi64EEEvPT0_PKT_S5_iiiPKb.has_recursion, 0
	.set _ZN12_GLOBAL__N_121softmax_warp_backwardIfffLi3ELb0ELb1ELi64EEEvPT0_PKT_S5_iiiPKb.has_indirect_call, 0
	.section	.AMDGPU.csdata,"",@progbits
; Kernel info:
; codeLenInByte = 740
; TotalNumSgprs: 18
; NumVgprs: 15
; ScratchSize: 0
; MemoryBound: 0
; FloatMode: 240
; IeeeMode: 1
; LDSByteSize: 0 bytes/workgroup (compile time only)
; SGPRBlocks: 0
; VGPRBlocks: 1
; NumSGPRsForWavesPerEU: 18
; NumVGPRsForWavesPerEU: 15
; Occupancy: 16
; WaveLimiterHint : 0
; COMPUTE_PGM_RSRC2:SCRATCH_EN: 0
; COMPUTE_PGM_RSRC2:USER_SGPR: 6
; COMPUTE_PGM_RSRC2:TRAP_HANDLER: 0
; COMPUTE_PGM_RSRC2:TGID_X_EN: 1
; COMPUTE_PGM_RSRC2:TGID_Y_EN: 0
; COMPUTE_PGM_RSRC2:TGID_Z_EN: 0
; COMPUTE_PGM_RSRC2:TIDIG_COMP_CNT: 1
	.section	.text._ZN12_GLOBAL__N_121softmax_warp_backwardIfffLi3ELb0ELb1ELi32EEEvPT0_PKT_S5_iiiPKb,"axG",@progbits,_ZN12_GLOBAL__N_121softmax_warp_backwardIfffLi3ELb0ELb1ELi32EEEvPT0_PKT_S5_iiiPKb,comdat
	.globl	_ZN12_GLOBAL__N_121softmax_warp_backwardIfffLi3ELb0ELb1ELi32EEEvPT0_PKT_S5_iiiPKb ; -- Begin function _ZN12_GLOBAL__N_121softmax_warp_backwardIfffLi3ELb0ELb1ELi32EEEvPT0_PKT_S5_iiiPKb
	.p2align	8
	.type	_ZN12_GLOBAL__N_121softmax_warp_backwardIfffLi3ELb0ELb1ELi32EEEvPT0_PKT_S5_iiiPKb,@function
_ZN12_GLOBAL__N_121softmax_warp_backwardIfffLi3ELb0ELb1ELi32EEEvPT0_PKT_S5_iiiPKb: ; @_ZN12_GLOBAL__N_121softmax_warp_backwardIfffLi3ELb0ELb1ELi32EEEvPT0_PKT_S5_iiiPKb
; %bb.0:
	s_clause 0x1
	s_load_dword s0, s[4:5], 0x3c
	s_load_dwordx4 s[8:11], s[4:5], 0x18
	v_and_b32_e32 v4, 7, v0
	s_clause 0x1
	s_load_dwordx4 s[12:15], s[4:5], 0x0
	s_load_dwordx2 s[2:3], s[4:5], 0x10
	v_mov_b32_e32 v11, 0
	v_mov_b32_e32 v12, 0
	s_waitcnt lgkmcnt(0)
	s_mov_b32 s11, 0
	s_lshr_b32 s0, s0, 16
	v_cmp_gt_i32_e32 vcc_lo, s10, v4
	s_and_b32 s0, s0, 0xffff
	s_mul_i32 s6, s6, s0
	v_add_lshl_u32 v0, s6, v1, 1
	v_mad_u64_u32 v[2:3], null, v0, s9, v[4:5]
	v_sub_nc_u32_e32 v10, s8, v0
	v_cmp_lt_i32_e64 s0, 0, v10
	v_ashrrev_i32_e32 v3, 31, v2
	v_lshlrev_b64 v[0:1], 2, v[2:3]
	v_add_co_u32 v8, s1, s14, v0
	v_add_co_ci_u32_e64 v9, null, s15, v1, s1
	v_add_co_u32 v6, s1, s2, v0
	v_add_co_ci_u32_e64 v7, null, s3, v1, s1
	s_and_b32 s2, vcc_lo, s0
	s_and_saveexec_b32 s1, s2
	s_cbranch_execz .LBB797_2
; %bb.1:
	global_load_dword v12, v[8:9], off
	global_load_dword v11, v[6:7], off
.LBB797_2:
	s_or_b32 exec_lo, exec_lo, s1
	v_cmp_gt_i32_e64 s1, 2, v10
	v_mov_b32_e32 v4, s10
	v_mov_b32_e32 v5, s11
	s_xor_b32 s2, vcc_lo, -1
	s_or_b32 s1, s2, s1
	s_and_saveexec_b32 s2, s1
	s_xor_b32 s1, exec_lo, s2
                                        ; implicit-def: $vgpr14
                                        ; implicit-def: $vgpr13
; %bb.3:
	v_mov_b32_e32 v13, 0
	s_ashr_i32 s3, s10, 31
	s_mov_b32 s2, s10
	v_mov_b32_e32 v5, s3
	v_mov_b32_e32 v4, s2
	;; [unrolled: 1-line block ×3, first 2 shown]
                                        ; implicit-def: $vgpr6
                                        ; implicit-def: $vgpr8
; %bb.4:
	s_andn2_saveexec_b32 s2, s1
	s_cbranch_execz .LBB797_6
; %bb.5:
	s_lshl_b64 s[6:7], s[10:11], 2
	v_add_co_u32 v8, s1, v8, s6
	v_add_co_ci_u32_e64 v9, null, s7, v9, s1
	v_add_co_u32 v6, s1, v6, s6
	v_add_co_ci_u32_e64 v7, null, s7, v7, s1
	global_load_dword v13, v[8:9], off
	global_load_dword v14, v[6:7], off
.LBB797_6:
	s_or_b32 exec_lo, exec_lo, s2
	s_load_dwordx2 s[2:3], s[4:5], 0x28
	s_waitcnt vmcnt(1)
	v_add_f32_e32 v7, 0, v12
	v_add_f32_e32 v8, 0, v13
	s_waitcnt lgkmcnt(0)
	v_add_co_u32 v2, s1, s2, v2
	v_add_co_ci_u32_e64 v3, null, s3, v3, s1
	v_add_co_u32 v4, s1, v2, v4
	v_add_co_ci_u32_e64 v5, null, v3, v5, s1
	s_clause 0x1
	global_load_ubyte v2, v[2:3], off
	global_load_ubyte v3, v[4:5], off
	v_mbcnt_lo_u32_b32 v4, -1, 0
	v_and_b32_e32 v5, 24, v4
	v_xor_b32_e32 v6, 4, v4
	v_add_nc_u32_e32 v5, 8, v5
	v_cmp_lt_i32_e64 s1, v6, v5
	v_cndmask_b32_e64 v6, v4, v6, s1
	v_lshlrev_b32_e32 v6, 2, v6
	s_waitcnt vmcnt(1)
	v_and_b32_e32 v2, 1, v2
	s_waitcnt vmcnt(0)
	v_and_b32_e32 v3, 1, v3
	v_cmp_eq_u32_e64 s2, 1, v2
	v_cmp_eq_u32_e64 s1, 1, v3
	v_cndmask_b32_e64 v2, v7, 0, s2
	v_cndmask_b32_e64 v3, v8, 0, s1
	v_xor_b32_e32 v8, 2, v4
	ds_bpermute_b32 v7, v6, v2
	ds_bpermute_b32 v6, v6, v3
	v_cmp_lt_i32_e64 s3, v8, v5
	v_cndmask_b32_e64 v8, v4, v8, s3
	s_waitcnt lgkmcnt(1)
	v_add_f32_e32 v2, v2, v7
	v_lshlrev_b32_e32 v7, 2, v8
	s_waitcnt lgkmcnt(0)
	v_add_f32_e32 v3, v3, v6
	v_xor_b32_e32 v8, 1, v4
	ds_bpermute_b32 v6, v7, v2
	ds_bpermute_b32 v7, v7, v3
	v_cmp_lt_i32_e64 s3, v8, v5
	v_cndmask_b32_e64 v5, v4, v8, s3
	s_waitcnt lgkmcnt(1)
	v_add_f32_e32 v4, v2, v6
	v_lshlrev_b32_e32 v6, 2, v5
	s_waitcnt lgkmcnt(0)
	v_add_f32_e32 v2, v3, v7
	ds_bpermute_b32 v5, v6, v4
	ds_bpermute_b32 v3, v6, v2
	s_and_saveexec_b32 s3, s0
	s_cbranch_execz .LBB797_11
; %bb.7:
	v_add_co_u32 v0, s0, s12, v0
	v_add_co_ci_u32_e64 v1, null, s13, v1, s0
	s_and_saveexec_b32 s0, vcc_lo
	s_cbranch_execz .LBB797_9
; %bb.8:
	s_waitcnt lgkmcnt(1)
	v_add_f32_e32 v4, v4, v5
	v_fma_f32 v4, -v11, v4, v12
	v_cndmask_b32_e64 v4, v4, 0, s2
	global_store_dword v[0:1], v4, off
.LBB797_9:
	s_or_b32 exec_lo, exec_lo, s0
	v_cmp_ne_u32_e64 s0, 1, v10
	s_and_b32 s0, s0, vcc_lo
	s_and_b32 exec_lo, exec_lo, s0
	s_cbranch_execz .LBB797_11
; %bb.10:
	s_waitcnt lgkmcnt(0)
	v_add_f32_e32 v2, v2, v3
	s_lshl_b64 s[2:3], s[10:11], 2
	v_add_co_u32 v0, vcc_lo, v0, s2
	v_fma_f32 v2, -v14, v2, v13
	v_add_co_ci_u32_e64 v1, null, s3, v1, vcc_lo
	v_cndmask_b32_e64 v2, v2, 0, s1
	global_store_dword v[0:1], v2, off
.LBB797_11:
	s_endpgm
	.section	.rodata,"a",@progbits
	.p2align	6, 0x0
	.amdhsa_kernel _ZN12_GLOBAL__N_121softmax_warp_backwardIfffLi3ELb0ELb1ELi32EEEvPT0_PKT_S5_iiiPKb
		.amdhsa_group_segment_fixed_size 0
		.amdhsa_private_segment_fixed_size 0
		.amdhsa_kernarg_size 304
		.amdhsa_user_sgpr_count 6
		.amdhsa_user_sgpr_private_segment_buffer 1
		.amdhsa_user_sgpr_dispatch_ptr 0
		.amdhsa_user_sgpr_queue_ptr 0
		.amdhsa_user_sgpr_kernarg_segment_ptr 1
		.amdhsa_user_sgpr_dispatch_id 0
		.amdhsa_user_sgpr_flat_scratch_init 0
		.amdhsa_user_sgpr_private_segment_size 0
		.amdhsa_wavefront_size32 1
		.amdhsa_uses_dynamic_stack 0
		.amdhsa_system_sgpr_private_segment_wavefront_offset 0
		.amdhsa_system_sgpr_workgroup_id_x 1
		.amdhsa_system_sgpr_workgroup_id_y 0
		.amdhsa_system_sgpr_workgroup_id_z 0
		.amdhsa_system_sgpr_workgroup_info 0
		.amdhsa_system_vgpr_workitem_id 1
		.amdhsa_next_free_vgpr 15
		.amdhsa_next_free_sgpr 16
		.amdhsa_reserve_vcc 1
		.amdhsa_reserve_flat_scratch 0
		.amdhsa_float_round_mode_32 0
		.amdhsa_float_round_mode_16_64 0
		.amdhsa_float_denorm_mode_32 3
		.amdhsa_float_denorm_mode_16_64 3
		.amdhsa_dx10_clamp 1
		.amdhsa_ieee_mode 1
		.amdhsa_fp16_overflow 0
		.amdhsa_workgroup_processor_mode 1
		.amdhsa_memory_ordered 1
		.amdhsa_forward_progress 1
		.amdhsa_shared_vgpr_count 0
		.amdhsa_exception_fp_ieee_invalid_op 0
		.amdhsa_exception_fp_denorm_src 0
		.amdhsa_exception_fp_ieee_div_zero 0
		.amdhsa_exception_fp_ieee_overflow 0
		.amdhsa_exception_fp_ieee_underflow 0
		.amdhsa_exception_fp_ieee_inexact 0
		.amdhsa_exception_int_div_zero 0
	.end_amdhsa_kernel
	.section	.text._ZN12_GLOBAL__N_121softmax_warp_backwardIfffLi3ELb0ELb1ELi32EEEvPT0_PKT_S5_iiiPKb,"axG",@progbits,_ZN12_GLOBAL__N_121softmax_warp_backwardIfffLi3ELb0ELb1ELi32EEEvPT0_PKT_S5_iiiPKb,comdat
.Lfunc_end797:
	.size	_ZN12_GLOBAL__N_121softmax_warp_backwardIfffLi3ELb0ELb1ELi32EEEvPT0_PKT_S5_iiiPKb, .Lfunc_end797-_ZN12_GLOBAL__N_121softmax_warp_backwardIfffLi3ELb0ELb1ELi32EEEvPT0_PKT_S5_iiiPKb
                                        ; -- End function
	.set _ZN12_GLOBAL__N_121softmax_warp_backwardIfffLi3ELb0ELb1ELi32EEEvPT0_PKT_S5_iiiPKb.num_vgpr, 15
	.set _ZN12_GLOBAL__N_121softmax_warp_backwardIfffLi3ELb0ELb1ELi32EEEvPT0_PKT_S5_iiiPKb.num_agpr, 0
	.set _ZN12_GLOBAL__N_121softmax_warp_backwardIfffLi3ELb0ELb1ELi32EEEvPT0_PKT_S5_iiiPKb.numbered_sgpr, 16
	.set _ZN12_GLOBAL__N_121softmax_warp_backwardIfffLi3ELb0ELb1ELi32EEEvPT0_PKT_S5_iiiPKb.num_named_barrier, 0
	.set _ZN12_GLOBAL__N_121softmax_warp_backwardIfffLi3ELb0ELb1ELi32EEEvPT0_PKT_S5_iiiPKb.private_seg_size, 0
	.set _ZN12_GLOBAL__N_121softmax_warp_backwardIfffLi3ELb0ELb1ELi32EEEvPT0_PKT_S5_iiiPKb.uses_vcc, 1
	.set _ZN12_GLOBAL__N_121softmax_warp_backwardIfffLi3ELb0ELb1ELi32EEEvPT0_PKT_S5_iiiPKb.uses_flat_scratch, 0
	.set _ZN12_GLOBAL__N_121softmax_warp_backwardIfffLi3ELb0ELb1ELi32EEEvPT0_PKT_S5_iiiPKb.has_dyn_sized_stack, 0
	.set _ZN12_GLOBAL__N_121softmax_warp_backwardIfffLi3ELb0ELb1ELi32EEEvPT0_PKT_S5_iiiPKb.has_recursion, 0
	.set _ZN12_GLOBAL__N_121softmax_warp_backwardIfffLi3ELb0ELb1ELi32EEEvPT0_PKT_S5_iiiPKb.has_indirect_call, 0
	.section	.AMDGPU.csdata,"",@progbits
; Kernel info:
; codeLenInByte = 740
; TotalNumSgprs: 18
; NumVgprs: 15
; ScratchSize: 0
; MemoryBound: 0
; FloatMode: 240
; IeeeMode: 1
; LDSByteSize: 0 bytes/workgroup (compile time only)
; SGPRBlocks: 0
; VGPRBlocks: 1
; NumSGPRsForWavesPerEU: 18
; NumVGPRsForWavesPerEU: 15
; Occupancy: 16
; WaveLimiterHint : 0
; COMPUTE_PGM_RSRC2:SCRATCH_EN: 0
; COMPUTE_PGM_RSRC2:USER_SGPR: 6
; COMPUTE_PGM_RSRC2:TRAP_HANDLER: 0
; COMPUTE_PGM_RSRC2:TGID_X_EN: 1
; COMPUTE_PGM_RSRC2:TGID_Y_EN: 0
; COMPUTE_PGM_RSRC2:TGID_Z_EN: 0
; COMPUTE_PGM_RSRC2:TIDIG_COMP_CNT: 1
	.section	.text._ZN12_GLOBAL__N_121softmax_warp_backwardIfffLi4ELb0ELb1ELi64EEEvPT0_PKT_S5_iiiPKb,"axG",@progbits,_ZN12_GLOBAL__N_121softmax_warp_backwardIfffLi4ELb0ELb1ELi64EEEvPT0_PKT_S5_iiiPKb,comdat
	.globl	_ZN12_GLOBAL__N_121softmax_warp_backwardIfffLi4ELb0ELb1ELi64EEEvPT0_PKT_S5_iiiPKb ; -- Begin function _ZN12_GLOBAL__N_121softmax_warp_backwardIfffLi4ELb0ELb1ELi64EEEvPT0_PKT_S5_iiiPKb
	.p2align	8
	.type	_ZN12_GLOBAL__N_121softmax_warp_backwardIfffLi4ELb0ELb1ELi64EEEvPT0_PKT_S5_iiiPKb,@function
_ZN12_GLOBAL__N_121softmax_warp_backwardIfffLi4ELb0ELb1ELi64EEEvPT0_PKT_S5_iiiPKb: ; @_ZN12_GLOBAL__N_121softmax_warp_backwardIfffLi4ELb0ELb1ELi64EEEvPT0_PKT_S5_iiiPKb
; %bb.0:
	s_clause 0x1
	s_load_dword s0, s[4:5], 0x3c
	s_load_dwordx4 s[8:11], s[4:5], 0x18
	v_and_b32_e32 v4, 15, v0
	s_clause 0x1
	s_load_dwordx4 s[12:15], s[4:5], 0x0
	s_load_dwordx2 s[2:3], s[4:5], 0x10
	v_mov_b32_e32 v11, 0
	v_mov_b32_e32 v12, 0
	s_waitcnt lgkmcnt(0)
	s_mov_b32 s11, 0
	s_lshr_b32 s0, s0, 16
	v_cmp_gt_i32_e32 vcc_lo, s10, v4
	s_and_b32 s0, s0, 0xffff
	s_mul_i32 s6, s6, s0
	v_add_lshl_u32 v0, s6, v1, 1
	v_mad_u64_u32 v[2:3], null, v0, s9, v[4:5]
	v_sub_nc_u32_e32 v10, s8, v0
	v_cmp_lt_i32_e64 s0, 0, v10
	v_ashrrev_i32_e32 v3, 31, v2
	v_lshlrev_b64 v[0:1], 2, v[2:3]
	v_add_co_u32 v8, s1, s14, v0
	v_add_co_ci_u32_e64 v9, null, s15, v1, s1
	v_add_co_u32 v6, s1, s2, v0
	v_add_co_ci_u32_e64 v7, null, s3, v1, s1
	s_and_b32 s2, vcc_lo, s0
	s_and_saveexec_b32 s1, s2
	s_cbranch_execz .LBB798_2
; %bb.1:
	global_load_dword v12, v[8:9], off
	global_load_dword v11, v[6:7], off
.LBB798_2:
	s_or_b32 exec_lo, exec_lo, s1
	v_cmp_gt_i32_e64 s1, 2, v10
	v_mov_b32_e32 v4, s10
	v_mov_b32_e32 v5, s11
	s_xor_b32 s2, vcc_lo, -1
	s_or_b32 s1, s2, s1
	s_and_saveexec_b32 s2, s1
	s_xor_b32 s1, exec_lo, s2
                                        ; implicit-def: $vgpr14
                                        ; implicit-def: $vgpr13
; %bb.3:
	v_mov_b32_e32 v13, 0
	s_ashr_i32 s3, s10, 31
	s_mov_b32 s2, s10
	v_mov_b32_e32 v5, s3
	v_mov_b32_e32 v4, s2
	;; [unrolled: 1-line block ×3, first 2 shown]
                                        ; implicit-def: $vgpr6
                                        ; implicit-def: $vgpr8
; %bb.4:
	s_andn2_saveexec_b32 s2, s1
	s_cbranch_execz .LBB798_6
; %bb.5:
	s_lshl_b64 s[6:7], s[10:11], 2
	v_add_co_u32 v8, s1, v8, s6
	v_add_co_ci_u32_e64 v9, null, s7, v9, s1
	v_add_co_u32 v6, s1, v6, s6
	v_add_co_ci_u32_e64 v7, null, s7, v7, s1
	global_load_dword v13, v[8:9], off
	global_load_dword v14, v[6:7], off
.LBB798_6:
	s_or_b32 exec_lo, exec_lo, s2
	s_load_dwordx2 s[2:3], s[4:5], 0x28
	s_waitcnt vmcnt(1)
	v_add_f32_e32 v7, 0, v12
	v_add_f32_e32 v8, 0, v13
	s_waitcnt lgkmcnt(0)
	v_add_co_u32 v2, s1, s2, v2
	v_add_co_ci_u32_e64 v3, null, s3, v3, s1
	v_add_co_u32 v4, s1, v2, v4
	v_add_co_ci_u32_e64 v5, null, v3, v5, s1
	s_clause 0x1
	global_load_ubyte v2, v[2:3], off
	global_load_ubyte v3, v[4:5], off
	v_mbcnt_lo_u32_b32 v4, -1, 0
	v_and_b32_e32 v5, 16, v4
	v_xor_b32_e32 v6, 8, v4
	v_add_nc_u32_e32 v5, 16, v5
	v_cmp_lt_i32_e64 s1, v6, v5
	v_cndmask_b32_e64 v6, v4, v6, s1
	v_lshlrev_b32_e32 v6, 2, v6
	s_waitcnt vmcnt(1)
	v_and_b32_e32 v2, 1, v2
	s_waitcnt vmcnt(0)
	v_and_b32_e32 v3, 1, v3
	v_cmp_eq_u32_e64 s2, 1, v2
	v_cmp_eq_u32_e64 s1, 1, v3
	v_cndmask_b32_e64 v2, v7, 0, s2
	v_cndmask_b32_e64 v3, v8, 0, s1
	v_xor_b32_e32 v8, 4, v4
	ds_bpermute_b32 v7, v6, v2
	ds_bpermute_b32 v6, v6, v3
	v_cmp_lt_i32_e64 s3, v8, v5
	v_cndmask_b32_e64 v8, v4, v8, s3
	s_waitcnt lgkmcnt(1)
	v_add_f32_e32 v2, v2, v7
	v_lshlrev_b32_e32 v7, 2, v8
	s_waitcnt lgkmcnt(0)
	v_add_f32_e32 v3, v3, v6
	v_xor_b32_e32 v8, 2, v4
	ds_bpermute_b32 v6, v7, v2
	ds_bpermute_b32 v7, v7, v3
	v_cmp_lt_i32_e64 s3, v8, v5
	v_cndmask_b32_e64 v8, v4, v8, s3
	s_waitcnt lgkmcnt(1)
	v_add_f32_e32 v2, v2, v6
	v_lshlrev_b32_e32 v6, 2, v8
	s_waitcnt lgkmcnt(0)
	v_add_f32_e32 v3, v3, v7
	;; [unrolled: 10-line block ×3, first 2 shown]
	ds_bpermute_b32 v5, v7, v4
	ds_bpermute_b32 v3, v7, v2
	s_and_saveexec_b32 s3, s0
	s_cbranch_execz .LBB798_11
; %bb.7:
	v_add_co_u32 v0, s0, s12, v0
	v_add_co_ci_u32_e64 v1, null, s13, v1, s0
	s_and_saveexec_b32 s0, vcc_lo
	s_cbranch_execz .LBB798_9
; %bb.8:
	s_waitcnt lgkmcnt(1)
	v_add_f32_e32 v4, v4, v5
	v_fma_f32 v4, -v11, v4, v12
	v_cndmask_b32_e64 v4, v4, 0, s2
	global_store_dword v[0:1], v4, off
.LBB798_9:
	s_or_b32 exec_lo, exec_lo, s0
	v_cmp_ne_u32_e64 s0, 1, v10
	s_and_b32 s0, s0, vcc_lo
	s_and_b32 exec_lo, exec_lo, s0
	s_cbranch_execz .LBB798_11
; %bb.10:
	s_waitcnt lgkmcnt(0)
	v_add_f32_e32 v2, v2, v3
	s_lshl_b64 s[2:3], s[10:11], 2
	v_add_co_u32 v0, vcc_lo, v0, s2
	v_fma_f32 v2, -v14, v2, v13
	v_add_co_ci_u32_e64 v1, null, s3, v1, vcc_lo
	v_cndmask_b32_e64 v2, v2, 0, s1
	global_store_dword v[0:1], v2, off
.LBB798_11:
	s_endpgm
	.section	.rodata,"a",@progbits
	.p2align	6, 0x0
	.amdhsa_kernel _ZN12_GLOBAL__N_121softmax_warp_backwardIfffLi4ELb0ELb1ELi64EEEvPT0_PKT_S5_iiiPKb
		.amdhsa_group_segment_fixed_size 0
		.amdhsa_private_segment_fixed_size 0
		.amdhsa_kernarg_size 304
		.amdhsa_user_sgpr_count 6
		.amdhsa_user_sgpr_private_segment_buffer 1
		.amdhsa_user_sgpr_dispatch_ptr 0
		.amdhsa_user_sgpr_queue_ptr 0
		.amdhsa_user_sgpr_kernarg_segment_ptr 1
		.amdhsa_user_sgpr_dispatch_id 0
		.amdhsa_user_sgpr_flat_scratch_init 0
		.amdhsa_user_sgpr_private_segment_size 0
		.amdhsa_wavefront_size32 1
		.amdhsa_uses_dynamic_stack 0
		.amdhsa_system_sgpr_private_segment_wavefront_offset 0
		.amdhsa_system_sgpr_workgroup_id_x 1
		.amdhsa_system_sgpr_workgroup_id_y 0
		.amdhsa_system_sgpr_workgroup_id_z 0
		.amdhsa_system_sgpr_workgroup_info 0
		.amdhsa_system_vgpr_workitem_id 1
		.amdhsa_next_free_vgpr 15
		.amdhsa_next_free_sgpr 16
		.amdhsa_reserve_vcc 1
		.amdhsa_reserve_flat_scratch 0
		.amdhsa_float_round_mode_32 0
		.amdhsa_float_round_mode_16_64 0
		.amdhsa_float_denorm_mode_32 3
		.amdhsa_float_denorm_mode_16_64 3
		.amdhsa_dx10_clamp 1
		.amdhsa_ieee_mode 1
		.amdhsa_fp16_overflow 0
		.amdhsa_workgroup_processor_mode 1
		.amdhsa_memory_ordered 1
		.amdhsa_forward_progress 1
		.amdhsa_shared_vgpr_count 0
		.amdhsa_exception_fp_ieee_invalid_op 0
		.amdhsa_exception_fp_denorm_src 0
		.amdhsa_exception_fp_ieee_div_zero 0
		.amdhsa_exception_fp_ieee_overflow 0
		.amdhsa_exception_fp_ieee_underflow 0
		.amdhsa_exception_fp_ieee_inexact 0
		.amdhsa_exception_int_div_zero 0
	.end_amdhsa_kernel
	.section	.text._ZN12_GLOBAL__N_121softmax_warp_backwardIfffLi4ELb0ELb1ELi64EEEvPT0_PKT_S5_iiiPKb,"axG",@progbits,_ZN12_GLOBAL__N_121softmax_warp_backwardIfffLi4ELb0ELb1ELi64EEEvPT0_PKT_S5_iiiPKb,comdat
.Lfunc_end798:
	.size	_ZN12_GLOBAL__N_121softmax_warp_backwardIfffLi4ELb0ELb1ELi64EEEvPT0_PKT_S5_iiiPKb, .Lfunc_end798-_ZN12_GLOBAL__N_121softmax_warp_backwardIfffLi4ELb0ELb1ELi64EEEvPT0_PKT_S5_iiiPKb
                                        ; -- End function
	.set _ZN12_GLOBAL__N_121softmax_warp_backwardIfffLi4ELb0ELb1ELi64EEEvPT0_PKT_S5_iiiPKb.num_vgpr, 15
	.set _ZN12_GLOBAL__N_121softmax_warp_backwardIfffLi4ELb0ELb1ELi64EEEvPT0_PKT_S5_iiiPKb.num_agpr, 0
	.set _ZN12_GLOBAL__N_121softmax_warp_backwardIfffLi4ELb0ELb1ELi64EEEvPT0_PKT_S5_iiiPKb.numbered_sgpr, 16
	.set _ZN12_GLOBAL__N_121softmax_warp_backwardIfffLi4ELb0ELb1ELi64EEEvPT0_PKT_S5_iiiPKb.num_named_barrier, 0
	.set _ZN12_GLOBAL__N_121softmax_warp_backwardIfffLi4ELb0ELb1ELi64EEEvPT0_PKT_S5_iiiPKb.private_seg_size, 0
	.set _ZN12_GLOBAL__N_121softmax_warp_backwardIfffLi4ELb0ELb1ELi64EEEvPT0_PKT_S5_iiiPKb.uses_vcc, 1
	.set _ZN12_GLOBAL__N_121softmax_warp_backwardIfffLi4ELb0ELb1ELi64EEEvPT0_PKT_S5_iiiPKb.uses_flat_scratch, 0
	.set _ZN12_GLOBAL__N_121softmax_warp_backwardIfffLi4ELb0ELb1ELi64EEEvPT0_PKT_S5_iiiPKb.has_dyn_sized_stack, 0
	.set _ZN12_GLOBAL__N_121softmax_warp_backwardIfffLi4ELb0ELb1ELi64EEEvPT0_PKT_S5_iiiPKb.has_recursion, 0
	.set _ZN12_GLOBAL__N_121softmax_warp_backwardIfffLi4ELb0ELb1ELi64EEEvPT0_PKT_S5_iiiPKb.has_indirect_call, 0
	.section	.AMDGPU.csdata,"",@progbits
; Kernel info:
; codeLenInByte = 796
; TotalNumSgprs: 18
; NumVgprs: 15
; ScratchSize: 0
; MemoryBound: 0
; FloatMode: 240
; IeeeMode: 1
; LDSByteSize: 0 bytes/workgroup (compile time only)
; SGPRBlocks: 0
; VGPRBlocks: 1
; NumSGPRsForWavesPerEU: 18
; NumVGPRsForWavesPerEU: 15
; Occupancy: 16
; WaveLimiterHint : 0
; COMPUTE_PGM_RSRC2:SCRATCH_EN: 0
; COMPUTE_PGM_RSRC2:USER_SGPR: 6
; COMPUTE_PGM_RSRC2:TRAP_HANDLER: 0
; COMPUTE_PGM_RSRC2:TGID_X_EN: 1
; COMPUTE_PGM_RSRC2:TGID_Y_EN: 0
; COMPUTE_PGM_RSRC2:TGID_Z_EN: 0
; COMPUTE_PGM_RSRC2:TIDIG_COMP_CNT: 1
	.section	.text._ZN12_GLOBAL__N_121softmax_warp_backwardIfffLi4ELb0ELb1ELi32EEEvPT0_PKT_S5_iiiPKb,"axG",@progbits,_ZN12_GLOBAL__N_121softmax_warp_backwardIfffLi4ELb0ELb1ELi32EEEvPT0_PKT_S5_iiiPKb,comdat
	.globl	_ZN12_GLOBAL__N_121softmax_warp_backwardIfffLi4ELb0ELb1ELi32EEEvPT0_PKT_S5_iiiPKb ; -- Begin function _ZN12_GLOBAL__N_121softmax_warp_backwardIfffLi4ELb0ELb1ELi32EEEvPT0_PKT_S5_iiiPKb
	.p2align	8
	.type	_ZN12_GLOBAL__N_121softmax_warp_backwardIfffLi4ELb0ELb1ELi32EEEvPT0_PKT_S5_iiiPKb,@function
_ZN12_GLOBAL__N_121softmax_warp_backwardIfffLi4ELb0ELb1ELi32EEEvPT0_PKT_S5_iiiPKb: ; @_ZN12_GLOBAL__N_121softmax_warp_backwardIfffLi4ELb0ELb1ELi32EEEvPT0_PKT_S5_iiiPKb
; %bb.0:
	s_clause 0x1
	s_load_dword s0, s[4:5], 0x3c
	s_load_dwordx4 s[8:11], s[4:5], 0x18
	v_and_b32_e32 v4, 15, v0
	s_clause 0x1
	s_load_dwordx4 s[12:15], s[4:5], 0x0
	s_load_dwordx2 s[2:3], s[4:5], 0x10
	v_mov_b32_e32 v11, 0
	v_mov_b32_e32 v12, 0
	s_waitcnt lgkmcnt(0)
	s_mov_b32 s11, 0
	s_lshr_b32 s0, s0, 16
	v_cmp_gt_i32_e32 vcc_lo, s10, v4
	s_and_b32 s0, s0, 0xffff
	s_mul_i32 s6, s6, s0
	v_add_lshl_u32 v0, s6, v1, 1
	v_mad_u64_u32 v[2:3], null, v0, s9, v[4:5]
	v_sub_nc_u32_e32 v10, s8, v0
	v_cmp_lt_i32_e64 s0, 0, v10
	v_ashrrev_i32_e32 v3, 31, v2
	v_lshlrev_b64 v[0:1], 2, v[2:3]
	v_add_co_u32 v8, s1, s14, v0
	v_add_co_ci_u32_e64 v9, null, s15, v1, s1
	v_add_co_u32 v6, s1, s2, v0
	v_add_co_ci_u32_e64 v7, null, s3, v1, s1
	s_and_b32 s2, vcc_lo, s0
	s_and_saveexec_b32 s1, s2
	s_cbranch_execz .LBB799_2
; %bb.1:
	global_load_dword v12, v[8:9], off
	global_load_dword v11, v[6:7], off
.LBB799_2:
	s_or_b32 exec_lo, exec_lo, s1
	v_cmp_gt_i32_e64 s1, 2, v10
	v_mov_b32_e32 v4, s10
	v_mov_b32_e32 v5, s11
	s_xor_b32 s2, vcc_lo, -1
	s_or_b32 s1, s2, s1
	s_and_saveexec_b32 s2, s1
	s_xor_b32 s1, exec_lo, s2
                                        ; implicit-def: $vgpr14
                                        ; implicit-def: $vgpr13
; %bb.3:
	v_mov_b32_e32 v13, 0
	s_ashr_i32 s3, s10, 31
	s_mov_b32 s2, s10
	v_mov_b32_e32 v5, s3
	v_mov_b32_e32 v4, s2
	;; [unrolled: 1-line block ×3, first 2 shown]
                                        ; implicit-def: $vgpr6
                                        ; implicit-def: $vgpr8
; %bb.4:
	s_andn2_saveexec_b32 s2, s1
	s_cbranch_execz .LBB799_6
; %bb.5:
	s_lshl_b64 s[6:7], s[10:11], 2
	v_add_co_u32 v8, s1, v8, s6
	v_add_co_ci_u32_e64 v9, null, s7, v9, s1
	v_add_co_u32 v6, s1, v6, s6
	v_add_co_ci_u32_e64 v7, null, s7, v7, s1
	global_load_dword v13, v[8:9], off
	global_load_dword v14, v[6:7], off
.LBB799_6:
	s_or_b32 exec_lo, exec_lo, s2
	s_load_dwordx2 s[2:3], s[4:5], 0x28
	s_waitcnt vmcnt(1)
	v_add_f32_e32 v7, 0, v12
	v_add_f32_e32 v8, 0, v13
	s_waitcnt lgkmcnt(0)
	v_add_co_u32 v2, s1, s2, v2
	v_add_co_ci_u32_e64 v3, null, s3, v3, s1
	v_add_co_u32 v4, s1, v2, v4
	v_add_co_ci_u32_e64 v5, null, v3, v5, s1
	s_clause 0x1
	global_load_ubyte v2, v[2:3], off
	global_load_ubyte v3, v[4:5], off
	v_mbcnt_lo_u32_b32 v4, -1, 0
	v_and_b32_e32 v5, 16, v4
	v_xor_b32_e32 v6, 8, v4
	v_add_nc_u32_e32 v5, 16, v5
	v_cmp_lt_i32_e64 s1, v6, v5
	v_cndmask_b32_e64 v6, v4, v6, s1
	v_lshlrev_b32_e32 v6, 2, v6
	s_waitcnt vmcnt(1)
	v_and_b32_e32 v2, 1, v2
	s_waitcnt vmcnt(0)
	v_and_b32_e32 v3, 1, v3
	v_cmp_eq_u32_e64 s2, 1, v2
	v_cmp_eq_u32_e64 s1, 1, v3
	v_cndmask_b32_e64 v2, v7, 0, s2
	v_cndmask_b32_e64 v3, v8, 0, s1
	v_xor_b32_e32 v8, 4, v4
	ds_bpermute_b32 v7, v6, v2
	ds_bpermute_b32 v6, v6, v3
	v_cmp_lt_i32_e64 s3, v8, v5
	v_cndmask_b32_e64 v8, v4, v8, s3
	s_waitcnt lgkmcnt(1)
	v_add_f32_e32 v2, v2, v7
	v_lshlrev_b32_e32 v7, 2, v8
	s_waitcnt lgkmcnt(0)
	v_add_f32_e32 v3, v3, v6
	v_xor_b32_e32 v8, 2, v4
	ds_bpermute_b32 v6, v7, v2
	ds_bpermute_b32 v7, v7, v3
	v_cmp_lt_i32_e64 s3, v8, v5
	v_cndmask_b32_e64 v8, v4, v8, s3
	s_waitcnt lgkmcnt(1)
	v_add_f32_e32 v2, v2, v6
	v_lshlrev_b32_e32 v6, 2, v8
	s_waitcnt lgkmcnt(0)
	v_add_f32_e32 v3, v3, v7
	;; [unrolled: 10-line block ×3, first 2 shown]
	ds_bpermute_b32 v5, v7, v4
	ds_bpermute_b32 v3, v7, v2
	s_and_saveexec_b32 s3, s0
	s_cbranch_execz .LBB799_11
; %bb.7:
	v_add_co_u32 v0, s0, s12, v0
	v_add_co_ci_u32_e64 v1, null, s13, v1, s0
	s_and_saveexec_b32 s0, vcc_lo
	s_cbranch_execz .LBB799_9
; %bb.8:
	s_waitcnt lgkmcnt(1)
	v_add_f32_e32 v4, v4, v5
	v_fma_f32 v4, -v11, v4, v12
	v_cndmask_b32_e64 v4, v4, 0, s2
	global_store_dword v[0:1], v4, off
.LBB799_9:
	s_or_b32 exec_lo, exec_lo, s0
	v_cmp_ne_u32_e64 s0, 1, v10
	s_and_b32 s0, s0, vcc_lo
	s_and_b32 exec_lo, exec_lo, s0
	s_cbranch_execz .LBB799_11
; %bb.10:
	s_waitcnt lgkmcnt(0)
	v_add_f32_e32 v2, v2, v3
	s_lshl_b64 s[2:3], s[10:11], 2
	v_add_co_u32 v0, vcc_lo, v0, s2
	v_fma_f32 v2, -v14, v2, v13
	v_add_co_ci_u32_e64 v1, null, s3, v1, vcc_lo
	v_cndmask_b32_e64 v2, v2, 0, s1
	global_store_dword v[0:1], v2, off
.LBB799_11:
	s_endpgm
	.section	.rodata,"a",@progbits
	.p2align	6, 0x0
	.amdhsa_kernel _ZN12_GLOBAL__N_121softmax_warp_backwardIfffLi4ELb0ELb1ELi32EEEvPT0_PKT_S5_iiiPKb
		.amdhsa_group_segment_fixed_size 0
		.amdhsa_private_segment_fixed_size 0
		.amdhsa_kernarg_size 304
		.amdhsa_user_sgpr_count 6
		.amdhsa_user_sgpr_private_segment_buffer 1
		.amdhsa_user_sgpr_dispatch_ptr 0
		.amdhsa_user_sgpr_queue_ptr 0
		.amdhsa_user_sgpr_kernarg_segment_ptr 1
		.amdhsa_user_sgpr_dispatch_id 0
		.amdhsa_user_sgpr_flat_scratch_init 0
		.amdhsa_user_sgpr_private_segment_size 0
		.amdhsa_wavefront_size32 1
		.amdhsa_uses_dynamic_stack 0
		.amdhsa_system_sgpr_private_segment_wavefront_offset 0
		.amdhsa_system_sgpr_workgroup_id_x 1
		.amdhsa_system_sgpr_workgroup_id_y 0
		.amdhsa_system_sgpr_workgroup_id_z 0
		.amdhsa_system_sgpr_workgroup_info 0
		.amdhsa_system_vgpr_workitem_id 1
		.amdhsa_next_free_vgpr 15
		.amdhsa_next_free_sgpr 16
		.amdhsa_reserve_vcc 1
		.amdhsa_reserve_flat_scratch 0
		.amdhsa_float_round_mode_32 0
		.amdhsa_float_round_mode_16_64 0
		.amdhsa_float_denorm_mode_32 3
		.amdhsa_float_denorm_mode_16_64 3
		.amdhsa_dx10_clamp 1
		.amdhsa_ieee_mode 1
		.amdhsa_fp16_overflow 0
		.amdhsa_workgroup_processor_mode 1
		.amdhsa_memory_ordered 1
		.amdhsa_forward_progress 1
		.amdhsa_shared_vgpr_count 0
		.amdhsa_exception_fp_ieee_invalid_op 0
		.amdhsa_exception_fp_denorm_src 0
		.amdhsa_exception_fp_ieee_div_zero 0
		.amdhsa_exception_fp_ieee_overflow 0
		.amdhsa_exception_fp_ieee_underflow 0
		.amdhsa_exception_fp_ieee_inexact 0
		.amdhsa_exception_int_div_zero 0
	.end_amdhsa_kernel
	.section	.text._ZN12_GLOBAL__N_121softmax_warp_backwardIfffLi4ELb0ELb1ELi32EEEvPT0_PKT_S5_iiiPKb,"axG",@progbits,_ZN12_GLOBAL__N_121softmax_warp_backwardIfffLi4ELb0ELb1ELi32EEEvPT0_PKT_S5_iiiPKb,comdat
.Lfunc_end799:
	.size	_ZN12_GLOBAL__N_121softmax_warp_backwardIfffLi4ELb0ELb1ELi32EEEvPT0_PKT_S5_iiiPKb, .Lfunc_end799-_ZN12_GLOBAL__N_121softmax_warp_backwardIfffLi4ELb0ELb1ELi32EEEvPT0_PKT_S5_iiiPKb
                                        ; -- End function
	.set _ZN12_GLOBAL__N_121softmax_warp_backwardIfffLi4ELb0ELb1ELi32EEEvPT0_PKT_S5_iiiPKb.num_vgpr, 15
	.set _ZN12_GLOBAL__N_121softmax_warp_backwardIfffLi4ELb0ELb1ELi32EEEvPT0_PKT_S5_iiiPKb.num_agpr, 0
	.set _ZN12_GLOBAL__N_121softmax_warp_backwardIfffLi4ELb0ELb1ELi32EEEvPT0_PKT_S5_iiiPKb.numbered_sgpr, 16
	.set _ZN12_GLOBAL__N_121softmax_warp_backwardIfffLi4ELb0ELb1ELi32EEEvPT0_PKT_S5_iiiPKb.num_named_barrier, 0
	.set _ZN12_GLOBAL__N_121softmax_warp_backwardIfffLi4ELb0ELb1ELi32EEEvPT0_PKT_S5_iiiPKb.private_seg_size, 0
	.set _ZN12_GLOBAL__N_121softmax_warp_backwardIfffLi4ELb0ELb1ELi32EEEvPT0_PKT_S5_iiiPKb.uses_vcc, 1
	.set _ZN12_GLOBAL__N_121softmax_warp_backwardIfffLi4ELb0ELb1ELi32EEEvPT0_PKT_S5_iiiPKb.uses_flat_scratch, 0
	.set _ZN12_GLOBAL__N_121softmax_warp_backwardIfffLi4ELb0ELb1ELi32EEEvPT0_PKT_S5_iiiPKb.has_dyn_sized_stack, 0
	.set _ZN12_GLOBAL__N_121softmax_warp_backwardIfffLi4ELb0ELb1ELi32EEEvPT0_PKT_S5_iiiPKb.has_recursion, 0
	.set _ZN12_GLOBAL__N_121softmax_warp_backwardIfffLi4ELb0ELb1ELi32EEEvPT0_PKT_S5_iiiPKb.has_indirect_call, 0
	.section	.AMDGPU.csdata,"",@progbits
; Kernel info:
; codeLenInByte = 796
; TotalNumSgprs: 18
; NumVgprs: 15
; ScratchSize: 0
; MemoryBound: 0
; FloatMode: 240
; IeeeMode: 1
; LDSByteSize: 0 bytes/workgroup (compile time only)
; SGPRBlocks: 0
; VGPRBlocks: 1
; NumSGPRsForWavesPerEU: 18
; NumVGPRsForWavesPerEU: 15
; Occupancy: 16
; WaveLimiterHint : 0
; COMPUTE_PGM_RSRC2:SCRATCH_EN: 0
; COMPUTE_PGM_RSRC2:USER_SGPR: 6
; COMPUTE_PGM_RSRC2:TRAP_HANDLER: 0
; COMPUTE_PGM_RSRC2:TGID_X_EN: 1
; COMPUTE_PGM_RSRC2:TGID_Y_EN: 0
; COMPUTE_PGM_RSRC2:TGID_Z_EN: 0
; COMPUTE_PGM_RSRC2:TIDIG_COMP_CNT: 1
	.section	.text._ZN12_GLOBAL__N_121softmax_warp_backwardIfffLi5ELb0ELb1ELi64EEEvPT0_PKT_S5_iiiPKb,"axG",@progbits,_ZN12_GLOBAL__N_121softmax_warp_backwardIfffLi5ELb0ELb1ELi64EEEvPT0_PKT_S5_iiiPKb,comdat
	.globl	_ZN12_GLOBAL__N_121softmax_warp_backwardIfffLi5ELb0ELb1ELi64EEEvPT0_PKT_S5_iiiPKb ; -- Begin function _ZN12_GLOBAL__N_121softmax_warp_backwardIfffLi5ELb0ELb1ELi64EEEvPT0_PKT_S5_iiiPKb
	.p2align	8
	.type	_ZN12_GLOBAL__N_121softmax_warp_backwardIfffLi5ELb0ELb1ELi64EEEvPT0_PKT_S5_iiiPKb,@function
_ZN12_GLOBAL__N_121softmax_warp_backwardIfffLi5ELb0ELb1ELi64EEEvPT0_PKT_S5_iiiPKb: ; @_ZN12_GLOBAL__N_121softmax_warp_backwardIfffLi5ELb0ELb1ELi64EEEvPT0_PKT_S5_iiiPKb
; %bb.0:
	s_clause 0x1
	s_load_dword s0, s[4:5], 0x3c
	s_load_dwordx4 s[8:11], s[4:5], 0x18
	v_and_b32_e32 v4, 31, v0
	s_clause 0x1
	s_load_dwordx4 s[12:15], s[4:5], 0x0
	s_load_dwordx2 s[2:3], s[4:5], 0x10
	v_mov_b32_e32 v11, 0
	v_mov_b32_e32 v12, 0
	s_waitcnt lgkmcnt(0)
	s_mov_b32 s11, 0
	s_lshr_b32 s0, s0, 16
	v_cmp_gt_i32_e32 vcc_lo, s10, v4
	s_and_b32 s0, s0, 0xffff
	s_mul_i32 s6, s6, s0
	v_add_lshl_u32 v0, s6, v1, 1
	v_mad_u64_u32 v[2:3], null, v0, s9, v[4:5]
	v_sub_nc_u32_e32 v10, s8, v0
	v_cmp_lt_i32_e64 s0, 0, v10
	v_ashrrev_i32_e32 v3, 31, v2
	v_lshlrev_b64 v[0:1], 2, v[2:3]
	v_add_co_u32 v8, s1, s14, v0
	v_add_co_ci_u32_e64 v9, null, s15, v1, s1
	v_add_co_u32 v6, s1, s2, v0
	v_add_co_ci_u32_e64 v7, null, s3, v1, s1
	s_and_b32 s2, vcc_lo, s0
	s_and_saveexec_b32 s1, s2
	s_cbranch_execz .LBB800_2
; %bb.1:
	global_load_dword v12, v[8:9], off
	global_load_dword v11, v[6:7], off
.LBB800_2:
	s_or_b32 exec_lo, exec_lo, s1
	v_cmp_gt_i32_e64 s1, 2, v10
	v_mov_b32_e32 v4, s10
	v_mov_b32_e32 v5, s11
	s_xor_b32 s2, vcc_lo, -1
	s_or_b32 s1, s2, s1
	s_and_saveexec_b32 s2, s1
	s_xor_b32 s1, exec_lo, s2
                                        ; implicit-def: $vgpr14
                                        ; implicit-def: $vgpr13
; %bb.3:
	v_mov_b32_e32 v13, 0
	s_ashr_i32 s3, s10, 31
	s_mov_b32 s2, s10
	v_mov_b32_e32 v5, s3
	v_mov_b32_e32 v4, s2
	;; [unrolled: 1-line block ×3, first 2 shown]
                                        ; implicit-def: $vgpr6
                                        ; implicit-def: $vgpr8
; %bb.4:
	s_andn2_saveexec_b32 s2, s1
	s_cbranch_execz .LBB800_6
; %bb.5:
	s_lshl_b64 s[6:7], s[10:11], 2
	v_add_co_u32 v8, s1, v8, s6
	v_add_co_ci_u32_e64 v9, null, s7, v9, s1
	v_add_co_u32 v6, s1, v6, s6
	v_add_co_ci_u32_e64 v7, null, s7, v7, s1
	global_load_dword v13, v[8:9], off
	global_load_dword v14, v[6:7], off
.LBB800_6:
	s_or_b32 exec_lo, exec_lo, s2
	s_load_dwordx2 s[2:3], s[4:5], 0x28
	s_waitcnt vmcnt(1)
	v_add_f32_e32 v6, 0, v12
	v_add_f32_e32 v7, 0, v13
	s_waitcnt lgkmcnt(0)
	v_add_co_u32 v2, s1, s2, v2
	v_add_co_ci_u32_e64 v3, null, s3, v3, s1
	v_add_co_u32 v4, s1, v2, v4
	v_add_co_ci_u32_e64 v5, null, v3, v5, s1
	s_clause 0x1
	global_load_ubyte v2, v[2:3], off
	global_load_ubyte v3, v[4:5], off
	v_mbcnt_lo_u32_b32 v4, -1, 0
	v_xor_b32_e32 v5, 16, v4
	v_cmp_gt_i32_e64 s1, 32, v5
	v_cndmask_b32_e64 v5, v4, v5, s1
	v_lshlrev_b32_e32 v5, 2, v5
	s_waitcnt vmcnt(1)
	v_and_b32_e32 v2, 1, v2
	s_waitcnt vmcnt(0)
	v_and_b32_e32 v3, 1, v3
	v_cmp_eq_u32_e64 s2, 1, v2
	v_cmp_eq_u32_e64 s1, 1, v3
	v_cndmask_b32_e64 v2, v6, 0, s2
	v_cndmask_b32_e64 v3, v7, 0, s1
	v_xor_b32_e32 v7, 8, v4
	ds_bpermute_b32 v6, v5, v2
	ds_bpermute_b32 v5, v5, v3
	v_cmp_gt_i32_e64 s3, 32, v7
	v_cndmask_b32_e64 v7, v4, v7, s3
	s_waitcnt lgkmcnt(1)
	v_add_f32_e32 v2, v2, v6
	v_lshlrev_b32_e32 v6, 2, v7
	s_waitcnt lgkmcnt(0)
	v_add_f32_e32 v3, v3, v5
	v_xor_b32_e32 v7, 4, v4
	ds_bpermute_b32 v5, v6, v2
	ds_bpermute_b32 v6, v6, v3
	v_cmp_gt_i32_e64 s3, 32, v7
	v_cndmask_b32_e64 v7, v4, v7, s3
	s_waitcnt lgkmcnt(1)
	v_add_f32_e32 v2, v2, v5
	v_lshlrev_b32_e32 v5, 2, v7
	s_waitcnt lgkmcnt(0)
	v_add_f32_e32 v3, v3, v6
	;; [unrolled: 10-line block ×3, first 2 shown]
	v_xor_b32_e32 v7, 1, v4
	ds_bpermute_b32 v5, v6, v2
	ds_bpermute_b32 v6, v6, v3
	v_cmp_gt_i32_e64 s3, 32, v7
	v_cndmask_b32_e64 v7, v4, v7, s3
	v_lshlrev_b32_e32 v7, 2, v7
	s_waitcnt lgkmcnt(1)
	v_add_f32_e32 v4, v2, v5
	s_waitcnt lgkmcnt(0)
	v_add_f32_e32 v2, v3, v6
	ds_bpermute_b32 v5, v7, v4
	ds_bpermute_b32 v3, v7, v2
	s_and_saveexec_b32 s3, s0
	s_cbranch_execz .LBB800_11
; %bb.7:
	v_add_co_u32 v0, s0, s12, v0
	v_add_co_ci_u32_e64 v1, null, s13, v1, s0
	s_and_saveexec_b32 s0, vcc_lo
	s_cbranch_execz .LBB800_9
; %bb.8:
	s_waitcnt lgkmcnt(1)
	v_add_f32_e32 v4, v4, v5
	v_fma_f32 v4, -v11, v4, v12
	v_cndmask_b32_e64 v4, v4, 0, s2
	global_store_dword v[0:1], v4, off
.LBB800_9:
	s_or_b32 exec_lo, exec_lo, s0
	v_cmp_ne_u32_e64 s0, 1, v10
	s_and_b32 s0, s0, vcc_lo
	s_and_b32 exec_lo, exec_lo, s0
	s_cbranch_execz .LBB800_11
; %bb.10:
	s_waitcnt lgkmcnt(0)
	v_add_f32_e32 v2, v2, v3
	s_lshl_b64 s[2:3], s[10:11], 2
	v_add_co_u32 v0, vcc_lo, v0, s2
	v_fma_f32 v2, -v14, v2, v13
	v_add_co_ci_u32_e64 v1, null, s3, v1, vcc_lo
	v_cndmask_b32_e64 v2, v2, 0, s1
	global_store_dword v[0:1], v2, off
.LBB800_11:
	s_endpgm
	.section	.rodata,"a",@progbits
	.p2align	6, 0x0
	.amdhsa_kernel _ZN12_GLOBAL__N_121softmax_warp_backwardIfffLi5ELb0ELb1ELi64EEEvPT0_PKT_S5_iiiPKb
		.amdhsa_group_segment_fixed_size 0
		.amdhsa_private_segment_fixed_size 0
		.amdhsa_kernarg_size 304
		.amdhsa_user_sgpr_count 6
		.amdhsa_user_sgpr_private_segment_buffer 1
		.amdhsa_user_sgpr_dispatch_ptr 0
		.amdhsa_user_sgpr_queue_ptr 0
		.amdhsa_user_sgpr_kernarg_segment_ptr 1
		.amdhsa_user_sgpr_dispatch_id 0
		.amdhsa_user_sgpr_flat_scratch_init 0
		.amdhsa_user_sgpr_private_segment_size 0
		.amdhsa_wavefront_size32 1
		.amdhsa_uses_dynamic_stack 0
		.amdhsa_system_sgpr_private_segment_wavefront_offset 0
		.amdhsa_system_sgpr_workgroup_id_x 1
		.amdhsa_system_sgpr_workgroup_id_y 0
		.amdhsa_system_sgpr_workgroup_id_z 0
		.amdhsa_system_sgpr_workgroup_info 0
		.amdhsa_system_vgpr_workitem_id 1
		.amdhsa_next_free_vgpr 15
		.amdhsa_next_free_sgpr 16
		.amdhsa_reserve_vcc 1
		.amdhsa_reserve_flat_scratch 0
		.amdhsa_float_round_mode_32 0
		.amdhsa_float_round_mode_16_64 0
		.amdhsa_float_denorm_mode_32 3
		.amdhsa_float_denorm_mode_16_64 3
		.amdhsa_dx10_clamp 1
		.amdhsa_ieee_mode 1
		.amdhsa_fp16_overflow 0
		.amdhsa_workgroup_processor_mode 1
		.amdhsa_memory_ordered 1
		.amdhsa_forward_progress 1
		.amdhsa_shared_vgpr_count 0
		.amdhsa_exception_fp_ieee_invalid_op 0
		.amdhsa_exception_fp_denorm_src 0
		.amdhsa_exception_fp_ieee_div_zero 0
		.amdhsa_exception_fp_ieee_overflow 0
		.amdhsa_exception_fp_ieee_underflow 0
		.amdhsa_exception_fp_ieee_inexact 0
		.amdhsa_exception_int_div_zero 0
	.end_amdhsa_kernel
	.section	.text._ZN12_GLOBAL__N_121softmax_warp_backwardIfffLi5ELb0ELb1ELi64EEEvPT0_PKT_S5_iiiPKb,"axG",@progbits,_ZN12_GLOBAL__N_121softmax_warp_backwardIfffLi5ELb0ELb1ELi64EEEvPT0_PKT_S5_iiiPKb,comdat
.Lfunc_end800:
	.size	_ZN12_GLOBAL__N_121softmax_warp_backwardIfffLi5ELb0ELb1ELi64EEEvPT0_PKT_S5_iiiPKb, .Lfunc_end800-_ZN12_GLOBAL__N_121softmax_warp_backwardIfffLi5ELb0ELb1ELi64EEEvPT0_PKT_S5_iiiPKb
                                        ; -- End function
	.set _ZN12_GLOBAL__N_121softmax_warp_backwardIfffLi5ELb0ELb1ELi64EEEvPT0_PKT_S5_iiiPKb.num_vgpr, 15
	.set _ZN12_GLOBAL__N_121softmax_warp_backwardIfffLi5ELb0ELb1ELi64EEEvPT0_PKT_S5_iiiPKb.num_agpr, 0
	.set _ZN12_GLOBAL__N_121softmax_warp_backwardIfffLi5ELb0ELb1ELi64EEEvPT0_PKT_S5_iiiPKb.numbered_sgpr, 16
	.set _ZN12_GLOBAL__N_121softmax_warp_backwardIfffLi5ELb0ELb1ELi64EEEvPT0_PKT_S5_iiiPKb.num_named_barrier, 0
	.set _ZN12_GLOBAL__N_121softmax_warp_backwardIfffLi5ELb0ELb1ELi64EEEvPT0_PKT_S5_iiiPKb.private_seg_size, 0
	.set _ZN12_GLOBAL__N_121softmax_warp_backwardIfffLi5ELb0ELb1ELi64EEEvPT0_PKT_S5_iiiPKb.uses_vcc, 1
	.set _ZN12_GLOBAL__N_121softmax_warp_backwardIfffLi5ELb0ELb1ELi64EEEvPT0_PKT_S5_iiiPKb.uses_flat_scratch, 0
	.set _ZN12_GLOBAL__N_121softmax_warp_backwardIfffLi5ELb0ELb1ELi64EEEvPT0_PKT_S5_iiiPKb.has_dyn_sized_stack, 0
	.set _ZN12_GLOBAL__N_121softmax_warp_backwardIfffLi5ELb0ELb1ELi64EEEvPT0_PKT_S5_iiiPKb.has_recursion, 0
	.set _ZN12_GLOBAL__N_121softmax_warp_backwardIfffLi5ELb0ELb1ELi64EEEvPT0_PKT_S5_iiiPKb.has_indirect_call, 0
	.section	.AMDGPU.csdata,"",@progbits
; Kernel info:
; codeLenInByte = 844
; TotalNumSgprs: 18
; NumVgprs: 15
; ScratchSize: 0
; MemoryBound: 0
; FloatMode: 240
; IeeeMode: 1
; LDSByteSize: 0 bytes/workgroup (compile time only)
; SGPRBlocks: 0
; VGPRBlocks: 1
; NumSGPRsForWavesPerEU: 18
; NumVGPRsForWavesPerEU: 15
; Occupancy: 16
; WaveLimiterHint : 0
; COMPUTE_PGM_RSRC2:SCRATCH_EN: 0
; COMPUTE_PGM_RSRC2:USER_SGPR: 6
; COMPUTE_PGM_RSRC2:TRAP_HANDLER: 0
; COMPUTE_PGM_RSRC2:TGID_X_EN: 1
; COMPUTE_PGM_RSRC2:TGID_Y_EN: 0
; COMPUTE_PGM_RSRC2:TGID_Z_EN: 0
; COMPUTE_PGM_RSRC2:TIDIG_COMP_CNT: 1
	.section	.text._ZN12_GLOBAL__N_121softmax_warp_backwardIfffLi5ELb0ELb1ELi32EEEvPT0_PKT_S5_iiiPKb,"axG",@progbits,_ZN12_GLOBAL__N_121softmax_warp_backwardIfffLi5ELb0ELb1ELi32EEEvPT0_PKT_S5_iiiPKb,comdat
	.globl	_ZN12_GLOBAL__N_121softmax_warp_backwardIfffLi5ELb0ELb1ELi32EEEvPT0_PKT_S5_iiiPKb ; -- Begin function _ZN12_GLOBAL__N_121softmax_warp_backwardIfffLi5ELb0ELb1ELi32EEEvPT0_PKT_S5_iiiPKb
	.p2align	8
	.type	_ZN12_GLOBAL__N_121softmax_warp_backwardIfffLi5ELb0ELb1ELi32EEEvPT0_PKT_S5_iiiPKb,@function
_ZN12_GLOBAL__N_121softmax_warp_backwardIfffLi5ELb0ELb1ELi32EEEvPT0_PKT_S5_iiiPKb: ; @_ZN12_GLOBAL__N_121softmax_warp_backwardIfffLi5ELb0ELb1ELi32EEEvPT0_PKT_S5_iiiPKb
; %bb.0:
	s_clause 0x1
	s_load_dword s0, s[4:5], 0x3c
	s_load_dwordx4 s[8:11], s[4:5], 0x18
	v_and_b32_e32 v4, 31, v0
	s_clause 0x1
	s_load_dwordx4 s[12:15], s[4:5], 0x0
	s_load_dwordx2 s[2:3], s[4:5], 0x10
	v_mov_b32_e32 v11, 0
	v_mov_b32_e32 v12, 0
	s_waitcnt lgkmcnt(0)
	s_mov_b32 s11, 0
	s_lshr_b32 s0, s0, 16
	v_cmp_gt_i32_e32 vcc_lo, s10, v4
	s_and_b32 s0, s0, 0xffff
	s_mul_i32 s6, s6, s0
	v_add_lshl_u32 v0, s6, v1, 1
	v_mad_u64_u32 v[2:3], null, v0, s9, v[4:5]
	v_sub_nc_u32_e32 v10, s8, v0
	v_cmp_lt_i32_e64 s0, 0, v10
	v_ashrrev_i32_e32 v3, 31, v2
	v_lshlrev_b64 v[0:1], 2, v[2:3]
	v_add_co_u32 v8, s1, s14, v0
	v_add_co_ci_u32_e64 v9, null, s15, v1, s1
	v_add_co_u32 v6, s1, s2, v0
	v_add_co_ci_u32_e64 v7, null, s3, v1, s1
	s_and_b32 s2, vcc_lo, s0
	s_and_saveexec_b32 s1, s2
	s_cbranch_execz .LBB801_2
; %bb.1:
	global_load_dword v12, v[8:9], off
	global_load_dword v11, v[6:7], off
.LBB801_2:
	s_or_b32 exec_lo, exec_lo, s1
	v_cmp_gt_i32_e64 s1, 2, v10
	v_mov_b32_e32 v4, s10
	v_mov_b32_e32 v5, s11
	s_xor_b32 s2, vcc_lo, -1
	s_or_b32 s1, s2, s1
	s_and_saveexec_b32 s2, s1
	s_xor_b32 s1, exec_lo, s2
                                        ; implicit-def: $vgpr14
                                        ; implicit-def: $vgpr13
; %bb.3:
	v_mov_b32_e32 v13, 0
	s_ashr_i32 s3, s10, 31
	s_mov_b32 s2, s10
	v_mov_b32_e32 v5, s3
	v_mov_b32_e32 v4, s2
	;; [unrolled: 1-line block ×3, first 2 shown]
                                        ; implicit-def: $vgpr6
                                        ; implicit-def: $vgpr8
; %bb.4:
	s_andn2_saveexec_b32 s2, s1
	s_cbranch_execz .LBB801_6
; %bb.5:
	s_lshl_b64 s[6:7], s[10:11], 2
	v_add_co_u32 v8, s1, v8, s6
	v_add_co_ci_u32_e64 v9, null, s7, v9, s1
	v_add_co_u32 v6, s1, v6, s6
	v_add_co_ci_u32_e64 v7, null, s7, v7, s1
	global_load_dword v13, v[8:9], off
	global_load_dword v14, v[6:7], off
.LBB801_6:
	s_or_b32 exec_lo, exec_lo, s2
	s_load_dwordx2 s[2:3], s[4:5], 0x28
	s_waitcnt vmcnt(1)
	v_add_f32_e32 v6, 0, v12
	v_add_f32_e32 v7, 0, v13
	s_waitcnt lgkmcnt(0)
	v_add_co_u32 v2, s1, s2, v2
	v_add_co_ci_u32_e64 v3, null, s3, v3, s1
	v_add_co_u32 v4, s1, v2, v4
	v_add_co_ci_u32_e64 v5, null, v3, v5, s1
	s_clause 0x1
	global_load_ubyte v2, v[2:3], off
	global_load_ubyte v3, v[4:5], off
	v_mbcnt_lo_u32_b32 v4, -1, 0
	v_xor_b32_e32 v5, 16, v4
	v_cmp_gt_i32_e64 s1, 32, v5
	v_cndmask_b32_e64 v5, v4, v5, s1
	v_lshlrev_b32_e32 v5, 2, v5
	s_waitcnt vmcnt(1)
	v_and_b32_e32 v2, 1, v2
	s_waitcnt vmcnt(0)
	v_and_b32_e32 v3, 1, v3
	v_cmp_eq_u32_e64 s2, 1, v2
	v_cmp_eq_u32_e64 s1, 1, v3
	v_cndmask_b32_e64 v2, v6, 0, s2
	v_cndmask_b32_e64 v3, v7, 0, s1
	v_xor_b32_e32 v7, 8, v4
	ds_bpermute_b32 v6, v5, v2
	ds_bpermute_b32 v5, v5, v3
	v_cmp_gt_i32_e64 s3, 32, v7
	v_cndmask_b32_e64 v7, v4, v7, s3
	s_waitcnt lgkmcnt(1)
	v_add_f32_e32 v2, v2, v6
	v_lshlrev_b32_e32 v6, 2, v7
	s_waitcnt lgkmcnt(0)
	v_add_f32_e32 v3, v3, v5
	v_xor_b32_e32 v7, 4, v4
	ds_bpermute_b32 v5, v6, v2
	ds_bpermute_b32 v6, v6, v3
	v_cmp_gt_i32_e64 s3, 32, v7
	v_cndmask_b32_e64 v7, v4, v7, s3
	s_waitcnt lgkmcnt(1)
	v_add_f32_e32 v2, v2, v5
	v_lshlrev_b32_e32 v5, 2, v7
	s_waitcnt lgkmcnt(0)
	v_add_f32_e32 v3, v3, v6
	;; [unrolled: 10-line block ×3, first 2 shown]
	v_xor_b32_e32 v7, 1, v4
	ds_bpermute_b32 v5, v6, v2
	ds_bpermute_b32 v6, v6, v3
	v_cmp_gt_i32_e64 s3, 32, v7
	v_cndmask_b32_e64 v7, v4, v7, s3
	v_lshlrev_b32_e32 v7, 2, v7
	s_waitcnt lgkmcnt(1)
	v_add_f32_e32 v4, v2, v5
	s_waitcnt lgkmcnt(0)
	v_add_f32_e32 v2, v3, v6
	ds_bpermute_b32 v5, v7, v4
	ds_bpermute_b32 v3, v7, v2
	s_and_saveexec_b32 s3, s0
	s_cbranch_execz .LBB801_11
; %bb.7:
	v_add_co_u32 v0, s0, s12, v0
	v_add_co_ci_u32_e64 v1, null, s13, v1, s0
	s_and_saveexec_b32 s0, vcc_lo
	s_cbranch_execz .LBB801_9
; %bb.8:
	s_waitcnt lgkmcnt(1)
	v_add_f32_e32 v4, v4, v5
	v_fma_f32 v4, -v11, v4, v12
	v_cndmask_b32_e64 v4, v4, 0, s2
	global_store_dword v[0:1], v4, off
.LBB801_9:
	s_or_b32 exec_lo, exec_lo, s0
	v_cmp_ne_u32_e64 s0, 1, v10
	s_and_b32 s0, s0, vcc_lo
	s_and_b32 exec_lo, exec_lo, s0
	s_cbranch_execz .LBB801_11
; %bb.10:
	s_waitcnt lgkmcnt(0)
	v_add_f32_e32 v2, v2, v3
	s_lshl_b64 s[2:3], s[10:11], 2
	v_add_co_u32 v0, vcc_lo, v0, s2
	v_fma_f32 v2, -v14, v2, v13
	v_add_co_ci_u32_e64 v1, null, s3, v1, vcc_lo
	v_cndmask_b32_e64 v2, v2, 0, s1
	global_store_dword v[0:1], v2, off
.LBB801_11:
	s_endpgm
	.section	.rodata,"a",@progbits
	.p2align	6, 0x0
	.amdhsa_kernel _ZN12_GLOBAL__N_121softmax_warp_backwardIfffLi5ELb0ELb1ELi32EEEvPT0_PKT_S5_iiiPKb
		.amdhsa_group_segment_fixed_size 0
		.amdhsa_private_segment_fixed_size 0
		.amdhsa_kernarg_size 304
		.amdhsa_user_sgpr_count 6
		.amdhsa_user_sgpr_private_segment_buffer 1
		.amdhsa_user_sgpr_dispatch_ptr 0
		.amdhsa_user_sgpr_queue_ptr 0
		.amdhsa_user_sgpr_kernarg_segment_ptr 1
		.amdhsa_user_sgpr_dispatch_id 0
		.amdhsa_user_sgpr_flat_scratch_init 0
		.amdhsa_user_sgpr_private_segment_size 0
		.amdhsa_wavefront_size32 1
		.amdhsa_uses_dynamic_stack 0
		.amdhsa_system_sgpr_private_segment_wavefront_offset 0
		.amdhsa_system_sgpr_workgroup_id_x 1
		.amdhsa_system_sgpr_workgroup_id_y 0
		.amdhsa_system_sgpr_workgroup_id_z 0
		.amdhsa_system_sgpr_workgroup_info 0
		.amdhsa_system_vgpr_workitem_id 1
		.amdhsa_next_free_vgpr 15
		.amdhsa_next_free_sgpr 16
		.amdhsa_reserve_vcc 1
		.amdhsa_reserve_flat_scratch 0
		.amdhsa_float_round_mode_32 0
		.amdhsa_float_round_mode_16_64 0
		.amdhsa_float_denorm_mode_32 3
		.amdhsa_float_denorm_mode_16_64 3
		.amdhsa_dx10_clamp 1
		.amdhsa_ieee_mode 1
		.amdhsa_fp16_overflow 0
		.amdhsa_workgroup_processor_mode 1
		.amdhsa_memory_ordered 1
		.amdhsa_forward_progress 1
		.amdhsa_shared_vgpr_count 0
		.amdhsa_exception_fp_ieee_invalid_op 0
		.amdhsa_exception_fp_denorm_src 0
		.amdhsa_exception_fp_ieee_div_zero 0
		.amdhsa_exception_fp_ieee_overflow 0
		.amdhsa_exception_fp_ieee_underflow 0
		.amdhsa_exception_fp_ieee_inexact 0
		.amdhsa_exception_int_div_zero 0
	.end_amdhsa_kernel
	.section	.text._ZN12_GLOBAL__N_121softmax_warp_backwardIfffLi5ELb0ELb1ELi32EEEvPT0_PKT_S5_iiiPKb,"axG",@progbits,_ZN12_GLOBAL__N_121softmax_warp_backwardIfffLi5ELb0ELb1ELi32EEEvPT0_PKT_S5_iiiPKb,comdat
.Lfunc_end801:
	.size	_ZN12_GLOBAL__N_121softmax_warp_backwardIfffLi5ELb0ELb1ELi32EEEvPT0_PKT_S5_iiiPKb, .Lfunc_end801-_ZN12_GLOBAL__N_121softmax_warp_backwardIfffLi5ELb0ELb1ELi32EEEvPT0_PKT_S5_iiiPKb
                                        ; -- End function
	.set _ZN12_GLOBAL__N_121softmax_warp_backwardIfffLi5ELb0ELb1ELi32EEEvPT0_PKT_S5_iiiPKb.num_vgpr, 15
	.set _ZN12_GLOBAL__N_121softmax_warp_backwardIfffLi5ELb0ELb1ELi32EEEvPT0_PKT_S5_iiiPKb.num_agpr, 0
	.set _ZN12_GLOBAL__N_121softmax_warp_backwardIfffLi5ELb0ELb1ELi32EEEvPT0_PKT_S5_iiiPKb.numbered_sgpr, 16
	.set _ZN12_GLOBAL__N_121softmax_warp_backwardIfffLi5ELb0ELb1ELi32EEEvPT0_PKT_S5_iiiPKb.num_named_barrier, 0
	.set _ZN12_GLOBAL__N_121softmax_warp_backwardIfffLi5ELb0ELb1ELi32EEEvPT0_PKT_S5_iiiPKb.private_seg_size, 0
	.set _ZN12_GLOBAL__N_121softmax_warp_backwardIfffLi5ELb0ELb1ELi32EEEvPT0_PKT_S5_iiiPKb.uses_vcc, 1
	.set _ZN12_GLOBAL__N_121softmax_warp_backwardIfffLi5ELb0ELb1ELi32EEEvPT0_PKT_S5_iiiPKb.uses_flat_scratch, 0
	.set _ZN12_GLOBAL__N_121softmax_warp_backwardIfffLi5ELb0ELb1ELi32EEEvPT0_PKT_S5_iiiPKb.has_dyn_sized_stack, 0
	.set _ZN12_GLOBAL__N_121softmax_warp_backwardIfffLi5ELb0ELb1ELi32EEEvPT0_PKT_S5_iiiPKb.has_recursion, 0
	.set _ZN12_GLOBAL__N_121softmax_warp_backwardIfffLi5ELb0ELb1ELi32EEEvPT0_PKT_S5_iiiPKb.has_indirect_call, 0
	.section	.AMDGPU.csdata,"",@progbits
; Kernel info:
; codeLenInByte = 844
; TotalNumSgprs: 18
; NumVgprs: 15
; ScratchSize: 0
; MemoryBound: 0
; FloatMode: 240
; IeeeMode: 1
; LDSByteSize: 0 bytes/workgroup (compile time only)
; SGPRBlocks: 0
; VGPRBlocks: 1
; NumSGPRsForWavesPerEU: 18
; NumVGPRsForWavesPerEU: 15
; Occupancy: 16
; WaveLimiterHint : 0
; COMPUTE_PGM_RSRC2:SCRATCH_EN: 0
; COMPUTE_PGM_RSRC2:USER_SGPR: 6
; COMPUTE_PGM_RSRC2:TRAP_HANDLER: 0
; COMPUTE_PGM_RSRC2:TGID_X_EN: 1
; COMPUTE_PGM_RSRC2:TGID_Y_EN: 0
; COMPUTE_PGM_RSRC2:TGID_Z_EN: 0
; COMPUTE_PGM_RSRC2:TIDIG_COMP_CNT: 1
	.section	.text._ZN12_GLOBAL__N_121softmax_warp_backwardIfffLi6ELb0ELb1ELi64EEEvPT0_PKT_S5_iiiPKb,"axG",@progbits,_ZN12_GLOBAL__N_121softmax_warp_backwardIfffLi6ELb0ELb1ELi64EEEvPT0_PKT_S5_iiiPKb,comdat
	.globl	_ZN12_GLOBAL__N_121softmax_warp_backwardIfffLi6ELb0ELb1ELi64EEEvPT0_PKT_S5_iiiPKb ; -- Begin function _ZN12_GLOBAL__N_121softmax_warp_backwardIfffLi6ELb0ELb1ELi64EEEvPT0_PKT_S5_iiiPKb
	.p2align	8
	.type	_ZN12_GLOBAL__N_121softmax_warp_backwardIfffLi6ELb0ELb1ELi64EEEvPT0_PKT_S5_iiiPKb,@function
_ZN12_GLOBAL__N_121softmax_warp_backwardIfffLi6ELb0ELb1ELi64EEEvPT0_PKT_S5_iiiPKb: ; @_ZN12_GLOBAL__N_121softmax_warp_backwardIfffLi6ELb0ELb1ELi64EEEvPT0_PKT_S5_iiiPKb
; %bb.0:
	s_clause 0x1
	s_load_dword s0, s[4:5], 0x3c
	s_load_dwordx4 s[8:11], s[4:5], 0x18
	v_and_b32_e32 v4, 63, v0
	s_clause 0x1
	s_load_dwordx4 s[12:15], s[4:5], 0x0
	s_load_dwordx2 s[2:3], s[4:5], 0x10
	v_mov_b32_e32 v11, 0
	v_mov_b32_e32 v12, 0
	s_waitcnt lgkmcnt(0)
	s_mov_b32 s11, 0
	s_lshr_b32 s0, s0, 16
	v_cmp_gt_i32_e32 vcc_lo, s10, v4
	s_and_b32 s0, s0, 0xffff
	s_mul_i32 s6, s6, s0
	v_add_lshl_u32 v0, s6, v1, 1
	v_mad_u64_u32 v[2:3], null, v0, s9, v[4:5]
	v_sub_nc_u32_e32 v10, s8, v0
	v_cmp_lt_i32_e64 s0, 0, v10
	v_ashrrev_i32_e32 v3, 31, v2
	v_lshlrev_b64 v[0:1], 2, v[2:3]
	v_add_co_u32 v8, s1, s14, v0
	v_add_co_ci_u32_e64 v9, null, s15, v1, s1
	v_add_co_u32 v6, s1, s2, v0
	v_add_co_ci_u32_e64 v7, null, s3, v1, s1
	s_and_b32 s2, vcc_lo, s0
	s_and_saveexec_b32 s1, s2
	s_cbranch_execz .LBB802_2
; %bb.1:
	global_load_dword v12, v[8:9], off
	global_load_dword v11, v[6:7], off
.LBB802_2:
	s_or_b32 exec_lo, exec_lo, s1
	v_cmp_gt_i32_e64 s1, 2, v10
	v_mov_b32_e32 v4, s10
	v_mov_b32_e32 v5, s11
	s_xor_b32 s2, vcc_lo, -1
	s_or_b32 s1, s2, s1
	s_and_saveexec_b32 s2, s1
	s_xor_b32 s1, exec_lo, s2
                                        ; implicit-def: $vgpr14
                                        ; implicit-def: $vgpr13
; %bb.3:
	v_mov_b32_e32 v13, 0
	s_ashr_i32 s3, s10, 31
	s_mov_b32 s2, s10
	v_mov_b32_e32 v5, s3
	v_mov_b32_e32 v4, s2
	;; [unrolled: 1-line block ×3, first 2 shown]
                                        ; implicit-def: $vgpr6
                                        ; implicit-def: $vgpr8
; %bb.4:
	s_andn2_saveexec_b32 s2, s1
	s_cbranch_execz .LBB802_6
; %bb.5:
	s_lshl_b64 s[6:7], s[10:11], 2
	v_add_co_u32 v8, s1, v8, s6
	v_add_co_ci_u32_e64 v9, null, s7, v9, s1
	v_add_co_u32 v6, s1, v6, s6
	v_add_co_ci_u32_e64 v7, null, s7, v7, s1
	global_load_dword v13, v[8:9], off
	global_load_dword v14, v[6:7], off
.LBB802_6:
	s_or_b32 exec_lo, exec_lo, s2
	s_load_dwordx2 s[2:3], s[4:5], 0x28
	s_waitcnt vmcnt(1)
	v_add_f32_e32 v6, 0, v12
	v_add_f32_e32 v7, 0, v13
	s_waitcnt lgkmcnt(0)
	v_add_co_u32 v2, s1, s2, v2
	v_add_co_ci_u32_e64 v3, null, s3, v3, s1
	v_add_co_u32 v4, s1, v2, v4
	v_add_co_ci_u32_e64 v5, null, v3, v5, s1
	s_clause 0x1
	global_load_ubyte v2, v[2:3], off
	global_load_ubyte v3, v[4:5], off
	v_mbcnt_lo_u32_b32 v4, -1, 0
	v_or_b32_e32 v5, 32, v4
	v_cmp_gt_i32_e64 s1, 64, v5
	v_cndmask_b32_e64 v5, v4, v5, s1
	v_lshlrev_b32_e32 v5, 2, v5
	s_waitcnt vmcnt(1)
	v_and_b32_e32 v2, 1, v2
	s_waitcnt vmcnt(0)
	v_and_b32_e32 v3, 1, v3
	v_cmp_eq_u32_e64 s2, 1, v2
	v_cmp_eq_u32_e64 s1, 1, v3
	v_cndmask_b32_e64 v2, v6, 0, s2
	v_cndmask_b32_e64 v3, v7, 0, s1
	v_xor_b32_e32 v7, 16, v4
	ds_bpermute_b32 v6, v5, v2
	ds_bpermute_b32 v5, v5, v3
	v_cmp_gt_i32_e64 s3, 64, v7
	v_cndmask_b32_e64 v7, v4, v7, s3
	v_lshlrev_b32_e32 v7, 2, v7
	s_waitcnt lgkmcnt(1)
	v_add_f32_e32 v2, v2, v6
	s_waitcnt lgkmcnt(0)
	v_add_f32_e32 v3, v3, v5
	ds_bpermute_b32 v5, v7, v2
	ds_bpermute_b32 v6, v7, v3
	v_xor_b32_e32 v7, 8, v4
	v_cmp_gt_i32_e64 s3, 64, v7
	v_cndmask_b32_e64 v7, v4, v7, s3
	s_waitcnt lgkmcnt(1)
	v_add_f32_e32 v2, v2, v5
	v_lshlrev_b32_e32 v5, 2, v7
	s_waitcnt lgkmcnt(0)
	v_add_f32_e32 v3, v3, v6
	v_xor_b32_e32 v7, 4, v4
	ds_bpermute_b32 v6, v5, v2
	ds_bpermute_b32 v5, v5, v3
	v_cmp_gt_i32_e64 s3, 64, v7
	v_cndmask_b32_e64 v7, v4, v7, s3
	s_waitcnt lgkmcnt(1)
	v_add_f32_e32 v2, v2, v6
	v_lshlrev_b32_e32 v6, 2, v7
	s_waitcnt lgkmcnt(0)
	v_add_f32_e32 v3, v3, v5
	v_xor_b32_e32 v7, 2, v4
	ds_bpermute_b32 v5, v6, v2
	ds_bpermute_b32 v6, v6, v3
	;; [unrolled: 10-line block ×3, first 2 shown]
	v_cmp_gt_i32_e64 s3, 64, v7
	v_cndmask_b32_e64 v7, v4, v7, s3
	s_waitcnt lgkmcnt(1)
	v_add_f32_e32 v4, v2, v6
	v_lshlrev_b32_e32 v6, 2, v7
	s_waitcnt lgkmcnt(0)
	v_add_f32_e32 v2, v3, v5
	ds_bpermute_b32 v5, v6, v4
	ds_bpermute_b32 v3, v6, v2
	s_and_saveexec_b32 s3, s0
	s_cbranch_execz .LBB802_11
; %bb.7:
	v_add_co_u32 v0, s0, s12, v0
	v_add_co_ci_u32_e64 v1, null, s13, v1, s0
	s_and_saveexec_b32 s0, vcc_lo
	s_cbranch_execz .LBB802_9
; %bb.8:
	s_waitcnt lgkmcnt(1)
	v_add_f32_e32 v4, v4, v5
	v_fma_f32 v4, -v11, v4, v12
	v_cndmask_b32_e64 v4, v4, 0, s2
	global_store_dword v[0:1], v4, off
.LBB802_9:
	s_or_b32 exec_lo, exec_lo, s0
	v_cmp_ne_u32_e64 s0, 1, v10
	s_and_b32 s0, s0, vcc_lo
	s_and_b32 exec_lo, exec_lo, s0
	s_cbranch_execz .LBB802_11
; %bb.10:
	s_waitcnt lgkmcnt(0)
	v_add_f32_e32 v2, v2, v3
	s_lshl_b64 s[2:3], s[10:11], 2
	v_add_co_u32 v0, vcc_lo, v0, s2
	v_fma_f32 v2, -v14, v2, v13
	v_add_co_ci_u32_e64 v1, null, s3, v1, vcc_lo
	v_cndmask_b32_e64 v2, v2, 0, s1
	global_store_dword v[0:1], v2, off
.LBB802_11:
	s_endpgm
	.section	.rodata,"a",@progbits
	.p2align	6, 0x0
	.amdhsa_kernel _ZN12_GLOBAL__N_121softmax_warp_backwardIfffLi6ELb0ELb1ELi64EEEvPT0_PKT_S5_iiiPKb
		.amdhsa_group_segment_fixed_size 0
		.amdhsa_private_segment_fixed_size 0
		.amdhsa_kernarg_size 304
		.amdhsa_user_sgpr_count 6
		.amdhsa_user_sgpr_private_segment_buffer 1
		.amdhsa_user_sgpr_dispatch_ptr 0
		.amdhsa_user_sgpr_queue_ptr 0
		.amdhsa_user_sgpr_kernarg_segment_ptr 1
		.amdhsa_user_sgpr_dispatch_id 0
		.amdhsa_user_sgpr_flat_scratch_init 0
		.amdhsa_user_sgpr_private_segment_size 0
		.amdhsa_wavefront_size32 1
		.amdhsa_uses_dynamic_stack 0
		.amdhsa_system_sgpr_private_segment_wavefront_offset 0
		.amdhsa_system_sgpr_workgroup_id_x 1
		.amdhsa_system_sgpr_workgroup_id_y 0
		.amdhsa_system_sgpr_workgroup_id_z 0
		.amdhsa_system_sgpr_workgroup_info 0
		.amdhsa_system_vgpr_workitem_id 1
		.amdhsa_next_free_vgpr 15
		.amdhsa_next_free_sgpr 16
		.amdhsa_reserve_vcc 1
		.amdhsa_reserve_flat_scratch 0
		.amdhsa_float_round_mode_32 0
		.amdhsa_float_round_mode_16_64 0
		.amdhsa_float_denorm_mode_32 3
		.amdhsa_float_denorm_mode_16_64 3
		.amdhsa_dx10_clamp 1
		.amdhsa_ieee_mode 1
		.amdhsa_fp16_overflow 0
		.amdhsa_workgroup_processor_mode 1
		.amdhsa_memory_ordered 1
		.amdhsa_forward_progress 1
		.amdhsa_shared_vgpr_count 0
		.amdhsa_exception_fp_ieee_invalid_op 0
		.amdhsa_exception_fp_denorm_src 0
		.amdhsa_exception_fp_ieee_div_zero 0
		.amdhsa_exception_fp_ieee_overflow 0
		.amdhsa_exception_fp_ieee_underflow 0
		.amdhsa_exception_fp_ieee_inexact 0
		.amdhsa_exception_int_div_zero 0
	.end_amdhsa_kernel
	.section	.text._ZN12_GLOBAL__N_121softmax_warp_backwardIfffLi6ELb0ELb1ELi64EEEvPT0_PKT_S5_iiiPKb,"axG",@progbits,_ZN12_GLOBAL__N_121softmax_warp_backwardIfffLi6ELb0ELb1ELi64EEEvPT0_PKT_S5_iiiPKb,comdat
.Lfunc_end802:
	.size	_ZN12_GLOBAL__N_121softmax_warp_backwardIfffLi6ELb0ELb1ELi64EEEvPT0_PKT_S5_iiiPKb, .Lfunc_end802-_ZN12_GLOBAL__N_121softmax_warp_backwardIfffLi6ELb0ELb1ELi64EEEvPT0_PKT_S5_iiiPKb
                                        ; -- End function
	.set _ZN12_GLOBAL__N_121softmax_warp_backwardIfffLi6ELb0ELb1ELi64EEEvPT0_PKT_S5_iiiPKb.num_vgpr, 15
	.set _ZN12_GLOBAL__N_121softmax_warp_backwardIfffLi6ELb0ELb1ELi64EEEvPT0_PKT_S5_iiiPKb.num_agpr, 0
	.set _ZN12_GLOBAL__N_121softmax_warp_backwardIfffLi6ELb0ELb1ELi64EEEvPT0_PKT_S5_iiiPKb.numbered_sgpr, 16
	.set _ZN12_GLOBAL__N_121softmax_warp_backwardIfffLi6ELb0ELb1ELi64EEEvPT0_PKT_S5_iiiPKb.num_named_barrier, 0
	.set _ZN12_GLOBAL__N_121softmax_warp_backwardIfffLi6ELb0ELb1ELi64EEEvPT0_PKT_S5_iiiPKb.private_seg_size, 0
	.set _ZN12_GLOBAL__N_121softmax_warp_backwardIfffLi6ELb0ELb1ELi64EEEvPT0_PKT_S5_iiiPKb.uses_vcc, 1
	.set _ZN12_GLOBAL__N_121softmax_warp_backwardIfffLi6ELb0ELb1ELi64EEEvPT0_PKT_S5_iiiPKb.uses_flat_scratch, 0
	.set _ZN12_GLOBAL__N_121softmax_warp_backwardIfffLi6ELb0ELb1ELi64EEEvPT0_PKT_S5_iiiPKb.has_dyn_sized_stack, 0
	.set _ZN12_GLOBAL__N_121softmax_warp_backwardIfffLi6ELb0ELb1ELi64EEEvPT0_PKT_S5_iiiPKb.has_recursion, 0
	.set _ZN12_GLOBAL__N_121softmax_warp_backwardIfffLi6ELb0ELb1ELi64EEEvPT0_PKT_S5_iiiPKb.has_indirect_call, 0
	.section	.AMDGPU.csdata,"",@progbits
; Kernel info:
; codeLenInByte = 900
; TotalNumSgprs: 18
; NumVgprs: 15
; ScratchSize: 0
; MemoryBound: 0
; FloatMode: 240
; IeeeMode: 1
; LDSByteSize: 0 bytes/workgroup (compile time only)
; SGPRBlocks: 0
; VGPRBlocks: 1
; NumSGPRsForWavesPerEU: 18
; NumVGPRsForWavesPerEU: 15
; Occupancy: 16
; WaveLimiterHint : 0
; COMPUTE_PGM_RSRC2:SCRATCH_EN: 0
; COMPUTE_PGM_RSRC2:USER_SGPR: 6
; COMPUTE_PGM_RSRC2:TRAP_HANDLER: 0
; COMPUTE_PGM_RSRC2:TGID_X_EN: 1
; COMPUTE_PGM_RSRC2:TGID_Y_EN: 0
; COMPUTE_PGM_RSRC2:TGID_Z_EN: 0
; COMPUTE_PGM_RSRC2:TIDIG_COMP_CNT: 1
	.section	.text._ZN12_GLOBAL__N_121softmax_warp_backwardIfffLi6ELb0ELb1ELi32EEEvPT0_PKT_S5_iiiPKb,"axG",@progbits,_ZN12_GLOBAL__N_121softmax_warp_backwardIfffLi6ELb0ELb1ELi32EEEvPT0_PKT_S5_iiiPKb,comdat
	.globl	_ZN12_GLOBAL__N_121softmax_warp_backwardIfffLi6ELb0ELb1ELi32EEEvPT0_PKT_S5_iiiPKb ; -- Begin function _ZN12_GLOBAL__N_121softmax_warp_backwardIfffLi6ELb0ELb1ELi32EEEvPT0_PKT_S5_iiiPKb
	.p2align	8
	.type	_ZN12_GLOBAL__N_121softmax_warp_backwardIfffLi6ELb0ELb1ELi32EEEvPT0_PKT_S5_iiiPKb,@function
_ZN12_GLOBAL__N_121softmax_warp_backwardIfffLi6ELb0ELb1ELi32EEEvPT0_PKT_S5_iiiPKb: ; @_ZN12_GLOBAL__N_121softmax_warp_backwardIfffLi6ELb0ELb1ELi32EEEvPT0_PKT_S5_iiiPKb
; %bb.0:
	s_clause 0x1
	s_load_dword s0, s[4:5], 0x3c
	s_load_dwordx4 s[8:11], s[4:5], 0x18
	v_and_b32_e32 v8, 31, v0
	s_clause 0x1
	s_load_dwordx4 s[12:15], s[4:5], 0x0
	s_load_dwordx2 s[2:3], s[4:5], 0x10
	v_mov_b32_e32 v10, 0
	v_mov_b32_e32 v11, 0
	;; [unrolled: 1-line block ×3, first 2 shown]
	s_waitcnt lgkmcnt(0)
	s_lshr_b32 s0, s0, 16
	v_cmp_gt_i32_e32 vcc_lo, s10, v8
	s_and_b32 s0, s0, 0xffff
	s_mul_i32 s6, s6, s0
	v_add_lshl_u32 v0, s6, v1, 1
	v_mad_u64_u32 v[2:3], null, v0, s9, v[8:9]
	v_sub_nc_u32_e32 v9, s8, v0
	v_cmp_lt_i32_e64 s1, 0, v9
	v_ashrrev_i32_e32 v3, 31, v2
	v_lshlrev_b64 v[0:1], 2, v[2:3]
	v_add_co_u32 v6, s0, s14, v0
	v_add_co_ci_u32_e64 v7, null, s15, v1, s0
	v_add_co_u32 v4, s0, s2, v0
	v_add_co_ci_u32_e64 v5, null, s3, v1, s0
	s_and_b32 s2, s1, vcc_lo
	s_and_saveexec_b32 s0, s2
	s_cbranch_execz .LBB803_2
; %bb.1:
	global_load_dword v11, v[6:7], off
	global_load_dword v12, v[4:5], off
.LBB803_2:
	s_or_b32 exec_lo, exec_lo, s0
	v_or_b32_e32 v8, 32, v8
	v_mov_b32_e32 v13, 0
	v_cmp_gt_i32_e64 s0, s10, v8
	s_and_b32 s3, s1, s0
	s_and_saveexec_b32 s2, s3
	s_cbranch_execz .LBB803_4
; %bb.3:
	global_load_dword v10, v[6:7], off offset:128
	global_load_dword v13, v[4:5], off offset:128
.LBB803_4:
	s_or_b32 exec_lo, exec_lo, s2
	v_cmp_lt_i32_e64 s2, 1, v9
	v_mov_b32_e32 v8, 0
	v_mov_b32_e32 v14, 0
	;; [unrolled: 1-line block ×3, first 2 shown]
	s_and_b32 s3, s2, vcc_lo
	s_and_saveexec_b32 s6, s3
	s_cbranch_execz .LBB803_6
; %bb.5:
	s_mov_b32 s11, 0
	s_lshl_b64 s[8:9], s[10:11], 2
	v_add_co_u32 v14, s3, v6, s8
	v_add_co_ci_u32_e64 v15, null, s9, v7, s3
	v_add_co_u32 v16, s3, v4, s8
	v_add_co_ci_u32_e64 v17, null, s9, v5, s3
	global_load_dword v14, v[14:15], off
	global_load_dword v15, v[16:17], off
.LBB803_6:
	s_or_b32 exec_lo, exec_lo, s6
	v_mov_b32_e32 v16, 0
	s_and_b32 s2, s2, s0
	s_and_saveexec_b32 s3, s2
	s_cbranch_execz .LBB803_8
; %bb.7:
	s_mov_b32 s11, 0
	s_lshl_b64 s[6:7], s[10:11], 2
	v_add_co_u32 v6, s2, v6, s6
	v_add_co_ci_u32_e64 v7, null, s7, v7, s2
	v_add_co_u32 v4, s2, v4, s6
	v_add_co_ci_u32_e64 v5, null, s7, v5, s2
	global_load_dword v8, v[6:7], off offset:128
	global_load_dword v16, v[4:5], off offset:128
.LBB803_8:
	s_or_b32 exec_lo, exec_lo, s3
	s_load_dwordx2 s[2:3], s[4:5], 0x28
	s_waitcnt vmcnt(1)
	v_add_f32_e32 v18, 0, v14
	s_waitcnt lgkmcnt(0)
	v_add_co_u32 v2, s2, s2, v2
	v_add_co_ci_u32_e64 v3, null, s3, v3, s2
	s_ashr_i32 s3, s10, 31
	v_add_co_u32 v4, s2, v2, s10
	v_add_co_ci_u32_e64 v5, null, s3, v3, s2
	s_clause 0x3
	global_load_ubyte v6, v[2:3], off
	global_load_ubyte v7, v[4:5], off
	global_load_ubyte v2, v[2:3], off offset:32
	global_load_ubyte v3, v[4:5], off offset:32
	v_mbcnt_lo_u32_b32 v4, -1, 0
	v_xor_b32_e32 v17, 16, v4
	v_cmp_gt_i32_e64 s2, 32, v17
	s_waitcnt vmcnt(3)
	v_and_b32_e32 v5, 1, v6
	s_waitcnt vmcnt(2)
	v_and_b32_e32 v7, 1, v7
	v_add_f32_e32 v6, 0, v11
	s_waitcnt vmcnt(1)
	v_and_b32_e32 v2, 1, v2
	s_waitcnt vmcnt(0)
	v_and_b32_e32 v3, 1, v3
	v_cmp_eq_u32_e64 s5, 1, v5
	v_cmp_eq_u32_e64 s3, 1, v7
	;; [unrolled: 1-line block ×3, first 2 shown]
	v_cndmask_b32_e64 v5, v6, 0, s5
	v_cndmask_b32_e64 v7, v18, 0, s3
	;; [unrolled: 1-line block ×3, first 2 shown]
	v_cmp_eq_u32_e64 s2, 1, v3
	v_add_f32_e32 v17, v5, v10
	v_add_f32_e32 v18, v7, v8
	v_lshlrev_b32_e32 v6, 2, v6
	v_cndmask_b32_e64 v2, v17, v5, s4
	v_cndmask_b32_e64 v3, v18, v7, s2
	v_xor_b32_e32 v7, 8, v4
	ds_bpermute_b32 v5, v6, v2
	ds_bpermute_b32 v6, v6, v3
	v_cmp_gt_i32_e64 s6, 32, v7
	v_cndmask_b32_e64 v7, v4, v7, s6
	s_waitcnt lgkmcnt(1)
	v_add_f32_e32 v2, v2, v5
	v_lshlrev_b32_e32 v5, 2, v7
	s_waitcnt lgkmcnt(0)
	v_add_f32_e32 v3, v3, v6
	v_xor_b32_e32 v7, 4, v4
	ds_bpermute_b32 v6, v5, v2
	ds_bpermute_b32 v5, v5, v3
	v_cmp_gt_i32_e64 s6, 32, v7
	v_cndmask_b32_e64 v7, v4, v7, s6
	s_waitcnt lgkmcnt(1)
	v_add_f32_e32 v2, v2, v6
	v_lshlrev_b32_e32 v6, 2, v7
	s_waitcnt lgkmcnt(0)
	v_add_f32_e32 v3, v3, v5
	v_xor_b32_e32 v7, 2, v4
	ds_bpermute_b32 v5, v6, v2
	ds_bpermute_b32 v6, v6, v3
	v_cmp_gt_i32_e64 s6, 32, v7
	v_cndmask_b32_e64 v7, v4, v7, s6
	s_waitcnt lgkmcnt(1)
	v_add_f32_e32 v2, v2, v5
	v_lshlrev_b32_e32 v5, 2, v7
	s_waitcnt lgkmcnt(0)
	v_add_f32_e32 v3, v3, v6
	v_xor_b32_e32 v7, 1, v4
	ds_bpermute_b32 v6, v5, v2
	ds_bpermute_b32 v5, v5, v3
	v_cmp_gt_i32_e64 s6, 32, v7
	v_cndmask_b32_e64 v7, v4, v7, s6
	s_waitcnt lgkmcnt(1)
	v_add_f32_e32 v4, v2, v6
	v_lshlrev_b32_e32 v6, 2, v7
	s_waitcnt lgkmcnt(0)
	v_add_f32_e32 v2, v3, v5
	ds_bpermute_b32 v5, v6, v4
	ds_bpermute_b32 v3, v6, v2
	s_and_saveexec_b32 s6, s1
	s_cbranch_execz .LBB803_12
; %bb.9:
	v_add_co_u32 v0, s1, s12, v0
	s_waitcnt lgkmcnt(1)
	v_add_f32_e32 v4, v4, v5
	v_add_co_ci_u32_e64 v1, null, s13, v1, s1
	s_and_saveexec_b32 s1, vcc_lo
	s_cbranch_execnz .LBB803_13
; %bb.10:
	s_or_b32 exec_lo, exec_lo, s1
	s_and_saveexec_b32 s1, s0
	s_cbranch_execnz .LBB803_14
.LBB803_11:
	s_or_b32 exec_lo, exec_lo, s1
	v_cmp_ne_u32_e64 s1, 1, v9
	s_and_b32 exec_lo, exec_lo, s1
	s_cbranch_execnz .LBB803_15
.LBB803_12:
	s_endpgm
.LBB803_13:
	v_fma_f32 v5, -v4, v12, v11
	v_cndmask_b32_e64 v5, v5, 0, s5
	global_store_dword v[0:1], v5, off
	s_or_b32 exec_lo, exec_lo, s1
	s_and_saveexec_b32 s1, s0
	s_cbranch_execz .LBB803_11
.LBB803_14:
	v_fma_f32 v4, -v4, v13, v10
	v_cndmask_b32_e64 v4, v4, 0, s4
	global_store_dword v[0:1], v4, off offset:128
	s_or_b32 exec_lo, exec_lo, s1
	v_cmp_ne_u32_e64 s1, 1, v9
	s_and_b32 exec_lo, exec_lo, s1
	s_cbranch_execz .LBB803_12
.LBB803_15:
	s_waitcnt lgkmcnt(0)
	v_add_f32_e32 v2, v2, v3
	s_and_saveexec_b32 s1, vcc_lo
	s_cbranch_execz .LBB803_17
; %bb.16:
	v_fma_f32 v3, -v2, v15, v14
	s_mov_b32 s11, 0
	s_lshl_b64 s[4:5], s[10:11], 2
	v_cndmask_b32_e64 v5, v3, 0, s3
	v_add_co_u32 v3, vcc_lo, v0, s4
	v_add_co_ci_u32_e64 v4, null, s5, v1, vcc_lo
	global_store_dword v[3:4], v5, off
.LBB803_17:
	s_or_b32 exec_lo, exec_lo, s1
	s_and_b32 exec_lo, exec_lo, s0
	s_cbranch_execz .LBB803_12
; %bb.18:
	s_add_i32 s0, s10, 32
	s_mov_b32 s1, 0
	v_fma_f32 v2, -v2, v16, v8
	s_lshl_b64 s[0:1], s[0:1], 2
	v_add_co_u32 v0, vcc_lo, v0, s0
	v_cndmask_b32_e64 v2, v2, 0, s2
	v_add_co_ci_u32_e64 v1, null, s1, v1, vcc_lo
	global_store_dword v[0:1], v2, off
	s_endpgm
	.section	.rodata,"a",@progbits
	.p2align	6, 0x0
	.amdhsa_kernel _ZN12_GLOBAL__N_121softmax_warp_backwardIfffLi6ELb0ELb1ELi32EEEvPT0_PKT_S5_iiiPKb
		.amdhsa_group_segment_fixed_size 0
		.amdhsa_private_segment_fixed_size 0
		.amdhsa_kernarg_size 304
		.amdhsa_user_sgpr_count 6
		.amdhsa_user_sgpr_private_segment_buffer 1
		.amdhsa_user_sgpr_dispatch_ptr 0
		.amdhsa_user_sgpr_queue_ptr 0
		.amdhsa_user_sgpr_kernarg_segment_ptr 1
		.amdhsa_user_sgpr_dispatch_id 0
		.amdhsa_user_sgpr_flat_scratch_init 0
		.amdhsa_user_sgpr_private_segment_size 0
		.amdhsa_wavefront_size32 1
		.amdhsa_uses_dynamic_stack 0
		.amdhsa_system_sgpr_private_segment_wavefront_offset 0
		.amdhsa_system_sgpr_workgroup_id_x 1
		.amdhsa_system_sgpr_workgroup_id_y 0
		.amdhsa_system_sgpr_workgroup_id_z 0
		.amdhsa_system_sgpr_workgroup_info 0
		.amdhsa_system_vgpr_workitem_id 1
		.amdhsa_next_free_vgpr 19
		.amdhsa_next_free_sgpr 16
		.amdhsa_reserve_vcc 1
		.amdhsa_reserve_flat_scratch 0
		.amdhsa_float_round_mode_32 0
		.amdhsa_float_round_mode_16_64 0
		.amdhsa_float_denorm_mode_32 3
		.amdhsa_float_denorm_mode_16_64 3
		.amdhsa_dx10_clamp 1
		.amdhsa_ieee_mode 1
		.amdhsa_fp16_overflow 0
		.amdhsa_workgroup_processor_mode 1
		.amdhsa_memory_ordered 1
		.amdhsa_forward_progress 1
		.amdhsa_shared_vgpr_count 0
		.amdhsa_exception_fp_ieee_invalid_op 0
		.amdhsa_exception_fp_denorm_src 0
		.amdhsa_exception_fp_ieee_div_zero 0
		.amdhsa_exception_fp_ieee_overflow 0
		.amdhsa_exception_fp_ieee_underflow 0
		.amdhsa_exception_fp_ieee_inexact 0
		.amdhsa_exception_int_div_zero 0
	.end_amdhsa_kernel
	.section	.text._ZN12_GLOBAL__N_121softmax_warp_backwardIfffLi6ELb0ELb1ELi32EEEvPT0_PKT_S5_iiiPKb,"axG",@progbits,_ZN12_GLOBAL__N_121softmax_warp_backwardIfffLi6ELb0ELb1ELi32EEEvPT0_PKT_S5_iiiPKb,comdat
.Lfunc_end803:
	.size	_ZN12_GLOBAL__N_121softmax_warp_backwardIfffLi6ELb0ELb1ELi32EEEvPT0_PKT_S5_iiiPKb, .Lfunc_end803-_ZN12_GLOBAL__N_121softmax_warp_backwardIfffLi6ELb0ELb1ELi32EEEvPT0_PKT_S5_iiiPKb
                                        ; -- End function
	.set _ZN12_GLOBAL__N_121softmax_warp_backwardIfffLi6ELb0ELb1ELi32EEEvPT0_PKT_S5_iiiPKb.num_vgpr, 19
	.set _ZN12_GLOBAL__N_121softmax_warp_backwardIfffLi6ELb0ELb1ELi32EEEvPT0_PKT_S5_iiiPKb.num_agpr, 0
	.set _ZN12_GLOBAL__N_121softmax_warp_backwardIfffLi6ELb0ELb1ELi32EEEvPT0_PKT_S5_iiiPKb.numbered_sgpr, 16
	.set _ZN12_GLOBAL__N_121softmax_warp_backwardIfffLi6ELb0ELb1ELi32EEEvPT0_PKT_S5_iiiPKb.num_named_barrier, 0
	.set _ZN12_GLOBAL__N_121softmax_warp_backwardIfffLi6ELb0ELb1ELi32EEEvPT0_PKT_S5_iiiPKb.private_seg_size, 0
	.set _ZN12_GLOBAL__N_121softmax_warp_backwardIfffLi6ELb0ELb1ELi32EEEvPT0_PKT_S5_iiiPKb.uses_vcc, 1
	.set _ZN12_GLOBAL__N_121softmax_warp_backwardIfffLi6ELb0ELb1ELi32EEEvPT0_PKT_S5_iiiPKb.uses_flat_scratch, 0
	.set _ZN12_GLOBAL__N_121softmax_warp_backwardIfffLi6ELb0ELb1ELi32EEEvPT0_PKT_S5_iiiPKb.has_dyn_sized_stack, 0
	.set _ZN12_GLOBAL__N_121softmax_warp_backwardIfffLi6ELb0ELb1ELi32EEEvPT0_PKT_S5_iiiPKb.has_recursion, 0
	.set _ZN12_GLOBAL__N_121softmax_warp_backwardIfffLi6ELb0ELb1ELi32EEEvPT0_PKT_S5_iiiPKb.has_indirect_call, 0
	.section	.AMDGPU.csdata,"",@progbits
; Kernel info:
; codeLenInByte = 1160
; TotalNumSgprs: 18
; NumVgprs: 19
; ScratchSize: 0
; MemoryBound: 0
; FloatMode: 240
; IeeeMode: 1
; LDSByteSize: 0 bytes/workgroup (compile time only)
; SGPRBlocks: 0
; VGPRBlocks: 2
; NumSGPRsForWavesPerEU: 18
; NumVGPRsForWavesPerEU: 19
; Occupancy: 16
; WaveLimiterHint : 0
; COMPUTE_PGM_RSRC2:SCRATCH_EN: 0
; COMPUTE_PGM_RSRC2:USER_SGPR: 6
; COMPUTE_PGM_RSRC2:TRAP_HANDLER: 0
; COMPUTE_PGM_RSRC2:TGID_X_EN: 1
; COMPUTE_PGM_RSRC2:TGID_Y_EN: 0
; COMPUTE_PGM_RSRC2:TGID_Z_EN: 0
; COMPUTE_PGM_RSRC2:TIDIG_COMP_CNT: 1
	.section	.text._ZN12_GLOBAL__N_121softmax_warp_backwardIfffLi7ELb0ELb1ELi64EEEvPT0_PKT_S5_iiiPKb,"axG",@progbits,_ZN12_GLOBAL__N_121softmax_warp_backwardIfffLi7ELb0ELb1ELi64EEEvPT0_PKT_S5_iiiPKb,comdat
	.globl	_ZN12_GLOBAL__N_121softmax_warp_backwardIfffLi7ELb0ELb1ELi64EEEvPT0_PKT_S5_iiiPKb ; -- Begin function _ZN12_GLOBAL__N_121softmax_warp_backwardIfffLi7ELb0ELb1ELi64EEEvPT0_PKT_S5_iiiPKb
	.p2align	8
	.type	_ZN12_GLOBAL__N_121softmax_warp_backwardIfffLi7ELb0ELb1ELi64EEEvPT0_PKT_S5_iiiPKb,@function
_ZN12_GLOBAL__N_121softmax_warp_backwardIfffLi7ELb0ELb1ELi64EEEvPT0_PKT_S5_iiiPKb: ; @_ZN12_GLOBAL__N_121softmax_warp_backwardIfffLi7ELb0ELb1ELi64EEEvPT0_PKT_S5_iiiPKb
; %bb.0:
	s_clause 0x1
	s_load_dword s0, s[4:5], 0x3c
	s_load_dwordx4 s[8:11], s[4:5], 0x18
	v_and_b32_e32 v8, 63, v0
	s_clause 0x1
	s_load_dwordx4 s[12:15], s[4:5], 0x0
	s_load_dwordx2 s[2:3], s[4:5], 0x10
	v_mov_b32_e32 v10, 0
	v_mov_b32_e32 v11, 0
	;; [unrolled: 1-line block ×3, first 2 shown]
	s_waitcnt lgkmcnt(0)
	s_lshr_b32 s0, s0, 16
	v_cmp_gt_i32_e32 vcc_lo, s10, v8
	s_and_b32 s0, s0, 0xffff
	s_mul_i32 s6, s6, s0
	v_add_lshl_u32 v0, s6, v1, 1
	v_mad_u64_u32 v[2:3], null, v0, s9, v[8:9]
	v_sub_nc_u32_e32 v9, s8, v0
	v_cmp_lt_i32_e64 s1, 0, v9
	v_ashrrev_i32_e32 v3, 31, v2
	v_lshlrev_b64 v[0:1], 2, v[2:3]
	v_add_co_u32 v6, s0, s14, v0
	v_add_co_ci_u32_e64 v7, null, s15, v1, s0
	v_add_co_u32 v4, s0, s2, v0
	v_add_co_ci_u32_e64 v5, null, s3, v1, s0
	s_and_b32 s2, s1, vcc_lo
	s_and_saveexec_b32 s0, s2
	s_cbranch_execz .LBB804_2
; %bb.1:
	global_load_dword v11, v[6:7], off
	global_load_dword v12, v[4:5], off
.LBB804_2:
	s_or_b32 exec_lo, exec_lo, s0
	v_or_b32_e32 v8, 64, v8
	v_mov_b32_e32 v13, 0
	v_cmp_gt_i32_e64 s0, s10, v8
	s_and_b32 s3, s1, s0
	s_and_saveexec_b32 s2, s3
	s_cbranch_execz .LBB804_4
; %bb.3:
	global_load_dword v10, v[6:7], off offset:256
	global_load_dword v13, v[4:5], off offset:256
.LBB804_4:
	s_or_b32 exec_lo, exec_lo, s2
	v_cmp_lt_i32_e64 s2, 1, v9
	v_mov_b32_e32 v8, 0
	v_mov_b32_e32 v14, 0
	;; [unrolled: 1-line block ×3, first 2 shown]
	s_and_b32 s3, s2, vcc_lo
	s_and_saveexec_b32 s6, s3
	s_cbranch_execz .LBB804_6
; %bb.5:
	s_mov_b32 s11, 0
	s_lshl_b64 s[8:9], s[10:11], 2
	v_add_co_u32 v14, s3, v6, s8
	v_add_co_ci_u32_e64 v15, null, s9, v7, s3
	v_add_co_u32 v16, s3, v4, s8
	v_add_co_ci_u32_e64 v17, null, s9, v5, s3
	global_load_dword v14, v[14:15], off
	global_load_dword v15, v[16:17], off
.LBB804_6:
	s_or_b32 exec_lo, exec_lo, s6
	v_mov_b32_e32 v16, 0
	s_and_b32 s2, s2, s0
	s_and_saveexec_b32 s3, s2
	s_cbranch_execz .LBB804_8
; %bb.7:
	s_mov_b32 s11, 0
	s_lshl_b64 s[6:7], s[10:11], 2
	v_add_co_u32 v6, s2, v6, s6
	v_add_co_ci_u32_e64 v7, null, s7, v7, s2
	v_add_co_u32 v4, s2, v4, s6
	v_add_co_ci_u32_e64 v5, null, s7, v5, s2
	global_load_dword v8, v[6:7], off offset:256
	global_load_dword v16, v[4:5], off offset:256
.LBB804_8:
	s_or_b32 exec_lo, exec_lo, s3
	s_load_dwordx2 s[2:3], s[4:5], 0x28
	s_waitcnt vmcnt(1)
	v_add_f32_e32 v18, 0, v14
	s_waitcnt lgkmcnt(0)
	v_add_co_u32 v2, s2, s2, v2
	v_add_co_ci_u32_e64 v3, null, s3, v3, s2
	s_ashr_i32 s3, s10, 31
	v_add_co_u32 v4, s2, v2, s10
	v_add_co_ci_u32_e64 v5, null, s3, v3, s2
	s_clause 0x3
	global_load_ubyte v6, v[2:3], off
	global_load_ubyte v7, v[4:5], off
	global_load_ubyte v2, v[2:3], off offset:64
	global_load_ubyte v3, v[4:5], off offset:64
	v_mbcnt_lo_u32_b32 v4, -1, 0
	v_or_b32_e32 v17, 32, v4
	v_cmp_gt_i32_e64 s2, 64, v17
	s_waitcnt vmcnt(3)
	v_and_b32_e32 v5, 1, v6
	s_waitcnt vmcnt(2)
	v_and_b32_e32 v7, 1, v7
	v_add_f32_e32 v6, 0, v11
	s_waitcnt vmcnt(1)
	v_and_b32_e32 v2, 1, v2
	s_waitcnt vmcnt(0)
	v_and_b32_e32 v3, 1, v3
	v_cmp_eq_u32_e64 s5, 1, v5
	v_cmp_eq_u32_e64 s3, 1, v7
	;; [unrolled: 1-line block ×3, first 2 shown]
	v_cndmask_b32_e64 v5, v6, 0, s5
	v_cndmask_b32_e64 v7, v18, 0, s3
	;; [unrolled: 1-line block ×3, first 2 shown]
	v_cmp_eq_u32_e64 s2, 1, v3
	v_add_f32_e32 v17, v5, v10
	v_add_f32_e32 v18, v7, v8
	v_lshlrev_b32_e32 v6, 2, v6
	v_cndmask_b32_e64 v2, v17, v5, s4
	v_cndmask_b32_e64 v3, v18, v7, s2
	v_xor_b32_e32 v7, 16, v4
	ds_bpermute_b32 v5, v6, v2
	ds_bpermute_b32 v6, v6, v3
	v_cmp_gt_i32_e64 s6, 64, v7
	v_cndmask_b32_e64 v7, v4, v7, s6
	v_lshlrev_b32_e32 v7, 2, v7
	s_waitcnt lgkmcnt(1)
	v_add_f32_e32 v2, v2, v5
	s_waitcnt lgkmcnt(0)
	v_add_f32_e32 v3, v3, v6
	ds_bpermute_b32 v5, v7, v2
	ds_bpermute_b32 v6, v7, v3
	v_xor_b32_e32 v7, 8, v4
	v_cmp_gt_i32_e64 s6, 64, v7
	v_cndmask_b32_e64 v7, v4, v7, s6
	s_waitcnt lgkmcnt(1)
	v_add_f32_e32 v2, v2, v5
	v_lshlrev_b32_e32 v5, 2, v7
	s_waitcnt lgkmcnt(0)
	v_add_f32_e32 v3, v3, v6
	v_xor_b32_e32 v7, 4, v4
	ds_bpermute_b32 v6, v5, v2
	ds_bpermute_b32 v5, v5, v3
	v_cmp_gt_i32_e64 s6, 64, v7
	v_cndmask_b32_e64 v7, v4, v7, s6
	s_waitcnt lgkmcnt(1)
	v_add_f32_e32 v2, v2, v6
	v_lshlrev_b32_e32 v6, 2, v7
	s_waitcnt lgkmcnt(0)
	v_add_f32_e32 v3, v3, v5
	v_xor_b32_e32 v7, 2, v4
	ds_bpermute_b32 v5, v6, v2
	ds_bpermute_b32 v6, v6, v3
	;; [unrolled: 10-line block ×3, first 2 shown]
	v_cmp_gt_i32_e64 s6, 64, v7
	v_cndmask_b32_e64 v7, v4, v7, s6
	s_waitcnt lgkmcnt(1)
	v_add_f32_e32 v4, v2, v6
	v_lshlrev_b32_e32 v6, 2, v7
	s_waitcnt lgkmcnt(0)
	v_add_f32_e32 v2, v3, v5
	ds_bpermute_b32 v5, v6, v4
	ds_bpermute_b32 v3, v6, v2
	s_and_saveexec_b32 s6, s1
	s_cbranch_execz .LBB804_12
; %bb.9:
	v_add_co_u32 v0, s1, s12, v0
	s_waitcnt lgkmcnt(1)
	v_add_f32_e32 v4, v4, v5
	v_add_co_ci_u32_e64 v1, null, s13, v1, s1
	s_and_saveexec_b32 s1, vcc_lo
	s_cbranch_execnz .LBB804_13
; %bb.10:
	s_or_b32 exec_lo, exec_lo, s1
	s_and_saveexec_b32 s1, s0
	s_cbranch_execnz .LBB804_14
.LBB804_11:
	s_or_b32 exec_lo, exec_lo, s1
	v_cmp_ne_u32_e64 s1, 1, v9
	s_and_b32 exec_lo, exec_lo, s1
	s_cbranch_execnz .LBB804_15
.LBB804_12:
	s_endpgm
.LBB804_13:
	v_fma_f32 v5, -v4, v12, v11
	v_cndmask_b32_e64 v5, v5, 0, s5
	global_store_dword v[0:1], v5, off
	s_or_b32 exec_lo, exec_lo, s1
	s_and_saveexec_b32 s1, s0
	s_cbranch_execz .LBB804_11
.LBB804_14:
	v_fma_f32 v4, -v4, v13, v10
	v_cndmask_b32_e64 v4, v4, 0, s4
	global_store_dword v[0:1], v4, off offset:256
	s_or_b32 exec_lo, exec_lo, s1
	v_cmp_ne_u32_e64 s1, 1, v9
	s_and_b32 exec_lo, exec_lo, s1
	s_cbranch_execz .LBB804_12
.LBB804_15:
	s_waitcnt lgkmcnt(0)
	v_add_f32_e32 v2, v2, v3
	s_and_saveexec_b32 s1, vcc_lo
	s_cbranch_execz .LBB804_17
; %bb.16:
	v_fma_f32 v3, -v2, v15, v14
	s_mov_b32 s11, 0
	s_lshl_b64 s[4:5], s[10:11], 2
	v_cndmask_b32_e64 v5, v3, 0, s3
	v_add_co_u32 v3, vcc_lo, v0, s4
	v_add_co_ci_u32_e64 v4, null, s5, v1, vcc_lo
	global_store_dword v[3:4], v5, off
.LBB804_17:
	s_or_b32 exec_lo, exec_lo, s1
	s_and_b32 exec_lo, exec_lo, s0
	s_cbranch_execz .LBB804_12
; %bb.18:
	s_add_i32 s0, s10, 64
	s_mov_b32 s1, 0
	v_fma_f32 v2, -v2, v16, v8
	s_lshl_b64 s[0:1], s[0:1], 2
	v_add_co_u32 v0, vcc_lo, v0, s0
	v_cndmask_b32_e64 v2, v2, 0, s2
	v_add_co_ci_u32_e64 v1, null, s1, v1, vcc_lo
	global_store_dword v[0:1], v2, off
	s_endpgm
	.section	.rodata,"a",@progbits
	.p2align	6, 0x0
	.amdhsa_kernel _ZN12_GLOBAL__N_121softmax_warp_backwardIfffLi7ELb0ELb1ELi64EEEvPT0_PKT_S5_iiiPKb
		.amdhsa_group_segment_fixed_size 0
		.amdhsa_private_segment_fixed_size 0
		.amdhsa_kernarg_size 304
		.amdhsa_user_sgpr_count 6
		.amdhsa_user_sgpr_private_segment_buffer 1
		.amdhsa_user_sgpr_dispatch_ptr 0
		.amdhsa_user_sgpr_queue_ptr 0
		.amdhsa_user_sgpr_kernarg_segment_ptr 1
		.amdhsa_user_sgpr_dispatch_id 0
		.amdhsa_user_sgpr_flat_scratch_init 0
		.amdhsa_user_sgpr_private_segment_size 0
		.amdhsa_wavefront_size32 1
		.amdhsa_uses_dynamic_stack 0
		.amdhsa_system_sgpr_private_segment_wavefront_offset 0
		.amdhsa_system_sgpr_workgroup_id_x 1
		.amdhsa_system_sgpr_workgroup_id_y 0
		.amdhsa_system_sgpr_workgroup_id_z 0
		.amdhsa_system_sgpr_workgroup_info 0
		.amdhsa_system_vgpr_workitem_id 1
		.amdhsa_next_free_vgpr 19
		.amdhsa_next_free_sgpr 16
		.amdhsa_reserve_vcc 1
		.amdhsa_reserve_flat_scratch 0
		.amdhsa_float_round_mode_32 0
		.amdhsa_float_round_mode_16_64 0
		.amdhsa_float_denorm_mode_32 3
		.amdhsa_float_denorm_mode_16_64 3
		.amdhsa_dx10_clamp 1
		.amdhsa_ieee_mode 1
		.amdhsa_fp16_overflow 0
		.amdhsa_workgroup_processor_mode 1
		.amdhsa_memory_ordered 1
		.amdhsa_forward_progress 1
		.amdhsa_shared_vgpr_count 0
		.amdhsa_exception_fp_ieee_invalid_op 0
		.amdhsa_exception_fp_denorm_src 0
		.amdhsa_exception_fp_ieee_div_zero 0
		.amdhsa_exception_fp_ieee_overflow 0
		.amdhsa_exception_fp_ieee_underflow 0
		.amdhsa_exception_fp_ieee_inexact 0
		.amdhsa_exception_int_div_zero 0
	.end_amdhsa_kernel
	.section	.text._ZN12_GLOBAL__N_121softmax_warp_backwardIfffLi7ELb0ELb1ELi64EEEvPT0_PKT_S5_iiiPKb,"axG",@progbits,_ZN12_GLOBAL__N_121softmax_warp_backwardIfffLi7ELb0ELb1ELi64EEEvPT0_PKT_S5_iiiPKb,comdat
.Lfunc_end804:
	.size	_ZN12_GLOBAL__N_121softmax_warp_backwardIfffLi7ELb0ELb1ELi64EEEvPT0_PKT_S5_iiiPKb, .Lfunc_end804-_ZN12_GLOBAL__N_121softmax_warp_backwardIfffLi7ELb0ELb1ELi64EEEvPT0_PKT_S5_iiiPKb
                                        ; -- End function
	.set _ZN12_GLOBAL__N_121softmax_warp_backwardIfffLi7ELb0ELb1ELi64EEEvPT0_PKT_S5_iiiPKb.num_vgpr, 19
	.set _ZN12_GLOBAL__N_121softmax_warp_backwardIfffLi7ELb0ELb1ELi64EEEvPT0_PKT_S5_iiiPKb.num_agpr, 0
	.set _ZN12_GLOBAL__N_121softmax_warp_backwardIfffLi7ELb0ELb1ELi64EEEvPT0_PKT_S5_iiiPKb.numbered_sgpr, 16
	.set _ZN12_GLOBAL__N_121softmax_warp_backwardIfffLi7ELb0ELb1ELi64EEEvPT0_PKT_S5_iiiPKb.num_named_barrier, 0
	.set _ZN12_GLOBAL__N_121softmax_warp_backwardIfffLi7ELb0ELb1ELi64EEEvPT0_PKT_S5_iiiPKb.private_seg_size, 0
	.set _ZN12_GLOBAL__N_121softmax_warp_backwardIfffLi7ELb0ELb1ELi64EEEvPT0_PKT_S5_iiiPKb.uses_vcc, 1
	.set _ZN12_GLOBAL__N_121softmax_warp_backwardIfffLi7ELb0ELb1ELi64EEEvPT0_PKT_S5_iiiPKb.uses_flat_scratch, 0
	.set _ZN12_GLOBAL__N_121softmax_warp_backwardIfffLi7ELb0ELb1ELi64EEEvPT0_PKT_S5_iiiPKb.has_dyn_sized_stack, 0
	.set _ZN12_GLOBAL__N_121softmax_warp_backwardIfffLi7ELb0ELb1ELi64EEEvPT0_PKT_S5_iiiPKb.has_recursion, 0
	.set _ZN12_GLOBAL__N_121softmax_warp_backwardIfffLi7ELb0ELb1ELi64EEEvPT0_PKT_S5_iiiPKb.has_indirect_call, 0
	.section	.AMDGPU.csdata,"",@progbits
; Kernel info:
; codeLenInByte = 1216
; TotalNumSgprs: 18
; NumVgprs: 19
; ScratchSize: 0
; MemoryBound: 0
; FloatMode: 240
; IeeeMode: 1
; LDSByteSize: 0 bytes/workgroup (compile time only)
; SGPRBlocks: 0
; VGPRBlocks: 2
; NumSGPRsForWavesPerEU: 18
; NumVGPRsForWavesPerEU: 19
; Occupancy: 16
; WaveLimiterHint : 0
; COMPUTE_PGM_RSRC2:SCRATCH_EN: 0
; COMPUTE_PGM_RSRC2:USER_SGPR: 6
; COMPUTE_PGM_RSRC2:TRAP_HANDLER: 0
; COMPUTE_PGM_RSRC2:TGID_X_EN: 1
; COMPUTE_PGM_RSRC2:TGID_Y_EN: 0
; COMPUTE_PGM_RSRC2:TGID_Z_EN: 0
; COMPUTE_PGM_RSRC2:TIDIG_COMP_CNT: 1
	.section	.text._ZN12_GLOBAL__N_121softmax_warp_backwardIfffLi7ELb0ELb1ELi32EEEvPT0_PKT_S5_iiiPKb,"axG",@progbits,_ZN12_GLOBAL__N_121softmax_warp_backwardIfffLi7ELb0ELb1ELi32EEEvPT0_PKT_S5_iiiPKb,comdat
	.globl	_ZN12_GLOBAL__N_121softmax_warp_backwardIfffLi7ELb0ELb1ELi32EEEvPT0_PKT_S5_iiiPKb ; -- Begin function _ZN12_GLOBAL__N_121softmax_warp_backwardIfffLi7ELb0ELb1ELi32EEEvPT0_PKT_S5_iiiPKb
	.p2align	8
	.type	_ZN12_GLOBAL__N_121softmax_warp_backwardIfffLi7ELb0ELb1ELi32EEEvPT0_PKT_S5_iiiPKb,@function
_ZN12_GLOBAL__N_121softmax_warp_backwardIfffLi7ELb0ELb1ELi32EEEvPT0_PKT_S5_iiiPKb: ; @_ZN12_GLOBAL__N_121softmax_warp_backwardIfffLi7ELb0ELb1ELi32EEEvPT0_PKT_S5_iiiPKb
; %bb.0:
	s_clause 0x1
	s_load_dword s0, s[4:5], 0x3c
	s_load_dwordx4 s[12:15], s[4:5], 0x18
	v_and_b32_e32 v8, 31, v0
	s_load_dwordx4 s[16:19], s[4:5], 0x0
	v_mov_b32_e32 v10, 0
	v_mov_b32_e32 v11, 0
	;; [unrolled: 1-line block ×3, first 2 shown]
	s_waitcnt lgkmcnt(0)
	s_lshr_b32 s0, s0, 16
	v_cmp_gt_i32_e32 vcc_lo, s14, v8
	s_and_b32 s0, s0, 0xffff
	s_mul_i32 s6, s6, s0
	v_add_lshl_u32 v0, s6, v1, 1
	s_load_dwordx2 s[6:7], s[4:5], 0x10
	v_mad_u64_u32 v[2:3], null, v0, s13, v[8:9]
	v_sub_nc_u32_e32 v9, s12, v0
	v_cmp_lt_i32_e64 s3, 0, v9
	v_ashrrev_i32_e32 v3, 31, v2
	s_and_b32 s1, s3, vcc_lo
	v_lshlrev_b64 v[0:1], 2, v[2:3]
	v_add_co_u32 v6, s0, s18, v0
	v_add_co_ci_u32_e64 v7, null, s19, v1, s0
	s_waitcnt lgkmcnt(0)
	v_add_co_u32 v4, s0, s6, v0
	v_add_co_ci_u32_e64 v5, null, s7, v1, s0
	s_and_saveexec_b32 s0, s1
	s_cbranch_execz .LBB805_2
; %bb.1:
	global_load_dword v11, v[6:7], off
	global_load_dword v12, v[4:5], off
.LBB805_2:
	s_or_b32 exec_lo, exec_lo, s0
	v_or_b32_e32 v13, 32, v8
	v_mov_b32_e32 v14, 0
	v_cmp_gt_i32_e64 s0, s14, v13
	s_and_b32 s2, s3, s0
	s_and_saveexec_b32 s1, s2
	s_cbranch_execz .LBB805_4
; %bb.3:
	global_load_dword v10, v[6:7], off offset:128
	global_load_dword v14, v[4:5], off offset:128
.LBB805_4:
	s_or_b32 exec_lo, exec_lo, s1
	v_or_b32_e32 v13, 64, v8
	v_mov_b32_e32 v15, 0
	v_mov_b32_e32 v16, 0
	v_cmp_gt_i32_e64 s1, s14, v13
	v_mov_b32_e32 v13, 0
	s_and_b32 s6, s3, s1
	s_and_saveexec_b32 s2, s6
	s_cbranch_execz .LBB805_6
; %bb.5:
	global_load_dword v15, v[6:7], off offset:256
	global_load_dword v16, v[4:5], off offset:256
.LBB805_6:
	s_or_b32 exec_lo, exec_lo, s2
	v_or_b32_e32 v8, 0x60, v8
	v_mov_b32_e32 v17, 0
	v_cmp_gt_i32_e64 s2, s14, v8
	s_and_b32 s7, s3, s2
	s_and_saveexec_b32 s6, s7
	s_cbranch_execz .LBB805_8
; %bb.7:
	global_load_dword v13, v[6:7], off offset:384
	global_load_dword v17, v[4:5], off offset:384
.LBB805_8:
	s_or_b32 exec_lo, exec_lo, s6
	v_cmp_lt_i32_e64 s6, 1, v9
	v_mov_b32_e32 v8, 0
	v_mov_b32_e32 v18, 0
	;; [unrolled: 1-line block ×3, first 2 shown]
	s_and_b32 s7, s6, vcc_lo
	s_and_saveexec_b32 s8, s7
	s_cbranch_execz .LBB805_10
; %bb.9:
	s_mov_b32 s15, 0
	s_lshl_b64 s[10:11], s[14:15], 2
	v_add_co_u32 v18, s7, v6, s10
	v_add_co_ci_u32_e64 v19, null, s11, v7, s7
	v_add_co_u32 v20, s7, v4, s10
	v_add_co_ci_u32_e64 v21, null, s11, v5, s7
	global_load_dword v18, v[18:19], off
	global_load_dword v19, v[20:21], off
.LBB805_10:
	s_or_b32 exec_lo, exec_lo, s8
	v_mov_b32_e32 v21, 0
	s_and_b32 s7, s6, s0
	s_and_saveexec_b32 s8, s7
	s_cbranch_execz .LBB805_12
; %bb.11:
	s_mov_b32 s15, 0
	s_lshl_b64 s[10:11], s[14:15], 2
	v_add_co_u32 v20, s7, v6, s10
	v_add_co_ci_u32_e64 v21, null, s11, v7, s7
	v_add_co_u32 v22, s7, v4, s10
	v_add_co_ci_u32_e64 v23, null, s11, v5, s7
	global_load_dword v8, v[20:21], off offset:128
	global_load_dword v21, v[22:23], off offset:128
.LBB805_12:
	s_or_b32 exec_lo, exec_lo, s8
	v_mov_b32_e32 v20, 0
	v_mov_b32_e32 v22, 0
	;; [unrolled: 1-line block ×3, first 2 shown]
	s_and_b32 s7, s6, s1
	s_and_saveexec_b32 s8, s7
	s_cbranch_execz .LBB805_14
; %bb.13:
	s_mov_b32 s15, 0
	s_lshl_b64 s[10:11], s[14:15], 2
	v_add_co_u32 v22, s7, v6, s10
	v_add_co_ci_u32_e64 v23, null, s11, v7, s7
	v_add_co_u32 v24, s7, v4, s10
	v_add_co_ci_u32_e64 v25, null, s11, v5, s7
	global_load_dword v22, v[22:23], off offset:256
	global_load_dword v23, v[24:25], off offset:256
.LBB805_14:
	s_or_b32 exec_lo, exec_lo, s8
	v_mov_b32_e32 v24, 0
	s_and_b32 s6, s6, s2
	s_and_saveexec_b32 s7, s6
	s_cbranch_execz .LBB805_16
; %bb.15:
	s_mov_b32 s15, 0
	s_lshl_b64 s[8:9], s[14:15], 2
	v_add_co_u32 v6, s6, v6, s8
	v_add_co_ci_u32_e64 v7, null, s9, v7, s6
	v_add_co_u32 v4, s6, v4, s8
	v_add_co_ci_u32_e64 v5, null, s9, v5, s6
	global_load_dword v20, v[6:7], off offset:384
	global_load_dword v24, v[4:5], off offset:384
.LBB805_16:
	s_or_b32 exec_lo, exec_lo, s7
	s_load_dwordx2 s[4:5], s[4:5], 0x28
	s_ashr_i32 s15, s14, 31
	s_waitcnt lgkmcnt(0)
	v_add_co_u32 v2, s4, s4, v2
	v_add_co_ci_u32_e64 v3, null, s5, v3, s4
	v_add_co_u32 v4, s4, v2, s14
	v_add_co_ci_u32_e64 v5, null, s15, v3, s4
	s_clause 0x7
	global_load_ubyte v6, v[2:3], off
	global_load_ubyte v7, v[4:5], off
	global_load_ubyte v25, v[2:3], off offset:32
	global_load_ubyte v26, v[4:5], off offset:32
	;; [unrolled: 1-line block ×6, first 2 shown]
	s_waitcnt vmcnt(9)
	v_add_f32_e32 v5, 0, v11
	s_waitcnt vmcnt(7)
	v_and_b32_e32 v4, 1, v6
	s_waitcnt vmcnt(6)
	v_and_b32_e32 v6, 1, v7
	v_add_f32_e32 v7, 0, v18
	v_cmp_eq_u32_e64 s11, 1, v4
	v_cmp_eq_u32_e64 s7, 1, v6
	s_waitcnt vmcnt(5)
	v_and_b32_e32 v6, 1, v25
	s_waitcnt vmcnt(4)
	v_and_b32_e32 v25, 1, v26
	s_waitcnt vmcnt(1)
	v_and_b32_e32 v2, 1, v2
	v_cndmask_b32_e64 v4, v5, 0, s11
	v_cndmask_b32_e64 v5, v7, 0, s7
	v_cmp_eq_u32_e64 s8, 1, v6
	v_cmp_eq_u32_e64 s6, 1, v25
	v_mbcnt_lo_u32_b32 v6, -1, 0
	v_add_f32_e32 v7, v4, v10
	v_add_f32_e32 v26, v5, v8
	s_waitcnt vmcnt(0)
	v_and_b32_e32 v3, 1, v3
	v_cmp_eq_u32_e64 s10, 1, v2
	v_cndmask_b32_e64 v4, v7, v4, s8
	v_cndmask_b32_e64 v5, v26, v5, s6
	v_and_b32_e32 v7, 1, v27
	v_and_b32_e32 v27, 1, v28
	v_xor_b32_e32 v26, 16, v6
	v_add_f32_e32 v25, v4, v15
	v_add_f32_e32 v28, v5, v22
	v_cmp_eq_u32_e64 s9, 1, v7
	v_cmp_eq_u32_e64 s5, 1, v27
	v_cmp_gt_i32_e64 s4, 32, v26
	v_cndmask_b32_e64 v4, v25, v4, s9
	v_cndmask_b32_e64 v5, v28, v5, s5
	;; [unrolled: 1-line block ×3, first 2 shown]
	v_cmp_eq_u32_e64 s4, 1, v3
	v_add_f32_e32 v25, v4, v13
	v_add_f32_e32 v26, v5, v20
	v_lshlrev_b32_e32 v7, 2, v7
	v_cndmask_b32_e64 v2, v25, v4, s10
	v_cndmask_b32_e64 v3, v26, v5, s4
	ds_bpermute_b32 v4, v7, v2
	ds_bpermute_b32 v5, v7, v3
	v_xor_b32_e32 v7, 8, v6
	v_cmp_gt_i32_e64 s12, 32, v7
	v_cndmask_b32_e64 v7, v6, v7, s12
	s_waitcnt lgkmcnt(1)
	v_add_f32_e32 v2, v2, v4
	v_lshlrev_b32_e32 v4, 2, v7
	s_waitcnt lgkmcnt(0)
	v_add_f32_e32 v3, v3, v5
	v_xor_b32_e32 v7, 4, v6
	ds_bpermute_b32 v5, v4, v2
	ds_bpermute_b32 v4, v4, v3
	v_cmp_gt_i32_e64 s12, 32, v7
	v_cndmask_b32_e64 v7, v6, v7, s12
	s_waitcnt lgkmcnt(1)
	v_add_f32_e32 v2, v2, v5
	v_lshlrev_b32_e32 v5, 2, v7
	s_waitcnt lgkmcnt(0)
	v_add_f32_e32 v3, v3, v4
	v_xor_b32_e32 v7, 2, v6
	ds_bpermute_b32 v4, v5, v2
	ds_bpermute_b32 v5, v5, v3
	v_cmp_gt_i32_e64 s12, 32, v7
	v_cndmask_b32_e64 v7, v6, v7, s12
	s_waitcnt lgkmcnt(1)
	v_add_f32_e32 v2, v2, v4
	v_lshlrev_b32_e32 v4, 2, v7
	s_waitcnt lgkmcnt(0)
	v_add_f32_e32 v3, v3, v5
	ds_bpermute_b32 v5, v4, v2
	ds_bpermute_b32 v7, v4, v3
	v_xor_b32_e32 v4, 1, v6
	v_cmp_gt_i32_e64 s12, 32, v4
	v_cndmask_b32_e64 v6, v6, v4, s12
	v_lshlrev_b32_e32 v6, 2, v6
	s_waitcnt lgkmcnt(1)
	v_add_f32_e32 v4, v2, v5
	s_waitcnt lgkmcnt(0)
	v_add_f32_e32 v2, v3, v7
	ds_bpermute_b32 v5, v6, v4
	ds_bpermute_b32 v3, v6, v2
	s_and_saveexec_b32 s12, s3
	s_cbranch_execz .LBB805_22
; %bb.17:
	v_add_co_u32 v0, s3, s16, v0
	s_waitcnt lgkmcnt(1)
	v_add_f32_e32 v4, v4, v5
	v_add_co_ci_u32_e64 v1, null, s17, v1, s3
	s_and_saveexec_b32 s3, vcc_lo
	s_cbranch_execnz .LBB805_23
; %bb.18:
	s_or_b32 exec_lo, exec_lo, s3
	s_and_saveexec_b32 s3, s0
	s_cbranch_execnz .LBB805_24
.LBB805_19:
	s_or_b32 exec_lo, exec_lo, s3
	s_and_saveexec_b32 s3, s1
	s_cbranch_execnz .LBB805_25
.LBB805_20:
	s_or_b32 exec_lo, exec_lo, s3
	s_and_saveexec_b32 s3, s2
	s_cbranch_execnz .LBB805_26
.LBB805_21:
	s_or_b32 exec_lo, exec_lo, s3
	v_cmp_ne_u32_e64 s3, 1, v9
	s_and_b32 exec_lo, exec_lo, s3
	s_cbranch_execnz .LBB805_27
.LBB805_22:
	s_endpgm
.LBB805_23:
	v_fma_f32 v5, -v4, v12, v11
	v_cndmask_b32_e64 v5, v5, 0, s11
	global_store_dword v[0:1], v5, off
	s_or_b32 exec_lo, exec_lo, s3
	s_and_saveexec_b32 s3, s0
	s_cbranch_execz .LBB805_19
.LBB805_24:
	v_fma_f32 v5, -v4, v14, v10
	v_cndmask_b32_e64 v5, v5, 0, s8
	global_store_dword v[0:1], v5, off offset:128
	s_or_b32 exec_lo, exec_lo, s3
	s_and_saveexec_b32 s3, s1
	s_cbranch_execz .LBB805_20
.LBB805_25:
	v_fma_f32 v5, -v4, v16, v15
	v_cndmask_b32_e64 v5, v5, 0, s9
	global_store_dword v[0:1], v5, off offset:256
	s_or_b32 exec_lo, exec_lo, s3
	s_and_saveexec_b32 s3, s2
	s_cbranch_execz .LBB805_21
.LBB805_26:
	v_fma_f32 v4, -v4, v17, v13
	v_cndmask_b32_e64 v4, v4, 0, s10
	global_store_dword v[0:1], v4, off offset:384
	s_or_b32 exec_lo, exec_lo, s3
	v_cmp_ne_u32_e64 s3, 1, v9
	s_and_b32 exec_lo, exec_lo, s3
	s_cbranch_execz .LBB805_22
.LBB805_27:
	s_waitcnt lgkmcnt(0)
	v_add_f32_e32 v2, v2, v3
	s_and_saveexec_b32 s3, vcc_lo
	s_cbranch_execnz .LBB805_31
; %bb.28:
	s_or_b32 exec_lo, exec_lo, s3
	s_and_saveexec_b32 s3, s0
	s_cbranch_execnz .LBB805_32
.LBB805_29:
	s_or_b32 exec_lo, exec_lo, s3
	s_and_saveexec_b32 s0, s1
	s_cbranch_execnz .LBB805_33
.LBB805_30:
	s_or_b32 exec_lo, exec_lo, s0
	s_and_b32 exec_lo, exec_lo, s2
	s_cbranch_execz .LBB805_22
	s_branch .LBB805_34
.LBB805_31:
	v_fma_f32 v3, -v2, v19, v18
	s_lshl_b64 s[8:9], s[14:15], 2
	v_cndmask_b32_e64 v5, v3, 0, s7
	v_add_co_u32 v3, vcc_lo, v0, s8
	v_add_co_ci_u32_e64 v4, null, s9, v1, vcc_lo
	global_store_dword v[3:4], v5, off
	s_or_b32 exec_lo, exec_lo, s3
	s_and_saveexec_b32 s3, s0
	s_cbranch_execz .LBB805_29
.LBB805_32:
	v_fma_f32 v3, -v2, v21, v8
	s_lshl_b64 s[8:9], s[14:15], 2
	v_cndmask_b32_e64 v5, v3, 0, s6
	v_add_co_u32 v3, vcc_lo, v0, s8
	v_add_co_ci_u32_e64 v4, null, s9, v1, vcc_lo
	global_store_dword v[3:4], v5, off offset:128
	s_or_b32 exec_lo, exec_lo, s3
	s_and_saveexec_b32 s0, s1
	s_cbranch_execz .LBB805_30
.LBB805_33:
	v_fma_f32 v3, -v2, v23, v22
	s_lshl_b64 s[6:7], s[14:15], 2
	v_cndmask_b32_e64 v5, v3, 0, s5
	v_add_co_u32 v3, vcc_lo, v0, s6
	v_add_co_ci_u32_e64 v4, null, s7, v1, vcc_lo
	global_store_dword v[3:4], v5, off offset:256
	s_or_b32 exec_lo, exec_lo, s0
	s_and_b32 exec_lo, exec_lo, s2
	s_cbranch_execz .LBB805_22
.LBB805_34:
	v_fma_f32 v2, -v2, v24, v20
	s_lshl_b64 s[0:1], s[14:15], 2
	v_add_co_u32 v0, vcc_lo, v0, s0
	v_cndmask_b32_e64 v2, v2, 0, s4
	v_add_co_ci_u32_e64 v1, null, s1, v1, vcc_lo
	global_store_dword v[0:1], v2, off offset:384
	s_endpgm
	.section	.rodata,"a",@progbits
	.p2align	6, 0x0
	.amdhsa_kernel _ZN12_GLOBAL__N_121softmax_warp_backwardIfffLi7ELb0ELb1ELi32EEEvPT0_PKT_S5_iiiPKb
		.amdhsa_group_segment_fixed_size 0
		.amdhsa_private_segment_fixed_size 0
		.amdhsa_kernarg_size 304
		.amdhsa_user_sgpr_count 6
		.amdhsa_user_sgpr_private_segment_buffer 1
		.amdhsa_user_sgpr_dispatch_ptr 0
		.amdhsa_user_sgpr_queue_ptr 0
		.amdhsa_user_sgpr_kernarg_segment_ptr 1
		.amdhsa_user_sgpr_dispatch_id 0
		.amdhsa_user_sgpr_flat_scratch_init 0
		.amdhsa_user_sgpr_private_segment_size 0
		.amdhsa_wavefront_size32 1
		.amdhsa_uses_dynamic_stack 0
		.amdhsa_system_sgpr_private_segment_wavefront_offset 0
		.amdhsa_system_sgpr_workgroup_id_x 1
		.amdhsa_system_sgpr_workgroup_id_y 0
		.amdhsa_system_sgpr_workgroup_id_z 0
		.amdhsa_system_sgpr_workgroup_info 0
		.amdhsa_system_vgpr_workitem_id 1
		.amdhsa_next_free_vgpr 29
		.amdhsa_next_free_sgpr 20
		.amdhsa_reserve_vcc 1
		.amdhsa_reserve_flat_scratch 0
		.amdhsa_float_round_mode_32 0
		.amdhsa_float_round_mode_16_64 0
		.amdhsa_float_denorm_mode_32 3
		.amdhsa_float_denorm_mode_16_64 3
		.amdhsa_dx10_clamp 1
		.amdhsa_ieee_mode 1
		.amdhsa_fp16_overflow 0
		.amdhsa_workgroup_processor_mode 1
		.amdhsa_memory_ordered 1
		.amdhsa_forward_progress 1
		.amdhsa_shared_vgpr_count 0
		.amdhsa_exception_fp_ieee_invalid_op 0
		.amdhsa_exception_fp_denorm_src 0
		.amdhsa_exception_fp_ieee_div_zero 0
		.amdhsa_exception_fp_ieee_overflow 0
		.amdhsa_exception_fp_ieee_underflow 0
		.amdhsa_exception_fp_ieee_inexact 0
		.amdhsa_exception_int_div_zero 0
	.end_amdhsa_kernel
	.section	.text._ZN12_GLOBAL__N_121softmax_warp_backwardIfffLi7ELb0ELb1ELi32EEEvPT0_PKT_S5_iiiPKb,"axG",@progbits,_ZN12_GLOBAL__N_121softmax_warp_backwardIfffLi7ELb0ELb1ELi32EEEvPT0_PKT_S5_iiiPKb,comdat
.Lfunc_end805:
	.size	_ZN12_GLOBAL__N_121softmax_warp_backwardIfffLi7ELb0ELb1ELi32EEEvPT0_PKT_S5_iiiPKb, .Lfunc_end805-_ZN12_GLOBAL__N_121softmax_warp_backwardIfffLi7ELb0ELb1ELi32EEEvPT0_PKT_S5_iiiPKb
                                        ; -- End function
	.set _ZN12_GLOBAL__N_121softmax_warp_backwardIfffLi7ELb0ELb1ELi32EEEvPT0_PKT_S5_iiiPKb.num_vgpr, 29
	.set _ZN12_GLOBAL__N_121softmax_warp_backwardIfffLi7ELb0ELb1ELi32EEEvPT0_PKT_S5_iiiPKb.num_agpr, 0
	.set _ZN12_GLOBAL__N_121softmax_warp_backwardIfffLi7ELb0ELb1ELi32EEEvPT0_PKT_S5_iiiPKb.numbered_sgpr, 20
	.set _ZN12_GLOBAL__N_121softmax_warp_backwardIfffLi7ELb0ELb1ELi32EEEvPT0_PKT_S5_iiiPKb.num_named_barrier, 0
	.set _ZN12_GLOBAL__N_121softmax_warp_backwardIfffLi7ELb0ELb1ELi32EEEvPT0_PKT_S5_iiiPKb.private_seg_size, 0
	.set _ZN12_GLOBAL__N_121softmax_warp_backwardIfffLi7ELb0ELb1ELi32EEEvPT0_PKT_S5_iiiPKb.uses_vcc, 1
	.set _ZN12_GLOBAL__N_121softmax_warp_backwardIfffLi7ELb0ELb1ELi32EEEvPT0_PKT_S5_iiiPKb.uses_flat_scratch, 0
	.set _ZN12_GLOBAL__N_121softmax_warp_backwardIfffLi7ELb0ELb1ELi32EEEvPT0_PKT_S5_iiiPKb.has_dyn_sized_stack, 0
	.set _ZN12_GLOBAL__N_121softmax_warp_backwardIfffLi7ELb0ELb1ELi32EEEvPT0_PKT_S5_iiiPKb.has_recursion, 0
	.set _ZN12_GLOBAL__N_121softmax_warp_backwardIfffLi7ELb0ELb1ELi32EEEvPT0_PKT_S5_iiiPKb.has_indirect_call, 0
	.section	.AMDGPU.csdata,"",@progbits
; Kernel info:
; codeLenInByte = 1800
; TotalNumSgprs: 22
; NumVgprs: 29
; ScratchSize: 0
; MemoryBound: 0
; FloatMode: 240
; IeeeMode: 1
; LDSByteSize: 0 bytes/workgroup (compile time only)
; SGPRBlocks: 0
; VGPRBlocks: 3
; NumSGPRsForWavesPerEU: 22
; NumVGPRsForWavesPerEU: 29
; Occupancy: 16
; WaveLimiterHint : 0
; COMPUTE_PGM_RSRC2:SCRATCH_EN: 0
; COMPUTE_PGM_RSRC2:USER_SGPR: 6
; COMPUTE_PGM_RSRC2:TRAP_HANDLER: 0
; COMPUTE_PGM_RSRC2:TGID_X_EN: 1
; COMPUTE_PGM_RSRC2:TGID_Y_EN: 0
; COMPUTE_PGM_RSRC2:TGID_Z_EN: 0
; COMPUTE_PGM_RSRC2:TIDIG_COMP_CNT: 1
	.section	.text._ZN12_GLOBAL__N_121softmax_warp_backwardIfffLi8ELb0ELb1ELi64EEEvPT0_PKT_S5_iiiPKb,"axG",@progbits,_ZN12_GLOBAL__N_121softmax_warp_backwardIfffLi8ELb0ELb1ELi64EEEvPT0_PKT_S5_iiiPKb,comdat
	.globl	_ZN12_GLOBAL__N_121softmax_warp_backwardIfffLi8ELb0ELb1ELi64EEEvPT0_PKT_S5_iiiPKb ; -- Begin function _ZN12_GLOBAL__N_121softmax_warp_backwardIfffLi8ELb0ELb1ELi64EEEvPT0_PKT_S5_iiiPKb
	.p2align	8
	.type	_ZN12_GLOBAL__N_121softmax_warp_backwardIfffLi8ELb0ELb1ELi64EEEvPT0_PKT_S5_iiiPKb,@function
_ZN12_GLOBAL__N_121softmax_warp_backwardIfffLi8ELb0ELb1ELi64EEEvPT0_PKT_S5_iiiPKb: ; @_ZN12_GLOBAL__N_121softmax_warp_backwardIfffLi8ELb0ELb1ELi64EEEvPT0_PKT_S5_iiiPKb
; %bb.0:
	s_clause 0x1
	s_load_dword s7, s[4:5], 0x3c
	s_load_dwordx4 s[0:3], s[4:5], 0x18
	v_and_b32_e32 v8, 63, v0
	s_load_dwordx4 s[8:11], s[4:5], 0x0
	v_mov_b32_e32 v11, 0
	s_waitcnt lgkmcnt(0)
	s_lshr_b32 s3, s7, 16
	v_cmp_gt_i32_e32 vcc_lo, s2, v8
	v_mad_u64_u32 v[1:2], null, s6, s3, v[1:2]
	s_load_dwordx2 s[6:7], s[4:5], 0x10
	v_mad_u64_u32 v[2:3], null, v1, s1, v[8:9]
	v_sub_nc_u32_e32 v10, s0, v1
	v_mov_b32_e32 v9, 0
	v_cmp_lt_i32_e64 s3, 0, v10
	v_ashrrev_i32_e32 v3, 31, v2
	s_and_b32 s1, s3, vcc_lo
	v_lshlrev_b64 v[0:1], 2, v[2:3]
	v_add_co_u32 v4, s0, s10, v0
	v_add_co_ci_u32_e64 v5, null, s11, v1, s0
	s_waitcnt lgkmcnt(0)
	v_add_co_u32 v6, s0, s6, v0
	v_add_co_ci_u32_e64 v7, null, s7, v1, s0
	s_and_saveexec_b32 s0, s1
	s_cbranch_execz .LBB806_2
; %bb.1:
	global_load_dword v11, v[4:5], off
	global_load_dword v9, v[6:7], off
.LBB806_2:
	s_or_b32 exec_lo, exec_lo, s0
	v_or_b32_e32 v12, 64, v8
	v_cmp_gt_i32_e64 s0, s2, v12
	s_and_b32 s1, s3, s0
	s_xor_b32 s1, s1, -1
	s_and_saveexec_b32 s6, s1
	s_xor_b32 s1, exec_lo, s6
                                        ; implicit-def: $vgpr13
                                        ; implicit-def: $vgpr14
                                        ; implicit-def: $vgpr12
; %bb.3:
	s_mov_b32 s6, 0
                                        ; implicit-def: $vgpr13
                                        ; implicit-def: $vgpr12
	v_mov_b32_e32 v14, s6
; %bb.4:
	s_or_saveexec_b32 s1, s1
	v_mov_b32_e32 v15, 0
	s_xor_b32 exec_lo, exec_lo, s1
	s_cbranch_execz .LBB806_6
; %bb.5:
	global_load_dword v14, v[4:5], off offset:256
	global_load_dword v15, v[6:7], off offset:256
.LBB806_6:
	s_or_b32 exec_lo, exec_lo, s1
	v_or_b32_e32 v16, 0x80, v8
	v_cmp_gt_i32_e64 s1, s2, v16
	s_and_b32 s6, s3, s1
	s_xor_b32 s6, s6, -1
	s_and_saveexec_b32 s7, s6
	s_xor_b32 s6, exec_lo, s7
; %bb.7:
	s_mov_b32 s7, 0
	v_mov_b32_e32 v13, s7
; %bb.8:
	s_or_saveexec_b32 s6, s6
	v_mov_b32_e32 v16, 0
	s_xor_b32 exec_lo, exec_lo, s6
	s_cbranch_execz .LBB806_10
; %bb.9:
	global_load_dword v13, v[4:5], off offset:512
	global_load_dword v16, v[6:7], off offset:512
.LBB806_10:
	s_or_b32 exec_lo, exec_lo, s6
	v_or_b32_e32 v8, 0xc0, v8
	v_cmp_gt_i32_e64 s2, s2, v8
	s_and_b32 s3, s3, s2
	s_xor_b32 s3, s3, -1
	s_and_saveexec_b32 s6, s3
	s_xor_b32 s3, exec_lo, s6
; %bb.11:
	s_mov_b32 s6, 0
                                        ; implicit-def: $vgpr4_vgpr5
                                        ; implicit-def: $vgpr6_vgpr7
	v_mov_b32_e32 v12, s6
; %bb.12:
	s_or_saveexec_b32 s3, s3
	v_mov_b32_e32 v8, 0
	s_xor_b32 exec_lo, exec_lo, s3
	s_cbranch_execz .LBB806_14
; %bb.13:
	global_load_dword v12, v[4:5], off offset:768
	global_load_dword v8, v[6:7], off offset:768
.LBB806_14:
	s_or_b32 exec_lo, exec_lo, s3
	s_load_dwordx2 s[4:5], s[4:5], 0x28
	s_mov_b32 s10, exec_lo
	s_waitcnt lgkmcnt(0)
	v_add_co_u32 v2, s3, s4, v2
	v_add_co_ci_u32_e64 v3, null, s5, v3, s3
	s_clause 0x3
	global_load_ubyte v4, v[2:3], off
	global_load_ubyte v5, v[2:3], off offset:64
	global_load_ubyte v6, v[2:3], off offset:128
	;; [unrolled: 1-line block ×3, first 2 shown]
	s_waitcnt vmcnt(3)
	v_and_b32_e32 v3, 1, v4
	v_add_f32_e32 v4, 0, v11
	s_waitcnt vmcnt(0)
	v_and_b32_e32 v2, 1, v2
	v_cmp_eq_u32_e64 s6, 1, v3
	v_cndmask_b32_e64 v3, v4, 0, s6
	v_and_b32_e32 v4, 1, v5
	v_add_f32_e32 v5, v3, v14
	v_cmp_eq_u32_e64 s5, 1, v4
	v_mbcnt_lo_u32_b32 v4, -1, 0
	v_cndmask_b32_e64 v3, v5, v3, s5
	v_and_b32_e32 v5, 1, v6
	v_or_b32_e32 v7, 32, v4
	v_add_f32_e32 v6, v3, v13
	v_cmp_eq_u32_e64 s4, 1, v5
	v_cmp_gt_i32_e64 s3, 64, v7
	v_cndmask_b32_e64 v3, v6, v3, s4
	v_cndmask_b32_e64 v5, v4, v7, s3
	v_cmp_eq_u32_e64 s3, 1, v2
	v_add_f32_e32 v6, v3, v12
	v_lshlrev_b32_e32 v5, 2, v5
	v_cndmask_b32_e64 v2, v6, v3, s3
	ds_bpermute_b32 v3, v5, v2
	v_xor_b32_e32 v5, 16, v4
	v_cmp_gt_i32_e64 s7, 64, v5
	v_cndmask_b32_e64 v5, v4, v5, s7
	v_lshlrev_b32_e32 v5, 2, v5
	s_waitcnt lgkmcnt(0)
	v_add_f32_e32 v2, v2, v3
	ds_bpermute_b32 v3, v5, v2
	v_xor_b32_e32 v5, 8, v4
	v_cmp_gt_i32_e64 s7, 64, v5
	v_cndmask_b32_e64 v5, v4, v5, s7
	v_lshlrev_b32_e32 v5, 2, v5
	s_waitcnt lgkmcnt(0)
	v_add_f32_e32 v2, v2, v3
	;; [unrolled: 7-line block ×4, first 2 shown]
	ds_bpermute_b32 v3, v5, v2
	v_xor_b32_e32 v5, 1, v4
	v_cmp_gt_i32_e64 s7, 64, v5
	v_cndmask_b32_e64 v4, v4, v5, s7
	s_waitcnt lgkmcnt(0)
	v_add_f32_e32 v2, v2, v3
	v_lshlrev_b32_e32 v3, 2, v4
	ds_bpermute_b32 v3, v3, v2
	v_cmpx_lt_i32_e32 0, v10
	s_cbranch_execz .LBB806_20
; %bb.15:
	v_add_co_u32 v0, s7, s8, v0
	s_waitcnt lgkmcnt(0)
	v_add_f32_e32 v2, v2, v3
	v_add_co_ci_u32_e64 v1, null, s9, v1, s7
	s_and_saveexec_b32 s7, vcc_lo
	s_cbranch_execnz .LBB806_21
; %bb.16:
	s_or_b32 exec_lo, exec_lo, s7
	s_and_saveexec_b32 s6, s0
	s_cbranch_execnz .LBB806_22
.LBB806_17:
	s_or_b32 exec_lo, exec_lo, s6
	s_and_saveexec_b32 s0, s1
	s_cbranch_execnz .LBB806_23
.LBB806_18:
	s_or_b32 exec_lo, exec_lo, s0
	s_and_b32 exec_lo, exec_lo, s2
	s_cbranch_execz .LBB806_20
.LBB806_19:
	v_fma_f32 v2, -v2, v8, v12
	v_cndmask_b32_e64 v2, v2, 0, s3
	global_store_dword v[0:1], v2, off offset:768
.LBB806_20:
	s_endpgm
.LBB806_21:
	v_fma_f32 v3, -v2, v9, v11
	v_cndmask_b32_e64 v3, v3, 0, s6
	global_store_dword v[0:1], v3, off
	s_or_b32 exec_lo, exec_lo, s7
	s_and_saveexec_b32 s6, s0
	s_cbranch_execz .LBB806_17
.LBB806_22:
	v_fma_f32 v3, -v2, v15, v14
	v_cndmask_b32_e64 v3, v3, 0, s5
	global_store_dword v[0:1], v3, off offset:256
	s_or_b32 exec_lo, exec_lo, s6
	s_and_saveexec_b32 s0, s1
	s_cbranch_execz .LBB806_18
.LBB806_23:
	v_fma_f32 v3, -v2, v16, v13
	v_cndmask_b32_e64 v3, v3, 0, s4
	global_store_dword v[0:1], v3, off offset:512
	s_or_b32 exec_lo, exec_lo, s0
	s_and_b32 exec_lo, exec_lo, s2
	s_cbranch_execnz .LBB806_19
	s_branch .LBB806_20
	.section	.rodata,"a",@progbits
	.p2align	6, 0x0
	.amdhsa_kernel _ZN12_GLOBAL__N_121softmax_warp_backwardIfffLi8ELb0ELb1ELi64EEEvPT0_PKT_S5_iiiPKb
		.amdhsa_group_segment_fixed_size 0
		.amdhsa_private_segment_fixed_size 0
		.amdhsa_kernarg_size 304
		.amdhsa_user_sgpr_count 6
		.amdhsa_user_sgpr_private_segment_buffer 1
		.amdhsa_user_sgpr_dispatch_ptr 0
		.amdhsa_user_sgpr_queue_ptr 0
		.amdhsa_user_sgpr_kernarg_segment_ptr 1
		.amdhsa_user_sgpr_dispatch_id 0
		.amdhsa_user_sgpr_flat_scratch_init 0
		.amdhsa_user_sgpr_private_segment_size 0
		.amdhsa_wavefront_size32 1
		.amdhsa_uses_dynamic_stack 0
		.amdhsa_system_sgpr_private_segment_wavefront_offset 0
		.amdhsa_system_sgpr_workgroup_id_x 1
		.amdhsa_system_sgpr_workgroup_id_y 0
		.amdhsa_system_sgpr_workgroup_id_z 0
		.amdhsa_system_sgpr_workgroup_info 0
		.amdhsa_system_vgpr_workitem_id 1
		.amdhsa_next_free_vgpr 17
		.amdhsa_next_free_sgpr 12
		.amdhsa_reserve_vcc 1
		.amdhsa_reserve_flat_scratch 0
		.amdhsa_float_round_mode_32 0
		.amdhsa_float_round_mode_16_64 0
		.amdhsa_float_denorm_mode_32 3
		.amdhsa_float_denorm_mode_16_64 3
		.amdhsa_dx10_clamp 1
		.amdhsa_ieee_mode 1
		.amdhsa_fp16_overflow 0
		.amdhsa_workgroup_processor_mode 1
		.amdhsa_memory_ordered 1
		.amdhsa_forward_progress 1
		.amdhsa_shared_vgpr_count 0
		.amdhsa_exception_fp_ieee_invalid_op 0
		.amdhsa_exception_fp_denorm_src 0
		.amdhsa_exception_fp_ieee_div_zero 0
		.amdhsa_exception_fp_ieee_overflow 0
		.amdhsa_exception_fp_ieee_underflow 0
		.amdhsa_exception_fp_ieee_inexact 0
		.amdhsa_exception_int_div_zero 0
	.end_amdhsa_kernel
	.section	.text._ZN12_GLOBAL__N_121softmax_warp_backwardIfffLi8ELb0ELb1ELi64EEEvPT0_PKT_S5_iiiPKb,"axG",@progbits,_ZN12_GLOBAL__N_121softmax_warp_backwardIfffLi8ELb0ELb1ELi64EEEvPT0_PKT_S5_iiiPKb,comdat
.Lfunc_end806:
	.size	_ZN12_GLOBAL__N_121softmax_warp_backwardIfffLi8ELb0ELb1ELi64EEEvPT0_PKT_S5_iiiPKb, .Lfunc_end806-_ZN12_GLOBAL__N_121softmax_warp_backwardIfffLi8ELb0ELb1ELi64EEEvPT0_PKT_S5_iiiPKb
                                        ; -- End function
	.set _ZN12_GLOBAL__N_121softmax_warp_backwardIfffLi8ELb0ELb1ELi64EEEvPT0_PKT_S5_iiiPKb.num_vgpr, 17
	.set _ZN12_GLOBAL__N_121softmax_warp_backwardIfffLi8ELb0ELb1ELi64EEEvPT0_PKT_S5_iiiPKb.num_agpr, 0
	.set _ZN12_GLOBAL__N_121softmax_warp_backwardIfffLi8ELb0ELb1ELi64EEEvPT0_PKT_S5_iiiPKb.numbered_sgpr, 12
	.set _ZN12_GLOBAL__N_121softmax_warp_backwardIfffLi8ELb0ELb1ELi64EEEvPT0_PKT_S5_iiiPKb.num_named_barrier, 0
	.set _ZN12_GLOBAL__N_121softmax_warp_backwardIfffLi8ELb0ELb1ELi64EEEvPT0_PKT_S5_iiiPKb.private_seg_size, 0
	.set _ZN12_GLOBAL__N_121softmax_warp_backwardIfffLi8ELb0ELb1ELi64EEEvPT0_PKT_S5_iiiPKb.uses_vcc, 1
	.set _ZN12_GLOBAL__N_121softmax_warp_backwardIfffLi8ELb0ELb1ELi64EEEvPT0_PKT_S5_iiiPKb.uses_flat_scratch, 0
	.set _ZN12_GLOBAL__N_121softmax_warp_backwardIfffLi8ELb0ELb1ELi64EEEvPT0_PKT_S5_iiiPKb.has_dyn_sized_stack, 0
	.set _ZN12_GLOBAL__N_121softmax_warp_backwardIfffLi8ELb0ELb1ELi64EEEvPT0_PKT_S5_iiiPKb.has_recursion, 0
	.set _ZN12_GLOBAL__N_121softmax_warp_backwardIfffLi8ELb0ELb1ELi64EEEvPT0_PKT_S5_iiiPKb.has_indirect_call, 0
	.section	.AMDGPU.csdata,"",@progbits
; Kernel info:
; codeLenInByte = 1020
; TotalNumSgprs: 14
; NumVgprs: 17
; ScratchSize: 0
; MemoryBound: 0
; FloatMode: 240
; IeeeMode: 1
; LDSByteSize: 0 bytes/workgroup (compile time only)
; SGPRBlocks: 0
; VGPRBlocks: 2
; NumSGPRsForWavesPerEU: 14
; NumVGPRsForWavesPerEU: 17
; Occupancy: 16
; WaveLimiterHint : 0
; COMPUTE_PGM_RSRC2:SCRATCH_EN: 0
; COMPUTE_PGM_RSRC2:USER_SGPR: 6
; COMPUTE_PGM_RSRC2:TRAP_HANDLER: 0
; COMPUTE_PGM_RSRC2:TGID_X_EN: 1
; COMPUTE_PGM_RSRC2:TGID_Y_EN: 0
; COMPUTE_PGM_RSRC2:TGID_Z_EN: 0
; COMPUTE_PGM_RSRC2:TIDIG_COMP_CNT: 1
	.section	.text._ZN12_GLOBAL__N_121softmax_warp_backwardIfffLi8ELb0ELb1ELi32EEEvPT0_PKT_S5_iiiPKb,"axG",@progbits,_ZN12_GLOBAL__N_121softmax_warp_backwardIfffLi8ELb0ELb1ELi32EEEvPT0_PKT_S5_iiiPKb,comdat
	.globl	_ZN12_GLOBAL__N_121softmax_warp_backwardIfffLi8ELb0ELb1ELi32EEEvPT0_PKT_S5_iiiPKb ; -- Begin function _ZN12_GLOBAL__N_121softmax_warp_backwardIfffLi8ELb0ELb1ELi32EEEvPT0_PKT_S5_iiiPKb
	.p2align	8
	.type	_ZN12_GLOBAL__N_121softmax_warp_backwardIfffLi8ELb0ELb1ELi32EEEvPT0_PKT_S5_iiiPKb,@function
_ZN12_GLOBAL__N_121softmax_warp_backwardIfffLi8ELb0ELb1ELi32EEEvPT0_PKT_S5_iiiPKb: ; @_ZN12_GLOBAL__N_121softmax_warp_backwardIfffLi8ELb0ELb1ELi32EEEvPT0_PKT_S5_iiiPKb
; %bb.0:
	s_clause 0x1
	s_load_dword s0, s[4:5], 0x3c
	s_load_dwordx4 s[8:11], s[4:5], 0x18
	v_and_b32_e32 v8, 31, v0
	s_clause 0x1
	s_load_dwordx4 s[16:19], s[4:5], 0x0
	s_load_dwordx2 s[2:3], s[4:5], 0x10
	v_mov_b32_e32 v13, 0
	v_mov_b32_e32 v15, 0
	s_waitcnt lgkmcnt(0)
	s_lshr_b32 s0, s0, 16
	v_cmp_gt_i32_e32 vcc_lo, s10, v8
	v_mad_u64_u32 v[1:2], null, s6, s0, v[1:2]
	v_mad_u64_u32 v[2:3], null, v1, s9, v[8:9]
	v_sub_nc_u32_e32 v14, s8, v1
	v_cmp_lt_i32_e64 s7, 0, v14
	v_ashrrev_i32_e32 v3, 31, v2
	s_and_b32 s1, s7, vcc_lo
	v_lshlrev_b64 v[0:1], 2, v[2:3]
	v_add_co_u32 v4, s0, s18, v0
	v_add_co_ci_u32_e64 v5, null, s19, v1, s0
	v_add_co_u32 v6, s0, s2, v0
	v_add_co_ci_u32_e64 v7, null, s3, v1, s0
	s_and_saveexec_b32 s0, s1
	s_cbranch_execz .LBB807_2
; %bb.1:
	global_load_dword v15, v[4:5], off
	global_load_dword v13, v[6:7], off
.LBB807_2:
	s_or_b32 exec_lo, exec_lo, s0
	v_or_b32_e32 v9, 32, v8
	v_cmp_gt_i32_e64 s0, s10, v9
	s_and_b32 s1, s7, s0
	s_xor_b32 s1, s1, -1
	s_and_saveexec_b32 s2, s1
	s_xor_b32 s1, exec_lo, s2
                                        ; implicit-def: $vgpr9
                                        ; implicit-def: $vgpr11
                                        ; implicit-def: $vgpr12
                                        ; implicit-def: $vgpr16
                                        ; implicit-def: $vgpr17
                                        ; implicit-def: $vgpr18
                                        ; implicit-def: $vgpr10
; %bb.3:
	s_mov_b32 s2, 0
                                        ; implicit-def: $vgpr9
                                        ; implicit-def: $vgpr11
                                        ; implicit-def: $vgpr12
                                        ; implicit-def: $vgpr16
                                        ; implicit-def: $vgpr17
                                        ; implicit-def: $vgpr10
	v_mov_b32_e32 v18, s2
; %bb.4:
	s_or_saveexec_b32 s1, s1
	v_mov_b32_e32 v19, 0
	s_xor_b32 exec_lo, exec_lo, s1
	s_cbranch_execz .LBB807_6
; %bb.5:
	global_load_dword v18, v[4:5], off offset:128
	global_load_dword v19, v[6:7], off offset:128
.LBB807_6:
	s_or_b32 exec_lo, exec_lo, s1
	v_or_b32_e32 v20, 64, v8
	v_cmp_gt_i32_e64 s1, s10, v20
	s_and_b32 s2, s7, s1
	s_xor_b32 s2, s2, -1
	s_and_saveexec_b32 s3, s2
	s_xor_b32 s2, exec_lo, s3
; %bb.7:
	s_mov_b32 s3, 0
	v_mov_b32_e32 v17, s3
; %bb.8:
	s_or_saveexec_b32 s2, s2
	v_mov_b32_e32 v20, 0
	s_xor_b32 exec_lo, exec_lo, s2
	s_cbranch_execz .LBB807_10
; %bb.9:
	global_load_dword v17, v[4:5], off offset:256
	global_load_dword v20, v[6:7], off offset:256
.LBB807_10:
	s_or_b32 exec_lo, exec_lo, s2
	v_or_b32_e32 v21, 0x60, v8
	v_cmp_gt_i32_e64 s2, s10, v21
	s_and_b32 s3, s7, s2
	s_xor_b32 s3, s3, -1
	s_and_saveexec_b32 s6, s3
	s_xor_b32 s3, exec_lo, s6
; %bb.11:
	s_mov_b32 s6, 0
	;; [unrolled: 19-line block ×6, first 2 shown]
                                        ; implicit-def: $vgpr4_vgpr5
                                        ; implicit-def: $vgpr6_vgpr7
	v_mov_b32_e32 v10, s10
; %bb.28:
	s_or_saveexec_b32 s7, s7
	v_mov_b32_e32 v8, 0
	s_xor_b32 exec_lo, exec_lo, s7
	s_cbranch_execz .LBB807_30
; %bb.29:
	global_load_dword v10, v[4:5], off offset:896
	global_load_dword v8, v[6:7], off offset:896
.LBB807_30:
	s_or_b32 exec_lo, exec_lo, s7
	s_load_dwordx2 s[4:5], s[4:5], 0x28
	s_mov_b32 s18, exec_lo
	s_waitcnt lgkmcnt(0)
	v_add_co_u32 v2, s4, s4, v2
	v_add_co_ci_u32_e64 v3, null, s5, v3, s4
	s_clause 0x7
	global_load_ubyte v4, v[2:3], off
	global_load_ubyte v5, v[2:3], off offset:32
	global_load_ubyte v6, v[2:3], off offset:64
	;; [unrolled: 1-line block ×7, first 2 shown]
	s_waitcnt vmcnt(7)
	v_and_b32_e32 v3, 1, v4
	v_add_f32_e32 v4, 0, v15
	v_cmp_eq_u32_e64 s14, 1, v3
	s_waitcnt vmcnt(0)
	v_and_b32_e32 v2, 1, v2
	v_cndmask_b32_e64 v3, v4, 0, s14
	v_and_b32_e32 v4, 1, v5
	v_add_f32_e32 v5, v3, v18
	v_cmp_eq_u32_e64 s13, 1, v4
	v_and_b32_e32 v4, 1, v6
	v_cndmask_b32_e64 v3, v5, v3, s13
	v_cmp_eq_u32_e64 s12, 1, v4
	v_and_b32_e32 v4, 1, v7
	v_add_f32_e32 v5, v3, v17
	v_cmp_eq_u32_e64 s11, 1, v4
	v_and_b32_e32 v4, 1, v25
	v_cndmask_b32_e64 v3, v5, v3, s12
	v_cmp_eq_u32_e64 s10, 1, v4
	v_and_b32_e32 v4, 1, v26
	v_add_f32_e32 v5, v3, v16
	v_cmp_eq_u32_e64 s7, 1, v4
	v_cndmask_b32_e64 v3, v5, v3, s11
	v_mbcnt_lo_u32_b32 v4, -1, 0
	v_add_f32_e32 v5, v3, v12
	v_xor_b32_e32 v7, 16, v4
	v_cndmask_b32_e64 v3, v5, v3, s10
	v_cmp_gt_i32_e64 s4, 32, v7
	v_add_f32_e32 v5, v3, v11
	v_cndmask_b32_e64 v3, v5, v3, s7
	v_and_b32_e32 v5, 1, v27
	v_add_f32_e32 v6, v3, v9
	v_cmp_eq_u32_e64 s5, 1, v5
	v_cndmask_b32_e64 v5, v4, v7, s4
	v_cmp_eq_u32_e64 s4, 1, v2
	v_cndmask_b32_e64 v3, v6, v3, s5
	v_lshlrev_b32_e32 v5, 2, v5
	v_add_f32_e32 v6, v3, v10
	v_cndmask_b32_e64 v2, v6, v3, s4
	ds_bpermute_b32 v3, v5, v2
	v_xor_b32_e32 v5, 8, v4
	v_cmp_gt_i32_e64 s15, 32, v5
	v_cndmask_b32_e64 v5, v4, v5, s15
	v_lshlrev_b32_e32 v5, 2, v5
	s_waitcnt lgkmcnt(0)
	v_add_f32_e32 v2, v2, v3
	ds_bpermute_b32 v3, v5, v2
	v_xor_b32_e32 v5, 4, v4
	v_cmp_gt_i32_e64 s15, 32, v5
	v_cndmask_b32_e64 v5, v4, v5, s15
	v_lshlrev_b32_e32 v5, 2, v5
	s_waitcnt lgkmcnt(0)
	v_add_f32_e32 v2, v2, v3
	;; [unrolled: 7-line block ×3, first 2 shown]
	ds_bpermute_b32 v3, v5, v2
	v_xor_b32_e32 v5, 1, v4
	v_cmp_gt_i32_e64 s15, 32, v5
	v_cndmask_b32_e64 v4, v4, v5, s15
	s_waitcnt lgkmcnt(0)
	v_add_f32_e32 v2, v2, v3
	v_lshlrev_b32_e32 v3, 2, v4
	ds_bpermute_b32 v3, v3, v2
	v_cmpx_lt_i32_e32 0, v14
	s_cbranch_execz .LBB807_40
; %bb.31:
	v_add_co_u32 v0, s15, s16, v0
	s_waitcnt lgkmcnt(0)
	v_add_f32_e32 v2, v2, v3
	v_add_co_ci_u32_e64 v1, null, s17, v1, s15
	s_and_saveexec_b32 s15, vcc_lo
	s_cbranch_execnz .LBB807_41
; %bb.32:
	s_or_b32 exec_lo, exec_lo, s15
	s_and_saveexec_b32 s14, s0
	s_cbranch_execnz .LBB807_42
.LBB807_33:
	s_or_b32 exec_lo, exec_lo, s14
	s_and_saveexec_b32 s0, s1
	s_cbranch_execnz .LBB807_43
.LBB807_34:
	s_or_b32 exec_lo, exec_lo, s0
	s_and_saveexec_b32 s0, s2
	s_cbranch_execnz .LBB807_44
.LBB807_35:
	s_or_b32 exec_lo, exec_lo, s0
	s_and_saveexec_b32 s0, s3
	s_cbranch_execnz .LBB807_45
.LBB807_36:
	s_or_b32 exec_lo, exec_lo, s0
	s_and_saveexec_b32 s0, s6
	s_cbranch_execnz .LBB807_46
.LBB807_37:
	s_or_b32 exec_lo, exec_lo, s0
	s_and_saveexec_b32 s0, s8
	s_cbranch_execnz .LBB807_47
.LBB807_38:
	s_or_b32 exec_lo, exec_lo, s0
	s_and_b32 exec_lo, exec_lo, s9
	s_cbranch_execz .LBB807_40
.LBB807_39:
	v_fma_f32 v2, -v2, v8, v10
	v_cndmask_b32_e64 v2, v2, 0, s4
	global_store_dword v[0:1], v2, off offset:896
.LBB807_40:
	s_endpgm
.LBB807_41:
	v_fma_f32 v3, -v2, v13, v15
	v_cndmask_b32_e64 v3, v3, 0, s14
	global_store_dword v[0:1], v3, off
	s_or_b32 exec_lo, exec_lo, s15
	s_and_saveexec_b32 s14, s0
	s_cbranch_execz .LBB807_33
.LBB807_42:
	v_fma_f32 v3, -v2, v19, v18
	v_cndmask_b32_e64 v3, v3, 0, s13
	global_store_dword v[0:1], v3, off offset:128
	s_or_b32 exec_lo, exec_lo, s14
	s_and_saveexec_b32 s0, s1
	s_cbranch_execz .LBB807_34
.LBB807_43:
	v_fma_f32 v3, -v2, v20, v17
	v_cndmask_b32_e64 v3, v3, 0, s12
	global_store_dword v[0:1], v3, off offset:256
	s_or_b32 exec_lo, exec_lo, s0
	s_and_saveexec_b32 s0, s2
	s_cbranch_execz .LBB807_35
.LBB807_44:
	v_fma_f32 v3, -v2, v21, v16
	v_cndmask_b32_e64 v3, v3, 0, s11
	global_store_dword v[0:1], v3, off offset:384
	s_or_b32 exec_lo, exec_lo, s0
	s_and_saveexec_b32 s0, s3
	s_cbranch_execz .LBB807_36
.LBB807_45:
	v_fma_f32 v3, -v2, v22, v12
	v_cndmask_b32_e64 v3, v3, 0, s10
	global_store_dword v[0:1], v3, off offset:512
	s_or_b32 exec_lo, exec_lo, s0
	s_and_saveexec_b32 s0, s6
	s_cbranch_execz .LBB807_37
.LBB807_46:
	v_fma_f32 v3, -v2, v23, v11
	v_cndmask_b32_e64 v3, v3, 0, s7
	global_store_dword v[0:1], v3, off offset:640
	s_or_b32 exec_lo, exec_lo, s0
	s_and_saveexec_b32 s0, s8
	s_cbranch_execz .LBB807_38
.LBB807_47:
	v_fma_f32 v3, -v2, v24, v9
	v_cndmask_b32_e64 v3, v3, 0, s5
	global_store_dword v[0:1], v3, off offset:768
	s_or_b32 exec_lo, exec_lo, s0
	s_and_b32 exec_lo, exec_lo, s9
	s_cbranch_execnz .LBB807_39
	s_branch .LBB807_40
	.section	.rodata,"a",@progbits
	.p2align	6, 0x0
	.amdhsa_kernel _ZN12_GLOBAL__N_121softmax_warp_backwardIfffLi8ELb0ELb1ELi32EEEvPT0_PKT_S5_iiiPKb
		.amdhsa_group_segment_fixed_size 0
		.amdhsa_private_segment_fixed_size 0
		.amdhsa_kernarg_size 304
		.amdhsa_user_sgpr_count 6
		.amdhsa_user_sgpr_private_segment_buffer 1
		.amdhsa_user_sgpr_dispatch_ptr 0
		.amdhsa_user_sgpr_queue_ptr 0
		.amdhsa_user_sgpr_kernarg_segment_ptr 1
		.amdhsa_user_sgpr_dispatch_id 0
		.amdhsa_user_sgpr_flat_scratch_init 0
		.amdhsa_user_sgpr_private_segment_size 0
		.amdhsa_wavefront_size32 1
		.amdhsa_uses_dynamic_stack 0
		.amdhsa_system_sgpr_private_segment_wavefront_offset 0
		.amdhsa_system_sgpr_workgroup_id_x 1
		.amdhsa_system_sgpr_workgroup_id_y 0
		.amdhsa_system_sgpr_workgroup_id_z 0
		.amdhsa_system_sgpr_workgroup_info 0
		.amdhsa_system_vgpr_workitem_id 1
		.amdhsa_next_free_vgpr 28
		.amdhsa_next_free_sgpr 20
		.amdhsa_reserve_vcc 1
		.amdhsa_reserve_flat_scratch 0
		.amdhsa_float_round_mode_32 0
		.amdhsa_float_round_mode_16_64 0
		.amdhsa_float_denorm_mode_32 3
		.amdhsa_float_denorm_mode_16_64 3
		.amdhsa_dx10_clamp 1
		.amdhsa_ieee_mode 1
		.amdhsa_fp16_overflow 0
		.amdhsa_workgroup_processor_mode 1
		.amdhsa_memory_ordered 1
		.amdhsa_forward_progress 1
		.amdhsa_shared_vgpr_count 0
		.amdhsa_exception_fp_ieee_invalid_op 0
		.amdhsa_exception_fp_denorm_src 0
		.amdhsa_exception_fp_ieee_div_zero 0
		.amdhsa_exception_fp_ieee_overflow 0
		.amdhsa_exception_fp_ieee_underflow 0
		.amdhsa_exception_fp_ieee_inexact 0
		.amdhsa_exception_int_div_zero 0
	.end_amdhsa_kernel
	.section	.text._ZN12_GLOBAL__N_121softmax_warp_backwardIfffLi8ELb0ELb1ELi32EEEvPT0_PKT_S5_iiiPKb,"axG",@progbits,_ZN12_GLOBAL__N_121softmax_warp_backwardIfffLi8ELb0ELb1ELi32EEEvPT0_PKT_S5_iiiPKb,comdat
.Lfunc_end807:
	.size	_ZN12_GLOBAL__N_121softmax_warp_backwardIfffLi8ELb0ELb1ELi32EEEvPT0_PKT_S5_iiiPKb, .Lfunc_end807-_ZN12_GLOBAL__N_121softmax_warp_backwardIfffLi8ELb0ELb1ELi32EEEvPT0_PKT_S5_iiiPKb
                                        ; -- End function
	.set _ZN12_GLOBAL__N_121softmax_warp_backwardIfffLi8ELb0ELb1ELi32EEEvPT0_PKT_S5_iiiPKb.num_vgpr, 28
	.set _ZN12_GLOBAL__N_121softmax_warp_backwardIfffLi8ELb0ELb1ELi32EEEvPT0_PKT_S5_iiiPKb.num_agpr, 0
	.set _ZN12_GLOBAL__N_121softmax_warp_backwardIfffLi8ELb0ELb1ELi32EEEvPT0_PKT_S5_iiiPKb.numbered_sgpr, 20
	.set _ZN12_GLOBAL__N_121softmax_warp_backwardIfffLi8ELb0ELb1ELi32EEEvPT0_PKT_S5_iiiPKb.num_named_barrier, 0
	.set _ZN12_GLOBAL__N_121softmax_warp_backwardIfffLi8ELb0ELb1ELi32EEEvPT0_PKT_S5_iiiPKb.private_seg_size, 0
	.set _ZN12_GLOBAL__N_121softmax_warp_backwardIfffLi8ELb0ELb1ELi32EEEvPT0_PKT_S5_iiiPKb.uses_vcc, 1
	.set _ZN12_GLOBAL__N_121softmax_warp_backwardIfffLi8ELb0ELb1ELi32EEEvPT0_PKT_S5_iiiPKb.uses_flat_scratch, 0
	.set _ZN12_GLOBAL__N_121softmax_warp_backwardIfffLi8ELb0ELb1ELi32EEEvPT0_PKT_S5_iiiPKb.has_dyn_sized_stack, 0
	.set _ZN12_GLOBAL__N_121softmax_warp_backwardIfffLi8ELb0ELb1ELi32EEEvPT0_PKT_S5_iiiPKb.has_recursion, 0
	.set _ZN12_GLOBAL__N_121softmax_warp_backwardIfffLi8ELb0ELb1ELi32EEEvPT0_PKT_S5_iiiPKb.has_indirect_call, 0
	.section	.AMDGPU.csdata,"",@progbits
; Kernel info:
; codeLenInByte = 1600
; TotalNumSgprs: 22
; NumVgprs: 28
; ScratchSize: 0
; MemoryBound: 0
; FloatMode: 240
; IeeeMode: 1
; LDSByteSize: 0 bytes/workgroup (compile time only)
; SGPRBlocks: 0
; VGPRBlocks: 3
; NumSGPRsForWavesPerEU: 22
; NumVGPRsForWavesPerEU: 28
; Occupancy: 16
; WaveLimiterHint : 0
; COMPUTE_PGM_RSRC2:SCRATCH_EN: 0
; COMPUTE_PGM_RSRC2:USER_SGPR: 6
; COMPUTE_PGM_RSRC2:TRAP_HANDLER: 0
; COMPUTE_PGM_RSRC2:TGID_X_EN: 1
; COMPUTE_PGM_RSRC2:TGID_Y_EN: 0
; COMPUTE_PGM_RSRC2:TGID_Z_EN: 0
; COMPUTE_PGM_RSRC2:TIDIG_COMP_CNT: 1
	.section	.text._ZN12_GLOBAL__N_121softmax_warp_backwardIfffLi9ELb0ELb1ELi64EEEvPT0_PKT_S5_iiiPKb,"axG",@progbits,_ZN12_GLOBAL__N_121softmax_warp_backwardIfffLi9ELb0ELb1ELi64EEEvPT0_PKT_S5_iiiPKb,comdat
	.globl	_ZN12_GLOBAL__N_121softmax_warp_backwardIfffLi9ELb0ELb1ELi64EEEvPT0_PKT_S5_iiiPKb ; -- Begin function _ZN12_GLOBAL__N_121softmax_warp_backwardIfffLi9ELb0ELb1ELi64EEEvPT0_PKT_S5_iiiPKb
	.p2align	8
	.type	_ZN12_GLOBAL__N_121softmax_warp_backwardIfffLi9ELb0ELb1ELi64EEEvPT0_PKT_S5_iiiPKb,@function
_ZN12_GLOBAL__N_121softmax_warp_backwardIfffLi9ELb0ELb1ELi64EEEvPT0_PKT_S5_iiiPKb: ; @_ZN12_GLOBAL__N_121softmax_warp_backwardIfffLi9ELb0ELb1ELi64EEEvPT0_PKT_S5_iiiPKb
; %bb.0:
	s_clause 0x1
	s_load_dword s0, s[4:5], 0x3c
	s_load_dwordx4 s[8:11], s[4:5], 0x18
	v_and_b32_e32 v8, 63, v0
	s_clause 0x1
	s_load_dwordx4 s[16:19], s[4:5], 0x0
	s_load_dwordx2 s[2:3], s[4:5], 0x10
	v_mov_b32_e32 v13, 0
	v_mov_b32_e32 v15, 0
	s_waitcnt lgkmcnt(0)
	s_lshr_b32 s0, s0, 16
	v_cmp_gt_i32_e32 vcc_lo, s10, v8
	v_mad_u64_u32 v[1:2], null, s6, s0, v[1:2]
	v_mad_u64_u32 v[2:3], null, v1, s9, v[8:9]
	v_sub_nc_u32_e32 v14, s8, v1
	v_cmp_lt_i32_e64 s8, 0, v14
	v_ashrrev_i32_e32 v3, 31, v2
	s_and_b32 s1, s8, vcc_lo
	v_lshlrev_b64 v[0:1], 2, v[2:3]
	v_add_co_u32 v4, s0, s18, v0
	v_add_co_ci_u32_e64 v5, null, s19, v1, s0
	v_add_co_u32 v6, s0, s2, v0
	v_add_co_ci_u32_e64 v7, null, s3, v1, s0
	s_and_saveexec_b32 s0, s1
	s_cbranch_execz .LBB808_2
; %bb.1:
	global_load_dword v15, v[4:5], off
	global_load_dword v13, v[6:7], off
.LBB808_2:
	s_or_b32 exec_lo, exec_lo, s0
	v_or_b32_e32 v9, 64, v8
	v_cmp_gt_i32_e64 s0, s10, v9
	s_and_b32 s1, s8, s0
	s_xor_b32 s1, s1, -1
	s_and_saveexec_b32 s2, s1
	s_xor_b32 s1, exec_lo, s2
                                        ; implicit-def: $vgpr9
                                        ; implicit-def: $vgpr11
                                        ; implicit-def: $vgpr12
                                        ; implicit-def: $vgpr16
                                        ; implicit-def: $vgpr17
                                        ; implicit-def: $vgpr18
                                        ; implicit-def: $vgpr10
; %bb.3:
	s_mov_b32 s2, 0
                                        ; implicit-def: $vgpr9
                                        ; implicit-def: $vgpr11
                                        ; implicit-def: $vgpr12
                                        ; implicit-def: $vgpr16
                                        ; implicit-def: $vgpr17
                                        ; implicit-def: $vgpr10
	v_mov_b32_e32 v18, s2
; %bb.4:
	s_or_saveexec_b32 s1, s1
	v_mov_b32_e32 v19, 0
	s_xor_b32 exec_lo, exec_lo, s1
	s_cbranch_execz .LBB808_6
; %bb.5:
	global_load_dword v18, v[4:5], off offset:256
	global_load_dword v19, v[6:7], off offset:256
.LBB808_6:
	s_or_b32 exec_lo, exec_lo, s1
	v_or_b32_e32 v20, 0x80, v8
	v_cmp_gt_i32_e64 s1, s10, v20
	s_and_b32 s2, s8, s1
	s_xor_b32 s2, s2, -1
	s_and_saveexec_b32 s3, s2
	s_xor_b32 s2, exec_lo, s3
; %bb.7:
	s_mov_b32 s3, 0
	v_mov_b32_e32 v17, s3
; %bb.8:
	s_or_saveexec_b32 s2, s2
	v_mov_b32_e32 v20, 0
	s_xor_b32 exec_lo, exec_lo, s2
	s_cbranch_execz .LBB808_10
; %bb.9:
	global_load_dword v17, v[4:5], off offset:512
	global_load_dword v20, v[6:7], off offset:512
.LBB808_10:
	s_or_b32 exec_lo, exec_lo, s2
	v_or_b32_e32 v21, 0xc0, v8
	v_cmp_gt_i32_e64 s2, s10, v21
	s_and_b32 s3, s8, s2
	s_xor_b32 s3, s3, -1
	s_and_saveexec_b32 s6, s3
	s_xor_b32 s3, exec_lo, s6
; %bb.11:
	s_mov_b32 s6, 0
	;; [unrolled: 19-line block ×6, first 2 shown]
                                        ; implicit-def: $vgpr4_vgpr5
                                        ; implicit-def: $vgpr6_vgpr7
	v_mov_b32_e32 v10, s10
; %bb.28:
	s_or_saveexec_b32 s8, s8
	v_mov_b32_e32 v8, 0
	s_xor_b32 exec_lo, exec_lo, s8
	s_cbranch_execz .LBB808_30
; %bb.29:
	global_load_dword v10, v[4:5], off offset:1792
	global_load_dword v8, v[6:7], off offset:1792
.LBB808_30:
	s_or_b32 exec_lo, exec_lo, s8
	s_load_dwordx2 s[4:5], s[4:5], 0x28
	s_mov_b32 s18, exec_lo
	s_waitcnt lgkmcnt(0)
	v_add_co_u32 v2, s4, s4, v2
	v_add_co_ci_u32_e64 v3, null, s5, v3, s4
	s_clause 0x7
	global_load_ubyte v4, v[2:3], off
	global_load_ubyte v5, v[2:3], off offset:64
	global_load_ubyte v6, v[2:3], off offset:128
	;; [unrolled: 1-line block ×7, first 2 shown]
	s_waitcnt vmcnt(7)
	v_and_b32_e32 v3, 1, v4
	v_add_f32_e32 v4, 0, v15
	v_cmp_eq_u32_e64 s14, 1, v3
	s_waitcnt vmcnt(0)
	v_and_b32_e32 v2, 1, v2
	v_cndmask_b32_e64 v3, v4, 0, s14
	v_and_b32_e32 v4, 1, v5
	v_add_f32_e32 v5, v3, v18
	v_cmp_eq_u32_e64 s13, 1, v4
	v_and_b32_e32 v4, 1, v6
	v_cndmask_b32_e64 v3, v5, v3, s13
	v_cmp_eq_u32_e64 s12, 1, v4
	v_and_b32_e32 v4, 1, v7
	v_add_f32_e32 v5, v3, v17
	v_cmp_eq_u32_e64 s11, 1, v4
	v_and_b32_e32 v4, 1, v25
	v_cndmask_b32_e64 v3, v5, v3, s12
	v_cmp_eq_u32_e64 s10, 1, v4
	v_and_b32_e32 v4, 1, v26
	v_add_f32_e32 v5, v3, v16
	v_cmp_eq_u32_e64 s8, 1, v4
	v_cndmask_b32_e64 v3, v5, v3, s11
	v_mbcnt_lo_u32_b32 v4, -1, 0
	v_add_f32_e32 v5, v3, v12
	v_or_b32_e32 v7, 32, v4
	v_cndmask_b32_e64 v3, v5, v3, s10
	v_cmp_gt_i32_e64 s4, 64, v7
	v_add_f32_e32 v5, v3, v11
	v_cndmask_b32_e64 v3, v5, v3, s8
	v_and_b32_e32 v5, 1, v27
	v_add_f32_e32 v6, v3, v9
	v_cmp_eq_u32_e64 s5, 1, v5
	v_cndmask_b32_e64 v5, v4, v7, s4
	v_cmp_eq_u32_e64 s4, 1, v2
	v_cndmask_b32_e64 v3, v6, v3, s5
	v_lshlrev_b32_e32 v5, 2, v5
	v_add_f32_e32 v6, v3, v10
	v_cndmask_b32_e64 v2, v6, v3, s4
	ds_bpermute_b32 v3, v5, v2
	v_xor_b32_e32 v5, 16, v4
	v_cmp_gt_i32_e64 s15, 64, v5
	v_cndmask_b32_e64 v5, v4, v5, s15
	v_lshlrev_b32_e32 v5, 2, v5
	s_waitcnt lgkmcnt(0)
	v_add_f32_e32 v2, v2, v3
	ds_bpermute_b32 v3, v5, v2
	v_xor_b32_e32 v5, 8, v4
	v_cmp_gt_i32_e64 s15, 64, v5
	v_cndmask_b32_e64 v5, v4, v5, s15
	v_lshlrev_b32_e32 v5, 2, v5
	s_waitcnt lgkmcnt(0)
	v_add_f32_e32 v2, v2, v3
	;; [unrolled: 7-line block ×4, first 2 shown]
	ds_bpermute_b32 v3, v5, v2
	v_xor_b32_e32 v5, 1, v4
	v_cmp_gt_i32_e64 s15, 64, v5
	v_cndmask_b32_e64 v4, v4, v5, s15
	s_waitcnt lgkmcnt(0)
	v_add_f32_e32 v2, v2, v3
	v_lshlrev_b32_e32 v3, 2, v4
	ds_bpermute_b32 v3, v3, v2
	v_cmpx_lt_i32_e32 0, v14
	s_cbranch_execz .LBB808_40
; %bb.31:
	v_add_co_u32 v0, s15, s16, v0
	s_waitcnt lgkmcnt(0)
	v_add_f32_e32 v2, v2, v3
	v_add_co_ci_u32_e64 v1, null, s17, v1, s15
	s_and_saveexec_b32 s15, vcc_lo
	s_cbranch_execnz .LBB808_41
; %bb.32:
	s_or_b32 exec_lo, exec_lo, s15
	s_and_saveexec_b32 s14, s0
	s_cbranch_execnz .LBB808_42
.LBB808_33:
	s_or_b32 exec_lo, exec_lo, s14
	s_and_saveexec_b32 s0, s1
	s_cbranch_execnz .LBB808_43
.LBB808_34:
	s_or_b32 exec_lo, exec_lo, s0
	s_and_saveexec_b32 s0, s2
	s_cbranch_execnz .LBB808_44
.LBB808_35:
	s_or_b32 exec_lo, exec_lo, s0
	s_and_saveexec_b32 s0, s3
	s_cbranch_execnz .LBB808_45
.LBB808_36:
	s_or_b32 exec_lo, exec_lo, s0
	s_and_saveexec_b32 s0, s6
	s_cbranch_execnz .LBB808_46
.LBB808_37:
	s_or_b32 exec_lo, exec_lo, s0
	s_and_saveexec_b32 s0, s7
	s_cbranch_execnz .LBB808_47
.LBB808_38:
	s_or_b32 exec_lo, exec_lo, s0
	s_and_b32 exec_lo, exec_lo, s9
	s_cbranch_execz .LBB808_40
.LBB808_39:
	v_fma_f32 v2, -v2, v8, v10
	v_cndmask_b32_e64 v2, v2, 0, s4
	global_store_dword v[0:1], v2, off offset:1792
.LBB808_40:
	s_endpgm
.LBB808_41:
	v_fma_f32 v3, -v2, v13, v15
	v_cndmask_b32_e64 v3, v3, 0, s14
	global_store_dword v[0:1], v3, off
	s_or_b32 exec_lo, exec_lo, s15
	s_and_saveexec_b32 s14, s0
	s_cbranch_execz .LBB808_33
.LBB808_42:
	v_fma_f32 v3, -v2, v19, v18
	v_cndmask_b32_e64 v3, v3, 0, s13
	global_store_dword v[0:1], v3, off offset:256
	s_or_b32 exec_lo, exec_lo, s14
	s_and_saveexec_b32 s0, s1
	s_cbranch_execz .LBB808_34
.LBB808_43:
	v_fma_f32 v3, -v2, v20, v17
	v_cndmask_b32_e64 v3, v3, 0, s12
	global_store_dword v[0:1], v3, off offset:512
	s_or_b32 exec_lo, exec_lo, s0
	s_and_saveexec_b32 s0, s2
	s_cbranch_execz .LBB808_35
.LBB808_44:
	v_fma_f32 v3, -v2, v21, v16
	v_cndmask_b32_e64 v3, v3, 0, s11
	global_store_dword v[0:1], v3, off offset:768
	s_or_b32 exec_lo, exec_lo, s0
	s_and_saveexec_b32 s0, s3
	s_cbranch_execz .LBB808_36
.LBB808_45:
	v_fma_f32 v3, -v2, v22, v12
	v_cndmask_b32_e64 v3, v3, 0, s10
	global_store_dword v[0:1], v3, off offset:1024
	s_or_b32 exec_lo, exec_lo, s0
	s_and_saveexec_b32 s0, s6
	s_cbranch_execz .LBB808_37
.LBB808_46:
	v_fma_f32 v3, -v2, v23, v11
	v_cndmask_b32_e64 v3, v3, 0, s8
	global_store_dword v[0:1], v3, off offset:1280
	s_or_b32 exec_lo, exec_lo, s0
	s_and_saveexec_b32 s0, s7
	s_cbranch_execz .LBB808_38
.LBB808_47:
	v_fma_f32 v3, -v2, v24, v9
	v_cndmask_b32_e64 v3, v3, 0, s5
	global_store_dword v[0:1], v3, off offset:1536
	s_or_b32 exec_lo, exec_lo, s0
	s_and_b32 exec_lo, exec_lo, s9
	s_cbranch_execnz .LBB808_39
	s_branch .LBB808_40
	.section	.rodata,"a",@progbits
	.p2align	6, 0x0
	.amdhsa_kernel _ZN12_GLOBAL__N_121softmax_warp_backwardIfffLi9ELb0ELb1ELi64EEEvPT0_PKT_S5_iiiPKb
		.amdhsa_group_segment_fixed_size 0
		.amdhsa_private_segment_fixed_size 0
		.amdhsa_kernarg_size 304
		.amdhsa_user_sgpr_count 6
		.amdhsa_user_sgpr_private_segment_buffer 1
		.amdhsa_user_sgpr_dispatch_ptr 0
		.amdhsa_user_sgpr_queue_ptr 0
		.amdhsa_user_sgpr_kernarg_segment_ptr 1
		.amdhsa_user_sgpr_dispatch_id 0
		.amdhsa_user_sgpr_flat_scratch_init 0
		.amdhsa_user_sgpr_private_segment_size 0
		.amdhsa_wavefront_size32 1
		.amdhsa_uses_dynamic_stack 0
		.amdhsa_system_sgpr_private_segment_wavefront_offset 0
		.amdhsa_system_sgpr_workgroup_id_x 1
		.amdhsa_system_sgpr_workgroup_id_y 0
		.amdhsa_system_sgpr_workgroup_id_z 0
		.amdhsa_system_sgpr_workgroup_info 0
		.amdhsa_system_vgpr_workitem_id 1
		.amdhsa_next_free_vgpr 28
		.amdhsa_next_free_sgpr 20
		.amdhsa_reserve_vcc 1
		.amdhsa_reserve_flat_scratch 0
		.amdhsa_float_round_mode_32 0
		.amdhsa_float_round_mode_16_64 0
		.amdhsa_float_denorm_mode_32 3
		.amdhsa_float_denorm_mode_16_64 3
		.amdhsa_dx10_clamp 1
		.amdhsa_ieee_mode 1
		.amdhsa_fp16_overflow 0
		.amdhsa_workgroup_processor_mode 1
		.amdhsa_memory_ordered 1
		.amdhsa_forward_progress 1
		.amdhsa_shared_vgpr_count 0
		.amdhsa_exception_fp_ieee_invalid_op 0
		.amdhsa_exception_fp_denorm_src 0
		.amdhsa_exception_fp_ieee_div_zero 0
		.amdhsa_exception_fp_ieee_overflow 0
		.amdhsa_exception_fp_ieee_underflow 0
		.amdhsa_exception_fp_ieee_inexact 0
		.amdhsa_exception_int_div_zero 0
	.end_amdhsa_kernel
	.section	.text._ZN12_GLOBAL__N_121softmax_warp_backwardIfffLi9ELb0ELb1ELi64EEEvPT0_PKT_S5_iiiPKb,"axG",@progbits,_ZN12_GLOBAL__N_121softmax_warp_backwardIfffLi9ELb0ELb1ELi64EEEvPT0_PKT_S5_iiiPKb,comdat
.Lfunc_end808:
	.size	_ZN12_GLOBAL__N_121softmax_warp_backwardIfffLi9ELb0ELb1ELi64EEEvPT0_PKT_S5_iiiPKb, .Lfunc_end808-_ZN12_GLOBAL__N_121softmax_warp_backwardIfffLi9ELb0ELb1ELi64EEEvPT0_PKT_S5_iiiPKb
                                        ; -- End function
	.set _ZN12_GLOBAL__N_121softmax_warp_backwardIfffLi9ELb0ELb1ELi64EEEvPT0_PKT_S5_iiiPKb.num_vgpr, 28
	.set _ZN12_GLOBAL__N_121softmax_warp_backwardIfffLi9ELb0ELb1ELi64EEEvPT0_PKT_S5_iiiPKb.num_agpr, 0
	.set _ZN12_GLOBAL__N_121softmax_warp_backwardIfffLi9ELb0ELb1ELi64EEEvPT0_PKT_S5_iiiPKb.numbered_sgpr, 20
	.set _ZN12_GLOBAL__N_121softmax_warp_backwardIfffLi9ELb0ELb1ELi64EEEvPT0_PKT_S5_iiiPKb.num_named_barrier, 0
	.set _ZN12_GLOBAL__N_121softmax_warp_backwardIfffLi9ELb0ELb1ELi64EEEvPT0_PKT_S5_iiiPKb.private_seg_size, 0
	.set _ZN12_GLOBAL__N_121softmax_warp_backwardIfffLi9ELb0ELb1ELi64EEEvPT0_PKT_S5_iiiPKb.uses_vcc, 1
	.set _ZN12_GLOBAL__N_121softmax_warp_backwardIfffLi9ELb0ELb1ELi64EEEvPT0_PKT_S5_iiiPKb.uses_flat_scratch, 0
	.set _ZN12_GLOBAL__N_121softmax_warp_backwardIfffLi9ELb0ELb1ELi64EEEvPT0_PKT_S5_iiiPKb.has_dyn_sized_stack, 0
	.set _ZN12_GLOBAL__N_121softmax_warp_backwardIfffLi9ELb0ELb1ELi64EEEvPT0_PKT_S5_iiiPKb.has_recursion, 0
	.set _ZN12_GLOBAL__N_121softmax_warp_backwardIfffLi9ELb0ELb1ELi64EEEvPT0_PKT_S5_iiiPKb.has_indirect_call, 0
	.section	.AMDGPU.csdata,"",@progbits
; Kernel info:
; codeLenInByte = 1644
; TotalNumSgprs: 22
; NumVgprs: 28
; ScratchSize: 0
; MemoryBound: 0
; FloatMode: 240
; IeeeMode: 1
; LDSByteSize: 0 bytes/workgroup (compile time only)
; SGPRBlocks: 0
; VGPRBlocks: 3
; NumSGPRsForWavesPerEU: 22
; NumVGPRsForWavesPerEU: 28
; Occupancy: 16
; WaveLimiterHint : 0
; COMPUTE_PGM_RSRC2:SCRATCH_EN: 0
; COMPUTE_PGM_RSRC2:USER_SGPR: 6
; COMPUTE_PGM_RSRC2:TRAP_HANDLER: 0
; COMPUTE_PGM_RSRC2:TGID_X_EN: 1
; COMPUTE_PGM_RSRC2:TGID_Y_EN: 0
; COMPUTE_PGM_RSRC2:TGID_Z_EN: 0
; COMPUTE_PGM_RSRC2:TIDIG_COMP_CNT: 1
	.section	.text._ZN12_GLOBAL__N_121softmax_warp_backwardIfffLi9ELb0ELb1ELi32EEEvPT0_PKT_S5_iiiPKb,"axG",@progbits,_ZN12_GLOBAL__N_121softmax_warp_backwardIfffLi9ELb0ELb1ELi32EEEvPT0_PKT_S5_iiiPKb,comdat
	.globl	_ZN12_GLOBAL__N_121softmax_warp_backwardIfffLi9ELb0ELb1ELi32EEEvPT0_PKT_S5_iiiPKb ; -- Begin function _ZN12_GLOBAL__N_121softmax_warp_backwardIfffLi9ELb0ELb1ELi32EEEvPT0_PKT_S5_iiiPKb
	.p2align	8
	.type	_ZN12_GLOBAL__N_121softmax_warp_backwardIfffLi9ELb0ELb1ELi32EEEvPT0_PKT_S5_iiiPKb,@function
_ZN12_GLOBAL__N_121softmax_warp_backwardIfffLi9ELb0ELb1ELi32EEEvPT0_PKT_S5_iiiPKb: ; @_ZN12_GLOBAL__N_121softmax_warp_backwardIfffLi9ELb0ELb1ELi32EEEvPT0_PKT_S5_iiiPKb
; %bb.0:
	s_clause 0x1
	s_load_dword s0, s[4:5], 0x3c
	s_load_dwordx4 s[16:19], s[4:5], 0x18
	v_and_b32_e32 v8, 31, v0
	s_clause 0x1
	s_load_dwordx4 s[28:31], s[4:5], 0x0
	s_load_dwordx2 s[2:3], s[4:5], 0x10
	v_mov_b32_e32 v20, 0
	v_mov_b32_e32 v23, 0
	s_waitcnt lgkmcnt(0)
	s_lshr_b32 s0, s0, 16
	v_cmp_gt_i32_e32 vcc_lo, s18, v8
	v_mad_u64_u32 v[1:2], null, s6, s0, v[1:2]
	v_mad_u64_u32 v[2:3], null, v1, s17, v[8:9]
	v_sub_nc_u32_e32 v22, s16, v1
	v_cmp_lt_i32_e64 s10, 0, v22
	v_ashrrev_i32_e32 v3, 31, v2
	s_and_b32 s1, s10, vcc_lo
	v_lshlrev_b64 v[0:1], 2, v[2:3]
	v_add_co_u32 v4, s0, s30, v0
	v_add_co_ci_u32_e64 v5, null, s31, v1, s0
	v_add_co_u32 v6, s0, s2, v0
	v_add_co_ci_u32_e64 v7, null, s3, v1, s0
	s_and_saveexec_b32 s0, s1
	s_cbranch_execz .LBB809_2
; %bb.1:
	global_load_dword v23, v[4:5], off
	global_load_dword v20, v[6:7], off
.LBB809_2:
	s_or_b32 exec_lo, exec_lo, s0
	v_or_b32_e32 v9, 32, v8
	v_cmp_gt_i32_e64 s0, s18, v9
	s_and_b32 s1, s10, s0
	s_xor_b32 s1, s1, -1
	s_and_saveexec_b32 s2, s1
	s_xor_b32 s1, exec_lo, s2
                                        ; implicit-def: $vgpr9
                                        ; implicit-def: $vgpr10
                                        ; implicit-def: $vgpr12
                                        ; implicit-def: $vgpr13
                                        ; implicit-def: $vgpr14
                                        ; implicit-def: $vgpr15
                                        ; implicit-def: $vgpr16
                                        ; implicit-def: $vgpr17
                                        ; implicit-def: $vgpr18
                                        ; implicit-def: $vgpr19
                                        ; implicit-def: $vgpr21
                                        ; implicit-def: $vgpr24
                                        ; implicit-def: $vgpr26
                                        ; implicit-def: $vgpr25
                                        ; implicit-def: $vgpr11
; %bb.3:
	s_mov_b32 s2, 0
                                        ; implicit-def: $vgpr9
                                        ; implicit-def: $vgpr10
                                        ; implicit-def: $vgpr12
                                        ; implicit-def: $vgpr13
                                        ; implicit-def: $vgpr14
                                        ; implicit-def: $vgpr15
                                        ; implicit-def: $vgpr16
                                        ; implicit-def: $vgpr17
                                        ; implicit-def: $vgpr18
                                        ; implicit-def: $vgpr19
                                        ; implicit-def: $vgpr21
                                        ; implicit-def: $vgpr24
                                        ; implicit-def: $vgpr26
                                        ; implicit-def: $vgpr11
	v_mov_b32_e32 v25, s2
; %bb.4:
	s_or_saveexec_b32 s1, s1
	v_mov_b32_e32 v27, 0
	s_xor_b32 exec_lo, exec_lo, s1
	s_cbranch_execz .LBB809_6
; %bb.5:
	global_load_dword v25, v[4:5], off offset:128
	global_load_dword v27, v[6:7], off offset:128
.LBB809_6:
	s_or_b32 exec_lo, exec_lo, s1
	v_or_b32_e32 v28, 64, v8
	v_cmp_gt_i32_e64 s1, s18, v28
	s_and_b32 s2, s10, s1
	s_xor_b32 s2, s2, -1
	s_and_saveexec_b32 s3, s2
	s_xor_b32 s2, exec_lo, s3
; %bb.7:
	s_mov_b32 s3, 0
	v_mov_b32_e32 v26, s3
; %bb.8:
	s_or_saveexec_b32 s2, s2
	v_mov_b32_e32 v28, 0
	s_xor_b32 exec_lo, exec_lo, s2
	s_cbranch_execz .LBB809_10
; %bb.9:
	global_load_dword v26, v[4:5], off offset:256
	global_load_dword v28, v[6:7], off offset:256
.LBB809_10:
	s_or_b32 exec_lo, exec_lo, s2
	v_or_b32_e32 v29, 0x60, v8
	v_cmp_gt_i32_e64 s2, s18, v29
	s_and_b32 s3, s10, s2
	s_xor_b32 s3, s3, -1
	s_and_saveexec_b32 s6, s3
	s_xor_b32 s3, exec_lo, s6
; %bb.11:
	s_mov_b32 s6, 0
	;; [unrolled: 19-line block ×14, first 2 shown]
                                        ; implicit-def: $vgpr4_vgpr5
                                        ; implicit-def: $vgpr6_vgpr7
	v_mov_b32_e32 v11, s18
; %bb.60:
	s_or_saveexec_b32 s10, s10
	v_mov_b32_e32 v8, 0
	s_xor_b32 exec_lo, exec_lo, s10
	s_cbranch_execz .LBB809_62
; %bb.61:
	global_load_dword v11, v[4:5], off offset:1920
	global_load_dword v8, v[6:7], off offset:1920
.LBB809_62:
	s_or_b32 exec_lo, exec_lo, s10
	s_load_dwordx2 s[4:5], s[4:5], 0x28
	s_waitcnt vmcnt(1)
	v_add_f32_e32 v53, 0, v23
	s_mov_b32 s26, exec_lo
	s_waitcnt lgkmcnt(0)
	v_add_co_u32 v2, s4, s4, v2
	v_add_co_ci_u32_e64 v3, null, s5, v3, s4
	s_clause 0xf
	global_load_ubyte v4, v[2:3], off
	global_load_ubyte v5, v[2:3], off offset:32
	global_load_ubyte v6, v[2:3], off offset:64
	;; [unrolled: 1-line block ×15, first 2 shown]
	s_waitcnt vmcnt(15)
	v_and_b32_e32 v4, 1, v4
	s_waitcnt vmcnt(14)
	v_and_b32_e32 v5, 1, v5
	v_cmp_eq_u32_e64 s24, 1, v4
	v_cmp_eq_u32_e64 s4, 1, v5
	s_waitcnt vmcnt(13)
	v_and_b32_e32 v5, 1, v6
	v_cndmask_b32_e64 v4, v53, 0, s24
	v_add_f32_e32 v53, v4, v25
	v_cndmask_b32_e64 v4, v53, v4, s4
	v_cmp_eq_u32_e64 s4, 1, v5
	s_waitcnt vmcnt(12)
	v_and_b32_e32 v5, 1, v7
	v_add_f32_e32 v6, v4, v26
	v_cndmask_b32_e64 v4, v6, v4, s4
	v_cmp_eq_u32_e64 s4, 1, v5
	s_waitcnt vmcnt(11)
	v_and_b32_e32 v5, 1, v41
	;; [unrolled: 5-line block ×5, first 2 shown]
	v_add_f32_e32 v6, v4, v18
	v_cmp_eq_u32_e64 s23, 1, v5
	s_waitcnt vmcnt(7)
	v_and_b32_e32 v5, 1, v45
	v_cndmask_b32_e64 v4, v6, v4, s4
	v_cmp_eq_u32_e64 s22, 1, v5
	s_waitcnt vmcnt(6)
	v_and_b32_e32 v5, 1, v46
	v_add_f32_e32 v6, v4, v17
	v_cmp_eq_u32_e64 s21, 1, v5
	v_cndmask_b32_e64 v4, v6, v4, s23
	s_waitcnt vmcnt(5)
	v_and_b32_e32 v5, 1, v47
	v_add_f32_e32 v6, v4, v16
	v_cmp_eq_u32_e64 s20, 1, v5
	s_waitcnt vmcnt(4)
	v_and_b32_e32 v5, 1, v48
	v_cndmask_b32_e64 v4, v6, v4, s22
	v_cmp_eq_u32_e64 s19, 1, v5
	s_waitcnt vmcnt(3)
	v_and_b32_e32 v5, 1, v49
	v_add_f32_e32 v6, v4, v15
	v_cmp_eq_u32_e64 s18, 1, v5
	s_waitcnt vmcnt(2)
	v_and_b32_e32 v5, 1, v50
	v_cndmask_b32_e64 v4, v6, v4, s21
	v_cmp_eq_u32_e64 s10, 1, v5
	v_add_f32_e32 v6, v4, v14
	v_mbcnt_lo_u32_b32 v5, -1, 0
	v_cndmask_b32_e64 v4, v6, v4, s20
	v_xor_b32_e32 v41, 16, v5
	v_add_f32_e32 v6, v4, v13
	v_cmp_gt_i32_e64 s4, 32, v41
	v_cndmask_b32_e64 v4, v6, v4, s19
	v_add_f32_e32 v6, v4, v12
	v_cndmask_b32_e64 v4, v6, v4, s18
	v_add_f32_e32 v6, v4, v10
	v_cndmask_b32_e64 v4, v6, v4, s10
	s_waitcnt vmcnt(1)
	v_and_b32_e32 v6, 1, v51
	v_add_f32_e32 v7, v4, v9
	v_cmp_eq_u32_e64 s5, 1, v6
	v_cndmask_b32_e64 v6, v5, v41, s4
	v_cndmask_b32_e64 v4, v7, v4, s5
	s_waitcnt vmcnt(0)
	v_and_b32_e32 v7, 1, v52
	v_lshlrev_b32_e32 v6, 2, v6
	v_add_f32_e32 v41, v4, v11
	v_cmp_eq_u32_e64 s4, 1, v7
	v_xor_b32_e32 v7, 8, v5
	v_cndmask_b32_e64 v4, v41, v4, s4
	v_cmp_gt_i32_e64 s25, 32, v7
	ds_bpermute_b32 v6, v6, v4
	v_cndmask_b32_e64 v7, v5, v7, s25
	v_lshlrev_b32_e32 v7, 2, v7
	s_waitcnt lgkmcnt(0)
	v_add_f32_e32 v4, v4, v6
	ds_bpermute_b32 v6, v7, v4
	v_xor_b32_e32 v7, 4, v5
	v_cmp_gt_i32_e64 s25, 32, v7
	v_cndmask_b32_e64 v7, v5, v7, s25
	v_lshlrev_b32_e32 v7, 2, v7
	s_waitcnt lgkmcnt(0)
	v_add_f32_e32 v4, v4, v6
	ds_bpermute_b32 v6, v7, v4
	v_xor_b32_e32 v7, 2, v5
	v_cmp_gt_i32_e64 s25, 32, v7
	;; [unrolled: 7-line block ×3, first 2 shown]
	v_cndmask_b32_e64 v5, v5, v7, s25
	v_lshlrev_b32_e32 v5, 2, v5
	s_waitcnt lgkmcnt(0)
	v_add_f32_e32 v4, v4, v6
	ds_bpermute_b32 v5, v5, v4
	v_cmpx_lt_i32_e32 0, v22
	s_cbranch_execz .LBB809_80
; %bb.63:
	v_add_co_u32 v0, s25, s28, v0
	s_waitcnt lgkmcnt(0)
	v_add_f32_e32 v4, v4, v5
	v_add_co_ci_u32_e64 v1, null, s29, v1, s25
	s_and_saveexec_b32 s25, vcc_lo
	s_cbranch_execnz .LBB809_81
; %bb.64:
	s_or_b32 exec_lo, exec_lo, s25
	s_and_saveexec_b32 s24, s0
	s_cbranch_execnz .LBB809_82
.LBB809_65:
	s_or_b32 exec_lo, exec_lo, s24
	s_and_saveexec_b32 s0, s1
	s_cbranch_execnz .LBB809_83
.LBB809_66:
	s_or_b32 exec_lo, exec_lo, s0
	s_and_saveexec_b32 s0, s2
	s_cbranch_execnz .LBB809_84
.LBB809_67:
	s_or_b32 exec_lo, exec_lo, s0
	s_and_saveexec_b32 s0, s3
	s_cbranch_execnz .LBB809_85
.LBB809_68:
	s_or_b32 exec_lo, exec_lo, s0
	s_and_saveexec_b32 s0, s6
	s_cbranch_execnz .LBB809_86
.LBB809_69:
	s_or_b32 exec_lo, exec_lo, s0
	s_and_saveexec_b32 s0, s7
	s_cbranch_execnz .LBB809_87
.LBB809_70:
	s_or_b32 exec_lo, exec_lo, s0
	s_and_saveexec_b32 s0, s8
	s_cbranch_execnz .LBB809_88
.LBB809_71:
	s_or_b32 exec_lo, exec_lo, s0
	s_and_saveexec_b32 s0, s9
	s_cbranch_execnz .LBB809_89
.LBB809_72:
	s_or_b32 exec_lo, exec_lo, s0
	s_and_saveexec_b32 s0, s11
	s_cbranch_execnz .LBB809_90
.LBB809_73:
	s_or_b32 exec_lo, exec_lo, s0
	s_and_saveexec_b32 s0, s12
	s_cbranch_execnz .LBB809_91
.LBB809_74:
	s_or_b32 exec_lo, exec_lo, s0
	s_and_saveexec_b32 s0, s13
	s_cbranch_execnz .LBB809_92
.LBB809_75:
	s_or_b32 exec_lo, exec_lo, s0
	s_and_saveexec_b32 s0, s14
	s_cbranch_execnz .LBB809_93
.LBB809_76:
	s_or_b32 exec_lo, exec_lo, s0
	s_and_saveexec_b32 s0, s15
	s_cbranch_execnz .LBB809_94
.LBB809_77:
	s_or_b32 exec_lo, exec_lo, s0
	s_and_saveexec_b32 s0, s16
	s_cbranch_execnz .LBB809_95
.LBB809_78:
	s_or_b32 exec_lo, exec_lo, s0
	s_and_b32 exec_lo, exec_lo, s17
	s_cbranch_execz .LBB809_80
.LBB809_79:
	v_fma_f32 v2, -v4, v8, v11
	v_cndmask_b32_e64 v2, v2, 0, s4
	global_store_dword v[0:1], v2, off offset:1920
.LBB809_80:
	s_endpgm
.LBB809_81:
	v_fma_f32 v5, -v4, v20, v23
	v_cndmask_b32_e64 v5, v5, 0, s24
	global_store_dword v[0:1], v5, off
	s_or_b32 exec_lo, exec_lo, s25
	s_and_saveexec_b32 s24, s0
	s_cbranch_execz .LBB809_65
.LBB809_82:
	global_load_ubyte v5, v[2:3], off offset:32
	v_fma_f32 v6, -v4, v27, v25
	s_waitcnt vmcnt(0)
	v_and_b32_e32 v5, 1, v5
	v_cmp_eq_u32_e32 vcc_lo, 1, v5
	v_cndmask_b32_e64 v5, v6, 0, vcc_lo
	global_store_dword v[0:1], v5, off offset:128
	s_or_b32 exec_lo, exec_lo, s24
	s_and_saveexec_b32 s0, s1
	s_cbranch_execz .LBB809_66
.LBB809_83:
	global_load_ubyte v5, v[2:3], off offset:64
	v_fma_f32 v6, -v4, v28, v26
	s_waitcnt vmcnt(0)
	v_and_b32_e32 v5, 1, v5
	v_cmp_eq_u32_e32 vcc_lo, 1, v5
	v_cndmask_b32_e64 v5, v6, 0, vcc_lo
	global_store_dword v[0:1], v5, off offset:256
	s_or_b32 exec_lo, exec_lo, s0
	s_and_saveexec_b32 s0, s2
	s_cbranch_execz .LBB809_67
.LBB809_84:
	global_load_ubyte v5, v[2:3], off offset:96
	v_fma_f32 v6, -v4, v29, v24
	s_waitcnt vmcnt(0)
	v_and_b32_e32 v5, 1, v5
	v_cmp_eq_u32_e32 vcc_lo, 1, v5
	v_cndmask_b32_e64 v5, v6, 0, vcc_lo
	global_store_dword v[0:1], v5, off offset:384
	s_or_b32 exec_lo, exec_lo, s0
	s_and_saveexec_b32 s0, s3
	s_cbranch_execz .LBB809_68
.LBB809_85:
	global_load_ubyte v5, v[2:3], off offset:128
	v_fma_f32 v6, -v4, v30, v21
	s_waitcnt vmcnt(0)
	v_and_b32_e32 v5, 1, v5
	v_cmp_eq_u32_e32 vcc_lo, 1, v5
	v_cndmask_b32_e64 v5, v6, 0, vcc_lo
	global_store_dword v[0:1], v5, off offset:512
	s_or_b32 exec_lo, exec_lo, s0
	s_and_saveexec_b32 s0, s6
	s_cbranch_execz .LBB809_69
.LBB809_86:
	global_load_ubyte v5, v[2:3], off offset:160
	v_fma_f32 v6, -v4, v31, v19
	s_waitcnt vmcnt(0)
	v_and_b32_e32 v5, 1, v5
	v_cmp_eq_u32_e32 vcc_lo, 1, v5
	v_cndmask_b32_e64 v5, v6, 0, vcc_lo
	global_store_dword v[0:1], v5, off offset:640
	s_or_b32 exec_lo, exec_lo, s0
	s_and_saveexec_b32 s0, s7
	s_cbranch_execz .LBB809_70
.LBB809_87:
	global_load_ubyte v2, v[2:3], off offset:192
	v_fma_f32 v3, -v4, v32, v18
	s_waitcnt vmcnt(0)
	v_and_b32_e32 v2, 1, v2
	v_cmp_eq_u32_e32 vcc_lo, 1, v2
	v_cndmask_b32_e64 v2, v3, 0, vcc_lo
	global_store_dword v[0:1], v2, off offset:768
	s_or_b32 exec_lo, exec_lo, s0
	s_and_saveexec_b32 s0, s8
	s_cbranch_execz .LBB809_71
.LBB809_88:
	v_fma_f32 v2, -v4, v33, v17
	v_cndmask_b32_e64 v2, v2, 0, s23
	global_store_dword v[0:1], v2, off offset:896
	s_or_b32 exec_lo, exec_lo, s0
	s_and_saveexec_b32 s0, s9
	s_cbranch_execz .LBB809_72
.LBB809_89:
	v_fma_f32 v2, -v4, v34, v16
	v_cndmask_b32_e64 v2, v2, 0, s22
	global_store_dword v[0:1], v2, off offset:1024
	s_or_b32 exec_lo, exec_lo, s0
	s_and_saveexec_b32 s0, s11
	s_cbranch_execz .LBB809_73
.LBB809_90:
	v_fma_f32 v2, -v4, v35, v15
	v_cndmask_b32_e64 v2, v2, 0, s21
	global_store_dword v[0:1], v2, off offset:1152
	s_or_b32 exec_lo, exec_lo, s0
	s_and_saveexec_b32 s0, s12
	s_cbranch_execz .LBB809_74
.LBB809_91:
	v_fma_f32 v2, -v4, v36, v14
	v_cndmask_b32_e64 v2, v2, 0, s20
	global_store_dword v[0:1], v2, off offset:1280
	s_or_b32 exec_lo, exec_lo, s0
	s_and_saveexec_b32 s0, s13
	s_cbranch_execz .LBB809_75
.LBB809_92:
	v_fma_f32 v2, -v4, v37, v13
	v_cndmask_b32_e64 v2, v2, 0, s19
	global_store_dword v[0:1], v2, off offset:1408
	s_or_b32 exec_lo, exec_lo, s0
	s_and_saveexec_b32 s0, s14
	s_cbranch_execz .LBB809_76
.LBB809_93:
	v_fma_f32 v2, -v4, v38, v12
	v_cndmask_b32_e64 v2, v2, 0, s18
	global_store_dword v[0:1], v2, off offset:1536
	s_or_b32 exec_lo, exec_lo, s0
	s_and_saveexec_b32 s0, s15
	s_cbranch_execz .LBB809_77
.LBB809_94:
	v_fma_f32 v2, -v4, v39, v10
	v_cndmask_b32_e64 v2, v2, 0, s10
	global_store_dword v[0:1], v2, off offset:1664
	s_or_b32 exec_lo, exec_lo, s0
	s_and_saveexec_b32 s0, s16
	s_cbranch_execz .LBB809_78
.LBB809_95:
	v_fma_f32 v2, -v4, v40, v9
	v_cndmask_b32_e64 v2, v2, 0, s5
	global_store_dword v[0:1], v2, off offset:1792
	s_or_b32 exec_lo, exec_lo, s0
	s_and_b32 exec_lo, exec_lo, s17
	s_cbranch_execnz .LBB809_79
	s_branch .LBB809_80
	.section	.rodata,"a",@progbits
	.p2align	6, 0x0
	.amdhsa_kernel _ZN12_GLOBAL__N_121softmax_warp_backwardIfffLi9ELb0ELb1ELi32EEEvPT0_PKT_S5_iiiPKb
		.amdhsa_group_segment_fixed_size 0
		.amdhsa_private_segment_fixed_size 0
		.amdhsa_kernarg_size 304
		.amdhsa_user_sgpr_count 6
		.amdhsa_user_sgpr_private_segment_buffer 1
		.amdhsa_user_sgpr_dispatch_ptr 0
		.amdhsa_user_sgpr_queue_ptr 0
		.amdhsa_user_sgpr_kernarg_segment_ptr 1
		.amdhsa_user_sgpr_dispatch_id 0
		.amdhsa_user_sgpr_flat_scratch_init 0
		.amdhsa_user_sgpr_private_segment_size 0
		.amdhsa_wavefront_size32 1
		.amdhsa_uses_dynamic_stack 0
		.amdhsa_system_sgpr_private_segment_wavefront_offset 0
		.amdhsa_system_sgpr_workgroup_id_x 1
		.amdhsa_system_sgpr_workgroup_id_y 0
		.amdhsa_system_sgpr_workgroup_id_z 0
		.amdhsa_system_sgpr_workgroup_info 0
		.amdhsa_system_vgpr_workitem_id 1
		.amdhsa_next_free_vgpr 54
		.amdhsa_next_free_sgpr 32
		.amdhsa_reserve_vcc 1
		.amdhsa_reserve_flat_scratch 0
		.amdhsa_float_round_mode_32 0
		.amdhsa_float_round_mode_16_64 0
		.amdhsa_float_denorm_mode_32 3
		.amdhsa_float_denorm_mode_16_64 3
		.amdhsa_dx10_clamp 1
		.amdhsa_ieee_mode 1
		.amdhsa_fp16_overflow 0
		.amdhsa_workgroup_processor_mode 1
		.amdhsa_memory_ordered 1
		.amdhsa_forward_progress 1
		.amdhsa_shared_vgpr_count 0
		.amdhsa_exception_fp_ieee_invalid_op 0
		.amdhsa_exception_fp_denorm_src 0
		.amdhsa_exception_fp_ieee_div_zero 0
		.amdhsa_exception_fp_ieee_overflow 0
		.amdhsa_exception_fp_ieee_underflow 0
		.amdhsa_exception_fp_ieee_inexact 0
		.amdhsa_exception_int_div_zero 0
	.end_amdhsa_kernel
	.section	.text._ZN12_GLOBAL__N_121softmax_warp_backwardIfffLi9ELb0ELb1ELi32EEEvPT0_PKT_S5_iiiPKb,"axG",@progbits,_ZN12_GLOBAL__N_121softmax_warp_backwardIfffLi9ELb0ELb1ELi32EEEvPT0_PKT_S5_iiiPKb,comdat
.Lfunc_end809:
	.size	_ZN12_GLOBAL__N_121softmax_warp_backwardIfffLi9ELb0ELb1ELi32EEEvPT0_PKT_S5_iiiPKb, .Lfunc_end809-_ZN12_GLOBAL__N_121softmax_warp_backwardIfffLi9ELb0ELb1ELi32EEEvPT0_PKT_S5_iiiPKb
                                        ; -- End function
	.set _ZN12_GLOBAL__N_121softmax_warp_backwardIfffLi9ELb0ELb1ELi32EEEvPT0_PKT_S5_iiiPKb.num_vgpr, 54
	.set _ZN12_GLOBAL__N_121softmax_warp_backwardIfffLi9ELb0ELb1ELi32EEEvPT0_PKT_S5_iiiPKb.num_agpr, 0
	.set _ZN12_GLOBAL__N_121softmax_warp_backwardIfffLi9ELb0ELb1ELi32EEEvPT0_PKT_S5_iiiPKb.numbered_sgpr, 32
	.set _ZN12_GLOBAL__N_121softmax_warp_backwardIfffLi9ELb0ELb1ELi32EEEvPT0_PKT_S5_iiiPKb.num_named_barrier, 0
	.set _ZN12_GLOBAL__N_121softmax_warp_backwardIfffLi9ELb0ELb1ELi32EEEvPT0_PKT_S5_iiiPKb.private_seg_size, 0
	.set _ZN12_GLOBAL__N_121softmax_warp_backwardIfffLi9ELb0ELb1ELi32EEEvPT0_PKT_S5_iiiPKb.uses_vcc, 1
	.set _ZN12_GLOBAL__N_121softmax_warp_backwardIfffLi9ELb0ELb1ELi32EEEvPT0_PKT_S5_iiiPKb.uses_flat_scratch, 0
	.set _ZN12_GLOBAL__N_121softmax_warp_backwardIfffLi9ELb0ELb1ELi32EEEvPT0_PKT_S5_iiiPKb.has_dyn_sized_stack, 0
	.set _ZN12_GLOBAL__N_121softmax_warp_backwardIfffLi9ELb0ELb1ELi32EEEvPT0_PKT_S5_iiiPKb.has_recursion, 0
	.set _ZN12_GLOBAL__N_121softmax_warp_backwardIfffLi9ELb0ELb1ELi32EEEvPT0_PKT_S5_iiiPKb.has_indirect_call, 0
	.section	.AMDGPU.csdata,"",@progbits
; Kernel info:
; codeLenInByte = 3028
; TotalNumSgprs: 34
; NumVgprs: 54
; ScratchSize: 0
; MemoryBound: 0
; FloatMode: 240
; IeeeMode: 1
; LDSByteSize: 0 bytes/workgroup (compile time only)
; SGPRBlocks: 0
; VGPRBlocks: 6
; NumSGPRsForWavesPerEU: 34
; NumVGPRsForWavesPerEU: 54
; Occupancy: 16
; WaveLimiterHint : 0
; COMPUTE_PGM_RSRC2:SCRATCH_EN: 0
; COMPUTE_PGM_RSRC2:USER_SGPR: 6
; COMPUTE_PGM_RSRC2:TRAP_HANDLER: 0
; COMPUTE_PGM_RSRC2:TGID_X_EN: 1
; COMPUTE_PGM_RSRC2:TGID_Y_EN: 0
; COMPUTE_PGM_RSRC2:TGID_Z_EN: 0
; COMPUTE_PGM_RSRC2:TIDIG_COMP_CNT: 1
	.section	.text._ZN12_GLOBAL__N_121softmax_warp_backwardIfffLi10ELb0ELb1ELi64EEEvPT0_PKT_S5_iiiPKb,"axG",@progbits,_ZN12_GLOBAL__N_121softmax_warp_backwardIfffLi10ELb0ELb1ELi64EEEvPT0_PKT_S5_iiiPKb,comdat
	.globl	_ZN12_GLOBAL__N_121softmax_warp_backwardIfffLi10ELb0ELb1ELi64EEEvPT0_PKT_S5_iiiPKb ; -- Begin function _ZN12_GLOBAL__N_121softmax_warp_backwardIfffLi10ELb0ELb1ELi64EEEvPT0_PKT_S5_iiiPKb
	.p2align	8
	.type	_ZN12_GLOBAL__N_121softmax_warp_backwardIfffLi10ELb0ELb1ELi64EEEvPT0_PKT_S5_iiiPKb,@function
_ZN12_GLOBAL__N_121softmax_warp_backwardIfffLi10ELb0ELb1ELi64EEEvPT0_PKT_S5_iiiPKb: ; @_ZN12_GLOBAL__N_121softmax_warp_backwardIfffLi10ELb0ELb1ELi64EEEvPT0_PKT_S5_iiiPKb
; %bb.0:
	s_clause 0x1
	s_load_dword s0, s[4:5], 0x3c
	s_load_dwordx4 s[16:19], s[4:5], 0x18
	v_and_b32_e32 v9, 63, v0
	s_clause 0x1
	s_load_dwordx4 s[24:27], s[4:5], 0x0
	s_load_dwordx2 s[2:3], s[4:5], 0x10
	v_mov_b32_e32 v21, 0
	v_mov_b32_e32 v24, 0
	s_waitcnt lgkmcnt(0)
	s_lshr_b32 s0, s0, 16
	v_cmp_gt_i32_e32 vcc_lo, s18, v9
	v_mad_u64_u32 v[1:2], null, s6, s0, v[1:2]
	v_mad_u64_u32 v[3:4], null, v1, s17, v[9:10]
	v_sub_nc_u32_e32 v23, s16, v1
	v_cmp_lt_i32_e64 s11, 0, v23
	v_ashrrev_i32_e32 v4, 31, v3
	s_and_b32 s1, s11, vcc_lo
	v_lshlrev_b64 v[1:2], 2, v[3:4]
	v_add_co_u32 v7, s0, s26, v1
	v_add_co_ci_u32_e64 v8, null, s27, v2, s0
	v_add_co_u32 v5, s0, s2, v1
	v_add_co_ci_u32_e64 v6, null, s3, v2, s0
	s_and_saveexec_b32 s0, s1
	s_cbranch_execz .LBB810_2
; %bb.1:
	global_load_dword v24, v[7:8], off
	global_load_dword v21, v[5:6], off
.LBB810_2:
	s_or_b32 exec_lo, exec_lo, s0
	v_or_b32_e32 v10, 64, v9
	v_cmp_gt_i32_e64 s0, s18, v10
	s_and_b32 s1, s11, s0
	s_xor_b32 s1, s1, -1
	s_and_saveexec_b32 s2, s1
	s_xor_b32 s1, exec_lo, s2
                                        ; implicit-def: $vgpr10
                                        ; implicit-def: $vgpr12
                                        ; implicit-def: $vgpr13
                                        ; implicit-def: $vgpr14
                                        ; implicit-def: $vgpr15
                                        ; implicit-def: $vgpr16
                                        ; implicit-def: $vgpr17
                                        ; implicit-def: $vgpr18
                                        ; implicit-def: $vgpr19
                                        ; implicit-def: $vgpr20
                                        ; implicit-def: $vgpr22
                                        ; implicit-def: $vgpr25
                                        ; implicit-def: $vgpr27
                                        ; implicit-def: $vgpr26
                                        ; implicit-def: $vgpr11
; %bb.3:
	s_mov_b32 s2, 0
                                        ; implicit-def: $vgpr10
                                        ; implicit-def: $vgpr12
                                        ; implicit-def: $vgpr13
                                        ; implicit-def: $vgpr14
                                        ; implicit-def: $vgpr15
                                        ; implicit-def: $vgpr16
                                        ; implicit-def: $vgpr17
                                        ; implicit-def: $vgpr18
                                        ; implicit-def: $vgpr19
                                        ; implicit-def: $vgpr20
                                        ; implicit-def: $vgpr22
                                        ; implicit-def: $vgpr25
                                        ; implicit-def: $vgpr27
                                        ; implicit-def: $vgpr11
	v_mov_b32_e32 v26, s2
; %bb.4:
	s_or_saveexec_b32 s1, s1
	v_mov_b32_e32 v28, 0
	s_xor_b32 exec_lo, exec_lo, s1
	s_cbranch_execz .LBB810_6
; %bb.5:
	global_load_dword v26, v[7:8], off offset:256
	global_load_dword v28, v[5:6], off offset:256
.LBB810_6:
	s_or_b32 exec_lo, exec_lo, s1
	v_or_b32_e32 v29, 0x80, v9
	v_cmp_gt_i32_e64 s1, s18, v29
	s_and_b32 s2, s11, s1
	s_xor_b32 s2, s2, -1
	s_and_saveexec_b32 s3, s2
	s_xor_b32 s2, exec_lo, s3
; %bb.7:
	s_mov_b32 s3, 0
	v_mov_b32_e32 v27, s3
; %bb.8:
	s_or_saveexec_b32 s2, s2
	v_mov_b32_e32 v29, 0
	s_xor_b32 exec_lo, exec_lo, s2
	s_cbranch_execz .LBB810_10
; %bb.9:
	global_load_dword v27, v[7:8], off offset:512
	global_load_dword v29, v[5:6], off offset:512
.LBB810_10:
	s_or_b32 exec_lo, exec_lo, s2
	v_or_b32_e32 v30, 0xc0, v9
	v_cmp_gt_i32_e64 s2, s18, v30
	s_and_b32 s3, s11, s2
	s_xor_b32 s3, s3, -1
	s_and_saveexec_b32 s6, s3
	s_xor_b32 s3, exec_lo, s6
; %bb.11:
	s_mov_b32 s6, 0
	;; [unrolled: 19-line block ×7, first 2 shown]
	v_mov_b32_e32 v17, s12
; %bb.32:
	s_or_saveexec_b32 s12, s10
	v_mov_b32_e32 v35, 0
	s_xor_b32 exec_lo, exec_lo, s12
	s_cbranch_execz .LBB810_34
; %bb.33:
	v_add_co_u32 v35, s10, 0x800, v7
	v_add_co_ci_u32_e64 v36, null, 0, v8, s10
	v_add_co_u32 v37, s10, 0x800, v5
	v_add_co_ci_u32_e64 v38, null, 0, v6, s10
	global_load_dword v17, v[35:36], off
	global_load_dword v35, v[37:38], off
.LBB810_34:
	s_or_b32 exec_lo, exec_lo, s12
	v_or_b32_e32 v36, 0x240, v9
	v_cmp_gt_i32_e64 s10, s18, v36
	s_and_b32 s12, s11, s10
	s_xor_b32 s12, s12, -1
	s_and_saveexec_b32 s13, s12
	s_xor_b32 s12, exec_lo, s13
; %bb.35:
	s_mov_b32 s13, 0
	v_mov_b32_e32 v16, s13
; %bb.36:
	s_or_saveexec_b32 s13, s12
	v_mov_b32_e32 v36, 0
	s_xor_b32 exec_lo, exec_lo, s13
	s_cbranch_execz .LBB810_38
; %bb.37:
	v_add_co_u32 v36, s12, 0x800, v7
	v_add_co_ci_u32_e64 v37, null, 0, v8, s12
	v_add_co_u32 v38, s12, 0x800, v5
	v_add_co_ci_u32_e64 v39, null, 0, v6, s12
	global_load_dword v16, v[36:37], off offset:256
	global_load_dword v36, v[38:39], off offset:256
.LBB810_38:
	s_or_b32 exec_lo, exec_lo, s13
	v_or_b32_e32 v37, 0x280, v9
	v_cmp_gt_i32_e64 s12, s18, v37
	s_and_b32 s13, s11, s12
	s_xor_b32 s13, s13, -1
	s_and_saveexec_b32 s14, s13
	s_xor_b32 s13, exec_lo, s14
; %bb.39:
	s_mov_b32 s14, 0
	v_mov_b32_e32 v15, s14
; %bb.40:
	s_or_saveexec_b32 s14, s13
	v_mov_b32_e32 v37, 0
	s_xor_b32 exec_lo, exec_lo, s14
	s_cbranch_execz .LBB810_42
; %bb.41:
	v_add_co_u32 v37, s13, 0x800, v7
	v_add_co_ci_u32_e64 v38, null, 0, v8, s13
	v_add_co_u32 v39, s13, 0x800, v5
	v_add_co_ci_u32_e64 v40, null, 0, v6, s13
	global_load_dword v15, v[37:38], off offset:512
	global_load_dword v37, v[39:40], off offset:512
.LBB810_42:
	;; [unrolled: 23-line block ×6, first 2 shown]
	s_or_b32 exec_lo, exec_lo, s19
	v_or_b32_e32 v0, 0x3c0, v0
	v_cmp_gt_i32_e64 s17, s18, v0
	s_and_b32 s11, s11, s17
	s_xor_b32 s11, s11, -1
	s_and_saveexec_b32 s18, s11
	s_xor_b32 s11, exec_lo, s18
; %bb.59:
	s_mov_b32 s18, 0
                                        ; implicit-def: $vgpr7
                                        ; implicit-def: $vgpr5
	v_mov_b32_e32 v11, s18
; %bb.60:
	s_or_saveexec_b32 s18, s11
	v_mov_b32_e32 v41, 0
	s_xor_b32 exec_lo, exec_lo, s18
	s_cbranch_execz .LBB810_62
; %bb.61:
	v_add_co_u32 v7, s11, 0x800, v7
	v_add_co_ci_u32_e64 v8, null, 0, v8, s11
	v_add_co_u32 v5, s11, 0x800, v5
	v_add_co_ci_u32_e64 v6, null, 0, v6, s11
	global_load_dword v11, v[7:8], off offset:1792
	global_load_dword v41, v[5:6], off offset:1792
.LBB810_62:
	s_or_b32 exec_lo, exec_lo, s18
	s_load_dwordx2 s[4:5], s[4:5], 0x28
	s_waitcnt vmcnt(1)
	v_add_f32_e32 v53, 0, v24
	s_mov_b32 s26, exec_lo
	s_waitcnt lgkmcnt(0)
	v_add_co_u32 v3, s4, s4, v3
	v_add_co_ci_u32_e64 v4, null, s5, v4, s4
	s_clause 0xf
	global_load_ubyte v0, v[3:4], off
	global_load_ubyte v5, v[3:4], off offset:64
	global_load_ubyte v6, v[3:4], off offset:128
	;; [unrolled: 1-line block ×15, first 2 shown]
	s_waitcnt vmcnt(15)
	v_and_b32_e32 v0, 1, v0
	s_waitcnt vmcnt(14)
	v_and_b32_e32 v5, 1, v5
	v_cmp_eq_u32_e64 s22, 1, v0
	v_cmp_eq_u32_e64 s4, 1, v5
	s_waitcnt vmcnt(13)
	v_and_b32_e32 v5, 1, v6
	v_cndmask_b32_e64 v0, v53, 0, s22
	v_add_f32_e32 v53, v0, v26
	v_cndmask_b32_e64 v0, v53, v0, s4
	v_cmp_eq_u32_e64 s4, 1, v5
	s_waitcnt vmcnt(12)
	v_and_b32_e32 v5, 1, v7
	v_add_f32_e32 v6, v0, v27
	v_cndmask_b32_e64 v0, v6, v0, s4
	v_cmp_eq_u32_e64 s4, 1, v5
	s_waitcnt vmcnt(11)
	v_and_b32_e32 v5, 1, v8
	;; [unrolled: 5-line block ×7, first 2 shown]
	v_add_f32_e32 v6, v0, v17
	v_cmp_eq_u32_e64 s21, 1, v5
	s_waitcnt vmcnt(5)
	v_and_b32_e32 v5, 1, v47
	v_cndmask_b32_e64 v0, v6, v0, s4
	v_cmp_eq_u32_e64 s20, 1, v5
	s_waitcnt vmcnt(4)
	v_and_b32_e32 v5, 1, v48
	v_add_f32_e32 v6, v0, v16
	v_cmp_eq_u32_e64 s19, 1, v5
	v_cndmask_b32_e64 v0, v6, v0, s21
	s_waitcnt vmcnt(3)
	v_and_b32_e32 v5, 1, v49
	v_add_f32_e32 v6, v0, v15
	v_cmp_eq_u32_e64 s18, 1, v5
	s_waitcnt vmcnt(2)
	v_and_b32_e32 v5, 1, v50
	v_cndmask_b32_e64 v0, v6, v0, s20
	v_cmp_eq_u32_e64 s11, 1, v5
	v_mbcnt_lo_u32_b32 v5, -1, 0
	v_add_f32_e32 v6, v0, v14
	v_or_b32_e32 v8, 32, v5
	v_cndmask_b32_e64 v0, v6, v0, s19
	v_cmp_gt_i32_e64 s4, 64, v8
	v_add_f32_e32 v6, v0, v13
	v_cndmask_b32_e64 v0, v6, v0, s18
	v_add_f32_e32 v6, v0, v12
	v_cndmask_b32_e64 v0, v6, v0, s11
	s_waitcnt vmcnt(1)
	v_and_b32_e32 v6, 1, v51
	v_add_f32_e32 v7, v0, v10
	v_cmp_eq_u32_e64 s5, 1, v6
	v_cndmask_b32_e64 v6, v5, v8, s4
	v_cndmask_b32_e64 v0, v7, v0, s5
	s_waitcnt vmcnt(0)
	v_and_b32_e32 v7, 1, v52
	v_lshlrev_b32_e32 v6, 2, v6
	v_add_f32_e32 v8, v0, v11
	v_cmp_eq_u32_e64 s4, 1, v7
	v_xor_b32_e32 v7, 16, v5
	v_cndmask_b32_e64 v0, v8, v0, s4
	v_cmp_gt_i32_e64 s23, 64, v7
	ds_bpermute_b32 v6, v6, v0
	v_cndmask_b32_e64 v7, v5, v7, s23
	v_lshlrev_b32_e32 v7, 2, v7
	s_waitcnt lgkmcnt(0)
	v_add_f32_e32 v0, v0, v6
	ds_bpermute_b32 v6, v7, v0
	v_xor_b32_e32 v7, 8, v5
	v_cmp_gt_i32_e64 s23, 64, v7
	v_cndmask_b32_e64 v7, v5, v7, s23
	v_lshlrev_b32_e32 v7, 2, v7
	s_waitcnt lgkmcnt(0)
	v_add_f32_e32 v0, v0, v6
	ds_bpermute_b32 v6, v7, v0
	v_xor_b32_e32 v7, 4, v5
	v_cmp_gt_i32_e64 s23, 64, v7
	;; [unrolled: 7-line block ×4, first 2 shown]
	v_cndmask_b32_e64 v5, v5, v7, s23
	v_lshlrev_b32_e32 v5, 2, v5
	s_waitcnt lgkmcnt(0)
	v_add_f32_e32 v0, v0, v6
	ds_bpermute_b32 v5, v5, v0
	v_cmpx_lt_i32_e32 0, v23
	s_cbranch_execz .LBB810_80
; %bb.63:
	s_waitcnt lgkmcnt(0)
	v_add_f32_e32 v5, v0, v5
	v_add_co_u32 v0, s23, s24, v1
	v_add_co_ci_u32_e64 v1, null, s25, v2, s23
	s_and_saveexec_b32 s23, vcc_lo
	s_cbranch_execnz .LBB810_81
; %bb.64:
	s_or_b32 exec_lo, exec_lo, s23
	s_and_saveexec_b32 s22, s0
	s_cbranch_execnz .LBB810_82
.LBB810_65:
	s_or_b32 exec_lo, exec_lo, s22
	s_and_saveexec_b32 s0, s1
	s_cbranch_execnz .LBB810_83
.LBB810_66:
	s_or_b32 exec_lo, exec_lo, s0
	s_and_saveexec_b32 s0, s2
	s_cbranch_execnz .LBB810_84
.LBB810_67:
	s_or_b32 exec_lo, exec_lo, s0
	s_and_saveexec_b32 s0, s3
	s_cbranch_execnz .LBB810_85
.LBB810_68:
	s_or_b32 exec_lo, exec_lo, s0
	s_and_saveexec_b32 s0, s6
	s_cbranch_execnz .LBB810_86
.LBB810_69:
	s_or_b32 exec_lo, exec_lo, s0
	s_and_saveexec_b32 s0, s7
	s_cbranch_execnz .LBB810_87
.LBB810_70:
	s_or_b32 exec_lo, exec_lo, s0
	s_and_saveexec_b32 s0, s8
	s_cbranch_execnz .LBB810_88
.LBB810_71:
	s_or_b32 exec_lo, exec_lo, s0
	s_and_saveexec_b32 s0, s9
	s_cbranch_execnz .LBB810_89
.LBB810_72:
	s_or_b32 exec_lo, exec_lo, s0
	s_and_saveexec_b32 s0, s10
	s_cbranch_execnz .LBB810_90
.LBB810_73:
	s_or_b32 exec_lo, exec_lo, s0
	s_and_saveexec_b32 s0, s12
	s_cbranch_execnz .LBB810_91
.LBB810_74:
	s_or_b32 exec_lo, exec_lo, s0
	s_and_saveexec_b32 s0, s13
	s_cbranch_execnz .LBB810_92
.LBB810_75:
	s_or_b32 exec_lo, exec_lo, s0
	s_and_saveexec_b32 s0, s14
	s_cbranch_execnz .LBB810_93
.LBB810_76:
	s_or_b32 exec_lo, exec_lo, s0
	s_and_saveexec_b32 s0, s15
	s_cbranch_execnz .LBB810_94
.LBB810_77:
	s_or_b32 exec_lo, exec_lo, s0
	s_and_saveexec_b32 s0, s16
	s_cbranch_execnz .LBB810_95
.LBB810_78:
	s_or_b32 exec_lo, exec_lo, s0
	s_and_b32 exec_lo, exec_lo, s17
	s_cbranch_execz .LBB810_80
.LBB810_79:
	v_fma_f32 v2, -v5, v41, v11
	v_add_co_u32 v0, vcc_lo, 0x800, v0
	v_add_co_ci_u32_e64 v1, null, 0, v1, vcc_lo
	v_cndmask_b32_e64 v2, v2, 0, s4
	global_store_dword v[0:1], v2, off offset:1792
.LBB810_80:
	s_endpgm
.LBB810_81:
	v_fma_f32 v2, -v5, v21, v24
	v_cndmask_b32_e64 v2, v2, 0, s22
	global_store_dword v[0:1], v2, off
	s_or_b32 exec_lo, exec_lo, s23
	s_and_saveexec_b32 s22, s0
	s_cbranch_execz .LBB810_65
.LBB810_82:
	global_load_ubyte v2, v[3:4], off offset:64
	v_fma_f32 v6, -v5, v28, v26
	s_waitcnt vmcnt(0)
	v_and_b32_e32 v2, 1, v2
	v_cmp_eq_u32_e32 vcc_lo, 1, v2
	v_cndmask_b32_e64 v2, v6, 0, vcc_lo
	global_store_dword v[0:1], v2, off offset:256
	s_or_b32 exec_lo, exec_lo, s22
	s_and_saveexec_b32 s0, s1
	s_cbranch_execz .LBB810_66
.LBB810_83:
	global_load_ubyte v2, v[3:4], off offset:128
	v_fma_f32 v6, -v5, v29, v27
	s_waitcnt vmcnt(0)
	v_and_b32_e32 v2, 1, v2
	v_cmp_eq_u32_e32 vcc_lo, 1, v2
	v_cndmask_b32_e64 v2, v6, 0, vcc_lo
	global_store_dword v[0:1], v2, off offset:512
	s_or_b32 exec_lo, exec_lo, s0
	s_and_saveexec_b32 s0, s2
	s_cbranch_execz .LBB810_67
.LBB810_84:
	global_load_ubyte v2, v[3:4], off offset:192
	v_fma_f32 v6, -v5, v30, v25
	s_waitcnt vmcnt(0)
	v_and_b32_e32 v2, 1, v2
	v_cmp_eq_u32_e32 vcc_lo, 1, v2
	v_cndmask_b32_e64 v2, v6, 0, vcc_lo
	global_store_dword v[0:1], v2, off offset:768
	s_or_b32 exec_lo, exec_lo, s0
	s_and_saveexec_b32 s0, s3
	s_cbranch_execz .LBB810_68
.LBB810_85:
	global_load_ubyte v2, v[3:4], off offset:256
	v_fma_f32 v6, -v5, v31, v22
	s_waitcnt vmcnt(0)
	v_and_b32_e32 v2, 1, v2
	v_cmp_eq_u32_e32 vcc_lo, 1, v2
	v_cndmask_b32_e64 v2, v6, 0, vcc_lo
	global_store_dword v[0:1], v2, off offset:1024
	s_or_b32 exec_lo, exec_lo, s0
	s_and_saveexec_b32 s0, s6
	s_cbranch_execz .LBB810_69
.LBB810_86:
	global_load_ubyte v2, v[3:4], off offset:320
	v_fma_f32 v6, -v5, v32, v20
	s_waitcnt vmcnt(0)
	v_and_b32_e32 v2, 1, v2
	v_cmp_eq_u32_e32 vcc_lo, 1, v2
	v_cndmask_b32_e64 v2, v6, 0, vcc_lo
	global_store_dword v[0:1], v2, off offset:1280
	s_or_b32 exec_lo, exec_lo, s0
	s_and_saveexec_b32 s0, s7
	s_cbranch_execz .LBB810_70
.LBB810_87:
	global_load_ubyte v2, v[3:4], off offset:384
	v_fma_f32 v6, -v5, v33, v19
	s_waitcnt vmcnt(0)
	v_and_b32_e32 v2, 1, v2
	v_cmp_eq_u32_e32 vcc_lo, 1, v2
	v_cndmask_b32_e64 v2, v6, 0, vcc_lo
	global_store_dword v[0:1], v2, off offset:1536
	s_or_b32 exec_lo, exec_lo, s0
	s_and_saveexec_b32 s0, s8
	s_cbranch_execz .LBB810_71
.LBB810_88:
	global_load_ubyte v2, v[3:4], off offset:448
	v_fma_f32 v6, -v5, v34, v18
	s_waitcnt vmcnt(0)
	v_and_b32_e32 v2, 1, v2
	v_cmp_eq_u32_e32 vcc_lo, 1, v2
	v_cndmask_b32_e64 v2, v6, 0, vcc_lo
	global_store_dword v[0:1], v2, off offset:1792
	s_or_b32 exec_lo, exec_lo, s0
	s_and_saveexec_b32 s0, s9
	s_cbranch_execz .LBB810_72
.LBB810_89:
	global_load_ubyte v2, v[3:4], off offset:512
	v_fma_f32 v3, -v5, v35, v17
	s_waitcnt vmcnt(0)
	v_and_b32_e32 v2, 1, v2
	v_cmp_eq_u32_e32 vcc_lo, 1, v2
	v_cndmask_b32_e64 v4, v3, 0, vcc_lo
	v_add_co_u32 v2, vcc_lo, 0x800, v0
	v_add_co_ci_u32_e64 v3, null, 0, v1, vcc_lo
	global_store_dword v[2:3], v4, off
	s_or_b32 exec_lo, exec_lo, s0
	s_and_saveexec_b32 s0, s10
	s_cbranch_execz .LBB810_73
.LBB810_90:
	v_fma_f32 v2, -v5, v36, v16
	v_cndmask_b32_e64 v4, v2, 0, s21
	v_add_co_u32 v2, vcc_lo, 0x800, v0
	v_add_co_ci_u32_e64 v3, null, 0, v1, vcc_lo
	global_store_dword v[2:3], v4, off offset:256
	s_or_b32 exec_lo, exec_lo, s0
	s_and_saveexec_b32 s0, s12
	s_cbranch_execz .LBB810_74
.LBB810_91:
	v_fma_f32 v2, -v5, v37, v15
	v_cndmask_b32_e64 v4, v2, 0, s20
	v_add_co_u32 v2, vcc_lo, 0x800, v0
	v_add_co_ci_u32_e64 v3, null, 0, v1, vcc_lo
	global_store_dword v[2:3], v4, off offset:512
	s_or_b32 exec_lo, exec_lo, s0
	s_and_saveexec_b32 s0, s13
	s_cbranch_execz .LBB810_75
.LBB810_92:
	v_fma_f32 v2, -v5, v38, v14
	v_cndmask_b32_e64 v4, v2, 0, s19
	v_add_co_u32 v2, vcc_lo, 0x800, v0
	v_add_co_ci_u32_e64 v3, null, 0, v1, vcc_lo
	global_store_dword v[2:3], v4, off offset:768
	s_or_b32 exec_lo, exec_lo, s0
	s_and_saveexec_b32 s0, s14
	s_cbranch_execz .LBB810_76
.LBB810_93:
	v_fma_f32 v2, -v5, v39, v13
	v_cndmask_b32_e64 v4, v2, 0, s18
	v_add_co_u32 v2, vcc_lo, 0x800, v0
	v_add_co_ci_u32_e64 v3, null, 0, v1, vcc_lo
	global_store_dword v[2:3], v4, off offset:1024
	s_or_b32 exec_lo, exec_lo, s0
	s_and_saveexec_b32 s0, s15
	s_cbranch_execz .LBB810_77
.LBB810_94:
	v_fma_f32 v2, -v5, v40, v12
	v_cndmask_b32_e64 v4, v2, 0, s11
	v_add_co_u32 v2, vcc_lo, 0x800, v0
	v_add_co_ci_u32_e64 v3, null, 0, v1, vcc_lo
	global_store_dword v[2:3], v4, off offset:1280
	s_or_b32 exec_lo, exec_lo, s0
	s_and_saveexec_b32 s0, s16
	s_cbranch_execz .LBB810_78
.LBB810_95:
	v_fma_f32 v2, -v5, v9, v10
	v_cndmask_b32_e64 v4, v2, 0, s5
	v_add_co_u32 v2, vcc_lo, 0x800, v0
	v_add_co_ci_u32_e64 v3, null, 0, v1, vcc_lo
	global_store_dword v[2:3], v4, off offset:1536
	s_or_b32 exec_lo, exec_lo, s0
	s_and_b32 exec_lo, exec_lo, s17
	s_cbranch_execnz .LBB810_79
	s_branch .LBB810_80
	.section	.rodata,"a",@progbits
	.p2align	6, 0x0
	.amdhsa_kernel _ZN12_GLOBAL__N_121softmax_warp_backwardIfffLi10ELb0ELb1ELi64EEEvPT0_PKT_S5_iiiPKb
		.amdhsa_group_segment_fixed_size 0
		.amdhsa_private_segment_fixed_size 0
		.amdhsa_kernarg_size 304
		.amdhsa_user_sgpr_count 6
		.amdhsa_user_sgpr_private_segment_buffer 1
		.amdhsa_user_sgpr_dispatch_ptr 0
		.amdhsa_user_sgpr_queue_ptr 0
		.amdhsa_user_sgpr_kernarg_segment_ptr 1
		.amdhsa_user_sgpr_dispatch_id 0
		.amdhsa_user_sgpr_flat_scratch_init 0
		.amdhsa_user_sgpr_private_segment_size 0
		.amdhsa_wavefront_size32 1
		.amdhsa_uses_dynamic_stack 0
		.amdhsa_system_sgpr_private_segment_wavefront_offset 0
		.amdhsa_system_sgpr_workgroup_id_x 1
		.amdhsa_system_sgpr_workgroup_id_y 0
		.amdhsa_system_sgpr_workgroup_id_z 0
		.amdhsa_system_sgpr_workgroup_info 0
		.amdhsa_system_vgpr_workitem_id 1
		.amdhsa_next_free_vgpr 54
		.amdhsa_next_free_sgpr 28
		.amdhsa_reserve_vcc 1
		.amdhsa_reserve_flat_scratch 0
		.amdhsa_float_round_mode_32 0
		.amdhsa_float_round_mode_16_64 0
		.amdhsa_float_denorm_mode_32 3
		.amdhsa_float_denorm_mode_16_64 3
		.amdhsa_dx10_clamp 1
		.amdhsa_ieee_mode 1
		.amdhsa_fp16_overflow 0
		.amdhsa_workgroup_processor_mode 1
		.amdhsa_memory_ordered 1
		.amdhsa_forward_progress 1
		.amdhsa_shared_vgpr_count 0
		.amdhsa_exception_fp_ieee_invalid_op 0
		.amdhsa_exception_fp_denorm_src 0
		.amdhsa_exception_fp_ieee_div_zero 0
		.amdhsa_exception_fp_ieee_overflow 0
		.amdhsa_exception_fp_ieee_underflow 0
		.amdhsa_exception_fp_ieee_inexact 0
		.amdhsa_exception_int_div_zero 0
	.end_amdhsa_kernel
	.section	.text._ZN12_GLOBAL__N_121softmax_warp_backwardIfffLi10ELb0ELb1ELi64EEEvPT0_PKT_S5_iiiPKb,"axG",@progbits,_ZN12_GLOBAL__N_121softmax_warp_backwardIfffLi10ELb0ELb1ELi64EEEvPT0_PKT_S5_iiiPKb,comdat
.Lfunc_end810:
	.size	_ZN12_GLOBAL__N_121softmax_warp_backwardIfffLi10ELb0ELb1ELi64EEEvPT0_PKT_S5_iiiPKb, .Lfunc_end810-_ZN12_GLOBAL__N_121softmax_warp_backwardIfffLi10ELb0ELb1ELi64EEEvPT0_PKT_S5_iiiPKb
                                        ; -- End function
	.set _ZN12_GLOBAL__N_121softmax_warp_backwardIfffLi10ELb0ELb1ELi64EEEvPT0_PKT_S5_iiiPKb.num_vgpr, 54
	.set _ZN12_GLOBAL__N_121softmax_warp_backwardIfffLi10ELb0ELb1ELi64EEEvPT0_PKT_S5_iiiPKb.num_agpr, 0
	.set _ZN12_GLOBAL__N_121softmax_warp_backwardIfffLi10ELb0ELb1ELi64EEEvPT0_PKT_S5_iiiPKb.numbered_sgpr, 28
	.set _ZN12_GLOBAL__N_121softmax_warp_backwardIfffLi10ELb0ELb1ELi64EEEvPT0_PKT_S5_iiiPKb.num_named_barrier, 0
	.set _ZN12_GLOBAL__N_121softmax_warp_backwardIfffLi10ELb0ELb1ELi64EEEvPT0_PKT_S5_iiiPKb.private_seg_size, 0
	.set _ZN12_GLOBAL__N_121softmax_warp_backwardIfffLi10ELb0ELb1ELi64EEEvPT0_PKT_S5_iiiPKb.uses_vcc, 1
	.set _ZN12_GLOBAL__N_121softmax_warp_backwardIfffLi10ELb0ELb1ELi64EEEvPT0_PKT_S5_iiiPKb.uses_flat_scratch, 0
	.set _ZN12_GLOBAL__N_121softmax_warp_backwardIfffLi10ELb0ELb1ELi64EEEvPT0_PKT_S5_iiiPKb.has_dyn_sized_stack, 0
	.set _ZN12_GLOBAL__N_121softmax_warp_backwardIfffLi10ELb0ELb1ELi64EEEvPT0_PKT_S5_iiiPKb.has_recursion, 0
	.set _ZN12_GLOBAL__N_121softmax_warp_backwardIfffLi10ELb0ELb1ELi64EEEvPT0_PKT_S5_iiiPKb.has_indirect_call, 0
	.section	.AMDGPU.csdata,"",@progbits
; Kernel info:
; codeLenInByte = 3592
; TotalNumSgprs: 30
; NumVgprs: 54
; ScratchSize: 0
; MemoryBound: 0
; FloatMode: 240
; IeeeMode: 1
; LDSByteSize: 0 bytes/workgroup (compile time only)
; SGPRBlocks: 0
; VGPRBlocks: 6
; NumSGPRsForWavesPerEU: 30
; NumVGPRsForWavesPerEU: 54
; Occupancy: 16
; WaveLimiterHint : 0
; COMPUTE_PGM_RSRC2:SCRATCH_EN: 0
; COMPUTE_PGM_RSRC2:USER_SGPR: 6
; COMPUTE_PGM_RSRC2:TRAP_HANDLER: 0
; COMPUTE_PGM_RSRC2:TGID_X_EN: 1
; COMPUTE_PGM_RSRC2:TGID_Y_EN: 0
; COMPUTE_PGM_RSRC2:TGID_Z_EN: 0
; COMPUTE_PGM_RSRC2:TIDIG_COMP_CNT: 1
	.section	.text._ZN12_GLOBAL__N_121softmax_warp_backwardIfffLi10ELb0ELb1ELi32EEEvPT0_PKT_S5_iiiPKb,"axG",@progbits,_ZN12_GLOBAL__N_121softmax_warp_backwardIfffLi10ELb0ELb1ELi32EEEvPT0_PKT_S5_iiiPKb,comdat
	.globl	_ZN12_GLOBAL__N_121softmax_warp_backwardIfffLi10ELb0ELb1ELi32EEEvPT0_PKT_S5_iiiPKb ; -- Begin function _ZN12_GLOBAL__N_121softmax_warp_backwardIfffLi10ELb0ELb1ELi32EEEvPT0_PKT_S5_iiiPKb
	.p2align	8
	.type	_ZN12_GLOBAL__N_121softmax_warp_backwardIfffLi10ELb0ELb1ELi32EEEvPT0_PKT_S5_iiiPKb,@function
_ZN12_GLOBAL__N_121softmax_warp_backwardIfffLi10ELb0ELb1ELi32EEEvPT0_PKT_S5_iiiPKb: ; @_ZN12_GLOBAL__N_121softmax_warp_backwardIfffLi10ELb0ELb1ELi32EEEvPT0_PKT_S5_iiiPKb
; %bb.0:
	s_clause 0x1
	s_load_dword s0, s[4:5], 0x3c
	s_load_dwordx4 s[36:39], s[4:5], 0x18
	v_and_b32_e32 v9, 31, v0
	s_clause 0x1
	s_load_dwordx4 s[44:47], s[4:5], 0x0
	s_load_dwordx2 s[2:3], s[4:5], 0x10
	v_mov_b32_e32 v36, 0
	v_mov_b32_e32 v38, 0
	s_waitcnt lgkmcnt(0)
	s_lshr_b32 s0, s0, 16
	v_cmp_gt_i32_e32 vcc_lo, s38, v9
	v_mad_u64_u32 v[1:2], null, s6, s0, v[1:2]
	v_mad_u64_u32 v[3:4], null, v1, s37, v[9:10]
	v_sub_nc_u32_e32 v37, s36, v1
	v_cmp_lt_i32_e64 s20, 0, v37
	v_ashrrev_i32_e32 v4, 31, v3
	s_and_b32 s1, s20, vcc_lo
	v_lshlrev_b64 v[1:2], 2, v[3:4]
	v_add_co_u32 v7, s0, s46, v1
	v_add_co_ci_u32_e64 v8, null, s47, v2, s0
	v_add_co_u32 v5, s0, s2, v1
	v_add_co_ci_u32_e64 v6, null, s3, v2, s0
	s_and_saveexec_b32 s0, s1
	s_cbranch_execz .LBB811_2
; %bb.1:
	global_load_dword v38, v[7:8], off
	global_load_dword v36, v[5:6], off
.LBB811_2:
	s_or_b32 exec_lo, exec_lo, s0
	v_or_b32_e32 v10, 32, v9
	v_cmp_gt_i32_e64 s0, s38, v10
	s_and_b32 s1, s20, s0
	s_xor_b32 s1, s1, -1
	s_mov_b32 s2, exec_lo
	s_and_b32 s3, s2, s1
                                        ; implicit-def: $vgpr10
                                        ; implicit-def: $vgpr11
                                        ; implicit-def: $vgpr12
                                        ; implicit-def: $vgpr14
                                        ; implicit-def: $vgpr15
                                        ; implicit-def: $vgpr16
                                        ; implicit-def: $vgpr17
                                        ; implicit-def: $vgpr18
                                        ; implicit-def: $vgpr19
                                        ; implicit-def: $vgpr20
                                        ; implicit-def: $vgpr21
                                        ; implicit-def: $vgpr22
                                        ; implicit-def: $vgpr23
                                        ; implicit-def: $vgpr24
                                        ; implicit-def: $vgpr25
                                        ; implicit-def: $vgpr26
                                        ; implicit-def: $vgpr27
                                        ; implicit-def: $vgpr28
                                        ; implicit-def: $vgpr29
                                        ; implicit-def: $vgpr30
                                        ; implicit-def: $vgpr31
                                        ; implicit-def: $vgpr32
                                        ; implicit-def: $vgpr33
                                        ; implicit-def: $vgpr34
                                        ; implicit-def: $vgpr35
                                        ; implicit-def: $vgpr39
                                        ; implicit-def: $vgpr40
                                        ; implicit-def: $vgpr41
                                        ; implicit-def: $vgpr43
                                        ; implicit-def: $vgpr42
                                        ; implicit-def: $vgpr13
	s_xor_b32 s1, s3, s2
	s_mov_b32 exec_lo, s3
; %bb.3:
	s_mov_b32 s2, 0
                                        ; implicit-def: $vgpr10
                                        ; implicit-def: $vgpr11
                                        ; implicit-def: $vgpr12
                                        ; implicit-def: $vgpr14
                                        ; implicit-def: $vgpr15
                                        ; implicit-def: $vgpr16
                                        ; implicit-def: $vgpr17
                                        ; implicit-def: $vgpr18
                                        ; implicit-def: $vgpr19
                                        ; implicit-def: $vgpr20
                                        ; implicit-def: $vgpr21
                                        ; implicit-def: $vgpr22
                                        ; implicit-def: $vgpr23
                                        ; implicit-def: $vgpr24
                                        ; implicit-def: $vgpr25
                                        ; implicit-def: $vgpr26
                                        ; implicit-def: $vgpr27
                                        ; implicit-def: $vgpr28
                                        ; implicit-def: $vgpr29
                                        ; implicit-def: $vgpr30
                                        ; implicit-def: $vgpr31
                                        ; implicit-def: $vgpr32
                                        ; implicit-def: $vgpr33
                                        ; implicit-def: $vgpr34
                                        ; implicit-def: $vgpr35
                                        ; implicit-def: $vgpr39
                                        ; implicit-def: $vgpr40
                                        ; implicit-def: $vgpr41
                                        ; implicit-def: $vgpr43
                                        ; implicit-def: $vgpr13
	v_mov_b32_e32 v42, s2
; %bb.4:
	s_or_saveexec_b32 s1, s1
	v_mov_b32_e32 v44, 0
	s_xor_b32 exec_lo, exec_lo, s1
	s_cbranch_execz .LBB811_6
; %bb.5:
	global_load_dword v42, v[7:8], off offset:128
	global_load_dword v44, v[5:6], off offset:128
.LBB811_6:
	s_or_b32 exec_lo, exec_lo, s1
	v_or_b32_e32 v45, 64, v9
	v_cmp_gt_i32_e64 s1, s38, v45
	s_and_b32 s2, s20, s1
	s_xor_b32 s2, s2, -1
	s_and_saveexec_b32 s3, s2
	s_xor_b32 s2, exec_lo, s3
; %bb.7:
	s_mov_b32 s3, 0
	v_mov_b32_e32 v43, s3
; %bb.8:
	s_or_saveexec_b32 s2, s2
	v_mov_b32_e32 v45, 0
	s_xor_b32 exec_lo, exec_lo, s2
	s_cbranch_execz .LBB811_10
; %bb.9:
	global_load_dword v43, v[7:8], off offset:256
	global_load_dword v45, v[5:6], off offset:256
.LBB811_10:
	s_or_b32 exec_lo, exec_lo, s2
	v_or_b32_e32 v46, 0x60, v9
	v_cmp_gt_i32_e64 s2, s38, v46
	s_and_b32 s3, s20, s2
	s_xor_b32 s3, s3, -1
	s_and_saveexec_b32 s6, s3
	s_xor_b32 s3, exec_lo, s6
; %bb.11:
	s_mov_b32 s6, 0
	;; [unrolled: 19-line block ×15, first 2 shown]
	v_mov_b32_e32 v25, s19
; %bb.64:
	s_or_saveexec_b32 s19, s18
	v_mov_b32_e32 v59, 0
	s_xor_b32 exec_lo, exec_lo, s19
	s_cbranch_execz .LBB811_66
; %bb.65:
	v_add_co_u32 v59, s18, 0x800, v7
	v_add_co_ci_u32_e64 v60, null, 0, v8, s18
	v_add_co_u32 v61, s18, 0x800, v5
	v_add_co_ci_u32_e64 v62, null, 0, v6, s18
	global_load_dword v25, v[59:60], off
	global_load_dword v59, v[61:62], off
.LBB811_66:
	s_or_b32 exec_lo, exec_lo, s19
	v_or_b32_e32 v60, 0x220, v9
	v_cmp_gt_i32_e64 s18, s38, v60
	s_and_b32 s19, s20, s18
	s_xor_b32 s19, s19, -1
	s_and_saveexec_b32 s21, s19
	s_xor_b32 s19, exec_lo, s21
; %bb.67:
	s_mov_b32 s21, 0
	v_mov_b32_e32 v24, s21
; %bb.68:
	s_or_saveexec_b32 s21, s19
	v_mov_b32_e32 v60, 0
	s_xor_b32 exec_lo, exec_lo, s21
	s_cbranch_execz .LBB811_70
; %bb.69:
	v_add_co_u32 v60, s19, 0x800, v7
	v_add_co_ci_u32_e64 v61, null, 0, v8, s19
	v_add_co_u32 v62, s19, 0x800, v5
	v_add_co_ci_u32_e64 v63, null, 0, v6, s19
	global_load_dword v24, v[60:61], off offset:128
	global_load_dword v60, v[62:63], off offset:128
.LBB811_70:
	s_or_b32 exec_lo, exec_lo, s21
	v_or_b32_e32 v61, 0x240, v9
	v_cmp_gt_i32_e64 s19, s38, v61
	s_and_b32 s21, s20, s19
	s_xor_b32 s21, s21, -1
	s_and_saveexec_b32 s22, s21
	s_xor_b32 s21, exec_lo, s22
; %bb.71:
	s_mov_b32 s22, 0
	v_mov_b32_e32 v23, s22
; %bb.72:
	s_or_saveexec_b32 s22, s21
	v_mov_b32_e32 v61, 0
	s_xor_b32 exec_lo, exec_lo, s22
	s_cbranch_execz .LBB811_74
; %bb.73:
	v_add_co_u32 v61, s21, 0x800, v7
	v_add_co_ci_u32_e64 v62, null, 0, v8, s21
	global_load_dword v23, v[61:62], off offset:256
	v_add_co_u32 v61, s21, 0x800, v5
	v_add_co_ci_u32_e64 v62, null, 0, v6, s21
	global_load_dword v61, v[61:62], off offset:256
.LBB811_74:
	s_or_b32 exec_lo, exec_lo, s22
	v_or_b32_e32 v62, 0x260, v9
	v_cmp_gt_i32_e64 s21, s38, v62
	s_and_b32 s22, s20, s21
	s_xor_b32 s22, s22, -1
	s_and_saveexec_b32 s23, s22
	s_xor_b32 s22, exec_lo, s23
; %bb.75:
	s_mov_b32 s23, 0
	v_mov_b32_e32 v22, s23
; %bb.76:
	s_or_saveexec_b32 s23, s22
	v_mov_b32_e32 v62, 0
	s_xor_b32 exec_lo, exec_lo, s23
	s_cbranch_execz .LBB811_78
; %bb.77:
	v_add_co_u32 v62, s22, 0x800, v7
	v_add_co_ci_u32_e64 v63, null, 0, v8, s22
	v_add_co_u32 v64, s22, 0x800, v5
	v_add_co_ci_u32_e64 v65, null, 0, v6, s22
	global_load_dword v22, v[62:63], off offset:384
	global_load_dword v62, v[64:65], off offset:384
.LBB811_78:
	s_or_b32 exec_lo, exec_lo, s23
	v_or_b32_e32 v63, 0x280, v9
	v_cmp_gt_i32_e64 s22, s38, v63
	s_and_b32 s23, s20, s22
	s_xor_b32 s23, s23, -1
	s_and_saveexec_b32 s24, s23
	s_xor_b32 s23, exec_lo, s24
; %bb.79:
	s_mov_b32 s24, 0
	v_mov_b32_e32 v21, s24
; %bb.80:
	s_or_saveexec_b32 s24, s23
	v_mov_b32_e32 v63, 0
	s_xor_b32 exec_lo, exec_lo, s24
	s_cbranch_execz .LBB811_82
; %bb.81:
	v_add_co_u32 v63, s23, 0x800, v7
	v_add_co_ci_u32_e64 v64, null, 0, v8, s23
	v_add_co_u32 v65, s23, 0x800, v5
	v_add_co_ci_u32_e64 v66, null, 0, v6, s23
	global_load_dword v21, v[63:64], off offset:512
	global_load_dword v63, v[65:66], off offset:512
.LBB811_82:
	;; [unrolled: 23-line block ×12, first 2 shown]
	s_or_b32 exec_lo, exec_lo, s35
	v_or_b32_e32 v0, 0x3e0, v0
	v_cmp_gt_i32_e64 s34, s38, v0
	s_and_b32 s20, s20, s34
	s_xor_b32 s20, s20, -1
	s_and_saveexec_b32 s35, s20
	s_xor_b32 s20, exec_lo, s35
; %bb.123:
	s_mov_b32 s35, 0
                                        ; implicit-def: $vgpr7
                                        ; implicit-def: $vgpr5
	v_mov_b32_e32 v13, s35
; %bb.124:
	s_or_saveexec_b32 s35, s20
	v_mov_b32_e32 v73, 0
	s_xor_b32 exec_lo, exec_lo, s35
	s_cbranch_execz .LBB811_126
; %bb.125:
	v_add_co_u32 v7, s20, 0x800, v7
	v_add_co_ci_u32_e64 v8, null, 0, v8, s20
	v_add_co_u32 v5, s20, 0x800, v5
	v_add_co_ci_u32_e64 v6, null, 0, v6, s20
	global_load_dword v13, v[7:8], off offset:1920
	global_load_dword v73, v[5:6], off offset:1920
.LBB811_126:
	s_or_b32 exec_lo, exec_lo, s35
	s_load_dwordx2 s[4:5], s[4:5], 0x28
	s_mov_b32 s43, exec_lo
	s_waitcnt lgkmcnt(0)
	v_add_co_u32 v3, s4, s4, v3
	v_add_co_ci_u32_e64 v4, null, s5, v4, s4
	s_clause 0x1
	global_load_ubyte v0, v[3:4], off
	global_load_ubyte v5, v[3:4], off offset:32
	s_waitcnt vmcnt(1)
	v_and_b32_e32 v0, 1, v0
	s_waitcnt vmcnt(0)
	v_and_b32_e32 v5, 1, v5
	v_cmp_eq_u32_e64 s41, 1, v0
	v_add_f32_e32 v0, 0, v38
	v_cmp_eq_u32_e64 s4, 1, v5
	v_cndmask_b32_e64 v0, v0, 0, s41
	v_add_f32_e32 v5, v0, v42
	v_cndmask_b32_e64 v0, v5, v0, s4
	global_load_ubyte v5, v[3:4], off offset:64
	s_waitcnt vmcnt(0)
	v_and_b32_e32 v5, 1, v5
	v_cmp_eq_u32_e64 s4, 1, v5
	v_add_f32_e32 v5, v0, v43
	v_cndmask_b32_e64 v0, v5, v0, s4
	global_load_ubyte v5, v[3:4], off offset:96
	s_waitcnt vmcnt(0)
	v_and_b32_e32 v5, 1, v5
	v_cmp_eq_u32_e64 s4, 1, v5
	;; [unrolled: 6-line block ×30, first 2 shown]
	v_add_f32_e32 v5, v0, v13
	v_cndmask_b32_e64 v0, v5, v0, s4
	v_mbcnt_lo_u32_b32 v5, -1, 0
	v_xor_b32_e32 v6, 16, v5
	v_cmp_gt_i32_e64 s42, 32, v6
	v_cndmask_b32_e64 v6, v5, v6, s42
	v_lshlrev_b32_e32 v6, 2, v6
	ds_bpermute_b32 v6, v6, v0
	s_waitcnt lgkmcnt(0)
	v_add_f32_e32 v0, v0, v6
	v_xor_b32_e32 v6, 8, v5
	v_cmp_gt_i32_e64 s42, 32, v6
	v_cndmask_b32_e64 v6, v5, v6, s42
	v_lshlrev_b32_e32 v6, 2, v6
	ds_bpermute_b32 v6, v6, v0
	s_waitcnt lgkmcnt(0)
	v_add_f32_e32 v0, v0, v6
	;; [unrolled: 7-line block ×4, first 2 shown]
	v_xor_b32_e32 v6, 1, v5
	v_cmp_gt_i32_e64 s42, 32, v6
	v_cndmask_b32_e64 v5, v5, v6, s42
	v_lshlrev_b32_e32 v5, 2, v5
	ds_bpermute_b32 v5, v5, v0
	v_cmpx_lt_i32_e32 0, v37
	s_cbranch_execz .LBB811_160
; %bb.127:
	s_waitcnt lgkmcnt(0)
	v_add_f32_e32 v5, v0, v5
	v_add_co_u32 v0, s42, s44, v1
	v_add_co_ci_u32_e64 v1, null, s45, v2, s42
	s_and_saveexec_b32 s42, vcc_lo
	s_cbranch_execnz .LBB811_161
; %bb.128:
	s_or_b32 exec_lo, exec_lo, s42
	s_and_saveexec_b32 s41, s0
	s_cbranch_execnz .LBB811_162
.LBB811_129:
	s_or_b32 exec_lo, exec_lo, s41
	s_and_saveexec_b32 s0, s1
	s_cbranch_execnz .LBB811_163
.LBB811_130:
	s_or_b32 exec_lo, exec_lo, s0
	s_and_saveexec_b32 s0, s2
	s_cbranch_execnz .LBB811_164
.LBB811_131:
	s_or_b32 exec_lo, exec_lo, s0
	s_and_saveexec_b32 s0, s3
	s_cbranch_execnz .LBB811_165
.LBB811_132:
	s_or_b32 exec_lo, exec_lo, s0
	s_and_saveexec_b32 s0, s6
	s_cbranch_execnz .LBB811_166
.LBB811_133:
	s_or_b32 exec_lo, exec_lo, s0
	s_and_saveexec_b32 s0, s7
	s_cbranch_execnz .LBB811_167
.LBB811_134:
	s_or_b32 exec_lo, exec_lo, s0
	s_and_saveexec_b32 s0, s8
	s_cbranch_execnz .LBB811_168
.LBB811_135:
	s_or_b32 exec_lo, exec_lo, s0
	s_and_saveexec_b32 s0, s9
	s_cbranch_execnz .LBB811_169
.LBB811_136:
	s_or_b32 exec_lo, exec_lo, s0
	s_and_saveexec_b32 s0, s10
	s_cbranch_execnz .LBB811_170
.LBB811_137:
	s_or_b32 exec_lo, exec_lo, s0
	s_and_saveexec_b32 s0, s11
	s_cbranch_execnz .LBB811_171
.LBB811_138:
	s_or_b32 exec_lo, exec_lo, s0
	s_and_saveexec_b32 s0, s12
	s_cbranch_execnz .LBB811_172
.LBB811_139:
	s_or_b32 exec_lo, exec_lo, s0
	s_and_saveexec_b32 s0, s13
	s_cbranch_execnz .LBB811_173
.LBB811_140:
	s_or_b32 exec_lo, exec_lo, s0
	s_and_saveexec_b32 s0, s14
	s_cbranch_execnz .LBB811_174
.LBB811_141:
	s_or_b32 exec_lo, exec_lo, s0
	s_and_saveexec_b32 s0, s15
	s_cbranch_execnz .LBB811_175
.LBB811_142:
	s_or_b32 exec_lo, exec_lo, s0
	s_and_saveexec_b32 s0, s16
	s_cbranch_execnz .LBB811_176
.LBB811_143:
	s_or_b32 exec_lo, exec_lo, s0
	s_and_saveexec_b32 s0, s17
	s_cbranch_execnz .LBB811_177
.LBB811_144:
	s_or_b32 exec_lo, exec_lo, s0
	s_and_saveexec_b32 s0, s18
	s_cbranch_execnz .LBB811_178
.LBB811_145:
	s_or_b32 exec_lo, exec_lo, s0
	s_and_saveexec_b32 s0, s19
	s_cbranch_execnz .LBB811_179
.LBB811_146:
	s_or_b32 exec_lo, exec_lo, s0
	s_and_saveexec_b32 s0, s21
	s_cbranch_execnz .LBB811_180
.LBB811_147:
	s_or_b32 exec_lo, exec_lo, s0
	s_and_saveexec_b32 s0, s22
	s_cbranch_execnz .LBB811_181
.LBB811_148:
	s_or_b32 exec_lo, exec_lo, s0
	s_and_saveexec_b32 s0, s23
	s_cbranch_execnz .LBB811_182
.LBB811_149:
	s_or_b32 exec_lo, exec_lo, s0
	s_and_saveexec_b32 s0, s24
	s_cbranch_execnz .LBB811_183
.LBB811_150:
	s_or_b32 exec_lo, exec_lo, s0
	s_and_saveexec_b32 s0, s25
	s_cbranch_execnz .LBB811_184
.LBB811_151:
	s_or_b32 exec_lo, exec_lo, s0
	s_and_saveexec_b32 s0, s26
	s_cbranch_execnz .LBB811_185
.LBB811_152:
	s_or_b32 exec_lo, exec_lo, s0
	s_and_saveexec_b32 s0, s27
	s_cbranch_execnz .LBB811_186
.LBB811_153:
	s_or_b32 exec_lo, exec_lo, s0
	s_and_saveexec_b32 s0, s28
	s_cbranch_execnz .LBB811_187
.LBB811_154:
	s_or_b32 exec_lo, exec_lo, s0
	s_and_saveexec_b32 s0, s29
	s_cbranch_execnz .LBB811_188
.LBB811_155:
	s_or_b32 exec_lo, exec_lo, s0
	s_and_saveexec_b32 s0, s30
	s_cbranch_execnz .LBB811_189
.LBB811_156:
	s_or_b32 exec_lo, exec_lo, s0
	s_and_saveexec_b32 s0, s31
	s_cbranch_execnz .LBB811_190
.LBB811_157:
	s_or_b32 exec_lo, exec_lo, s0
	s_and_saveexec_b32 s0, s33
	s_cbranch_execnz .LBB811_191
.LBB811_158:
	s_or_b32 exec_lo, exec_lo, s0
	s_and_b32 exec_lo, exec_lo, s34
	s_cbranch_execz .LBB811_160
.LBB811_159:
	v_fma_f32 v2, -v5, v73, v13
	v_add_co_u32 v0, vcc_lo, 0x800, v0
	v_add_co_ci_u32_e64 v1, null, 0, v1, vcc_lo
	v_cndmask_b32_e64 v2, v2, 0, s4
	global_store_dword v[0:1], v2, off offset:1920
.LBB811_160:
	s_endpgm
.LBB811_161:
	v_fma_f32 v2, -v5, v36, v38
	v_cndmask_b32_e64 v2, v2, 0, s41
	global_store_dword v[0:1], v2, off
	s_or_b32 exec_lo, exec_lo, s42
	s_and_saveexec_b32 s41, s0
	s_cbranch_execz .LBB811_129
.LBB811_162:
	global_load_ubyte v2, v[3:4], off offset:32
	v_fma_f32 v6, -v5, v44, v42
	s_waitcnt vmcnt(0)
	v_and_b32_e32 v2, 1, v2
	v_cmp_eq_u32_e32 vcc_lo, 1, v2
	v_cndmask_b32_e64 v2, v6, 0, vcc_lo
	global_store_dword v[0:1], v2, off offset:128
	s_or_b32 exec_lo, exec_lo, s41
	s_and_saveexec_b32 s0, s1
	s_cbranch_execz .LBB811_130
.LBB811_163:
	global_load_ubyte v2, v[3:4], off offset:64
	v_fma_f32 v6, -v5, v45, v43
	s_waitcnt vmcnt(0)
	v_and_b32_e32 v2, 1, v2
	v_cmp_eq_u32_e32 vcc_lo, 1, v2
	v_cndmask_b32_e64 v2, v6, 0, vcc_lo
	global_store_dword v[0:1], v2, off offset:256
	s_or_b32 exec_lo, exec_lo, s0
	s_and_saveexec_b32 s0, s2
	s_cbranch_execz .LBB811_131
.LBB811_164:
	global_load_ubyte v2, v[3:4], off offset:96
	v_fma_f32 v6, -v5, v46, v41
	s_waitcnt vmcnt(0)
	v_and_b32_e32 v2, 1, v2
	v_cmp_eq_u32_e32 vcc_lo, 1, v2
	v_cndmask_b32_e64 v2, v6, 0, vcc_lo
	global_store_dword v[0:1], v2, off offset:384
	s_or_b32 exec_lo, exec_lo, s0
	s_and_saveexec_b32 s0, s3
	s_cbranch_execz .LBB811_132
.LBB811_165:
	global_load_ubyte v2, v[3:4], off offset:128
	v_fma_f32 v6, -v5, v47, v40
	s_waitcnt vmcnt(0)
	v_and_b32_e32 v2, 1, v2
	v_cmp_eq_u32_e32 vcc_lo, 1, v2
	v_cndmask_b32_e64 v2, v6, 0, vcc_lo
	global_store_dword v[0:1], v2, off offset:512
	s_or_b32 exec_lo, exec_lo, s0
	s_and_saveexec_b32 s0, s6
	s_cbranch_execz .LBB811_133
.LBB811_166:
	global_load_ubyte v2, v[3:4], off offset:160
	v_fma_f32 v6, -v5, v48, v39
	s_waitcnt vmcnt(0)
	v_and_b32_e32 v2, 1, v2
	v_cmp_eq_u32_e32 vcc_lo, 1, v2
	v_cndmask_b32_e64 v2, v6, 0, vcc_lo
	global_store_dword v[0:1], v2, off offset:640
	s_or_b32 exec_lo, exec_lo, s0
	s_and_saveexec_b32 s0, s7
	s_cbranch_execz .LBB811_134
.LBB811_167:
	global_load_ubyte v2, v[3:4], off offset:192
	v_fma_f32 v6, -v5, v49, v35
	s_waitcnt vmcnt(0)
	v_and_b32_e32 v2, 1, v2
	v_cmp_eq_u32_e32 vcc_lo, 1, v2
	v_cndmask_b32_e64 v2, v6, 0, vcc_lo
	global_store_dword v[0:1], v2, off offset:768
	s_or_b32 exec_lo, exec_lo, s0
	s_and_saveexec_b32 s0, s8
	s_cbranch_execz .LBB811_135
.LBB811_168:
	global_load_ubyte v2, v[3:4], off offset:224
	v_fma_f32 v6, -v5, v50, v34
	s_waitcnt vmcnt(0)
	v_and_b32_e32 v2, 1, v2
	v_cmp_eq_u32_e32 vcc_lo, 1, v2
	v_cndmask_b32_e64 v2, v6, 0, vcc_lo
	global_store_dword v[0:1], v2, off offset:896
	s_or_b32 exec_lo, exec_lo, s0
	s_and_saveexec_b32 s0, s9
	s_cbranch_execz .LBB811_136
.LBB811_169:
	global_load_ubyte v2, v[3:4], off offset:256
	v_fma_f32 v6, -v5, v51, v33
	s_waitcnt vmcnt(0)
	v_and_b32_e32 v2, 1, v2
	v_cmp_eq_u32_e32 vcc_lo, 1, v2
	v_cndmask_b32_e64 v2, v6, 0, vcc_lo
	global_store_dword v[0:1], v2, off offset:1024
	s_or_b32 exec_lo, exec_lo, s0
	s_and_saveexec_b32 s0, s10
	s_cbranch_execz .LBB811_137
.LBB811_170:
	global_load_ubyte v2, v[3:4], off offset:288
	v_fma_f32 v6, -v5, v52, v32
	s_waitcnt vmcnt(0)
	v_and_b32_e32 v2, 1, v2
	v_cmp_eq_u32_e32 vcc_lo, 1, v2
	v_cndmask_b32_e64 v2, v6, 0, vcc_lo
	global_store_dword v[0:1], v2, off offset:1152
	s_or_b32 exec_lo, exec_lo, s0
	s_and_saveexec_b32 s0, s11
	s_cbranch_execz .LBB811_138
.LBB811_171:
	global_load_ubyte v2, v[3:4], off offset:320
	v_fma_f32 v6, -v5, v53, v31
	s_waitcnt vmcnt(0)
	v_and_b32_e32 v2, 1, v2
	v_cmp_eq_u32_e32 vcc_lo, 1, v2
	v_cndmask_b32_e64 v2, v6, 0, vcc_lo
	global_store_dword v[0:1], v2, off offset:1280
	s_or_b32 exec_lo, exec_lo, s0
	s_and_saveexec_b32 s0, s12
	s_cbranch_execz .LBB811_139
.LBB811_172:
	global_load_ubyte v2, v[3:4], off offset:352
	v_fma_f32 v6, -v5, v54, v30
	s_waitcnt vmcnt(0)
	v_and_b32_e32 v2, 1, v2
	v_cmp_eq_u32_e32 vcc_lo, 1, v2
	v_cndmask_b32_e64 v2, v6, 0, vcc_lo
	global_store_dword v[0:1], v2, off offset:1408
	s_or_b32 exec_lo, exec_lo, s0
	s_and_saveexec_b32 s0, s13
	s_cbranch_execz .LBB811_140
.LBB811_173:
	global_load_ubyte v2, v[3:4], off offset:384
	v_fma_f32 v6, -v5, v55, v29
	s_waitcnt vmcnt(0)
	v_and_b32_e32 v2, 1, v2
	v_cmp_eq_u32_e32 vcc_lo, 1, v2
	v_cndmask_b32_e64 v2, v6, 0, vcc_lo
	global_store_dword v[0:1], v2, off offset:1536
	s_or_b32 exec_lo, exec_lo, s0
	s_and_saveexec_b32 s0, s14
	s_cbranch_execz .LBB811_141
.LBB811_174:
	global_load_ubyte v2, v[3:4], off offset:416
	v_fma_f32 v6, -v5, v56, v28
	s_waitcnt vmcnt(0)
	v_and_b32_e32 v2, 1, v2
	v_cmp_eq_u32_e32 vcc_lo, 1, v2
	v_cndmask_b32_e64 v2, v6, 0, vcc_lo
	global_store_dword v[0:1], v2, off offset:1664
	s_or_b32 exec_lo, exec_lo, s0
	s_and_saveexec_b32 s0, s15
	s_cbranch_execz .LBB811_142
.LBB811_175:
	global_load_ubyte v2, v[3:4], off offset:448
	v_fma_f32 v6, -v5, v57, v27
	s_waitcnt vmcnt(0)
	v_and_b32_e32 v2, 1, v2
	v_cmp_eq_u32_e32 vcc_lo, 1, v2
	v_cndmask_b32_e64 v2, v6, 0, vcc_lo
	global_store_dword v[0:1], v2, off offset:1792
	s_or_b32 exec_lo, exec_lo, s0
	s_and_saveexec_b32 s0, s16
	s_cbranch_execz .LBB811_143
.LBB811_176:
	global_load_ubyte v2, v[3:4], off offset:480
	v_fma_f32 v6, -v5, v58, v26
	s_waitcnt vmcnt(0)
	v_and_b32_e32 v2, 1, v2
	v_cmp_eq_u32_e32 vcc_lo, 1, v2
	v_cndmask_b32_e64 v2, v6, 0, vcc_lo
	global_store_dword v[0:1], v2, off offset:1920
	s_or_b32 exec_lo, exec_lo, s0
	s_and_saveexec_b32 s0, s17
	s_cbranch_execz .LBB811_144
.LBB811_177:
	global_load_ubyte v2, v[3:4], off offset:512
	v_fma_f32 v6, -v5, v59, v25
	s_waitcnt vmcnt(0)
	v_and_b32_e32 v2, 1, v2
	v_cmp_eq_u32_e32 vcc_lo, 1, v2
	v_cndmask_b32_e64 v2, v6, 0, vcc_lo
	v_add_co_u32 v6, vcc_lo, 0x800, v0
	v_add_co_ci_u32_e64 v7, null, 0, v1, vcc_lo
	global_store_dword v[6:7], v2, off
	s_or_b32 exec_lo, exec_lo, s0
	s_and_saveexec_b32 s0, s18
	s_cbranch_execz .LBB811_145
.LBB811_178:
	global_load_ubyte v2, v[3:4], off offset:544
	v_fma_f32 v6, -v5, v60, v24
	s_waitcnt vmcnt(0)
	v_and_b32_e32 v2, 1, v2
	v_cmp_eq_u32_e32 vcc_lo, 1, v2
	v_cndmask_b32_e64 v2, v6, 0, vcc_lo
	v_add_co_u32 v6, vcc_lo, 0x800, v0
	v_add_co_ci_u32_e64 v7, null, 0, v1, vcc_lo
	global_store_dword v[6:7], v2, off offset:128
	s_or_b32 exec_lo, exec_lo, s0
	s_and_saveexec_b32 s0, s19
	s_cbranch_execz .LBB811_146
.LBB811_179:
	global_load_ubyte v2, v[3:4], off offset:576
	v_fma_f32 v6, -v5, v61, v23
	s_waitcnt vmcnt(0)
	v_and_b32_e32 v2, 1, v2
	v_cmp_eq_u32_e32 vcc_lo, 1, v2
	v_cndmask_b32_e64 v2, v6, 0, vcc_lo
	v_add_co_u32 v6, vcc_lo, 0x800, v0
	v_add_co_ci_u32_e64 v7, null, 0, v1, vcc_lo
	global_store_dword v[6:7], v2, off offset:256
	s_or_b32 exec_lo, exec_lo, s0
	s_and_saveexec_b32 s0, s21
	s_cbranch_execz .LBB811_147
.LBB811_180:
	global_load_ubyte v2, v[3:4], off offset:608
	v_fma_f32 v6, -v5, v62, v22
	s_waitcnt vmcnt(0)
	v_and_b32_e32 v2, 1, v2
	v_cmp_eq_u32_e32 vcc_lo, 1, v2
	v_cndmask_b32_e64 v2, v6, 0, vcc_lo
	v_add_co_u32 v6, vcc_lo, 0x800, v0
	v_add_co_ci_u32_e64 v7, null, 0, v1, vcc_lo
	global_store_dword v[6:7], v2, off offset:384
	s_or_b32 exec_lo, exec_lo, s0
	s_and_saveexec_b32 s0, s22
	s_cbranch_execz .LBB811_148
.LBB811_181:
	global_load_ubyte v2, v[3:4], off offset:640
	v_fma_f32 v6, -v5, v63, v21
	s_waitcnt vmcnt(0)
	v_and_b32_e32 v2, 1, v2
	v_cmp_eq_u32_e32 vcc_lo, 1, v2
	v_cndmask_b32_e64 v2, v6, 0, vcc_lo
	v_add_co_u32 v6, vcc_lo, 0x800, v0
	v_add_co_ci_u32_e64 v7, null, 0, v1, vcc_lo
	global_store_dword v[6:7], v2, off offset:512
	s_or_b32 exec_lo, exec_lo, s0
	s_and_saveexec_b32 s0, s23
	s_cbranch_execz .LBB811_149
.LBB811_182:
	global_load_ubyte v2, v[3:4], off offset:672
	v_fma_f32 v6, -v5, v64, v20
	s_waitcnt vmcnt(0)
	v_and_b32_e32 v2, 1, v2
	v_cmp_eq_u32_e32 vcc_lo, 1, v2
	v_cndmask_b32_e64 v2, v6, 0, vcc_lo
	v_add_co_u32 v6, vcc_lo, 0x800, v0
	v_add_co_ci_u32_e64 v7, null, 0, v1, vcc_lo
	global_store_dword v[6:7], v2, off offset:640
	s_or_b32 exec_lo, exec_lo, s0
	s_and_saveexec_b32 s0, s24
	s_cbranch_execz .LBB811_150
.LBB811_183:
	global_load_ubyte v2, v[3:4], off offset:704
	v_fma_f32 v3, -v5, v65, v19
	s_waitcnt vmcnt(0)
	v_and_b32_e32 v2, 1, v2
	v_cmp_eq_u32_e32 vcc_lo, 1, v2
	v_cndmask_b32_e64 v4, v3, 0, vcc_lo
	v_add_co_u32 v2, vcc_lo, 0x800, v0
	v_add_co_ci_u32_e64 v3, null, 0, v1, vcc_lo
	global_store_dword v[2:3], v4, off offset:768
	s_or_b32 exec_lo, exec_lo, s0
	s_and_saveexec_b32 s0, s25
	s_cbranch_execz .LBB811_151
.LBB811_184:
	v_fma_f32 v2, -v5, v66, v18
	v_cndmask_b32_e64 v4, v2, 0, s40
	v_add_co_u32 v2, vcc_lo, 0x800, v0
	v_add_co_ci_u32_e64 v3, null, 0, v1, vcc_lo
	global_store_dword v[2:3], v4, off offset:896
	s_or_b32 exec_lo, exec_lo, s0
	s_and_saveexec_b32 s0, s26
	s_cbranch_execz .LBB811_152
.LBB811_185:
	v_fma_f32 v2, -v5, v67, v17
	v_cndmask_b32_e64 v4, v2, 0, s39
	v_add_co_u32 v2, vcc_lo, 0x800, v0
	v_add_co_ci_u32_e64 v3, null, 0, v1, vcc_lo
	global_store_dword v[2:3], v4, off offset:1024
	s_or_b32 exec_lo, exec_lo, s0
	s_and_saveexec_b32 s0, s27
	s_cbranch_execz .LBB811_153
.LBB811_186:
	v_fma_f32 v2, -v5, v68, v16
	v_cndmask_b32_e64 v4, v2, 0, s38
	v_add_co_u32 v2, vcc_lo, 0x800, v0
	v_add_co_ci_u32_e64 v3, null, 0, v1, vcc_lo
	global_store_dword v[2:3], v4, off offset:1152
	s_or_b32 exec_lo, exec_lo, s0
	s_and_saveexec_b32 s0, s28
	s_cbranch_execz .LBB811_154
.LBB811_187:
	v_fma_f32 v2, -v5, v69, v15
	v_cndmask_b32_e64 v4, v2, 0, s37
	v_add_co_u32 v2, vcc_lo, 0x800, v0
	v_add_co_ci_u32_e64 v3, null, 0, v1, vcc_lo
	global_store_dword v[2:3], v4, off offset:1280
	s_or_b32 exec_lo, exec_lo, s0
	s_and_saveexec_b32 s0, s29
	s_cbranch_execz .LBB811_155
.LBB811_188:
	v_fma_f32 v2, -v5, v70, v14
	v_cndmask_b32_e64 v4, v2, 0, s36
	v_add_co_u32 v2, vcc_lo, 0x800, v0
	v_add_co_ci_u32_e64 v3, null, 0, v1, vcc_lo
	global_store_dword v[2:3], v4, off offset:1408
	s_or_b32 exec_lo, exec_lo, s0
	s_and_saveexec_b32 s0, s30
	s_cbranch_execz .LBB811_156
.LBB811_189:
	v_fma_f32 v2, -v5, v71, v12
	v_cndmask_b32_e64 v4, v2, 0, s35
	v_add_co_u32 v2, vcc_lo, 0x800, v0
	v_add_co_ci_u32_e64 v3, null, 0, v1, vcc_lo
	global_store_dword v[2:3], v4, off offset:1536
	s_or_b32 exec_lo, exec_lo, s0
	s_and_saveexec_b32 s0, s31
	s_cbranch_execz .LBB811_157
.LBB811_190:
	v_fma_f32 v2, -v5, v72, v11
	v_cndmask_b32_e64 v4, v2, 0, s20
	v_add_co_u32 v2, vcc_lo, 0x800, v0
	v_add_co_ci_u32_e64 v3, null, 0, v1, vcc_lo
	global_store_dword v[2:3], v4, off offset:1664
	s_or_b32 exec_lo, exec_lo, s0
	s_and_saveexec_b32 s0, s33
	s_cbranch_execz .LBB811_158
.LBB811_191:
	v_fma_f32 v2, -v5, v9, v10
	v_cndmask_b32_e64 v4, v2, 0, s5
	v_add_co_u32 v2, vcc_lo, 0x800, v0
	v_add_co_ci_u32_e64 v3, null, 0, v1, vcc_lo
	global_store_dword v[2:3], v4, off offset:1792
	s_or_b32 exec_lo, exec_lo, s0
	s_and_b32 exec_lo, exec_lo, s34
	s_cbranch_execnz .LBB811_159
	s_branch .LBB811_160
	.section	.rodata,"a",@progbits
	.p2align	6, 0x0
	.amdhsa_kernel _ZN12_GLOBAL__N_121softmax_warp_backwardIfffLi10ELb0ELb1ELi32EEEvPT0_PKT_S5_iiiPKb
		.amdhsa_group_segment_fixed_size 0
		.amdhsa_private_segment_fixed_size 0
		.amdhsa_kernarg_size 304
		.amdhsa_user_sgpr_count 6
		.amdhsa_user_sgpr_private_segment_buffer 1
		.amdhsa_user_sgpr_dispatch_ptr 0
		.amdhsa_user_sgpr_queue_ptr 0
		.amdhsa_user_sgpr_kernarg_segment_ptr 1
		.amdhsa_user_sgpr_dispatch_id 0
		.amdhsa_user_sgpr_flat_scratch_init 0
		.amdhsa_user_sgpr_private_segment_size 0
		.amdhsa_wavefront_size32 1
		.amdhsa_uses_dynamic_stack 0
		.amdhsa_system_sgpr_private_segment_wavefront_offset 0
		.amdhsa_system_sgpr_workgroup_id_x 1
		.amdhsa_system_sgpr_workgroup_id_y 0
		.amdhsa_system_sgpr_workgroup_id_z 0
		.amdhsa_system_sgpr_workgroup_info 0
		.amdhsa_system_vgpr_workitem_id 1
		.amdhsa_next_free_vgpr 76
		.amdhsa_next_free_sgpr 48
		.amdhsa_reserve_vcc 1
		.amdhsa_reserve_flat_scratch 0
		.amdhsa_float_round_mode_32 0
		.amdhsa_float_round_mode_16_64 0
		.amdhsa_float_denorm_mode_32 3
		.amdhsa_float_denorm_mode_16_64 3
		.amdhsa_dx10_clamp 1
		.amdhsa_ieee_mode 1
		.amdhsa_fp16_overflow 0
		.amdhsa_workgroup_processor_mode 1
		.amdhsa_memory_ordered 1
		.amdhsa_forward_progress 1
		.amdhsa_shared_vgpr_count 0
		.amdhsa_exception_fp_ieee_invalid_op 0
		.amdhsa_exception_fp_denorm_src 0
		.amdhsa_exception_fp_ieee_div_zero 0
		.amdhsa_exception_fp_ieee_overflow 0
		.amdhsa_exception_fp_ieee_underflow 0
		.amdhsa_exception_fp_ieee_inexact 0
		.amdhsa_exception_int_div_zero 0
	.end_amdhsa_kernel
	.section	.text._ZN12_GLOBAL__N_121softmax_warp_backwardIfffLi10ELb0ELb1ELi32EEEvPT0_PKT_S5_iiiPKb,"axG",@progbits,_ZN12_GLOBAL__N_121softmax_warp_backwardIfffLi10ELb0ELb1ELi32EEEvPT0_PKT_S5_iiiPKb,comdat
.Lfunc_end811:
	.size	_ZN12_GLOBAL__N_121softmax_warp_backwardIfffLi10ELb0ELb1ELi32EEEvPT0_PKT_S5_iiiPKb, .Lfunc_end811-_ZN12_GLOBAL__N_121softmax_warp_backwardIfffLi10ELb0ELb1ELi32EEEvPT0_PKT_S5_iiiPKb
                                        ; -- End function
	.set _ZN12_GLOBAL__N_121softmax_warp_backwardIfffLi10ELb0ELb1ELi32EEEvPT0_PKT_S5_iiiPKb.num_vgpr, 76
	.set _ZN12_GLOBAL__N_121softmax_warp_backwardIfffLi10ELb0ELb1ELi32EEEvPT0_PKT_S5_iiiPKb.num_agpr, 0
	.set _ZN12_GLOBAL__N_121softmax_warp_backwardIfffLi10ELb0ELb1ELi32EEEvPT0_PKT_S5_iiiPKb.numbered_sgpr, 48
	.set _ZN12_GLOBAL__N_121softmax_warp_backwardIfffLi10ELb0ELb1ELi32EEEvPT0_PKT_S5_iiiPKb.num_named_barrier, 0
	.set _ZN12_GLOBAL__N_121softmax_warp_backwardIfffLi10ELb0ELb1ELi32EEEvPT0_PKT_S5_iiiPKb.private_seg_size, 0
	.set _ZN12_GLOBAL__N_121softmax_warp_backwardIfffLi10ELb0ELb1ELi32EEEvPT0_PKT_S5_iiiPKb.uses_vcc, 1
	.set _ZN12_GLOBAL__N_121softmax_warp_backwardIfffLi10ELb0ELb1ELi32EEEvPT0_PKT_S5_iiiPKb.uses_flat_scratch, 0
	.set _ZN12_GLOBAL__N_121softmax_warp_backwardIfffLi10ELb0ELb1ELi32EEEvPT0_PKT_S5_iiiPKb.has_dyn_sized_stack, 0
	.set _ZN12_GLOBAL__N_121softmax_warp_backwardIfffLi10ELb0ELb1ELi32EEEvPT0_PKT_S5_iiiPKb.has_recursion, 0
	.set _ZN12_GLOBAL__N_121softmax_warp_backwardIfffLi10ELb0ELb1ELi32EEEvPT0_PKT_S5_iiiPKb.has_indirect_call, 0
	.section	.AMDGPU.csdata,"",@progbits
; Kernel info:
; codeLenInByte = 6872
; TotalNumSgprs: 50
; NumVgprs: 76
; ScratchSize: 0
; MemoryBound: 0
; FloatMode: 240
; IeeeMode: 1
; LDSByteSize: 0 bytes/workgroup (compile time only)
; SGPRBlocks: 0
; VGPRBlocks: 9
; NumSGPRsForWavesPerEU: 50
; NumVGPRsForWavesPerEU: 76
; Occupancy: 12
; WaveLimiterHint : 0
; COMPUTE_PGM_RSRC2:SCRATCH_EN: 0
; COMPUTE_PGM_RSRC2:USER_SGPR: 6
; COMPUTE_PGM_RSRC2:TRAP_HANDLER: 0
; COMPUTE_PGM_RSRC2:TGID_X_EN: 1
; COMPUTE_PGM_RSRC2:TGID_Y_EN: 0
; COMPUTE_PGM_RSRC2:TGID_Z_EN: 0
; COMPUTE_PGM_RSRC2:TIDIG_COMP_CNT: 1
	.section	.text._ZN12_GLOBAL__N_121softmax_warp_backwardIN3c104HalfES2_fLi0ELb0ELb1ELi64EEEvPT0_PKT_S7_iiiPKb,"axG",@progbits,_ZN12_GLOBAL__N_121softmax_warp_backwardIN3c104HalfES2_fLi0ELb0ELb1ELi64EEEvPT0_PKT_S7_iiiPKb,comdat
	.globl	_ZN12_GLOBAL__N_121softmax_warp_backwardIN3c104HalfES2_fLi0ELb0ELb1ELi64EEEvPT0_PKT_S7_iiiPKb ; -- Begin function _ZN12_GLOBAL__N_121softmax_warp_backwardIN3c104HalfES2_fLi0ELb0ELb1ELi64EEEvPT0_PKT_S7_iiiPKb
	.p2align	8
	.type	_ZN12_GLOBAL__N_121softmax_warp_backwardIN3c104HalfES2_fLi0ELb0ELb1ELi64EEEvPT0_PKT_S7_iiiPKb,@function
_ZN12_GLOBAL__N_121softmax_warp_backwardIN3c104HalfES2_fLi0ELb0ELb1ELi64EEEvPT0_PKT_S7_iiiPKb: ; @_ZN12_GLOBAL__N_121softmax_warp_backwardIN3c104HalfES2_fLi0ELb0ELb1ELi64EEEvPT0_PKT_S7_iiiPKb
; %bb.0:
	s_clause 0x2
	s_load_dword s7, s[4:5], 0x3c
	s_load_dwordx4 s[0:3], s[4:5], 0x18
	s_load_dwordx4 s[8:11], s[4:5], 0x0
	v_mov_b32_e32 v9, 0
	v_mov_b32_e32 v10, 0
	s_waitcnt lgkmcnt(0)
	s_lshr_b32 s3, s7, 16
	s_and_b32 s3, s3, 0xffff
	s_cmp_gt_i32 s2, 0
	s_mul_i32 s6, s6, s3
	v_add_lshl_u32 v0, s6, v1, 1
	s_load_dwordx2 s[6:7], s[4:5], 0x10
	v_mul_lo_u32 v2, v0, s1
	v_sub_nc_u32_e32 v8, s0, v0
	v_cmp_lt_i32_e32 vcc_lo, 0, v8
	v_ashrrev_i32_e32 v3, 31, v2
	v_lshlrev_b64 v[0:1], 1, v[2:3]
	v_add_co_u32 v6, s0, s10, v0
	v_add_co_ci_u32_e64 v7, null, s11, v1, s0
	s_waitcnt lgkmcnt(0)
	v_add_co_u32 v4, s0, s6, v0
	v_add_co_ci_u32_e64 v5, null, s7, v1, s0
	s_cselect_b32 s6, -1, 0
	s_and_b32 s1, s6, vcc_lo
	s_and_saveexec_b32 s0, s1
	s_cbranch_execz .LBB812_2
; %bb.1:
	global_load_ushort v9, v[6:7], off
	global_load_ushort v11, v[4:5], off
	s_waitcnt vmcnt(1)
	v_cvt_f32_f16_e32 v10, v9
	s_waitcnt vmcnt(0)
	v_cvt_f32_f16_e32 v9, v11
.LBB812_2:
	s_or_b32 exec_lo, exec_lo, s0
	v_cmp_gt_i32_e64 s0, 2, v8
	s_xor_b32 s1, s6, -1
	s_or_b32 s0, s1, s0
	s_and_saveexec_b32 s1, s0
	s_xor_b32 s0, exec_lo, s1
                                        ; implicit-def: $vgpr11
	s_cbranch_execnz .LBB812_6
; %bb.3:
	s_or_saveexec_b32 s1, s0
	v_mov_b32_e32 v12, 0
	s_xor_b32 exec_lo, exec_lo, s1
	s_cbranch_execnz .LBB812_7
.LBB812_4:
	s_or_b32 exec_lo, exec_lo, s1
	s_and_saveexec_b32 s0, vcc_lo
	s_cbranch_execnz .LBB812_8
.LBB812_5:
	s_endpgm
.LBB812_6:
	v_mov_b32_e32 v11, 0
                                        ; implicit-def: $vgpr4
                                        ; implicit-def: $vgpr6
	s_or_saveexec_b32 s1, s0
	v_mov_b32_e32 v12, 0
	s_xor_b32 exec_lo, exec_lo, s1
	s_cbranch_execz .LBB812_4
.LBB812_7:
	s_mov_b32 s3, 0
	s_lshl_b64 s[10:11], s[2:3], 1
	v_add_co_u32 v6, s0, v6, s10
	v_add_co_ci_u32_e64 v7, null, s11, v7, s0
	v_add_co_u32 v4, s0, v4, s10
	v_add_co_ci_u32_e64 v5, null, s11, v5, s0
	global_load_ushort v6, v[6:7], off
	global_load_ushort v4, v[4:5], off
	s_waitcnt vmcnt(1)
	v_cvt_f32_f16_e32 v11, v6
	s_waitcnt vmcnt(0)
	v_cvt_f32_f16_e32 v12, v4
	s_or_b32 exec_lo, exec_lo, s1
	s_and_saveexec_b32 s0, vcc_lo
	s_cbranch_execz .LBB812_5
.LBB812_8:
	s_load_dwordx2 s[0:1], s[4:5], 0x28
	v_add_f32_e32 v7, 0, v11
	s_waitcnt lgkmcnt(0)
	v_add_co_u32 v2, vcc_lo, s0, v2
	v_add_co_ci_u32_e64 v3, null, s1, v3, vcc_lo
	s_ashr_i32 s0, s2, 31
	v_add_co_u32 v4, vcc_lo, v2, s2
	v_add_co_ci_u32_e64 v5, null, s0, v3, vcc_lo
	v_add_co_u32 v0, vcc_lo, s8, v0
	s_clause 0x1
	global_load_ubyte v2, v[2:3], off
	global_load_ubyte v4, v[4:5], off
	v_add_f32_e32 v5, 0, v10
	v_cndmask_b32_e64 v3, 0, 1, s6
	v_add_co_ci_u32_e64 v1, null, s9, v1, vcc_lo
	s_andn2_b32 vcc_lo, exec_lo, s6
	s_waitcnt vmcnt(1)
	v_and_b32_e32 v2, 1, v2
	s_waitcnt vmcnt(0)
	v_and_b32_e32 v6, 1, v4
	v_cmp_eq_u32_e64 s1, 1, v2
	v_cmp_eq_u32_e64 s0, 1, v6
	v_cndmask_b32_e64 v4, v5, 0, s1
	v_cndmask_b32_e64 v2, v7, 0, s0
	s_cbranch_vccnz .LBB812_14
; %bb.9:
	s_xor_b32 s1, s1, -1
	s_and_saveexec_b32 s3, s1
	s_xor_b32 s1, exec_lo, s3
	s_cbranch_execz .LBB812_11
; %bb.10:
	v_fma_mixlo_f16 v4, -v9, v4, v10
	global_store_short v[0:1], v4, off
.LBB812_11:
	s_andn2_saveexec_b32 s1, s1
	s_cbranch_execz .LBB812_13
; %bb.12:
	v_mov_b32_e32 v4, 0
	global_store_short v[0:1], v4, off
.LBB812_13:
	s_or_b32 exec_lo, exec_lo, s1
.LBB812_14:
	v_cmp_ne_u32_e32 vcc_lo, 1, v8
	s_and_b32 exec_lo, exec_lo, vcc_lo
	s_cbranch_execz .LBB812_5
; %bb.15:
	v_cmp_ne_u32_e32 vcc_lo, 1, v3
	s_cbranch_vccnz .LBB812_5
; %bb.16:
	s_mov_b32 s3, 0
	s_xor_b32 s0, s0, -1
	s_lshl_b64 s[2:3], s[2:3], 1
	v_add_co_u32 v0, vcc_lo, v0, s2
	v_add_co_ci_u32_e64 v1, null, s3, v1, vcc_lo
	s_and_saveexec_b32 s1, s0
	s_xor_b32 s0, exec_lo, s1
	s_cbranch_execz .LBB812_18
; %bb.17:
	v_fma_mixlo_f16 v2, -v12, v2, v11
	global_store_short v[0:1], v2, off
                                        ; implicit-def: $vgpr0_vgpr1
.LBB812_18:
	s_andn2_saveexec_b32 s0, s0
	s_cbranch_execz .LBB812_5
; %bb.19:
	v_mov_b32_e32 v2, 0
	global_store_short v[0:1], v2, off
	s_endpgm
	.section	.rodata,"a",@progbits
	.p2align	6, 0x0
	.amdhsa_kernel _ZN12_GLOBAL__N_121softmax_warp_backwardIN3c104HalfES2_fLi0ELb0ELb1ELi64EEEvPT0_PKT_S7_iiiPKb
		.amdhsa_group_segment_fixed_size 0
		.amdhsa_private_segment_fixed_size 0
		.amdhsa_kernarg_size 304
		.amdhsa_user_sgpr_count 6
		.amdhsa_user_sgpr_private_segment_buffer 1
		.amdhsa_user_sgpr_dispatch_ptr 0
		.amdhsa_user_sgpr_queue_ptr 0
		.amdhsa_user_sgpr_kernarg_segment_ptr 1
		.amdhsa_user_sgpr_dispatch_id 0
		.amdhsa_user_sgpr_flat_scratch_init 0
		.amdhsa_user_sgpr_private_segment_size 0
		.amdhsa_wavefront_size32 1
		.amdhsa_uses_dynamic_stack 0
		.amdhsa_system_sgpr_private_segment_wavefront_offset 0
		.amdhsa_system_sgpr_workgroup_id_x 1
		.amdhsa_system_sgpr_workgroup_id_y 0
		.amdhsa_system_sgpr_workgroup_id_z 0
		.amdhsa_system_sgpr_workgroup_info 0
		.amdhsa_system_vgpr_workitem_id 1
		.amdhsa_next_free_vgpr 13
		.amdhsa_next_free_sgpr 12
		.amdhsa_reserve_vcc 1
		.amdhsa_reserve_flat_scratch 0
		.amdhsa_float_round_mode_32 0
		.amdhsa_float_round_mode_16_64 0
		.amdhsa_float_denorm_mode_32 3
		.amdhsa_float_denorm_mode_16_64 3
		.amdhsa_dx10_clamp 1
		.amdhsa_ieee_mode 1
		.amdhsa_fp16_overflow 0
		.amdhsa_workgroup_processor_mode 1
		.amdhsa_memory_ordered 1
		.amdhsa_forward_progress 1
		.amdhsa_shared_vgpr_count 0
		.amdhsa_exception_fp_ieee_invalid_op 0
		.amdhsa_exception_fp_denorm_src 0
		.amdhsa_exception_fp_ieee_div_zero 0
		.amdhsa_exception_fp_ieee_overflow 0
		.amdhsa_exception_fp_ieee_underflow 0
		.amdhsa_exception_fp_ieee_inexact 0
		.amdhsa_exception_int_div_zero 0
	.end_amdhsa_kernel
	.section	.text._ZN12_GLOBAL__N_121softmax_warp_backwardIN3c104HalfES2_fLi0ELb0ELb1ELi64EEEvPT0_PKT_S7_iiiPKb,"axG",@progbits,_ZN12_GLOBAL__N_121softmax_warp_backwardIN3c104HalfES2_fLi0ELb0ELb1ELi64EEEvPT0_PKT_S7_iiiPKb,comdat
.Lfunc_end812:
	.size	_ZN12_GLOBAL__N_121softmax_warp_backwardIN3c104HalfES2_fLi0ELb0ELb1ELi64EEEvPT0_PKT_S7_iiiPKb, .Lfunc_end812-_ZN12_GLOBAL__N_121softmax_warp_backwardIN3c104HalfES2_fLi0ELb0ELb1ELi64EEEvPT0_PKT_S7_iiiPKb
                                        ; -- End function
	.set _ZN12_GLOBAL__N_121softmax_warp_backwardIN3c104HalfES2_fLi0ELb0ELb1ELi64EEEvPT0_PKT_S7_iiiPKb.num_vgpr, 13
	.set _ZN12_GLOBAL__N_121softmax_warp_backwardIN3c104HalfES2_fLi0ELb0ELb1ELi64EEEvPT0_PKT_S7_iiiPKb.num_agpr, 0
	.set _ZN12_GLOBAL__N_121softmax_warp_backwardIN3c104HalfES2_fLi0ELb0ELb1ELi64EEEvPT0_PKT_S7_iiiPKb.numbered_sgpr, 12
	.set _ZN12_GLOBAL__N_121softmax_warp_backwardIN3c104HalfES2_fLi0ELb0ELb1ELi64EEEvPT0_PKT_S7_iiiPKb.num_named_barrier, 0
	.set _ZN12_GLOBAL__N_121softmax_warp_backwardIN3c104HalfES2_fLi0ELb0ELb1ELi64EEEvPT0_PKT_S7_iiiPKb.private_seg_size, 0
	.set _ZN12_GLOBAL__N_121softmax_warp_backwardIN3c104HalfES2_fLi0ELb0ELb1ELi64EEEvPT0_PKT_S7_iiiPKb.uses_vcc, 1
	.set _ZN12_GLOBAL__N_121softmax_warp_backwardIN3c104HalfES2_fLi0ELb0ELb1ELi64EEEvPT0_PKT_S7_iiiPKb.uses_flat_scratch, 0
	.set _ZN12_GLOBAL__N_121softmax_warp_backwardIN3c104HalfES2_fLi0ELb0ELb1ELi64EEEvPT0_PKT_S7_iiiPKb.has_dyn_sized_stack, 0
	.set _ZN12_GLOBAL__N_121softmax_warp_backwardIN3c104HalfES2_fLi0ELb0ELb1ELi64EEEvPT0_PKT_S7_iiiPKb.has_recursion, 0
	.set _ZN12_GLOBAL__N_121softmax_warp_backwardIN3c104HalfES2_fLi0ELb0ELb1ELi64EEEvPT0_PKT_S7_iiiPKb.has_indirect_call, 0
	.section	.AMDGPU.csdata,"",@progbits
; Kernel info:
; codeLenInByte = 668
; TotalNumSgprs: 14
; NumVgprs: 13
; ScratchSize: 0
; MemoryBound: 0
; FloatMode: 240
; IeeeMode: 1
; LDSByteSize: 0 bytes/workgroup (compile time only)
; SGPRBlocks: 0
; VGPRBlocks: 1
; NumSGPRsForWavesPerEU: 14
; NumVGPRsForWavesPerEU: 13
; Occupancy: 16
; WaveLimiterHint : 0
; COMPUTE_PGM_RSRC2:SCRATCH_EN: 0
; COMPUTE_PGM_RSRC2:USER_SGPR: 6
; COMPUTE_PGM_RSRC2:TRAP_HANDLER: 0
; COMPUTE_PGM_RSRC2:TGID_X_EN: 1
; COMPUTE_PGM_RSRC2:TGID_Y_EN: 0
; COMPUTE_PGM_RSRC2:TGID_Z_EN: 0
; COMPUTE_PGM_RSRC2:TIDIG_COMP_CNT: 1
	.section	.text._ZN12_GLOBAL__N_121softmax_warp_backwardIN3c104HalfES2_fLi0ELb0ELb1ELi32EEEvPT0_PKT_S7_iiiPKb,"axG",@progbits,_ZN12_GLOBAL__N_121softmax_warp_backwardIN3c104HalfES2_fLi0ELb0ELb1ELi32EEEvPT0_PKT_S7_iiiPKb,comdat
	.globl	_ZN12_GLOBAL__N_121softmax_warp_backwardIN3c104HalfES2_fLi0ELb0ELb1ELi32EEEvPT0_PKT_S7_iiiPKb ; -- Begin function _ZN12_GLOBAL__N_121softmax_warp_backwardIN3c104HalfES2_fLi0ELb0ELb1ELi32EEEvPT0_PKT_S7_iiiPKb
	.p2align	8
	.type	_ZN12_GLOBAL__N_121softmax_warp_backwardIN3c104HalfES2_fLi0ELb0ELb1ELi32EEEvPT0_PKT_S7_iiiPKb,@function
_ZN12_GLOBAL__N_121softmax_warp_backwardIN3c104HalfES2_fLi0ELb0ELb1ELi32EEEvPT0_PKT_S7_iiiPKb: ; @_ZN12_GLOBAL__N_121softmax_warp_backwardIN3c104HalfES2_fLi0ELb0ELb1ELi32EEEvPT0_PKT_S7_iiiPKb
; %bb.0:
	s_clause 0x2
	s_load_dword s7, s[4:5], 0x3c
	s_load_dwordx4 s[0:3], s[4:5], 0x18
	s_load_dwordx4 s[8:11], s[4:5], 0x0
	v_mov_b32_e32 v9, 0
	v_mov_b32_e32 v10, 0
	s_waitcnt lgkmcnt(0)
	s_lshr_b32 s3, s7, 16
	s_and_b32 s3, s3, 0xffff
	s_cmp_gt_i32 s2, 0
	s_mul_i32 s6, s6, s3
	v_add_lshl_u32 v0, s6, v1, 1
	s_load_dwordx2 s[6:7], s[4:5], 0x10
	v_mul_lo_u32 v2, v0, s1
	v_sub_nc_u32_e32 v8, s0, v0
	v_cmp_lt_i32_e32 vcc_lo, 0, v8
	v_ashrrev_i32_e32 v3, 31, v2
	v_lshlrev_b64 v[0:1], 1, v[2:3]
	v_add_co_u32 v6, s0, s10, v0
	v_add_co_ci_u32_e64 v7, null, s11, v1, s0
	s_waitcnt lgkmcnt(0)
	v_add_co_u32 v4, s0, s6, v0
	v_add_co_ci_u32_e64 v5, null, s7, v1, s0
	s_cselect_b32 s6, -1, 0
	s_and_b32 s1, s6, vcc_lo
	s_and_saveexec_b32 s0, s1
	s_cbranch_execz .LBB813_2
; %bb.1:
	global_load_ushort v9, v[6:7], off
	global_load_ushort v11, v[4:5], off
	s_waitcnt vmcnt(1)
	v_cvt_f32_f16_e32 v10, v9
	s_waitcnt vmcnt(0)
	v_cvt_f32_f16_e32 v9, v11
.LBB813_2:
	s_or_b32 exec_lo, exec_lo, s0
	v_cmp_gt_i32_e64 s0, 2, v8
	s_xor_b32 s1, s6, -1
	s_or_b32 s0, s1, s0
	s_and_saveexec_b32 s1, s0
	s_xor_b32 s0, exec_lo, s1
                                        ; implicit-def: $vgpr11
	s_cbranch_execnz .LBB813_6
; %bb.3:
	s_or_saveexec_b32 s1, s0
	v_mov_b32_e32 v12, 0
	s_xor_b32 exec_lo, exec_lo, s1
	s_cbranch_execnz .LBB813_7
.LBB813_4:
	s_or_b32 exec_lo, exec_lo, s1
	s_and_saveexec_b32 s0, vcc_lo
	s_cbranch_execnz .LBB813_8
.LBB813_5:
	s_endpgm
.LBB813_6:
	v_mov_b32_e32 v11, 0
                                        ; implicit-def: $vgpr4
                                        ; implicit-def: $vgpr6
	s_or_saveexec_b32 s1, s0
	v_mov_b32_e32 v12, 0
	s_xor_b32 exec_lo, exec_lo, s1
	s_cbranch_execz .LBB813_4
.LBB813_7:
	s_mov_b32 s3, 0
	s_lshl_b64 s[10:11], s[2:3], 1
	v_add_co_u32 v6, s0, v6, s10
	v_add_co_ci_u32_e64 v7, null, s11, v7, s0
	v_add_co_u32 v4, s0, v4, s10
	v_add_co_ci_u32_e64 v5, null, s11, v5, s0
	global_load_ushort v6, v[6:7], off
	global_load_ushort v4, v[4:5], off
	s_waitcnt vmcnt(1)
	v_cvt_f32_f16_e32 v11, v6
	s_waitcnt vmcnt(0)
	v_cvt_f32_f16_e32 v12, v4
	s_or_b32 exec_lo, exec_lo, s1
	s_and_saveexec_b32 s0, vcc_lo
	s_cbranch_execz .LBB813_5
.LBB813_8:
	s_load_dwordx2 s[0:1], s[4:5], 0x28
	v_add_f32_e32 v7, 0, v11
	s_waitcnt lgkmcnt(0)
	v_add_co_u32 v2, vcc_lo, s0, v2
	v_add_co_ci_u32_e64 v3, null, s1, v3, vcc_lo
	s_ashr_i32 s0, s2, 31
	v_add_co_u32 v4, vcc_lo, v2, s2
	v_add_co_ci_u32_e64 v5, null, s0, v3, vcc_lo
	v_add_co_u32 v0, vcc_lo, s8, v0
	s_clause 0x1
	global_load_ubyte v2, v[2:3], off
	global_load_ubyte v4, v[4:5], off
	v_add_f32_e32 v5, 0, v10
	v_cndmask_b32_e64 v3, 0, 1, s6
	v_add_co_ci_u32_e64 v1, null, s9, v1, vcc_lo
	s_andn2_b32 vcc_lo, exec_lo, s6
	s_waitcnt vmcnt(1)
	v_and_b32_e32 v2, 1, v2
	s_waitcnt vmcnt(0)
	v_and_b32_e32 v6, 1, v4
	v_cmp_eq_u32_e64 s1, 1, v2
	v_cmp_eq_u32_e64 s0, 1, v6
	v_cndmask_b32_e64 v4, v5, 0, s1
	v_cndmask_b32_e64 v2, v7, 0, s0
	s_cbranch_vccnz .LBB813_14
; %bb.9:
	s_xor_b32 s1, s1, -1
	s_and_saveexec_b32 s3, s1
	s_xor_b32 s1, exec_lo, s3
	s_cbranch_execz .LBB813_11
; %bb.10:
	v_fma_mixlo_f16 v4, -v9, v4, v10
	global_store_short v[0:1], v4, off
.LBB813_11:
	s_andn2_saveexec_b32 s1, s1
	s_cbranch_execz .LBB813_13
; %bb.12:
	v_mov_b32_e32 v4, 0
	global_store_short v[0:1], v4, off
.LBB813_13:
	s_or_b32 exec_lo, exec_lo, s1
.LBB813_14:
	v_cmp_ne_u32_e32 vcc_lo, 1, v8
	s_and_b32 exec_lo, exec_lo, vcc_lo
	s_cbranch_execz .LBB813_5
; %bb.15:
	v_cmp_ne_u32_e32 vcc_lo, 1, v3
	s_cbranch_vccnz .LBB813_5
; %bb.16:
	s_mov_b32 s3, 0
	s_xor_b32 s0, s0, -1
	s_lshl_b64 s[2:3], s[2:3], 1
	v_add_co_u32 v0, vcc_lo, v0, s2
	v_add_co_ci_u32_e64 v1, null, s3, v1, vcc_lo
	s_and_saveexec_b32 s1, s0
	s_xor_b32 s0, exec_lo, s1
	s_cbranch_execz .LBB813_18
; %bb.17:
	v_fma_mixlo_f16 v2, -v12, v2, v11
	global_store_short v[0:1], v2, off
                                        ; implicit-def: $vgpr0_vgpr1
.LBB813_18:
	s_andn2_saveexec_b32 s0, s0
	s_cbranch_execz .LBB813_5
; %bb.19:
	v_mov_b32_e32 v2, 0
	global_store_short v[0:1], v2, off
	s_endpgm
	.section	.rodata,"a",@progbits
	.p2align	6, 0x0
	.amdhsa_kernel _ZN12_GLOBAL__N_121softmax_warp_backwardIN3c104HalfES2_fLi0ELb0ELb1ELi32EEEvPT0_PKT_S7_iiiPKb
		.amdhsa_group_segment_fixed_size 0
		.amdhsa_private_segment_fixed_size 0
		.amdhsa_kernarg_size 304
		.amdhsa_user_sgpr_count 6
		.amdhsa_user_sgpr_private_segment_buffer 1
		.amdhsa_user_sgpr_dispatch_ptr 0
		.amdhsa_user_sgpr_queue_ptr 0
		.amdhsa_user_sgpr_kernarg_segment_ptr 1
		.amdhsa_user_sgpr_dispatch_id 0
		.amdhsa_user_sgpr_flat_scratch_init 0
		.amdhsa_user_sgpr_private_segment_size 0
		.amdhsa_wavefront_size32 1
		.amdhsa_uses_dynamic_stack 0
		.amdhsa_system_sgpr_private_segment_wavefront_offset 0
		.amdhsa_system_sgpr_workgroup_id_x 1
		.amdhsa_system_sgpr_workgroup_id_y 0
		.amdhsa_system_sgpr_workgroup_id_z 0
		.amdhsa_system_sgpr_workgroup_info 0
		.amdhsa_system_vgpr_workitem_id 1
		.amdhsa_next_free_vgpr 13
		.amdhsa_next_free_sgpr 12
		.amdhsa_reserve_vcc 1
		.amdhsa_reserve_flat_scratch 0
		.amdhsa_float_round_mode_32 0
		.amdhsa_float_round_mode_16_64 0
		.amdhsa_float_denorm_mode_32 3
		.amdhsa_float_denorm_mode_16_64 3
		.amdhsa_dx10_clamp 1
		.amdhsa_ieee_mode 1
		.amdhsa_fp16_overflow 0
		.amdhsa_workgroup_processor_mode 1
		.amdhsa_memory_ordered 1
		.amdhsa_forward_progress 1
		.amdhsa_shared_vgpr_count 0
		.amdhsa_exception_fp_ieee_invalid_op 0
		.amdhsa_exception_fp_denorm_src 0
		.amdhsa_exception_fp_ieee_div_zero 0
		.amdhsa_exception_fp_ieee_overflow 0
		.amdhsa_exception_fp_ieee_underflow 0
		.amdhsa_exception_fp_ieee_inexact 0
		.amdhsa_exception_int_div_zero 0
	.end_amdhsa_kernel
	.section	.text._ZN12_GLOBAL__N_121softmax_warp_backwardIN3c104HalfES2_fLi0ELb0ELb1ELi32EEEvPT0_PKT_S7_iiiPKb,"axG",@progbits,_ZN12_GLOBAL__N_121softmax_warp_backwardIN3c104HalfES2_fLi0ELb0ELb1ELi32EEEvPT0_PKT_S7_iiiPKb,comdat
.Lfunc_end813:
	.size	_ZN12_GLOBAL__N_121softmax_warp_backwardIN3c104HalfES2_fLi0ELb0ELb1ELi32EEEvPT0_PKT_S7_iiiPKb, .Lfunc_end813-_ZN12_GLOBAL__N_121softmax_warp_backwardIN3c104HalfES2_fLi0ELb0ELb1ELi32EEEvPT0_PKT_S7_iiiPKb
                                        ; -- End function
	.set _ZN12_GLOBAL__N_121softmax_warp_backwardIN3c104HalfES2_fLi0ELb0ELb1ELi32EEEvPT0_PKT_S7_iiiPKb.num_vgpr, 13
	.set _ZN12_GLOBAL__N_121softmax_warp_backwardIN3c104HalfES2_fLi0ELb0ELb1ELi32EEEvPT0_PKT_S7_iiiPKb.num_agpr, 0
	.set _ZN12_GLOBAL__N_121softmax_warp_backwardIN3c104HalfES2_fLi0ELb0ELb1ELi32EEEvPT0_PKT_S7_iiiPKb.numbered_sgpr, 12
	.set _ZN12_GLOBAL__N_121softmax_warp_backwardIN3c104HalfES2_fLi0ELb0ELb1ELi32EEEvPT0_PKT_S7_iiiPKb.num_named_barrier, 0
	.set _ZN12_GLOBAL__N_121softmax_warp_backwardIN3c104HalfES2_fLi0ELb0ELb1ELi32EEEvPT0_PKT_S7_iiiPKb.private_seg_size, 0
	.set _ZN12_GLOBAL__N_121softmax_warp_backwardIN3c104HalfES2_fLi0ELb0ELb1ELi32EEEvPT0_PKT_S7_iiiPKb.uses_vcc, 1
	.set _ZN12_GLOBAL__N_121softmax_warp_backwardIN3c104HalfES2_fLi0ELb0ELb1ELi32EEEvPT0_PKT_S7_iiiPKb.uses_flat_scratch, 0
	.set _ZN12_GLOBAL__N_121softmax_warp_backwardIN3c104HalfES2_fLi0ELb0ELb1ELi32EEEvPT0_PKT_S7_iiiPKb.has_dyn_sized_stack, 0
	.set _ZN12_GLOBAL__N_121softmax_warp_backwardIN3c104HalfES2_fLi0ELb0ELb1ELi32EEEvPT0_PKT_S7_iiiPKb.has_recursion, 0
	.set _ZN12_GLOBAL__N_121softmax_warp_backwardIN3c104HalfES2_fLi0ELb0ELb1ELi32EEEvPT0_PKT_S7_iiiPKb.has_indirect_call, 0
	.section	.AMDGPU.csdata,"",@progbits
; Kernel info:
; codeLenInByte = 668
; TotalNumSgprs: 14
; NumVgprs: 13
; ScratchSize: 0
; MemoryBound: 0
; FloatMode: 240
; IeeeMode: 1
; LDSByteSize: 0 bytes/workgroup (compile time only)
; SGPRBlocks: 0
; VGPRBlocks: 1
; NumSGPRsForWavesPerEU: 14
; NumVGPRsForWavesPerEU: 13
; Occupancy: 16
; WaveLimiterHint : 0
; COMPUTE_PGM_RSRC2:SCRATCH_EN: 0
; COMPUTE_PGM_RSRC2:USER_SGPR: 6
; COMPUTE_PGM_RSRC2:TRAP_HANDLER: 0
; COMPUTE_PGM_RSRC2:TGID_X_EN: 1
; COMPUTE_PGM_RSRC2:TGID_Y_EN: 0
; COMPUTE_PGM_RSRC2:TGID_Z_EN: 0
; COMPUTE_PGM_RSRC2:TIDIG_COMP_CNT: 1
	.section	.text._ZN12_GLOBAL__N_121softmax_warp_backwardIN3c104HalfES2_fLi1ELb0ELb1ELi64EEEvPT0_PKT_S7_iiiPKb,"axG",@progbits,_ZN12_GLOBAL__N_121softmax_warp_backwardIN3c104HalfES2_fLi1ELb0ELb1ELi64EEEvPT0_PKT_S7_iiiPKb,comdat
	.globl	_ZN12_GLOBAL__N_121softmax_warp_backwardIN3c104HalfES2_fLi1ELb0ELb1ELi64EEEvPT0_PKT_S7_iiiPKb ; -- Begin function _ZN12_GLOBAL__N_121softmax_warp_backwardIN3c104HalfES2_fLi1ELb0ELb1ELi64EEEvPT0_PKT_S7_iiiPKb
	.p2align	8
	.type	_ZN12_GLOBAL__N_121softmax_warp_backwardIN3c104HalfES2_fLi1ELb0ELb1ELi64EEEvPT0_PKT_S7_iiiPKb,@function
_ZN12_GLOBAL__N_121softmax_warp_backwardIN3c104HalfES2_fLi1ELb0ELb1ELi64EEEvPT0_PKT_S7_iiiPKb: ; @_ZN12_GLOBAL__N_121softmax_warp_backwardIN3c104HalfES2_fLi1ELb0ELb1ELi64EEEvPT0_PKT_S7_iiiPKb
; %bb.0:
	s_clause 0x1
	s_load_dword s0, s[4:5], 0x3c
	s_load_dwordx4 s[8:11], s[4:5], 0x18
	v_and_b32_e32 v4, 1, v0
	s_clause 0x1
	s_load_dwordx4 s[12:15], s[4:5], 0x0
	s_load_dwordx2 s[2:3], s[4:5], 0x10
	v_mov_b32_e32 v11, 0
	v_mov_b32_e32 v12, 0
	s_waitcnt lgkmcnt(0)
	s_mov_b32 s11, 0
	s_lshr_b32 s0, s0, 16
	v_cmp_gt_i32_e32 vcc_lo, s10, v4
	s_and_b32 s0, s0, 0xffff
	s_mul_i32 s6, s6, s0
	v_add_lshl_u32 v1, s6, v1, 1
	v_mul_lo_u32 v2, v1, s9
	v_sub_nc_u32_e32 v10, s8, v1
	v_cmp_lt_i32_e64 s0, 0, v10
	v_or_b32_e32 v2, v2, v4
	v_ashrrev_i32_e32 v3, 31, v2
	v_lshlrev_b64 v[0:1], 1, v[2:3]
	v_add_co_u32 v8, s1, s14, v0
	v_add_co_ci_u32_e64 v9, null, s15, v1, s1
	v_add_co_u32 v6, s1, s2, v0
	v_add_co_ci_u32_e64 v7, null, s3, v1, s1
	s_and_b32 s2, vcc_lo, s0
	s_and_saveexec_b32 s1, s2
	s_cbranch_execz .LBB814_2
; %bb.1:
	global_load_ushort v4, v[8:9], off
	global_load_ushort v5, v[6:7], off
	s_waitcnt vmcnt(1)
	v_cvt_f32_f16_e32 v12, v4
	s_waitcnt vmcnt(0)
	v_cvt_f32_f16_e32 v11, v5
.LBB814_2:
	s_or_b32 exec_lo, exec_lo, s1
	v_cmp_gt_i32_e64 s1, 2, v10
	v_mov_b32_e32 v4, s10
	v_mov_b32_e32 v5, s11
	s_xor_b32 s2, vcc_lo, -1
	s_or_b32 s1, s2, s1
	s_and_saveexec_b32 s2, s1
	s_xor_b32 s1, exec_lo, s2
                                        ; implicit-def: $vgpr14
                                        ; implicit-def: $vgpr13
; %bb.3:
	v_mov_b32_e32 v13, 0
	s_ashr_i32 s3, s10, 31
	s_mov_b32 s2, s10
	v_mov_b32_e32 v5, s3
	v_mov_b32_e32 v4, s2
	;; [unrolled: 1-line block ×3, first 2 shown]
                                        ; implicit-def: $vgpr6
                                        ; implicit-def: $vgpr8
; %bb.4:
	s_andn2_saveexec_b32 s2, s1
	s_cbranch_execz .LBB814_6
; %bb.5:
	s_lshl_b64 s[6:7], s[10:11], 1
	v_add_co_u32 v8, s1, v8, s6
	v_add_co_ci_u32_e64 v9, null, s7, v9, s1
	v_add_co_u32 v6, s1, v6, s6
	v_add_co_ci_u32_e64 v7, null, s7, v7, s1
	global_load_ushort v8, v[8:9], off
	global_load_ushort v6, v[6:7], off
	s_waitcnt vmcnt(1)
	v_cvt_f32_f16_e32 v13, v8
	s_waitcnt vmcnt(0)
	v_cvt_f32_f16_e32 v14, v6
.LBB814_6:
	s_or_b32 exec_lo, exec_lo, s2
	s_load_dwordx2 s[2:3], s[4:5], 0x28
	s_waitcnt lgkmcnt(0)
	v_add_co_u32 v2, s1, s2, v2
	v_add_co_ci_u32_e64 v3, null, s3, v3, s1
	v_add_co_u32 v4, s1, v2, v4
	v_add_co_ci_u32_e64 v5, null, v3, v5, s1
	s_clause 0x1
	global_load_ubyte v2, v[2:3], off
	global_load_ubyte v3, v[4:5], off
	v_mbcnt_lo_u32_b32 v4, -1, 0
	v_and_b32_e32 v5, 30, v4
	v_xor_b32_e32 v6, 1, v4
	v_add_nc_u32_e32 v5, 2, v5
	v_cmp_lt_i32_e64 s1, v6, v5
	v_add_f32_e32 v5, 0, v12
	v_cndmask_b32_e64 v4, v4, v6, s1
	v_add_f32_e32 v6, 0, v13
	v_lshlrev_b32_e32 v7, 2, v4
	s_waitcnt vmcnt(1)
	v_and_b32_e32 v2, 1, v2
	s_waitcnt vmcnt(0)
	v_and_b32_e32 v3, 1, v3
	v_cmp_eq_u32_e64 s2, 1, v2
	v_cmp_eq_u32_e64 s1, 1, v3
	v_cndmask_b32_e64 v4, v5, 0, s2
	v_cndmask_b32_e64 v2, v6, 0, s1
	ds_bpermute_b32 v5, v7, v4
	ds_bpermute_b32 v3, v7, v2
	s_and_saveexec_b32 s3, s0
	s_cbranch_execz .LBB814_18
; %bb.7:
	v_add_co_u32 v0, s0, s12, v0
	v_add_co_ci_u32_e64 v1, null, s13, v1, s0
	s_and_saveexec_b32 s0, vcc_lo
	s_cbranch_execz .LBB814_12
; %bb.8:
	s_xor_b32 s2, s2, -1
	s_and_saveexec_b32 s3, s2
	s_xor_b32 s2, exec_lo, s3
	s_cbranch_execz .LBB814_10
; %bb.9:
	s_waitcnt lgkmcnt(1)
	v_add_f32_e32 v4, v4, v5
	v_fma_mixlo_f16 v4, -v11, v4, v12
	global_store_short v[0:1], v4, off
.LBB814_10:
	s_andn2_saveexec_b32 s2, s2
	s_cbranch_execz .LBB814_12
; %bb.11:
	v_mov_b32_e32 v4, 0
	global_store_short v[0:1], v4, off
.LBB814_12:
	s_or_b32 exec_lo, exec_lo, s0
	v_cmp_ne_u32_e64 s0, 1, v10
	s_and_b32 exec_lo, exec_lo, s0
	s_cbranch_execz .LBB814_18
; %bb.13:
	s_and_b32 exec_lo, exec_lo, vcc_lo
	s_cbranch_execz .LBB814_18
; %bb.14:
	s_lshl_b64 s[2:3], s[10:11], 1
	s_xor_b32 s0, s1, -1
	v_add_co_u32 v0, vcc_lo, v0, s2
	v_add_co_ci_u32_e64 v1, null, s3, v1, vcc_lo
	s_and_saveexec_b32 s1, s0
	s_xor_b32 s0, exec_lo, s1
	s_cbranch_execz .LBB814_16
; %bb.15:
	s_waitcnt lgkmcnt(0)
	v_add_f32_e32 v2, v2, v3
	v_fma_mixlo_f16 v2, -v14, v2, v13
	global_store_short v[0:1], v2, off
                                        ; implicit-def: $vgpr0_vgpr1
.LBB814_16:
	s_andn2_saveexec_b32 s0, s0
	s_cbranch_execz .LBB814_18
; %bb.17:
	v_mov_b32_e32 v2, 0
	global_store_short v[0:1], v2, off
.LBB814_18:
	s_endpgm
	.section	.rodata,"a",@progbits
	.p2align	6, 0x0
	.amdhsa_kernel _ZN12_GLOBAL__N_121softmax_warp_backwardIN3c104HalfES2_fLi1ELb0ELb1ELi64EEEvPT0_PKT_S7_iiiPKb
		.amdhsa_group_segment_fixed_size 0
		.amdhsa_private_segment_fixed_size 0
		.amdhsa_kernarg_size 304
		.amdhsa_user_sgpr_count 6
		.amdhsa_user_sgpr_private_segment_buffer 1
		.amdhsa_user_sgpr_dispatch_ptr 0
		.amdhsa_user_sgpr_queue_ptr 0
		.amdhsa_user_sgpr_kernarg_segment_ptr 1
		.amdhsa_user_sgpr_dispatch_id 0
		.amdhsa_user_sgpr_flat_scratch_init 0
		.amdhsa_user_sgpr_private_segment_size 0
		.amdhsa_wavefront_size32 1
		.amdhsa_uses_dynamic_stack 0
		.amdhsa_system_sgpr_private_segment_wavefront_offset 0
		.amdhsa_system_sgpr_workgroup_id_x 1
		.amdhsa_system_sgpr_workgroup_id_y 0
		.amdhsa_system_sgpr_workgroup_id_z 0
		.amdhsa_system_sgpr_workgroup_info 0
		.amdhsa_system_vgpr_workitem_id 1
		.amdhsa_next_free_vgpr 15
		.amdhsa_next_free_sgpr 16
		.amdhsa_reserve_vcc 1
		.amdhsa_reserve_flat_scratch 0
		.amdhsa_float_round_mode_32 0
		.amdhsa_float_round_mode_16_64 0
		.amdhsa_float_denorm_mode_32 3
		.amdhsa_float_denorm_mode_16_64 3
		.amdhsa_dx10_clamp 1
		.amdhsa_ieee_mode 1
		.amdhsa_fp16_overflow 0
		.amdhsa_workgroup_processor_mode 1
		.amdhsa_memory_ordered 1
		.amdhsa_forward_progress 1
		.amdhsa_shared_vgpr_count 0
		.amdhsa_exception_fp_ieee_invalid_op 0
		.amdhsa_exception_fp_denorm_src 0
		.amdhsa_exception_fp_ieee_div_zero 0
		.amdhsa_exception_fp_ieee_overflow 0
		.amdhsa_exception_fp_ieee_underflow 0
		.amdhsa_exception_fp_ieee_inexact 0
		.amdhsa_exception_int_div_zero 0
	.end_amdhsa_kernel
	.section	.text._ZN12_GLOBAL__N_121softmax_warp_backwardIN3c104HalfES2_fLi1ELb0ELb1ELi64EEEvPT0_PKT_S7_iiiPKb,"axG",@progbits,_ZN12_GLOBAL__N_121softmax_warp_backwardIN3c104HalfES2_fLi1ELb0ELb1ELi64EEEvPT0_PKT_S7_iiiPKb,comdat
.Lfunc_end814:
	.size	_ZN12_GLOBAL__N_121softmax_warp_backwardIN3c104HalfES2_fLi1ELb0ELb1ELi64EEEvPT0_PKT_S7_iiiPKb, .Lfunc_end814-_ZN12_GLOBAL__N_121softmax_warp_backwardIN3c104HalfES2_fLi1ELb0ELb1ELi64EEEvPT0_PKT_S7_iiiPKb
                                        ; -- End function
	.set _ZN12_GLOBAL__N_121softmax_warp_backwardIN3c104HalfES2_fLi1ELb0ELb1ELi64EEEvPT0_PKT_S7_iiiPKb.num_vgpr, 15
	.set _ZN12_GLOBAL__N_121softmax_warp_backwardIN3c104HalfES2_fLi1ELb0ELb1ELi64EEEvPT0_PKT_S7_iiiPKb.num_agpr, 0
	.set _ZN12_GLOBAL__N_121softmax_warp_backwardIN3c104HalfES2_fLi1ELb0ELb1ELi64EEEvPT0_PKT_S7_iiiPKb.numbered_sgpr, 16
	.set _ZN12_GLOBAL__N_121softmax_warp_backwardIN3c104HalfES2_fLi1ELb0ELb1ELi64EEEvPT0_PKT_S7_iiiPKb.num_named_barrier, 0
	.set _ZN12_GLOBAL__N_121softmax_warp_backwardIN3c104HalfES2_fLi1ELb0ELb1ELi64EEEvPT0_PKT_S7_iiiPKb.private_seg_size, 0
	.set _ZN12_GLOBAL__N_121softmax_warp_backwardIN3c104HalfES2_fLi1ELb0ELb1ELi64EEEvPT0_PKT_S7_iiiPKb.uses_vcc, 1
	.set _ZN12_GLOBAL__N_121softmax_warp_backwardIN3c104HalfES2_fLi1ELb0ELb1ELi64EEEvPT0_PKT_S7_iiiPKb.uses_flat_scratch, 0
	.set _ZN12_GLOBAL__N_121softmax_warp_backwardIN3c104HalfES2_fLi1ELb0ELb1ELi64EEEvPT0_PKT_S7_iiiPKb.has_dyn_sized_stack, 0
	.set _ZN12_GLOBAL__N_121softmax_warp_backwardIN3c104HalfES2_fLi1ELb0ELb1ELi64EEEvPT0_PKT_S7_iiiPKb.has_recursion, 0
	.set _ZN12_GLOBAL__N_121softmax_warp_backwardIN3c104HalfES2_fLi1ELb0ELb1ELi64EEEvPT0_PKT_S7_iiiPKb.has_indirect_call, 0
	.section	.AMDGPU.csdata,"",@progbits
; Kernel info:
; codeLenInByte = 720
; TotalNumSgprs: 18
; NumVgprs: 15
; ScratchSize: 0
; MemoryBound: 0
; FloatMode: 240
; IeeeMode: 1
; LDSByteSize: 0 bytes/workgroup (compile time only)
; SGPRBlocks: 0
; VGPRBlocks: 1
; NumSGPRsForWavesPerEU: 18
; NumVGPRsForWavesPerEU: 15
; Occupancy: 16
; WaveLimiterHint : 0
; COMPUTE_PGM_RSRC2:SCRATCH_EN: 0
; COMPUTE_PGM_RSRC2:USER_SGPR: 6
; COMPUTE_PGM_RSRC2:TRAP_HANDLER: 0
; COMPUTE_PGM_RSRC2:TGID_X_EN: 1
; COMPUTE_PGM_RSRC2:TGID_Y_EN: 0
; COMPUTE_PGM_RSRC2:TGID_Z_EN: 0
; COMPUTE_PGM_RSRC2:TIDIG_COMP_CNT: 1
	.section	.text._ZN12_GLOBAL__N_121softmax_warp_backwardIN3c104HalfES2_fLi1ELb0ELb1ELi32EEEvPT0_PKT_S7_iiiPKb,"axG",@progbits,_ZN12_GLOBAL__N_121softmax_warp_backwardIN3c104HalfES2_fLi1ELb0ELb1ELi32EEEvPT0_PKT_S7_iiiPKb,comdat
	.globl	_ZN12_GLOBAL__N_121softmax_warp_backwardIN3c104HalfES2_fLi1ELb0ELb1ELi32EEEvPT0_PKT_S7_iiiPKb ; -- Begin function _ZN12_GLOBAL__N_121softmax_warp_backwardIN3c104HalfES2_fLi1ELb0ELb1ELi32EEEvPT0_PKT_S7_iiiPKb
	.p2align	8
	.type	_ZN12_GLOBAL__N_121softmax_warp_backwardIN3c104HalfES2_fLi1ELb0ELb1ELi32EEEvPT0_PKT_S7_iiiPKb,@function
_ZN12_GLOBAL__N_121softmax_warp_backwardIN3c104HalfES2_fLi1ELb0ELb1ELi32EEEvPT0_PKT_S7_iiiPKb: ; @_ZN12_GLOBAL__N_121softmax_warp_backwardIN3c104HalfES2_fLi1ELb0ELb1ELi32EEEvPT0_PKT_S7_iiiPKb
; %bb.0:
	s_clause 0x1
	s_load_dword s0, s[4:5], 0x3c
	s_load_dwordx4 s[8:11], s[4:5], 0x18
	v_and_b32_e32 v4, 1, v0
	s_clause 0x1
	s_load_dwordx4 s[12:15], s[4:5], 0x0
	s_load_dwordx2 s[2:3], s[4:5], 0x10
	v_mov_b32_e32 v11, 0
	v_mov_b32_e32 v12, 0
	s_waitcnt lgkmcnt(0)
	s_mov_b32 s11, 0
	s_lshr_b32 s0, s0, 16
	v_cmp_gt_i32_e32 vcc_lo, s10, v4
	s_and_b32 s0, s0, 0xffff
	s_mul_i32 s6, s6, s0
	v_add_lshl_u32 v1, s6, v1, 1
	v_mul_lo_u32 v2, v1, s9
	v_sub_nc_u32_e32 v10, s8, v1
	v_cmp_lt_i32_e64 s0, 0, v10
	v_or_b32_e32 v2, v2, v4
	v_ashrrev_i32_e32 v3, 31, v2
	v_lshlrev_b64 v[0:1], 1, v[2:3]
	v_add_co_u32 v8, s1, s14, v0
	v_add_co_ci_u32_e64 v9, null, s15, v1, s1
	v_add_co_u32 v6, s1, s2, v0
	v_add_co_ci_u32_e64 v7, null, s3, v1, s1
	s_and_b32 s2, vcc_lo, s0
	s_and_saveexec_b32 s1, s2
	s_cbranch_execz .LBB815_2
; %bb.1:
	global_load_ushort v4, v[8:9], off
	global_load_ushort v5, v[6:7], off
	s_waitcnt vmcnt(1)
	v_cvt_f32_f16_e32 v12, v4
	s_waitcnt vmcnt(0)
	v_cvt_f32_f16_e32 v11, v5
.LBB815_2:
	s_or_b32 exec_lo, exec_lo, s1
	v_cmp_gt_i32_e64 s1, 2, v10
	v_mov_b32_e32 v4, s10
	v_mov_b32_e32 v5, s11
	s_xor_b32 s2, vcc_lo, -1
	s_or_b32 s1, s2, s1
	s_and_saveexec_b32 s2, s1
	s_xor_b32 s1, exec_lo, s2
                                        ; implicit-def: $vgpr14
                                        ; implicit-def: $vgpr13
; %bb.3:
	v_mov_b32_e32 v13, 0
	s_ashr_i32 s3, s10, 31
	s_mov_b32 s2, s10
	v_mov_b32_e32 v5, s3
	v_mov_b32_e32 v4, s2
	;; [unrolled: 1-line block ×3, first 2 shown]
                                        ; implicit-def: $vgpr6
                                        ; implicit-def: $vgpr8
; %bb.4:
	s_andn2_saveexec_b32 s2, s1
	s_cbranch_execz .LBB815_6
; %bb.5:
	s_lshl_b64 s[6:7], s[10:11], 1
	v_add_co_u32 v8, s1, v8, s6
	v_add_co_ci_u32_e64 v9, null, s7, v9, s1
	v_add_co_u32 v6, s1, v6, s6
	v_add_co_ci_u32_e64 v7, null, s7, v7, s1
	global_load_ushort v8, v[8:9], off
	global_load_ushort v6, v[6:7], off
	s_waitcnt vmcnt(1)
	v_cvt_f32_f16_e32 v13, v8
	s_waitcnt vmcnt(0)
	v_cvt_f32_f16_e32 v14, v6
.LBB815_6:
	s_or_b32 exec_lo, exec_lo, s2
	s_load_dwordx2 s[2:3], s[4:5], 0x28
	s_waitcnt lgkmcnt(0)
	v_add_co_u32 v2, s1, s2, v2
	v_add_co_ci_u32_e64 v3, null, s3, v3, s1
	v_add_co_u32 v4, s1, v2, v4
	v_add_co_ci_u32_e64 v5, null, v3, v5, s1
	s_clause 0x1
	global_load_ubyte v2, v[2:3], off
	global_load_ubyte v3, v[4:5], off
	v_mbcnt_lo_u32_b32 v4, -1, 0
	v_and_b32_e32 v5, 30, v4
	v_xor_b32_e32 v6, 1, v4
	v_add_nc_u32_e32 v5, 2, v5
	v_cmp_lt_i32_e64 s1, v6, v5
	v_add_f32_e32 v5, 0, v12
	v_cndmask_b32_e64 v4, v4, v6, s1
	v_add_f32_e32 v6, 0, v13
	v_lshlrev_b32_e32 v7, 2, v4
	s_waitcnt vmcnt(1)
	v_and_b32_e32 v2, 1, v2
	s_waitcnt vmcnt(0)
	v_and_b32_e32 v3, 1, v3
	v_cmp_eq_u32_e64 s2, 1, v2
	v_cmp_eq_u32_e64 s1, 1, v3
	v_cndmask_b32_e64 v4, v5, 0, s2
	v_cndmask_b32_e64 v2, v6, 0, s1
	ds_bpermute_b32 v5, v7, v4
	ds_bpermute_b32 v3, v7, v2
	s_and_saveexec_b32 s3, s0
	s_cbranch_execz .LBB815_18
; %bb.7:
	v_add_co_u32 v0, s0, s12, v0
	v_add_co_ci_u32_e64 v1, null, s13, v1, s0
	s_and_saveexec_b32 s0, vcc_lo
	s_cbranch_execz .LBB815_12
; %bb.8:
	s_xor_b32 s2, s2, -1
	s_and_saveexec_b32 s3, s2
	s_xor_b32 s2, exec_lo, s3
	s_cbranch_execz .LBB815_10
; %bb.9:
	s_waitcnt lgkmcnt(1)
	v_add_f32_e32 v4, v4, v5
	v_fma_mixlo_f16 v4, -v11, v4, v12
	global_store_short v[0:1], v4, off
.LBB815_10:
	s_andn2_saveexec_b32 s2, s2
	s_cbranch_execz .LBB815_12
; %bb.11:
	v_mov_b32_e32 v4, 0
	global_store_short v[0:1], v4, off
.LBB815_12:
	s_or_b32 exec_lo, exec_lo, s0
	v_cmp_ne_u32_e64 s0, 1, v10
	s_and_b32 exec_lo, exec_lo, s0
	s_cbranch_execz .LBB815_18
; %bb.13:
	s_and_b32 exec_lo, exec_lo, vcc_lo
	s_cbranch_execz .LBB815_18
; %bb.14:
	s_lshl_b64 s[2:3], s[10:11], 1
	s_xor_b32 s0, s1, -1
	v_add_co_u32 v0, vcc_lo, v0, s2
	v_add_co_ci_u32_e64 v1, null, s3, v1, vcc_lo
	s_and_saveexec_b32 s1, s0
	s_xor_b32 s0, exec_lo, s1
	s_cbranch_execz .LBB815_16
; %bb.15:
	s_waitcnt lgkmcnt(0)
	v_add_f32_e32 v2, v2, v3
	v_fma_mixlo_f16 v2, -v14, v2, v13
	global_store_short v[0:1], v2, off
                                        ; implicit-def: $vgpr0_vgpr1
.LBB815_16:
	s_andn2_saveexec_b32 s0, s0
	s_cbranch_execz .LBB815_18
; %bb.17:
	v_mov_b32_e32 v2, 0
	global_store_short v[0:1], v2, off
.LBB815_18:
	s_endpgm
	.section	.rodata,"a",@progbits
	.p2align	6, 0x0
	.amdhsa_kernel _ZN12_GLOBAL__N_121softmax_warp_backwardIN3c104HalfES2_fLi1ELb0ELb1ELi32EEEvPT0_PKT_S7_iiiPKb
		.amdhsa_group_segment_fixed_size 0
		.amdhsa_private_segment_fixed_size 0
		.amdhsa_kernarg_size 304
		.amdhsa_user_sgpr_count 6
		.amdhsa_user_sgpr_private_segment_buffer 1
		.amdhsa_user_sgpr_dispatch_ptr 0
		.amdhsa_user_sgpr_queue_ptr 0
		.amdhsa_user_sgpr_kernarg_segment_ptr 1
		.amdhsa_user_sgpr_dispatch_id 0
		.amdhsa_user_sgpr_flat_scratch_init 0
		.amdhsa_user_sgpr_private_segment_size 0
		.amdhsa_wavefront_size32 1
		.amdhsa_uses_dynamic_stack 0
		.amdhsa_system_sgpr_private_segment_wavefront_offset 0
		.amdhsa_system_sgpr_workgroup_id_x 1
		.amdhsa_system_sgpr_workgroup_id_y 0
		.amdhsa_system_sgpr_workgroup_id_z 0
		.amdhsa_system_sgpr_workgroup_info 0
		.amdhsa_system_vgpr_workitem_id 1
		.amdhsa_next_free_vgpr 15
		.amdhsa_next_free_sgpr 16
		.amdhsa_reserve_vcc 1
		.amdhsa_reserve_flat_scratch 0
		.amdhsa_float_round_mode_32 0
		.amdhsa_float_round_mode_16_64 0
		.amdhsa_float_denorm_mode_32 3
		.amdhsa_float_denorm_mode_16_64 3
		.amdhsa_dx10_clamp 1
		.amdhsa_ieee_mode 1
		.amdhsa_fp16_overflow 0
		.amdhsa_workgroup_processor_mode 1
		.amdhsa_memory_ordered 1
		.amdhsa_forward_progress 1
		.amdhsa_shared_vgpr_count 0
		.amdhsa_exception_fp_ieee_invalid_op 0
		.amdhsa_exception_fp_denorm_src 0
		.amdhsa_exception_fp_ieee_div_zero 0
		.amdhsa_exception_fp_ieee_overflow 0
		.amdhsa_exception_fp_ieee_underflow 0
		.amdhsa_exception_fp_ieee_inexact 0
		.amdhsa_exception_int_div_zero 0
	.end_amdhsa_kernel
	.section	.text._ZN12_GLOBAL__N_121softmax_warp_backwardIN3c104HalfES2_fLi1ELb0ELb1ELi32EEEvPT0_PKT_S7_iiiPKb,"axG",@progbits,_ZN12_GLOBAL__N_121softmax_warp_backwardIN3c104HalfES2_fLi1ELb0ELb1ELi32EEEvPT0_PKT_S7_iiiPKb,comdat
.Lfunc_end815:
	.size	_ZN12_GLOBAL__N_121softmax_warp_backwardIN3c104HalfES2_fLi1ELb0ELb1ELi32EEEvPT0_PKT_S7_iiiPKb, .Lfunc_end815-_ZN12_GLOBAL__N_121softmax_warp_backwardIN3c104HalfES2_fLi1ELb0ELb1ELi32EEEvPT0_PKT_S7_iiiPKb
                                        ; -- End function
	.set _ZN12_GLOBAL__N_121softmax_warp_backwardIN3c104HalfES2_fLi1ELb0ELb1ELi32EEEvPT0_PKT_S7_iiiPKb.num_vgpr, 15
	.set _ZN12_GLOBAL__N_121softmax_warp_backwardIN3c104HalfES2_fLi1ELb0ELb1ELi32EEEvPT0_PKT_S7_iiiPKb.num_agpr, 0
	.set _ZN12_GLOBAL__N_121softmax_warp_backwardIN3c104HalfES2_fLi1ELb0ELb1ELi32EEEvPT0_PKT_S7_iiiPKb.numbered_sgpr, 16
	.set _ZN12_GLOBAL__N_121softmax_warp_backwardIN3c104HalfES2_fLi1ELb0ELb1ELi32EEEvPT0_PKT_S7_iiiPKb.num_named_barrier, 0
	.set _ZN12_GLOBAL__N_121softmax_warp_backwardIN3c104HalfES2_fLi1ELb0ELb1ELi32EEEvPT0_PKT_S7_iiiPKb.private_seg_size, 0
	.set _ZN12_GLOBAL__N_121softmax_warp_backwardIN3c104HalfES2_fLi1ELb0ELb1ELi32EEEvPT0_PKT_S7_iiiPKb.uses_vcc, 1
	.set _ZN12_GLOBAL__N_121softmax_warp_backwardIN3c104HalfES2_fLi1ELb0ELb1ELi32EEEvPT0_PKT_S7_iiiPKb.uses_flat_scratch, 0
	.set _ZN12_GLOBAL__N_121softmax_warp_backwardIN3c104HalfES2_fLi1ELb0ELb1ELi32EEEvPT0_PKT_S7_iiiPKb.has_dyn_sized_stack, 0
	.set _ZN12_GLOBAL__N_121softmax_warp_backwardIN3c104HalfES2_fLi1ELb0ELb1ELi32EEEvPT0_PKT_S7_iiiPKb.has_recursion, 0
	.set _ZN12_GLOBAL__N_121softmax_warp_backwardIN3c104HalfES2_fLi1ELb0ELb1ELi32EEEvPT0_PKT_S7_iiiPKb.has_indirect_call, 0
	.section	.AMDGPU.csdata,"",@progbits
; Kernel info:
; codeLenInByte = 720
; TotalNumSgprs: 18
; NumVgprs: 15
; ScratchSize: 0
; MemoryBound: 0
; FloatMode: 240
; IeeeMode: 1
; LDSByteSize: 0 bytes/workgroup (compile time only)
; SGPRBlocks: 0
; VGPRBlocks: 1
; NumSGPRsForWavesPerEU: 18
; NumVGPRsForWavesPerEU: 15
; Occupancy: 16
; WaveLimiterHint : 0
; COMPUTE_PGM_RSRC2:SCRATCH_EN: 0
; COMPUTE_PGM_RSRC2:USER_SGPR: 6
; COMPUTE_PGM_RSRC2:TRAP_HANDLER: 0
; COMPUTE_PGM_RSRC2:TGID_X_EN: 1
; COMPUTE_PGM_RSRC2:TGID_Y_EN: 0
; COMPUTE_PGM_RSRC2:TGID_Z_EN: 0
; COMPUTE_PGM_RSRC2:TIDIG_COMP_CNT: 1
	.section	.text._ZN12_GLOBAL__N_121softmax_warp_backwardIN3c104HalfES2_fLi2ELb0ELb1ELi64EEEvPT0_PKT_S7_iiiPKb,"axG",@progbits,_ZN12_GLOBAL__N_121softmax_warp_backwardIN3c104HalfES2_fLi2ELb0ELb1ELi64EEEvPT0_PKT_S7_iiiPKb,comdat
	.globl	_ZN12_GLOBAL__N_121softmax_warp_backwardIN3c104HalfES2_fLi2ELb0ELb1ELi64EEEvPT0_PKT_S7_iiiPKb ; -- Begin function _ZN12_GLOBAL__N_121softmax_warp_backwardIN3c104HalfES2_fLi2ELb0ELb1ELi64EEEvPT0_PKT_S7_iiiPKb
	.p2align	8
	.type	_ZN12_GLOBAL__N_121softmax_warp_backwardIN3c104HalfES2_fLi2ELb0ELb1ELi64EEEvPT0_PKT_S7_iiiPKb,@function
_ZN12_GLOBAL__N_121softmax_warp_backwardIN3c104HalfES2_fLi2ELb0ELb1ELi64EEEvPT0_PKT_S7_iiiPKb: ; @_ZN12_GLOBAL__N_121softmax_warp_backwardIN3c104HalfES2_fLi2ELb0ELb1ELi64EEEvPT0_PKT_S7_iiiPKb
; %bb.0:
	s_clause 0x1
	s_load_dword s0, s[4:5], 0x3c
	s_load_dwordx4 s[8:11], s[4:5], 0x18
	v_and_b32_e32 v4, 3, v0
	s_clause 0x1
	s_load_dwordx4 s[12:15], s[4:5], 0x0
	s_load_dwordx2 s[2:3], s[4:5], 0x10
	v_mov_b32_e32 v11, 0
	v_mov_b32_e32 v12, 0
	s_waitcnt lgkmcnt(0)
	s_mov_b32 s11, 0
	s_lshr_b32 s0, s0, 16
	v_cmp_gt_i32_e32 vcc_lo, s10, v4
	s_and_b32 s0, s0, 0xffff
	s_mul_i32 s6, s6, s0
	v_add_lshl_u32 v0, s6, v1, 1
	v_mad_u64_u32 v[2:3], null, v0, s9, v[4:5]
	v_sub_nc_u32_e32 v10, s8, v0
	v_cmp_lt_i32_e64 s0, 0, v10
	v_ashrrev_i32_e32 v3, 31, v2
	v_lshlrev_b64 v[0:1], 1, v[2:3]
	v_add_co_u32 v8, s1, s14, v0
	v_add_co_ci_u32_e64 v9, null, s15, v1, s1
	v_add_co_u32 v6, s1, s2, v0
	v_add_co_ci_u32_e64 v7, null, s3, v1, s1
	s_and_b32 s2, vcc_lo, s0
	s_and_saveexec_b32 s1, s2
	s_cbranch_execz .LBB816_2
; %bb.1:
	global_load_ushort v4, v[8:9], off
	global_load_ushort v5, v[6:7], off
	s_waitcnt vmcnt(1)
	v_cvt_f32_f16_e32 v12, v4
	s_waitcnt vmcnt(0)
	v_cvt_f32_f16_e32 v11, v5
.LBB816_2:
	s_or_b32 exec_lo, exec_lo, s1
	v_cmp_gt_i32_e64 s1, 2, v10
	v_mov_b32_e32 v4, s10
	v_mov_b32_e32 v5, s11
	s_xor_b32 s2, vcc_lo, -1
	s_or_b32 s1, s2, s1
	s_and_saveexec_b32 s2, s1
	s_xor_b32 s1, exec_lo, s2
                                        ; implicit-def: $vgpr14
                                        ; implicit-def: $vgpr13
; %bb.3:
	v_mov_b32_e32 v13, 0
	s_ashr_i32 s3, s10, 31
	s_mov_b32 s2, s10
	v_mov_b32_e32 v5, s3
	v_mov_b32_e32 v4, s2
	;; [unrolled: 1-line block ×3, first 2 shown]
                                        ; implicit-def: $vgpr6
                                        ; implicit-def: $vgpr8
; %bb.4:
	s_andn2_saveexec_b32 s2, s1
	s_cbranch_execz .LBB816_6
; %bb.5:
	s_lshl_b64 s[6:7], s[10:11], 1
	v_add_co_u32 v8, s1, v8, s6
	v_add_co_ci_u32_e64 v9, null, s7, v9, s1
	v_add_co_u32 v6, s1, v6, s6
	v_add_co_ci_u32_e64 v7, null, s7, v7, s1
	global_load_ushort v8, v[8:9], off
	global_load_ushort v6, v[6:7], off
	s_waitcnt vmcnt(1)
	v_cvt_f32_f16_e32 v13, v8
	s_waitcnt vmcnt(0)
	v_cvt_f32_f16_e32 v14, v6
.LBB816_6:
	s_or_b32 exec_lo, exec_lo, s2
	s_load_dwordx2 s[2:3], s[4:5], 0x28
	v_add_f32_e32 v7, 0, v12
	v_add_f32_e32 v8, 0, v13
	s_waitcnt lgkmcnt(0)
	v_add_co_u32 v2, s1, s2, v2
	v_add_co_ci_u32_e64 v3, null, s3, v3, s1
	v_add_co_u32 v4, s1, v2, v4
	v_add_co_ci_u32_e64 v5, null, v3, v5, s1
	s_clause 0x1
	global_load_ubyte v2, v[2:3], off
	global_load_ubyte v3, v[4:5], off
	v_mbcnt_lo_u32_b32 v4, -1, 0
	v_and_b32_e32 v5, 28, v4
	v_xor_b32_e32 v6, 2, v4
	v_add_nc_u32_e32 v5, 4, v5
	v_cmp_lt_i32_e64 s1, v6, v5
	v_cndmask_b32_e64 v6, v4, v6, s1
	v_lshlrev_b32_e32 v6, 2, v6
	s_waitcnt vmcnt(1)
	v_and_b32_e32 v2, 1, v2
	s_waitcnt vmcnt(0)
	v_and_b32_e32 v3, 1, v3
	v_cmp_eq_u32_e64 s2, 1, v2
	v_cmp_eq_u32_e64 s1, 1, v3
	v_cndmask_b32_e64 v2, v7, 0, s2
	v_cndmask_b32_e64 v3, v8, 0, s1
	v_xor_b32_e32 v8, 1, v4
	ds_bpermute_b32 v7, v6, v2
	ds_bpermute_b32 v6, v6, v3
	v_cmp_lt_i32_e64 s3, v8, v5
	v_cndmask_b32_e64 v5, v4, v8, s3
	s_waitcnt lgkmcnt(1)
	v_add_f32_e32 v4, v2, v7
	v_lshlrev_b32_e32 v7, 2, v5
	s_waitcnt lgkmcnt(0)
	v_add_f32_e32 v2, v3, v6
	ds_bpermute_b32 v5, v7, v4
	ds_bpermute_b32 v3, v7, v2
	s_and_saveexec_b32 s3, s0
	s_cbranch_execz .LBB816_18
; %bb.7:
	v_add_co_u32 v0, s0, s12, v0
	v_add_co_ci_u32_e64 v1, null, s13, v1, s0
	s_and_saveexec_b32 s0, vcc_lo
	s_cbranch_execz .LBB816_12
; %bb.8:
	s_xor_b32 s2, s2, -1
	s_and_saveexec_b32 s3, s2
	s_xor_b32 s2, exec_lo, s3
	s_cbranch_execz .LBB816_10
; %bb.9:
	s_waitcnt lgkmcnt(1)
	v_add_f32_e32 v4, v4, v5
	v_fma_mixlo_f16 v4, -v11, v4, v12
	global_store_short v[0:1], v4, off
.LBB816_10:
	s_andn2_saveexec_b32 s2, s2
	s_cbranch_execz .LBB816_12
; %bb.11:
	v_mov_b32_e32 v4, 0
	global_store_short v[0:1], v4, off
.LBB816_12:
	s_or_b32 exec_lo, exec_lo, s0
	v_cmp_ne_u32_e64 s0, 1, v10
	s_and_b32 exec_lo, exec_lo, s0
	s_cbranch_execz .LBB816_18
; %bb.13:
	s_and_b32 exec_lo, exec_lo, vcc_lo
	s_cbranch_execz .LBB816_18
; %bb.14:
	s_lshl_b64 s[2:3], s[10:11], 1
	s_xor_b32 s0, s1, -1
	v_add_co_u32 v0, vcc_lo, v0, s2
	v_add_co_ci_u32_e64 v1, null, s3, v1, vcc_lo
	s_and_saveexec_b32 s1, s0
	s_xor_b32 s0, exec_lo, s1
	s_cbranch_execz .LBB816_16
; %bb.15:
	s_waitcnt lgkmcnt(0)
	v_add_f32_e32 v2, v2, v3
	v_fma_mixlo_f16 v2, -v14, v2, v13
	global_store_short v[0:1], v2, off
                                        ; implicit-def: $vgpr0_vgpr1
.LBB816_16:
	s_andn2_saveexec_b32 s0, s0
	s_cbranch_execz .LBB816_18
; %bb.17:
	v_mov_b32_e32 v2, 0
	global_store_short v[0:1], v2, off
.LBB816_18:
	s_endpgm
	.section	.rodata,"a",@progbits
	.p2align	6, 0x0
	.amdhsa_kernel _ZN12_GLOBAL__N_121softmax_warp_backwardIN3c104HalfES2_fLi2ELb0ELb1ELi64EEEvPT0_PKT_S7_iiiPKb
		.amdhsa_group_segment_fixed_size 0
		.amdhsa_private_segment_fixed_size 0
		.amdhsa_kernarg_size 304
		.amdhsa_user_sgpr_count 6
		.amdhsa_user_sgpr_private_segment_buffer 1
		.amdhsa_user_sgpr_dispatch_ptr 0
		.amdhsa_user_sgpr_queue_ptr 0
		.amdhsa_user_sgpr_kernarg_segment_ptr 1
		.amdhsa_user_sgpr_dispatch_id 0
		.amdhsa_user_sgpr_flat_scratch_init 0
		.amdhsa_user_sgpr_private_segment_size 0
		.amdhsa_wavefront_size32 1
		.amdhsa_uses_dynamic_stack 0
		.amdhsa_system_sgpr_private_segment_wavefront_offset 0
		.amdhsa_system_sgpr_workgroup_id_x 1
		.amdhsa_system_sgpr_workgroup_id_y 0
		.amdhsa_system_sgpr_workgroup_id_z 0
		.amdhsa_system_sgpr_workgroup_info 0
		.amdhsa_system_vgpr_workitem_id 1
		.amdhsa_next_free_vgpr 15
		.amdhsa_next_free_sgpr 16
		.amdhsa_reserve_vcc 1
		.amdhsa_reserve_flat_scratch 0
		.amdhsa_float_round_mode_32 0
		.amdhsa_float_round_mode_16_64 0
		.amdhsa_float_denorm_mode_32 3
		.amdhsa_float_denorm_mode_16_64 3
		.amdhsa_dx10_clamp 1
		.amdhsa_ieee_mode 1
		.amdhsa_fp16_overflow 0
		.amdhsa_workgroup_processor_mode 1
		.amdhsa_memory_ordered 1
		.amdhsa_forward_progress 1
		.amdhsa_shared_vgpr_count 0
		.amdhsa_exception_fp_ieee_invalid_op 0
		.amdhsa_exception_fp_denorm_src 0
		.amdhsa_exception_fp_ieee_div_zero 0
		.amdhsa_exception_fp_ieee_overflow 0
		.amdhsa_exception_fp_ieee_underflow 0
		.amdhsa_exception_fp_ieee_inexact 0
		.amdhsa_exception_int_div_zero 0
	.end_amdhsa_kernel
	.section	.text._ZN12_GLOBAL__N_121softmax_warp_backwardIN3c104HalfES2_fLi2ELb0ELb1ELi64EEEvPT0_PKT_S7_iiiPKb,"axG",@progbits,_ZN12_GLOBAL__N_121softmax_warp_backwardIN3c104HalfES2_fLi2ELb0ELb1ELi64EEEvPT0_PKT_S7_iiiPKb,comdat
.Lfunc_end816:
	.size	_ZN12_GLOBAL__N_121softmax_warp_backwardIN3c104HalfES2_fLi2ELb0ELb1ELi64EEEvPT0_PKT_S7_iiiPKb, .Lfunc_end816-_ZN12_GLOBAL__N_121softmax_warp_backwardIN3c104HalfES2_fLi2ELb0ELb1ELi64EEEvPT0_PKT_S7_iiiPKb
                                        ; -- End function
	.set _ZN12_GLOBAL__N_121softmax_warp_backwardIN3c104HalfES2_fLi2ELb0ELb1ELi64EEEvPT0_PKT_S7_iiiPKb.num_vgpr, 15
	.set _ZN12_GLOBAL__N_121softmax_warp_backwardIN3c104HalfES2_fLi2ELb0ELb1ELi64EEEvPT0_PKT_S7_iiiPKb.num_agpr, 0
	.set _ZN12_GLOBAL__N_121softmax_warp_backwardIN3c104HalfES2_fLi2ELb0ELb1ELi64EEEvPT0_PKT_S7_iiiPKb.numbered_sgpr, 16
	.set _ZN12_GLOBAL__N_121softmax_warp_backwardIN3c104HalfES2_fLi2ELb0ELb1ELi64EEEvPT0_PKT_S7_iiiPKb.num_named_barrier, 0
	.set _ZN12_GLOBAL__N_121softmax_warp_backwardIN3c104HalfES2_fLi2ELb0ELb1ELi64EEEvPT0_PKT_S7_iiiPKb.private_seg_size, 0
	.set _ZN12_GLOBAL__N_121softmax_warp_backwardIN3c104HalfES2_fLi2ELb0ELb1ELi64EEEvPT0_PKT_S7_iiiPKb.uses_vcc, 1
	.set _ZN12_GLOBAL__N_121softmax_warp_backwardIN3c104HalfES2_fLi2ELb0ELb1ELi64EEEvPT0_PKT_S7_iiiPKb.uses_flat_scratch, 0
	.set _ZN12_GLOBAL__N_121softmax_warp_backwardIN3c104HalfES2_fLi2ELb0ELb1ELi64EEEvPT0_PKT_S7_iiiPKb.has_dyn_sized_stack, 0
	.set _ZN12_GLOBAL__N_121softmax_warp_backwardIN3c104HalfES2_fLi2ELb0ELb1ELi64EEEvPT0_PKT_S7_iiiPKb.has_recursion, 0
	.set _ZN12_GLOBAL__N_121softmax_warp_backwardIN3c104HalfES2_fLi2ELb0ELb1ELi64EEEvPT0_PKT_S7_iiiPKb.has_indirect_call, 0
	.section	.AMDGPU.csdata,"",@progbits
; Kernel info:
; codeLenInByte = 772
; TotalNumSgprs: 18
; NumVgprs: 15
; ScratchSize: 0
; MemoryBound: 0
; FloatMode: 240
; IeeeMode: 1
; LDSByteSize: 0 bytes/workgroup (compile time only)
; SGPRBlocks: 0
; VGPRBlocks: 1
; NumSGPRsForWavesPerEU: 18
; NumVGPRsForWavesPerEU: 15
; Occupancy: 16
; WaveLimiterHint : 0
; COMPUTE_PGM_RSRC2:SCRATCH_EN: 0
; COMPUTE_PGM_RSRC2:USER_SGPR: 6
; COMPUTE_PGM_RSRC2:TRAP_HANDLER: 0
; COMPUTE_PGM_RSRC2:TGID_X_EN: 1
; COMPUTE_PGM_RSRC2:TGID_Y_EN: 0
; COMPUTE_PGM_RSRC2:TGID_Z_EN: 0
; COMPUTE_PGM_RSRC2:TIDIG_COMP_CNT: 1
	.section	.text._ZN12_GLOBAL__N_121softmax_warp_backwardIN3c104HalfES2_fLi2ELb0ELb1ELi32EEEvPT0_PKT_S7_iiiPKb,"axG",@progbits,_ZN12_GLOBAL__N_121softmax_warp_backwardIN3c104HalfES2_fLi2ELb0ELb1ELi32EEEvPT0_PKT_S7_iiiPKb,comdat
	.globl	_ZN12_GLOBAL__N_121softmax_warp_backwardIN3c104HalfES2_fLi2ELb0ELb1ELi32EEEvPT0_PKT_S7_iiiPKb ; -- Begin function _ZN12_GLOBAL__N_121softmax_warp_backwardIN3c104HalfES2_fLi2ELb0ELb1ELi32EEEvPT0_PKT_S7_iiiPKb
	.p2align	8
	.type	_ZN12_GLOBAL__N_121softmax_warp_backwardIN3c104HalfES2_fLi2ELb0ELb1ELi32EEEvPT0_PKT_S7_iiiPKb,@function
_ZN12_GLOBAL__N_121softmax_warp_backwardIN3c104HalfES2_fLi2ELb0ELb1ELi32EEEvPT0_PKT_S7_iiiPKb: ; @_ZN12_GLOBAL__N_121softmax_warp_backwardIN3c104HalfES2_fLi2ELb0ELb1ELi32EEEvPT0_PKT_S7_iiiPKb
; %bb.0:
	s_clause 0x1
	s_load_dword s0, s[4:5], 0x3c
	s_load_dwordx4 s[8:11], s[4:5], 0x18
	v_and_b32_e32 v4, 3, v0
	s_clause 0x1
	s_load_dwordx4 s[12:15], s[4:5], 0x0
	s_load_dwordx2 s[2:3], s[4:5], 0x10
	v_mov_b32_e32 v11, 0
	v_mov_b32_e32 v12, 0
	s_waitcnt lgkmcnt(0)
	s_mov_b32 s11, 0
	s_lshr_b32 s0, s0, 16
	v_cmp_gt_i32_e32 vcc_lo, s10, v4
	s_and_b32 s0, s0, 0xffff
	s_mul_i32 s6, s6, s0
	v_add_lshl_u32 v0, s6, v1, 1
	v_mad_u64_u32 v[2:3], null, v0, s9, v[4:5]
	v_sub_nc_u32_e32 v10, s8, v0
	v_cmp_lt_i32_e64 s0, 0, v10
	v_ashrrev_i32_e32 v3, 31, v2
	v_lshlrev_b64 v[0:1], 1, v[2:3]
	v_add_co_u32 v8, s1, s14, v0
	v_add_co_ci_u32_e64 v9, null, s15, v1, s1
	v_add_co_u32 v6, s1, s2, v0
	v_add_co_ci_u32_e64 v7, null, s3, v1, s1
	s_and_b32 s2, vcc_lo, s0
	s_and_saveexec_b32 s1, s2
	s_cbranch_execz .LBB817_2
; %bb.1:
	global_load_ushort v4, v[8:9], off
	global_load_ushort v5, v[6:7], off
	s_waitcnt vmcnt(1)
	v_cvt_f32_f16_e32 v12, v4
	s_waitcnt vmcnt(0)
	v_cvt_f32_f16_e32 v11, v5
.LBB817_2:
	s_or_b32 exec_lo, exec_lo, s1
	v_cmp_gt_i32_e64 s1, 2, v10
	v_mov_b32_e32 v4, s10
	v_mov_b32_e32 v5, s11
	s_xor_b32 s2, vcc_lo, -1
	s_or_b32 s1, s2, s1
	s_and_saveexec_b32 s2, s1
	s_xor_b32 s1, exec_lo, s2
                                        ; implicit-def: $vgpr14
                                        ; implicit-def: $vgpr13
; %bb.3:
	v_mov_b32_e32 v13, 0
	s_ashr_i32 s3, s10, 31
	s_mov_b32 s2, s10
	v_mov_b32_e32 v5, s3
	v_mov_b32_e32 v4, s2
	;; [unrolled: 1-line block ×3, first 2 shown]
                                        ; implicit-def: $vgpr6
                                        ; implicit-def: $vgpr8
; %bb.4:
	s_andn2_saveexec_b32 s2, s1
	s_cbranch_execz .LBB817_6
; %bb.5:
	s_lshl_b64 s[6:7], s[10:11], 1
	v_add_co_u32 v8, s1, v8, s6
	v_add_co_ci_u32_e64 v9, null, s7, v9, s1
	v_add_co_u32 v6, s1, v6, s6
	v_add_co_ci_u32_e64 v7, null, s7, v7, s1
	global_load_ushort v8, v[8:9], off
	global_load_ushort v6, v[6:7], off
	s_waitcnt vmcnt(1)
	v_cvt_f32_f16_e32 v13, v8
	s_waitcnt vmcnt(0)
	v_cvt_f32_f16_e32 v14, v6
.LBB817_6:
	s_or_b32 exec_lo, exec_lo, s2
	s_load_dwordx2 s[2:3], s[4:5], 0x28
	v_add_f32_e32 v7, 0, v12
	v_add_f32_e32 v8, 0, v13
	s_waitcnt lgkmcnt(0)
	v_add_co_u32 v2, s1, s2, v2
	v_add_co_ci_u32_e64 v3, null, s3, v3, s1
	v_add_co_u32 v4, s1, v2, v4
	v_add_co_ci_u32_e64 v5, null, v3, v5, s1
	s_clause 0x1
	global_load_ubyte v2, v[2:3], off
	global_load_ubyte v3, v[4:5], off
	v_mbcnt_lo_u32_b32 v4, -1, 0
	v_and_b32_e32 v5, 28, v4
	v_xor_b32_e32 v6, 2, v4
	v_add_nc_u32_e32 v5, 4, v5
	v_cmp_lt_i32_e64 s1, v6, v5
	v_cndmask_b32_e64 v6, v4, v6, s1
	v_lshlrev_b32_e32 v6, 2, v6
	s_waitcnt vmcnt(1)
	v_and_b32_e32 v2, 1, v2
	s_waitcnt vmcnt(0)
	v_and_b32_e32 v3, 1, v3
	v_cmp_eq_u32_e64 s2, 1, v2
	v_cmp_eq_u32_e64 s1, 1, v3
	v_cndmask_b32_e64 v2, v7, 0, s2
	v_cndmask_b32_e64 v3, v8, 0, s1
	v_xor_b32_e32 v8, 1, v4
	ds_bpermute_b32 v7, v6, v2
	ds_bpermute_b32 v6, v6, v3
	v_cmp_lt_i32_e64 s3, v8, v5
	v_cndmask_b32_e64 v5, v4, v8, s3
	s_waitcnt lgkmcnt(1)
	v_add_f32_e32 v4, v2, v7
	v_lshlrev_b32_e32 v7, 2, v5
	s_waitcnt lgkmcnt(0)
	v_add_f32_e32 v2, v3, v6
	ds_bpermute_b32 v5, v7, v4
	ds_bpermute_b32 v3, v7, v2
	s_and_saveexec_b32 s3, s0
	s_cbranch_execz .LBB817_18
; %bb.7:
	v_add_co_u32 v0, s0, s12, v0
	v_add_co_ci_u32_e64 v1, null, s13, v1, s0
	s_and_saveexec_b32 s0, vcc_lo
	s_cbranch_execz .LBB817_12
; %bb.8:
	s_xor_b32 s2, s2, -1
	s_and_saveexec_b32 s3, s2
	s_xor_b32 s2, exec_lo, s3
	s_cbranch_execz .LBB817_10
; %bb.9:
	s_waitcnt lgkmcnt(1)
	v_add_f32_e32 v4, v4, v5
	v_fma_mixlo_f16 v4, -v11, v4, v12
	global_store_short v[0:1], v4, off
.LBB817_10:
	s_andn2_saveexec_b32 s2, s2
	s_cbranch_execz .LBB817_12
; %bb.11:
	v_mov_b32_e32 v4, 0
	global_store_short v[0:1], v4, off
.LBB817_12:
	s_or_b32 exec_lo, exec_lo, s0
	v_cmp_ne_u32_e64 s0, 1, v10
	s_and_b32 exec_lo, exec_lo, s0
	s_cbranch_execz .LBB817_18
; %bb.13:
	s_and_b32 exec_lo, exec_lo, vcc_lo
	s_cbranch_execz .LBB817_18
; %bb.14:
	s_lshl_b64 s[2:3], s[10:11], 1
	s_xor_b32 s0, s1, -1
	v_add_co_u32 v0, vcc_lo, v0, s2
	v_add_co_ci_u32_e64 v1, null, s3, v1, vcc_lo
	s_and_saveexec_b32 s1, s0
	s_xor_b32 s0, exec_lo, s1
	s_cbranch_execz .LBB817_16
; %bb.15:
	s_waitcnt lgkmcnt(0)
	v_add_f32_e32 v2, v2, v3
	v_fma_mixlo_f16 v2, -v14, v2, v13
	global_store_short v[0:1], v2, off
                                        ; implicit-def: $vgpr0_vgpr1
.LBB817_16:
	s_andn2_saveexec_b32 s0, s0
	s_cbranch_execz .LBB817_18
; %bb.17:
	v_mov_b32_e32 v2, 0
	global_store_short v[0:1], v2, off
.LBB817_18:
	s_endpgm
	.section	.rodata,"a",@progbits
	.p2align	6, 0x0
	.amdhsa_kernel _ZN12_GLOBAL__N_121softmax_warp_backwardIN3c104HalfES2_fLi2ELb0ELb1ELi32EEEvPT0_PKT_S7_iiiPKb
		.amdhsa_group_segment_fixed_size 0
		.amdhsa_private_segment_fixed_size 0
		.amdhsa_kernarg_size 304
		.amdhsa_user_sgpr_count 6
		.amdhsa_user_sgpr_private_segment_buffer 1
		.amdhsa_user_sgpr_dispatch_ptr 0
		.amdhsa_user_sgpr_queue_ptr 0
		.amdhsa_user_sgpr_kernarg_segment_ptr 1
		.amdhsa_user_sgpr_dispatch_id 0
		.amdhsa_user_sgpr_flat_scratch_init 0
		.amdhsa_user_sgpr_private_segment_size 0
		.amdhsa_wavefront_size32 1
		.amdhsa_uses_dynamic_stack 0
		.amdhsa_system_sgpr_private_segment_wavefront_offset 0
		.amdhsa_system_sgpr_workgroup_id_x 1
		.amdhsa_system_sgpr_workgroup_id_y 0
		.amdhsa_system_sgpr_workgroup_id_z 0
		.amdhsa_system_sgpr_workgroup_info 0
		.amdhsa_system_vgpr_workitem_id 1
		.amdhsa_next_free_vgpr 15
		.amdhsa_next_free_sgpr 16
		.amdhsa_reserve_vcc 1
		.amdhsa_reserve_flat_scratch 0
		.amdhsa_float_round_mode_32 0
		.amdhsa_float_round_mode_16_64 0
		.amdhsa_float_denorm_mode_32 3
		.amdhsa_float_denorm_mode_16_64 3
		.amdhsa_dx10_clamp 1
		.amdhsa_ieee_mode 1
		.amdhsa_fp16_overflow 0
		.amdhsa_workgroup_processor_mode 1
		.amdhsa_memory_ordered 1
		.amdhsa_forward_progress 1
		.amdhsa_shared_vgpr_count 0
		.amdhsa_exception_fp_ieee_invalid_op 0
		.amdhsa_exception_fp_denorm_src 0
		.amdhsa_exception_fp_ieee_div_zero 0
		.amdhsa_exception_fp_ieee_overflow 0
		.amdhsa_exception_fp_ieee_underflow 0
		.amdhsa_exception_fp_ieee_inexact 0
		.amdhsa_exception_int_div_zero 0
	.end_amdhsa_kernel
	.section	.text._ZN12_GLOBAL__N_121softmax_warp_backwardIN3c104HalfES2_fLi2ELb0ELb1ELi32EEEvPT0_PKT_S7_iiiPKb,"axG",@progbits,_ZN12_GLOBAL__N_121softmax_warp_backwardIN3c104HalfES2_fLi2ELb0ELb1ELi32EEEvPT0_PKT_S7_iiiPKb,comdat
.Lfunc_end817:
	.size	_ZN12_GLOBAL__N_121softmax_warp_backwardIN3c104HalfES2_fLi2ELb0ELb1ELi32EEEvPT0_PKT_S7_iiiPKb, .Lfunc_end817-_ZN12_GLOBAL__N_121softmax_warp_backwardIN3c104HalfES2_fLi2ELb0ELb1ELi32EEEvPT0_PKT_S7_iiiPKb
                                        ; -- End function
	.set _ZN12_GLOBAL__N_121softmax_warp_backwardIN3c104HalfES2_fLi2ELb0ELb1ELi32EEEvPT0_PKT_S7_iiiPKb.num_vgpr, 15
	.set _ZN12_GLOBAL__N_121softmax_warp_backwardIN3c104HalfES2_fLi2ELb0ELb1ELi32EEEvPT0_PKT_S7_iiiPKb.num_agpr, 0
	.set _ZN12_GLOBAL__N_121softmax_warp_backwardIN3c104HalfES2_fLi2ELb0ELb1ELi32EEEvPT0_PKT_S7_iiiPKb.numbered_sgpr, 16
	.set _ZN12_GLOBAL__N_121softmax_warp_backwardIN3c104HalfES2_fLi2ELb0ELb1ELi32EEEvPT0_PKT_S7_iiiPKb.num_named_barrier, 0
	.set _ZN12_GLOBAL__N_121softmax_warp_backwardIN3c104HalfES2_fLi2ELb0ELb1ELi32EEEvPT0_PKT_S7_iiiPKb.private_seg_size, 0
	.set _ZN12_GLOBAL__N_121softmax_warp_backwardIN3c104HalfES2_fLi2ELb0ELb1ELi32EEEvPT0_PKT_S7_iiiPKb.uses_vcc, 1
	.set _ZN12_GLOBAL__N_121softmax_warp_backwardIN3c104HalfES2_fLi2ELb0ELb1ELi32EEEvPT0_PKT_S7_iiiPKb.uses_flat_scratch, 0
	.set _ZN12_GLOBAL__N_121softmax_warp_backwardIN3c104HalfES2_fLi2ELb0ELb1ELi32EEEvPT0_PKT_S7_iiiPKb.has_dyn_sized_stack, 0
	.set _ZN12_GLOBAL__N_121softmax_warp_backwardIN3c104HalfES2_fLi2ELb0ELb1ELi32EEEvPT0_PKT_S7_iiiPKb.has_recursion, 0
	.set _ZN12_GLOBAL__N_121softmax_warp_backwardIN3c104HalfES2_fLi2ELb0ELb1ELi32EEEvPT0_PKT_S7_iiiPKb.has_indirect_call, 0
	.section	.AMDGPU.csdata,"",@progbits
; Kernel info:
; codeLenInByte = 772
; TotalNumSgprs: 18
; NumVgprs: 15
; ScratchSize: 0
; MemoryBound: 0
; FloatMode: 240
; IeeeMode: 1
; LDSByteSize: 0 bytes/workgroup (compile time only)
; SGPRBlocks: 0
; VGPRBlocks: 1
; NumSGPRsForWavesPerEU: 18
; NumVGPRsForWavesPerEU: 15
; Occupancy: 16
; WaveLimiterHint : 0
; COMPUTE_PGM_RSRC2:SCRATCH_EN: 0
; COMPUTE_PGM_RSRC2:USER_SGPR: 6
; COMPUTE_PGM_RSRC2:TRAP_HANDLER: 0
; COMPUTE_PGM_RSRC2:TGID_X_EN: 1
; COMPUTE_PGM_RSRC2:TGID_Y_EN: 0
; COMPUTE_PGM_RSRC2:TGID_Z_EN: 0
; COMPUTE_PGM_RSRC2:TIDIG_COMP_CNT: 1
	.section	.text._ZN12_GLOBAL__N_121softmax_warp_backwardIN3c104HalfES2_fLi3ELb0ELb1ELi64EEEvPT0_PKT_S7_iiiPKb,"axG",@progbits,_ZN12_GLOBAL__N_121softmax_warp_backwardIN3c104HalfES2_fLi3ELb0ELb1ELi64EEEvPT0_PKT_S7_iiiPKb,comdat
	.globl	_ZN12_GLOBAL__N_121softmax_warp_backwardIN3c104HalfES2_fLi3ELb0ELb1ELi64EEEvPT0_PKT_S7_iiiPKb ; -- Begin function _ZN12_GLOBAL__N_121softmax_warp_backwardIN3c104HalfES2_fLi3ELb0ELb1ELi64EEEvPT0_PKT_S7_iiiPKb
	.p2align	8
	.type	_ZN12_GLOBAL__N_121softmax_warp_backwardIN3c104HalfES2_fLi3ELb0ELb1ELi64EEEvPT0_PKT_S7_iiiPKb,@function
_ZN12_GLOBAL__N_121softmax_warp_backwardIN3c104HalfES2_fLi3ELb0ELb1ELi64EEEvPT0_PKT_S7_iiiPKb: ; @_ZN12_GLOBAL__N_121softmax_warp_backwardIN3c104HalfES2_fLi3ELb0ELb1ELi64EEEvPT0_PKT_S7_iiiPKb
; %bb.0:
	s_clause 0x1
	s_load_dword s0, s[4:5], 0x3c
	s_load_dwordx4 s[8:11], s[4:5], 0x18
	v_and_b32_e32 v4, 7, v0
	s_clause 0x1
	s_load_dwordx4 s[12:15], s[4:5], 0x0
	s_load_dwordx2 s[2:3], s[4:5], 0x10
	v_mov_b32_e32 v11, 0
	v_mov_b32_e32 v12, 0
	s_waitcnt lgkmcnt(0)
	s_mov_b32 s11, 0
	s_lshr_b32 s0, s0, 16
	v_cmp_gt_i32_e32 vcc_lo, s10, v4
	s_and_b32 s0, s0, 0xffff
	s_mul_i32 s6, s6, s0
	v_add_lshl_u32 v0, s6, v1, 1
	v_mad_u64_u32 v[2:3], null, v0, s9, v[4:5]
	v_sub_nc_u32_e32 v10, s8, v0
	v_cmp_lt_i32_e64 s0, 0, v10
	v_ashrrev_i32_e32 v3, 31, v2
	v_lshlrev_b64 v[0:1], 1, v[2:3]
	v_add_co_u32 v8, s1, s14, v0
	v_add_co_ci_u32_e64 v9, null, s15, v1, s1
	v_add_co_u32 v6, s1, s2, v0
	v_add_co_ci_u32_e64 v7, null, s3, v1, s1
	s_and_b32 s2, vcc_lo, s0
	s_and_saveexec_b32 s1, s2
	s_cbranch_execz .LBB818_2
; %bb.1:
	global_load_ushort v4, v[8:9], off
	global_load_ushort v5, v[6:7], off
	s_waitcnt vmcnt(1)
	v_cvt_f32_f16_e32 v12, v4
	s_waitcnt vmcnt(0)
	v_cvt_f32_f16_e32 v11, v5
.LBB818_2:
	s_or_b32 exec_lo, exec_lo, s1
	v_cmp_gt_i32_e64 s1, 2, v10
	v_mov_b32_e32 v4, s10
	v_mov_b32_e32 v5, s11
	s_xor_b32 s2, vcc_lo, -1
	s_or_b32 s1, s2, s1
	s_and_saveexec_b32 s2, s1
	s_xor_b32 s1, exec_lo, s2
                                        ; implicit-def: $vgpr14
                                        ; implicit-def: $vgpr13
; %bb.3:
	v_mov_b32_e32 v13, 0
	s_ashr_i32 s3, s10, 31
	s_mov_b32 s2, s10
	v_mov_b32_e32 v5, s3
	v_mov_b32_e32 v4, s2
	;; [unrolled: 1-line block ×3, first 2 shown]
                                        ; implicit-def: $vgpr6
                                        ; implicit-def: $vgpr8
; %bb.4:
	s_andn2_saveexec_b32 s2, s1
	s_cbranch_execz .LBB818_6
; %bb.5:
	s_lshl_b64 s[6:7], s[10:11], 1
	v_add_co_u32 v8, s1, v8, s6
	v_add_co_ci_u32_e64 v9, null, s7, v9, s1
	v_add_co_u32 v6, s1, v6, s6
	v_add_co_ci_u32_e64 v7, null, s7, v7, s1
	global_load_ushort v8, v[8:9], off
	global_load_ushort v6, v[6:7], off
	s_waitcnt vmcnt(1)
	v_cvt_f32_f16_e32 v13, v8
	s_waitcnt vmcnt(0)
	v_cvt_f32_f16_e32 v14, v6
.LBB818_6:
	s_or_b32 exec_lo, exec_lo, s2
	s_load_dwordx2 s[2:3], s[4:5], 0x28
	v_add_f32_e32 v7, 0, v12
	v_add_f32_e32 v8, 0, v13
	s_waitcnt lgkmcnt(0)
	v_add_co_u32 v2, s1, s2, v2
	v_add_co_ci_u32_e64 v3, null, s3, v3, s1
	v_add_co_u32 v4, s1, v2, v4
	v_add_co_ci_u32_e64 v5, null, v3, v5, s1
	s_clause 0x1
	global_load_ubyte v2, v[2:3], off
	global_load_ubyte v3, v[4:5], off
	v_mbcnt_lo_u32_b32 v4, -1, 0
	v_and_b32_e32 v5, 24, v4
	v_xor_b32_e32 v6, 4, v4
	v_add_nc_u32_e32 v5, 8, v5
	v_cmp_lt_i32_e64 s1, v6, v5
	v_cndmask_b32_e64 v6, v4, v6, s1
	v_lshlrev_b32_e32 v6, 2, v6
	s_waitcnt vmcnt(1)
	v_and_b32_e32 v2, 1, v2
	s_waitcnt vmcnt(0)
	v_and_b32_e32 v3, 1, v3
	v_cmp_eq_u32_e64 s2, 1, v2
	v_cmp_eq_u32_e64 s1, 1, v3
	v_cndmask_b32_e64 v2, v7, 0, s2
	v_cndmask_b32_e64 v3, v8, 0, s1
	v_xor_b32_e32 v8, 2, v4
	ds_bpermute_b32 v7, v6, v2
	ds_bpermute_b32 v6, v6, v3
	v_cmp_lt_i32_e64 s3, v8, v5
	v_cndmask_b32_e64 v8, v4, v8, s3
	s_waitcnt lgkmcnt(1)
	v_add_f32_e32 v2, v2, v7
	v_lshlrev_b32_e32 v7, 2, v8
	s_waitcnt lgkmcnt(0)
	v_add_f32_e32 v3, v3, v6
	v_xor_b32_e32 v8, 1, v4
	ds_bpermute_b32 v6, v7, v2
	ds_bpermute_b32 v7, v7, v3
	v_cmp_lt_i32_e64 s3, v8, v5
	v_cndmask_b32_e64 v5, v4, v8, s3
	s_waitcnt lgkmcnt(1)
	v_add_f32_e32 v4, v2, v6
	v_lshlrev_b32_e32 v6, 2, v5
	s_waitcnt lgkmcnt(0)
	v_add_f32_e32 v2, v3, v7
	ds_bpermute_b32 v5, v6, v4
	ds_bpermute_b32 v3, v6, v2
	s_and_saveexec_b32 s3, s0
	s_cbranch_execz .LBB818_18
; %bb.7:
	v_add_co_u32 v0, s0, s12, v0
	v_add_co_ci_u32_e64 v1, null, s13, v1, s0
	s_and_saveexec_b32 s0, vcc_lo
	s_cbranch_execz .LBB818_12
; %bb.8:
	s_xor_b32 s2, s2, -1
	s_and_saveexec_b32 s3, s2
	s_xor_b32 s2, exec_lo, s3
	s_cbranch_execz .LBB818_10
; %bb.9:
	s_waitcnt lgkmcnt(1)
	v_add_f32_e32 v4, v4, v5
	v_fma_mixlo_f16 v4, -v11, v4, v12
	global_store_short v[0:1], v4, off
.LBB818_10:
	s_andn2_saveexec_b32 s2, s2
	s_cbranch_execz .LBB818_12
; %bb.11:
	v_mov_b32_e32 v4, 0
	global_store_short v[0:1], v4, off
.LBB818_12:
	s_or_b32 exec_lo, exec_lo, s0
	v_cmp_ne_u32_e64 s0, 1, v10
	s_and_b32 exec_lo, exec_lo, s0
	s_cbranch_execz .LBB818_18
; %bb.13:
	s_and_b32 exec_lo, exec_lo, vcc_lo
	s_cbranch_execz .LBB818_18
; %bb.14:
	s_lshl_b64 s[2:3], s[10:11], 1
	s_xor_b32 s0, s1, -1
	v_add_co_u32 v0, vcc_lo, v0, s2
	v_add_co_ci_u32_e64 v1, null, s3, v1, vcc_lo
	s_and_saveexec_b32 s1, s0
	s_xor_b32 s0, exec_lo, s1
	s_cbranch_execz .LBB818_16
; %bb.15:
	s_waitcnt lgkmcnt(0)
	v_add_f32_e32 v2, v2, v3
	v_fma_mixlo_f16 v2, -v14, v2, v13
	global_store_short v[0:1], v2, off
                                        ; implicit-def: $vgpr0_vgpr1
.LBB818_16:
	s_andn2_saveexec_b32 s0, s0
	s_cbranch_execz .LBB818_18
; %bb.17:
	v_mov_b32_e32 v2, 0
	global_store_short v[0:1], v2, off
.LBB818_18:
	s_endpgm
	.section	.rodata,"a",@progbits
	.p2align	6, 0x0
	.amdhsa_kernel _ZN12_GLOBAL__N_121softmax_warp_backwardIN3c104HalfES2_fLi3ELb0ELb1ELi64EEEvPT0_PKT_S7_iiiPKb
		.amdhsa_group_segment_fixed_size 0
		.amdhsa_private_segment_fixed_size 0
		.amdhsa_kernarg_size 304
		.amdhsa_user_sgpr_count 6
		.amdhsa_user_sgpr_private_segment_buffer 1
		.amdhsa_user_sgpr_dispatch_ptr 0
		.amdhsa_user_sgpr_queue_ptr 0
		.amdhsa_user_sgpr_kernarg_segment_ptr 1
		.amdhsa_user_sgpr_dispatch_id 0
		.amdhsa_user_sgpr_flat_scratch_init 0
		.amdhsa_user_sgpr_private_segment_size 0
		.amdhsa_wavefront_size32 1
		.amdhsa_uses_dynamic_stack 0
		.amdhsa_system_sgpr_private_segment_wavefront_offset 0
		.amdhsa_system_sgpr_workgroup_id_x 1
		.amdhsa_system_sgpr_workgroup_id_y 0
		.amdhsa_system_sgpr_workgroup_id_z 0
		.amdhsa_system_sgpr_workgroup_info 0
		.amdhsa_system_vgpr_workitem_id 1
		.amdhsa_next_free_vgpr 15
		.amdhsa_next_free_sgpr 16
		.amdhsa_reserve_vcc 1
		.amdhsa_reserve_flat_scratch 0
		.amdhsa_float_round_mode_32 0
		.amdhsa_float_round_mode_16_64 0
		.amdhsa_float_denorm_mode_32 3
		.amdhsa_float_denorm_mode_16_64 3
		.amdhsa_dx10_clamp 1
		.amdhsa_ieee_mode 1
		.amdhsa_fp16_overflow 0
		.amdhsa_workgroup_processor_mode 1
		.amdhsa_memory_ordered 1
		.amdhsa_forward_progress 1
		.amdhsa_shared_vgpr_count 0
		.amdhsa_exception_fp_ieee_invalid_op 0
		.amdhsa_exception_fp_denorm_src 0
		.amdhsa_exception_fp_ieee_div_zero 0
		.amdhsa_exception_fp_ieee_overflow 0
		.amdhsa_exception_fp_ieee_underflow 0
		.amdhsa_exception_fp_ieee_inexact 0
		.amdhsa_exception_int_div_zero 0
	.end_amdhsa_kernel
	.section	.text._ZN12_GLOBAL__N_121softmax_warp_backwardIN3c104HalfES2_fLi3ELb0ELb1ELi64EEEvPT0_PKT_S7_iiiPKb,"axG",@progbits,_ZN12_GLOBAL__N_121softmax_warp_backwardIN3c104HalfES2_fLi3ELb0ELb1ELi64EEEvPT0_PKT_S7_iiiPKb,comdat
.Lfunc_end818:
	.size	_ZN12_GLOBAL__N_121softmax_warp_backwardIN3c104HalfES2_fLi3ELb0ELb1ELi64EEEvPT0_PKT_S7_iiiPKb, .Lfunc_end818-_ZN12_GLOBAL__N_121softmax_warp_backwardIN3c104HalfES2_fLi3ELb0ELb1ELi64EEEvPT0_PKT_S7_iiiPKb
                                        ; -- End function
	.set _ZN12_GLOBAL__N_121softmax_warp_backwardIN3c104HalfES2_fLi3ELb0ELb1ELi64EEEvPT0_PKT_S7_iiiPKb.num_vgpr, 15
	.set _ZN12_GLOBAL__N_121softmax_warp_backwardIN3c104HalfES2_fLi3ELb0ELb1ELi64EEEvPT0_PKT_S7_iiiPKb.num_agpr, 0
	.set _ZN12_GLOBAL__N_121softmax_warp_backwardIN3c104HalfES2_fLi3ELb0ELb1ELi64EEEvPT0_PKT_S7_iiiPKb.numbered_sgpr, 16
	.set _ZN12_GLOBAL__N_121softmax_warp_backwardIN3c104HalfES2_fLi3ELb0ELb1ELi64EEEvPT0_PKT_S7_iiiPKb.num_named_barrier, 0
	.set _ZN12_GLOBAL__N_121softmax_warp_backwardIN3c104HalfES2_fLi3ELb0ELb1ELi64EEEvPT0_PKT_S7_iiiPKb.private_seg_size, 0
	.set _ZN12_GLOBAL__N_121softmax_warp_backwardIN3c104HalfES2_fLi3ELb0ELb1ELi64EEEvPT0_PKT_S7_iiiPKb.uses_vcc, 1
	.set _ZN12_GLOBAL__N_121softmax_warp_backwardIN3c104HalfES2_fLi3ELb0ELb1ELi64EEEvPT0_PKT_S7_iiiPKb.uses_flat_scratch, 0
	.set _ZN12_GLOBAL__N_121softmax_warp_backwardIN3c104HalfES2_fLi3ELb0ELb1ELi64EEEvPT0_PKT_S7_iiiPKb.has_dyn_sized_stack, 0
	.set _ZN12_GLOBAL__N_121softmax_warp_backwardIN3c104HalfES2_fLi3ELb0ELb1ELi64EEEvPT0_PKT_S7_iiiPKb.has_recursion, 0
	.set _ZN12_GLOBAL__N_121softmax_warp_backwardIN3c104HalfES2_fLi3ELb0ELb1ELi64EEEvPT0_PKT_S7_iiiPKb.has_indirect_call, 0
	.section	.AMDGPU.csdata,"",@progbits
; Kernel info:
; codeLenInByte = 828
; TotalNumSgprs: 18
; NumVgprs: 15
; ScratchSize: 0
; MemoryBound: 0
; FloatMode: 240
; IeeeMode: 1
; LDSByteSize: 0 bytes/workgroup (compile time only)
; SGPRBlocks: 0
; VGPRBlocks: 1
; NumSGPRsForWavesPerEU: 18
; NumVGPRsForWavesPerEU: 15
; Occupancy: 16
; WaveLimiterHint : 0
; COMPUTE_PGM_RSRC2:SCRATCH_EN: 0
; COMPUTE_PGM_RSRC2:USER_SGPR: 6
; COMPUTE_PGM_RSRC2:TRAP_HANDLER: 0
; COMPUTE_PGM_RSRC2:TGID_X_EN: 1
; COMPUTE_PGM_RSRC2:TGID_Y_EN: 0
; COMPUTE_PGM_RSRC2:TGID_Z_EN: 0
; COMPUTE_PGM_RSRC2:TIDIG_COMP_CNT: 1
	.section	.text._ZN12_GLOBAL__N_121softmax_warp_backwardIN3c104HalfES2_fLi3ELb0ELb1ELi32EEEvPT0_PKT_S7_iiiPKb,"axG",@progbits,_ZN12_GLOBAL__N_121softmax_warp_backwardIN3c104HalfES2_fLi3ELb0ELb1ELi32EEEvPT0_PKT_S7_iiiPKb,comdat
	.globl	_ZN12_GLOBAL__N_121softmax_warp_backwardIN3c104HalfES2_fLi3ELb0ELb1ELi32EEEvPT0_PKT_S7_iiiPKb ; -- Begin function _ZN12_GLOBAL__N_121softmax_warp_backwardIN3c104HalfES2_fLi3ELb0ELb1ELi32EEEvPT0_PKT_S7_iiiPKb
	.p2align	8
	.type	_ZN12_GLOBAL__N_121softmax_warp_backwardIN3c104HalfES2_fLi3ELb0ELb1ELi32EEEvPT0_PKT_S7_iiiPKb,@function
_ZN12_GLOBAL__N_121softmax_warp_backwardIN3c104HalfES2_fLi3ELb0ELb1ELi32EEEvPT0_PKT_S7_iiiPKb: ; @_ZN12_GLOBAL__N_121softmax_warp_backwardIN3c104HalfES2_fLi3ELb0ELb1ELi32EEEvPT0_PKT_S7_iiiPKb
; %bb.0:
	s_clause 0x1
	s_load_dword s0, s[4:5], 0x3c
	s_load_dwordx4 s[8:11], s[4:5], 0x18
	v_and_b32_e32 v4, 7, v0
	s_clause 0x1
	s_load_dwordx4 s[12:15], s[4:5], 0x0
	s_load_dwordx2 s[2:3], s[4:5], 0x10
	v_mov_b32_e32 v11, 0
	v_mov_b32_e32 v12, 0
	s_waitcnt lgkmcnt(0)
	s_mov_b32 s11, 0
	s_lshr_b32 s0, s0, 16
	v_cmp_gt_i32_e32 vcc_lo, s10, v4
	s_and_b32 s0, s0, 0xffff
	s_mul_i32 s6, s6, s0
	v_add_lshl_u32 v0, s6, v1, 1
	v_mad_u64_u32 v[2:3], null, v0, s9, v[4:5]
	v_sub_nc_u32_e32 v10, s8, v0
	v_cmp_lt_i32_e64 s0, 0, v10
	v_ashrrev_i32_e32 v3, 31, v2
	v_lshlrev_b64 v[0:1], 1, v[2:3]
	v_add_co_u32 v8, s1, s14, v0
	v_add_co_ci_u32_e64 v9, null, s15, v1, s1
	v_add_co_u32 v6, s1, s2, v0
	v_add_co_ci_u32_e64 v7, null, s3, v1, s1
	s_and_b32 s2, vcc_lo, s0
	s_and_saveexec_b32 s1, s2
	s_cbranch_execz .LBB819_2
; %bb.1:
	global_load_ushort v4, v[8:9], off
	global_load_ushort v5, v[6:7], off
	s_waitcnt vmcnt(1)
	v_cvt_f32_f16_e32 v12, v4
	s_waitcnt vmcnt(0)
	v_cvt_f32_f16_e32 v11, v5
.LBB819_2:
	s_or_b32 exec_lo, exec_lo, s1
	v_cmp_gt_i32_e64 s1, 2, v10
	v_mov_b32_e32 v4, s10
	v_mov_b32_e32 v5, s11
	s_xor_b32 s2, vcc_lo, -1
	s_or_b32 s1, s2, s1
	s_and_saveexec_b32 s2, s1
	s_xor_b32 s1, exec_lo, s2
                                        ; implicit-def: $vgpr14
                                        ; implicit-def: $vgpr13
; %bb.3:
	v_mov_b32_e32 v13, 0
	s_ashr_i32 s3, s10, 31
	s_mov_b32 s2, s10
	v_mov_b32_e32 v5, s3
	v_mov_b32_e32 v4, s2
	;; [unrolled: 1-line block ×3, first 2 shown]
                                        ; implicit-def: $vgpr6
                                        ; implicit-def: $vgpr8
; %bb.4:
	s_andn2_saveexec_b32 s2, s1
	s_cbranch_execz .LBB819_6
; %bb.5:
	s_lshl_b64 s[6:7], s[10:11], 1
	v_add_co_u32 v8, s1, v8, s6
	v_add_co_ci_u32_e64 v9, null, s7, v9, s1
	v_add_co_u32 v6, s1, v6, s6
	v_add_co_ci_u32_e64 v7, null, s7, v7, s1
	global_load_ushort v8, v[8:9], off
	global_load_ushort v6, v[6:7], off
	s_waitcnt vmcnt(1)
	v_cvt_f32_f16_e32 v13, v8
	s_waitcnt vmcnt(0)
	v_cvt_f32_f16_e32 v14, v6
.LBB819_6:
	s_or_b32 exec_lo, exec_lo, s2
	s_load_dwordx2 s[2:3], s[4:5], 0x28
	v_add_f32_e32 v7, 0, v12
	v_add_f32_e32 v8, 0, v13
	s_waitcnt lgkmcnt(0)
	v_add_co_u32 v2, s1, s2, v2
	v_add_co_ci_u32_e64 v3, null, s3, v3, s1
	v_add_co_u32 v4, s1, v2, v4
	v_add_co_ci_u32_e64 v5, null, v3, v5, s1
	s_clause 0x1
	global_load_ubyte v2, v[2:3], off
	global_load_ubyte v3, v[4:5], off
	v_mbcnt_lo_u32_b32 v4, -1, 0
	v_and_b32_e32 v5, 24, v4
	v_xor_b32_e32 v6, 4, v4
	v_add_nc_u32_e32 v5, 8, v5
	v_cmp_lt_i32_e64 s1, v6, v5
	v_cndmask_b32_e64 v6, v4, v6, s1
	v_lshlrev_b32_e32 v6, 2, v6
	s_waitcnt vmcnt(1)
	v_and_b32_e32 v2, 1, v2
	s_waitcnt vmcnt(0)
	v_and_b32_e32 v3, 1, v3
	v_cmp_eq_u32_e64 s2, 1, v2
	v_cmp_eq_u32_e64 s1, 1, v3
	v_cndmask_b32_e64 v2, v7, 0, s2
	v_cndmask_b32_e64 v3, v8, 0, s1
	v_xor_b32_e32 v8, 2, v4
	ds_bpermute_b32 v7, v6, v2
	ds_bpermute_b32 v6, v6, v3
	v_cmp_lt_i32_e64 s3, v8, v5
	v_cndmask_b32_e64 v8, v4, v8, s3
	s_waitcnt lgkmcnt(1)
	v_add_f32_e32 v2, v2, v7
	v_lshlrev_b32_e32 v7, 2, v8
	s_waitcnt lgkmcnt(0)
	v_add_f32_e32 v3, v3, v6
	v_xor_b32_e32 v8, 1, v4
	ds_bpermute_b32 v6, v7, v2
	ds_bpermute_b32 v7, v7, v3
	v_cmp_lt_i32_e64 s3, v8, v5
	v_cndmask_b32_e64 v5, v4, v8, s3
	s_waitcnt lgkmcnt(1)
	v_add_f32_e32 v4, v2, v6
	v_lshlrev_b32_e32 v6, 2, v5
	s_waitcnt lgkmcnt(0)
	v_add_f32_e32 v2, v3, v7
	ds_bpermute_b32 v5, v6, v4
	ds_bpermute_b32 v3, v6, v2
	s_and_saveexec_b32 s3, s0
	s_cbranch_execz .LBB819_18
; %bb.7:
	v_add_co_u32 v0, s0, s12, v0
	v_add_co_ci_u32_e64 v1, null, s13, v1, s0
	s_and_saveexec_b32 s0, vcc_lo
	s_cbranch_execz .LBB819_12
; %bb.8:
	s_xor_b32 s2, s2, -1
	s_and_saveexec_b32 s3, s2
	s_xor_b32 s2, exec_lo, s3
	s_cbranch_execz .LBB819_10
; %bb.9:
	s_waitcnt lgkmcnt(1)
	v_add_f32_e32 v4, v4, v5
	v_fma_mixlo_f16 v4, -v11, v4, v12
	global_store_short v[0:1], v4, off
.LBB819_10:
	s_andn2_saveexec_b32 s2, s2
	s_cbranch_execz .LBB819_12
; %bb.11:
	v_mov_b32_e32 v4, 0
	global_store_short v[0:1], v4, off
.LBB819_12:
	s_or_b32 exec_lo, exec_lo, s0
	v_cmp_ne_u32_e64 s0, 1, v10
	s_and_b32 exec_lo, exec_lo, s0
	s_cbranch_execz .LBB819_18
; %bb.13:
	s_and_b32 exec_lo, exec_lo, vcc_lo
	s_cbranch_execz .LBB819_18
; %bb.14:
	s_lshl_b64 s[2:3], s[10:11], 1
	s_xor_b32 s0, s1, -1
	v_add_co_u32 v0, vcc_lo, v0, s2
	v_add_co_ci_u32_e64 v1, null, s3, v1, vcc_lo
	s_and_saveexec_b32 s1, s0
	s_xor_b32 s0, exec_lo, s1
	s_cbranch_execz .LBB819_16
; %bb.15:
	s_waitcnt lgkmcnt(0)
	v_add_f32_e32 v2, v2, v3
	v_fma_mixlo_f16 v2, -v14, v2, v13
	global_store_short v[0:1], v2, off
                                        ; implicit-def: $vgpr0_vgpr1
.LBB819_16:
	s_andn2_saveexec_b32 s0, s0
	s_cbranch_execz .LBB819_18
; %bb.17:
	v_mov_b32_e32 v2, 0
	global_store_short v[0:1], v2, off
.LBB819_18:
	s_endpgm
	.section	.rodata,"a",@progbits
	.p2align	6, 0x0
	.amdhsa_kernel _ZN12_GLOBAL__N_121softmax_warp_backwardIN3c104HalfES2_fLi3ELb0ELb1ELi32EEEvPT0_PKT_S7_iiiPKb
		.amdhsa_group_segment_fixed_size 0
		.amdhsa_private_segment_fixed_size 0
		.amdhsa_kernarg_size 304
		.amdhsa_user_sgpr_count 6
		.amdhsa_user_sgpr_private_segment_buffer 1
		.amdhsa_user_sgpr_dispatch_ptr 0
		.amdhsa_user_sgpr_queue_ptr 0
		.amdhsa_user_sgpr_kernarg_segment_ptr 1
		.amdhsa_user_sgpr_dispatch_id 0
		.amdhsa_user_sgpr_flat_scratch_init 0
		.amdhsa_user_sgpr_private_segment_size 0
		.amdhsa_wavefront_size32 1
		.amdhsa_uses_dynamic_stack 0
		.amdhsa_system_sgpr_private_segment_wavefront_offset 0
		.amdhsa_system_sgpr_workgroup_id_x 1
		.amdhsa_system_sgpr_workgroup_id_y 0
		.amdhsa_system_sgpr_workgroup_id_z 0
		.amdhsa_system_sgpr_workgroup_info 0
		.amdhsa_system_vgpr_workitem_id 1
		.amdhsa_next_free_vgpr 15
		.amdhsa_next_free_sgpr 16
		.amdhsa_reserve_vcc 1
		.amdhsa_reserve_flat_scratch 0
		.amdhsa_float_round_mode_32 0
		.amdhsa_float_round_mode_16_64 0
		.amdhsa_float_denorm_mode_32 3
		.amdhsa_float_denorm_mode_16_64 3
		.amdhsa_dx10_clamp 1
		.amdhsa_ieee_mode 1
		.amdhsa_fp16_overflow 0
		.amdhsa_workgroup_processor_mode 1
		.amdhsa_memory_ordered 1
		.amdhsa_forward_progress 1
		.amdhsa_shared_vgpr_count 0
		.amdhsa_exception_fp_ieee_invalid_op 0
		.amdhsa_exception_fp_denorm_src 0
		.amdhsa_exception_fp_ieee_div_zero 0
		.amdhsa_exception_fp_ieee_overflow 0
		.amdhsa_exception_fp_ieee_underflow 0
		.amdhsa_exception_fp_ieee_inexact 0
		.amdhsa_exception_int_div_zero 0
	.end_amdhsa_kernel
	.section	.text._ZN12_GLOBAL__N_121softmax_warp_backwardIN3c104HalfES2_fLi3ELb0ELb1ELi32EEEvPT0_PKT_S7_iiiPKb,"axG",@progbits,_ZN12_GLOBAL__N_121softmax_warp_backwardIN3c104HalfES2_fLi3ELb0ELb1ELi32EEEvPT0_PKT_S7_iiiPKb,comdat
.Lfunc_end819:
	.size	_ZN12_GLOBAL__N_121softmax_warp_backwardIN3c104HalfES2_fLi3ELb0ELb1ELi32EEEvPT0_PKT_S7_iiiPKb, .Lfunc_end819-_ZN12_GLOBAL__N_121softmax_warp_backwardIN3c104HalfES2_fLi3ELb0ELb1ELi32EEEvPT0_PKT_S7_iiiPKb
                                        ; -- End function
	.set _ZN12_GLOBAL__N_121softmax_warp_backwardIN3c104HalfES2_fLi3ELb0ELb1ELi32EEEvPT0_PKT_S7_iiiPKb.num_vgpr, 15
	.set _ZN12_GLOBAL__N_121softmax_warp_backwardIN3c104HalfES2_fLi3ELb0ELb1ELi32EEEvPT0_PKT_S7_iiiPKb.num_agpr, 0
	.set _ZN12_GLOBAL__N_121softmax_warp_backwardIN3c104HalfES2_fLi3ELb0ELb1ELi32EEEvPT0_PKT_S7_iiiPKb.numbered_sgpr, 16
	.set _ZN12_GLOBAL__N_121softmax_warp_backwardIN3c104HalfES2_fLi3ELb0ELb1ELi32EEEvPT0_PKT_S7_iiiPKb.num_named_barrier, 0
	.set _ZN12_GLOBAL__N_121softmax_warp_backwardIN3c104HalfES2_fLi3ELb0ELb1ELi32EEEvPT0_PKT_S7_iiiPKb.private_seg_size, 0
	.set _ZN12_GLOBAL__N_121softmax_warp_backwardIN3c104HalfES2_fLi3ELb0ELb1ELi32EEEvPT0_PKT_S7_iiiPKb.uses_vcc, 1
	.set _ZN12_GLOBAL__N_121softmax_warp_backwardIN3c104HalfES2_fLi3ELb0ELb1ELi32EEEvPT0_PKT_S7_iiiPKb.uses_flat_scratch, 0
	.set _ZN12_GLOBAL__N_121softmax_warp_backwardIN3c104HalfES2_fLi3ELb0ELb1ELi32EEEvPT0_PKT_S7_iiiPKb.has_dyn_sized_stack, 0
	.set _ZN12_GLOBAL__N_121softmax_warp_backwardIN3c104HalfES2_fLi3ELb0ELb1ELi32EEEvPT0_PKT_S7_iiiPKb.has_recursion, 0
	.set _ZN12_GLOBAL__N_121softmax_warp_backwardIN3c104HalfES2_fLi3ELb0ELb1ELi32EEEvPT0_PKT_S7_iiiPKb.has_indirect_call, 0
	.section	.AMDGPU.csdata,"",@progbits
; Kernel info:
; codeLenInByte = 828
; TotalNumSgprs: 18
; NumVgprs: 15
; ScratchSize: 0
; MemoryBound: 0
; FloatMode: 240
; IeeeMode: 1
; LDSByteSize: 0 bytes/workgroup (compile time only)
; SGPRBlocks: 0
; VGPRBlocks: 1
; NumSGPRsForWavesPerEU: 18
; NumVGPRsForWavesPerEU: 15
; Occupancy: 16
; WaveLimiterHint : 0
; COMPUTE_PGM_RSRC2:SCRATCH_EN: 0
; COMPUTE_PGM_RSRC2:USER_SGPR: 6
; COMPUTE_PGM_RSRC2:TRAP_HANDLER: 0
; COMPUTE_PGM_RSRC2:TGID_X_EN: 1
; COMPUTE_PGM_RSRC2:TGID_Y_EN: 0
; COMPUTE_PGM_RSRC2:TGID_Z_EN: 0
; COMPUTE_PGM_RSRC2:TIDIG_COMP_CNT: 1
	.section	.text._ZN12_GLOBAL__N_121softmax_warp_backwardIN3c104HalfES2_fLi4ELb0ELb1ELi64EEEvPT0_PKT_S7_iiiPKb,"axG",@progbits,_ZN12_GLOBAL__N_121softmax_warp_backwardIN3c104HalfES2_fLi4ELb0ELb1ELi64EEEvPT0_PKT_S7_iiiPKb,comdat
	.globl	_ZN12_GLOBAL__N_121softmax_warp_backwardIN3c104HalfES2_fLi4ELb0ELb1ELi64EEEvPT0_PKT_S7_iiiPKb ; -- Begin function _ZN12_GLOBAL__N_121softmax_warp_backwardIN3c104HalfES2_fLi4ELb0ELb1ELi64EEEvPT0_PKT_S7_iiiPKb
	.p2align	8
	.type	_ZN12_GLOBAL__N_121softmax_warp_backwardIN3c104HalfES2_fLi4ELb0ELb1ELi64EEEvPT0_PKT_S7_iiiPKb,@function
_ZN12_GLOBAL__N_121softmax_warp_backwardIN3c104HalfES2_fLi4ELb0ELb1ELi64EEEvPT0_PKT_S7_iiiPKb: ; @_ZN12_GLOBAL__N_121softmax_warp_backwardIN3c104HalfES2_fLi4ELb0ELb1ELi64EEEvPT0_PKT_S7_iiiPKb
; %bb.0:
	s_clause 0x1
	s_load_dword s0, s[4:5], 0x3c
	s_load_dwordx4 s[8:11], s[4:5], 0x18
	v_and_b32_e32 v4, 15, v0
	s_clause 0x1
	s_load_dwordx4 s[12:15], s[4:5], 0x0
	s_load_dwordx2 s[2:3], s[4:5], 0x10
	v_mov_b32_e32 v11, 0
	v_mov_b32_e32 v12, 0
	s_waitcnt lgkmcnt(0)
	s_mov_b32 s11, 0
	s_lshr_b32 s0, s0, 16
	v_cmp_gt_i32_e32 vcc_lo, s10, v4
	s_and_b32 s0, s0, 0xffff
	s_mul_i32 s6, s6, s0
	v_add_lshl_u32 v0, s6, v1, 1
	v_mad_u64_u32 v[2:3], null, v0, s9, v[4:5]
	v_sub_nc_u32_e32 v10, s8, v0
	v_cmp_lt_i32_e64 s0, 0, v10
	v_ashrrev_i32_e32 v3, 31, v2
	v_lshlrev_b64 v[0:1], 1, v[2:3]
	v_add_co_u32 v8, s1, s14, v0
	v_add_co_ci_u32_e64 v9, null, s15, v1, s1
	v_add_co_u32 v6, s1, s2, v0
	v_add_co_ci_u32_e64 v7, null, s3, v1, s1
	s_and_b32 s2, vcc_lo, s0
	s_and_saveexec_b32 s1, s2
	s_cbranch_execz .LBB820_2
; %bb.1:
	global_load_ushort v4, v[8:9], off
	global_load_ushort v5, v[6:7], off
	s_waitcnt vmcnt(1)
	v_cvt_f32_f16_e32 v12, v4
	s_waitcnt vmcnt(0)
	v_cvt_f32_f16_e32 v11, v5
.LBB820_2:
	s_or_b32 exec_lo, exec_lo, s1
	v_cmp_gt_i32_e64 s1, 2, v10
	v_mov_b32_e32 v4, s10
	v_mov_b32_e32 v5, s11
	s_xor_b32 s2, vcc_lo, -1
	s_or_b32 s1, s2, s1
	s_and_saveexec_b32 s2, s1
	s_xor_b32 s1, exec_lo, s2
                                        ; implicit-def: $vgpr14
                                        ; implicit-def: $vgpr13
; %bb.3:
	v_mov_b32_e32 v13, 0
	s_ashr_i32 s3, s10, 31
	s_mov_b32 s2, s10
	v_mov_b32_e32 v5, s3
	v_mov_b32_e32 v4, s2
	;; [unrolled: 1-line block ×3, first 2 shown]
                                        ; implicit-def: $vgpr6
                                        ; implicit-def: $vgpr8
; %bb.4:
	s_andn2_saveexec_b32 s2, s1
	s_cbranch_execz .LBB820_6
; %bb.5:
	s_lshl_b64 s[6:7], s[10:11], 1
	v_add_co_u32 v8, s1, v8, s6
	v_add_co_ci_u32_e64 v9, null, s7, v9, s1
	v_add_co_u32 v6, s1, v6, s6
	v_add_co_ci_u32_e64 v7, null, s7, v7, s1
	global_load_ushort v8, v[8:9], off
	global_load_ushort v6, v[6:7], off
	s_waitcnt vmcnt(1)
	v_cvt_f32_f16_e32 v13, v8
	s_waitcnt vmcnt(0)
	v_cvt_f32_f16_e32 v14, v6
.LBB820_6:
	s_or_b32 exec_lo, exec_lo, s2
	s_load_dwordx2 s[2:3], s[4:5], 0x28
	v_add_f32_e32 v7, 0, v12
	v_add_f32_e32 v8, 0, v13
	s_waitcnt lgkmcnt(0)
	v_add_co_u32 v2, s1, s2, v2
	v_add_co_ci_u32_e64 v3, null, s3, v3, s1
	v_add_co_u32 v4, s1, v2, v4
	v_add_co_ci_u32_e64 v5, null, v3, v5, s1
	s_clause 0x1
	global_load_ubyte v2, v[2:3], off
	global_load_ubyte v3, v[4:5], off
	v_mbcnt_lo_u32_b32 v4, -1, 0
	v_and_b32_e32 v5, 16, v4
	v_xor_b32_e32 v6, 8, v4
	v_add_nc_u32_e32 v5, 16, v5
	v_cmp_lt_i32_e64 s1, v6, v5
	v_cndmask_b32_e64 v6, v4, v6, s1
	v_lshlrev_b32_e32 v6, 2, v6
	s_waitcnt vmcnt(1)
	v_and_b32_e32 v2, 1, v2
	s_waitcnt vmcnt(0)
	v_and_b32_e32 v3, 1, v3
	v_cmp_eq_u32_e64 s2, 1, v2
	v_cmp_eq_u32_e64 s1, 1, v3
	v_cndmask_b32_e64 v2, v7, 0, s2
	v_cndmask_b32_e64 v3, v8, 0, s1
	v_xor_b32_e32 v8, 4, v4
	ds_bpermute_b32 v7, v6, v2
	ds_bpermute_b32 v6, v6, v3
	v_cmp_lt_i32_e64 s3, v8, v5
	v_cndmask_b32_e64 v8, v4, v8, s3
	s_waitcnt lgkmcnt(1)
	v_add_f32_e32 v2, v2, v7
	v_lshlrev_b32_e32 v7, 2, v8
	s_waitcnt lgkmcnt(0)
	v_add_f32_e32 v3, v3, v6
	v_xor_b32_e32 v8, 2, v4
	ds_bpermute_b32 v6, v7, v2
	ds_bpermute_b32 v7, v7, v3
	v_cmp_lt_i32_e64 s3, v8, v5
	v_cndmask_b32_e64 v8, v4, v8, s3
	s_waitcnt lgkmcnt(1)
	v_add_f32_e32 v2, v2, v6
	v_lshlrev_b32_e32 v6, 2, v8
	s_waitcnt lgkmcnt(0)
	v_add_f32_e32 v3, v3, v7
	;; [unrolled: 10-line block ×3, first 2 shown]
	ds_bpermute_b32 v5, v7, v4
	ds_bpermute_b32 v3, v7, v2
	s_and_saveexec_b32 s3, s0
	s_cbranch_execz .LBB820_18
; %bb.7:
	v_add_co_u32 v0, s0, s12, v0
	v_add_co_ci_u32_e64 v1, null, s13, v1, s0
	s_and_saveexec_b32 s0, vcc_lo
	s_cbranch_execz .LBB820_12
; %bb.8:
	s_xor_b32 s2, s2, -1
	s_and_saveexec_b32 s3, s2
	s_xor_b32 s2, exec_lo, s3
	s_cbranch_execz .LBB820_10
; %bb.9:
	s_waitcnt lgkmcnt(1)
	v_add_f32_e32 v4, v4, v5
	v_fma_mixlo_f16 v4, -v11, v4, v12
	global_store_short v[0:1], v4, off
.LBB820_10:
	s_andn2_saveexec_b32 s2, s2
	s_cbranch_execz .LBB820_12
; %bb.11:
	v_mov_b32_e32 v4, 0
	global_store_short v[0:1], v4, off
.LBB820_12:
	s_or_b32 exec_lo, exec_lo, s0
	v_cmp_ne_u32_e64 s0, 1, v10
	s_and_b32 exec_lo, exec_lo, s0
	s_cbranch_execz .LBB820_18
; %bb.13:
	s_and_b32 exec_lo, exec_lo, vcc_lo
	s_cbranch_execz .LBB820_18
; %bb.14:
	s_lshl_b64 s[2:3], s[10:11], 1
	s_xor_b32 s0, s1, -1
	v_add_co_u32 v0, vcc_lo, v0, s2
	v_add_co_ci_u32_e64 v1, null, s3, v1, vcc_lo
	s_and_saveexec_b32 s1, s0
	s_xor_b32 s0, exec_lo, s1
	s_cbranch_execz .LBB820_16
; %bb.15:
	s_waitcnt lgkmcnt(0)
	v_add_f32_e32 v2, v2, v3
	v_fma_mixlo_f16 v2, -v14, v2, v13
	global_store_short v[0:1], v2, off
                                        ; implicit-def: $vgpr0_vgpr1
.LBB820_16:
	s_andn2_saveexec_b32 s0, s0
	s_cbranch_execz .LBB820_18
; %bb.17:
	v_mov_b32_e32 v2, 0
	global_store_short v[0:1], v2, off
.LBB820_18:
	s_endpgm
	.section	.rodata,"a",@progbits
	.p2align	6, 0x0
	.amdhsa_kernel _ZN12_GLOBAL__N_121softmax_warp_backwardIN3c104HalfES2_fLi4ELb0ELb1ELi64EEEvPT0_PKT_S7_iiiPKb
		.amdhsa_group_segment_fixed_size 0
		.amdhsa_private_segment_fixed_size 0
		.amdhsa_kernarg_size 304
		.amdhsa_user_sgpr_count 6
		.amdhsa_user_sgpr_private_segment_buffer 1
		.amdhsa_user_sgpr_dispatch_ptr 0
		.amdhsa_user_sgpr_queue_ptr 0
		.amdhsa_user_sgpr_kernarg_segment_ptr 1
		.amdhsa_user_sgpr_dispatch_id 0
		.amdhsa_user_sgpr_flat_scratch_init 0
		.amdhsa_user_sgpr_private_segment_size 0
		.amdhsa_wavefront_size32 1
		.amdhsa_uses_dynamic_stack 0
		.amdhsa_system_sgpr_private_segment_wavefront_offset 0
		.amdhsa_system_sgpr_workgroup_id_x 1
		.amdhsa_system_sgpr_workgroup_id_y 0
		.amdhsa_system_sgpr_workgroup_id_z 0
		.amdhsa_system_sgpr_workgroup_info 0
		.amdhsa_system_vgpr_workitem_id 1
		.amdhsa_next_free_vgpr 15
		.amdhsa_next_free_sgpr 16
		.amdhsa_reserve_vcc 1
		.amdhsa_reserve_flat_scratch 0
		.amdhsa_float_round_mode_32 0
		.amdhsa_float_round_mode_16_64 0
		.amdhsa_float_denorm_mode_32 3
		.amdhsa_float_denorm_mode_16_64 3
		.amdhsa_dx10_clamp 1
		.amdhsa_ieee_mode 1
		.amdhsa_fp16_overflow 0
		.amdhsa_workgroup_processor_mode 1
		.amdhsa_memory_ordered 1
		.amdhsa_forward_progress 1
		.amdhsa_shared_vgpr_count 0
		.amdhsa_exception_fp_ieee_invalid_op 0
		.amdhsa_exception_fp_denorm_src 0
		.amdhsa_exception_fp_ieee_div_zero 0
		.amdhsa_exception_fp_ieee_overflow 0
		.amdhsa_exception_fp_ieee_underflow 0
		.amdhsa_exception_fp_ieee_inexact 0
		.amdhsa_exception_int_div_zero 0
	.end_amdhsa_kernel
	.section	.text._ZN12_GLOBAL__N_121softmax_warp_backwardIN3c104HalfES2_fLi4ELb0ELb1ELi64EEEvPT0_PKT_S7_iiiPKb,"axG",@progbits,_ZN12_GLOBAL__N_121softmax_warp_backwardIN3c104HalfES2_fLi4ELb0ELb1ELi64EEEvPT0_PKT_S7_iiiPKb,comdat
.Lfunc_end820:
	.size	_ZN12_GLOBAL__N_121softmax_warp_backwardIN3c104HalfES2_fLi4ELb0ELb1ELi64EEEvPT0_PKT_S7_iiiPKb, .Lfunc_end820-_ZN12_GLOBAL__N_121softmax_warp_backwardIN3c104HalfES2_fLi4ELb0ELb1ELi64EEEvPT0_PKT_S7_iiiPKb
                                        ; -- End function
	.set _ZN12_GLOBAL__N_121softmax_warp_backwardIN3c104HalfES2_fLi4ELb0ELb1ELi64EEEvPT0_PKT_S7_iiiPKb.num_vgpr, 15
	.set _ZN12_GLOBAL__N_121softmax_warp_backwardIN3c104HalfES2_fLi4ELb0ELb1ELi64EEEvPT0_PKT_S7_iiiPKb.num_agpr, 0
	.set _ZN12_GLOBAL__N_121softmax_warp_backwardIN3c104HalfES2_fLi4ELb0ELb1ELi64EEEvPT0_PKT_S7_iiiPKb.numbered_sgpr, 16
	.set _ZN12_GLOBAL__N_121softmax_warp_backwardIN3c104HalfES2_fLi4ELb0ELb1ELi64EEEvPT0_PKT_S7_iiiPKb.num_named_barrier, 0
	.set _ZN12_GLOBAL__N_121softmax_warp_backwardIN3c104HalfES2_fLi4ELb0ELb1ELi64EEEvPT0_PKT_S7_iiiPKb.private_seg_size, 0
	.set _ZN12_GLOBAL__N_121softmax_warp_backwardIN3c104HalfES2_fLi4ELb0ELb1ELi64EEEvPT0_PKT_S7_iiiPKb.uses_vcc, 1
	.set _ZN12_GLOBAL__N_121softmax_warp_backwardIN3c104HalfES2_fLi4ELb0ELb1ELi64EEEvPT0_PKT_S7_iiiPKb.uses_flat_scratch, 0
	.set _ZN12_GLOBAL__N_121softmax_warp_backwardIN3c104HalfES2_fLi4ELb0ELb1ELi64EEEvPT0_PKT_S7_iiiPKb.has_dyn_sized_stack, 0
	.set _ZN12_GLOBAL__N_121softmax_warp_backwardIN3c104HalfES2_fLi4ELb0ELb1ELi64EEEvPT0_PKT_S7_iiiPKb.has_recursion, 0
	.set _ZN12_GLOBAL__N_121softmax_warp_backwardIN3c104HalfES2_fLi4ELb0ELb1ELi64EEEvPT0_PKT_S7_iiiPKb.has_indirect_call, 0
	.section	.AMDGPU.csdata,"",@progbits
; Kernel info:
; codeLenInByte = 884
; TotalNumSgprs: 18
; NumVgprs: 15
; ScratchSize: 0
; MemoryBound: 0
; FloatMode: 240
; IeeeMode: 1
; LDSByteSize: 0 bytes/workgroup (compile time only)
; SGPRBlocks: 0
; VGPRBlocks: 1
; NumSGPRsForWavesPerEU: 18
; NumVGPRsForWavesPerEU: 15
; Occupancy: 16
; WaveLimiterHint : 0
; COMPUTE_PGM_RSRC2:SCRATCH_EN: 0
; COMPUTE_PGM_RSRC2:USER_SGPR: 6
; COMPUTE_PGM_RSRC2:TRAP_HANDLER: 0
; COMPUTE_PGM_RSRC2:TGID_X_EN: 1
; COMPUTE_PGM_RSRC2:TGID_Y_EN: 0
; COMPUTE_PGM_RSRC2:TGID_Z_EN: 0
; COMPUTE_PGM_RSRC2:TIDIG_COMP_CNT: 1
	.section	.text._ZN12_GLOBAL__N_121softmax_warp_backwardIN3c104HalfES2_fLi4ELb0ELb1ELi32EEEvPT0_PKT_S7_iiiPKb,"axG",@progbits,_ZN12_GLOBAL__N_121softmax_warp_backwardIN3c104HalfES2_fLi4ELb0ELb1ELi32EEEvPT0_PKT_S7_iiiPKb,comdat
	.globl	_ZN12_GLOBAL__N_121softmax_warp_backwardIN3c104HalfES2_fLi4ELb0ELb1ELi32EEEvPT0_PKT_S7_iiiPKb ; -- Begin function _ZN12_GLOBAL__N_121softmax_warp_backwardIN3c104HalfES2_fLi4ELb0ELb1ELi32EEEvPT0_PKT_S7_iiiPKb
	.p2align	8
	.type	_ZN12_GLOBAL__N_121softmax_warp_backwardIN3c104HalfES2_fLi4ELb0ELb1ELi32EEEvPT0_PKT_S7_iiiPKb,@function
_ZN12_GLOBAL__N_121softmax_warp_backwardIN3c104HalfES2_fLi4ELb0ELb1ELi32EEEvPT0_PKT_S7_iiiPKb: ; @_ZN12_GLOBAL__N_121softmax_warp_backwardIN3c104HalfES2_fLi4ELb0ELb1ELi32EEEvPT0_PKT_S7_iiiPKb
; %bb.0:
	s_clause 0x1
	s_load_dword s0, s[4:5], 0x3c
	s_load_dwordx4 s[8:11], s[4:5], 0x18
	v_and_b32_e32 v4, 15, v0
	s_clause 0x1
	s_load_dwordx4 s[12:15], s[4:5], 0x0
	s_load_dwordx2 s[2:3], s[4:5], 0x10
	v_mov_b32_e32 v11, 0
	v_mov_b32_e32 v12, 0
	s_waitcnt lgkmcnt(0)
	s_mov_b32 s11, 0
	s_lshr_b32 s0, s0, 16
	v_cmp_gt_i32_e32 vcc_lo, s10, v4
	s_and_b32 s0, s0, 0xffff
	s_mul_i32 s6, s6, s0
	v_add_lshl_u32 v0, s6, v1, 1
	v_mad_u64_u32 v[2:3], null, v0, s9, v[4:5]
	v_sub_nc_u32_e32 v10, s8, v0
	v_cmp_lt_i32_e64 s0, 0, v10
	v_ashrrev_i32_e32 v3, 31, v2
	v_lshlrev_b64 v[0:1], 1, v[2:3]
	v_add_co_u32 v8, s1, s14, v0
	v_add_co_ci_u32_e64 v9, null, s15, v1, s1
	v_add_co_u32 v6, s1, s2, v0
	v_add_co_ci_u32_e64 v7, null, s3, v1, s1
	s_and_b32 s2, vcc_lo, s0
	s_and_saveexec_b32 s1, s2
	s_cbranch_execz .LBB821_2
; %bb.1:
	global_load_ushort v4, v[8:9], off
	global_load_ushort v5, v[6:7], off
	s_waitcnt vmcnt(1)
	v_cvt_f32_f16_e32 v12, v4
	s_waitcnt vmcnt(0)
	v_cvt_f32_f16_e32 v11, v5
.LBB821_2:
	s_or_b32 exec_lo, exec_lo, s1
	v_cmp_gt_i32_e64 s1, 2, v10
	v_mov_b32_e32 v4, s10
	v_mov_b32_e32 v5, s11
	s_xor_b32 s2, vcc_lo, -1
	s_or_b32 s1, s2, s1
	s_and_saveexec_b32 s2, s1
	s_xor_b32 s1, exec_lo, s2
                                        ; implicit-def: $vgpr14
                                        ; implicit-def: $vgpr13
; %bb.3:
	v_mov_b32_e32 v13, 0
	s_ashr_i32 s3, s10, 31
	s_mov_b32 s2, s10
	v_mov_b32_e32 v5, s3
	v_mov_b32_e32 v4, s2
	;; [unrolled: 1-line block ×3, first 2 shown]
                                        ; implicit-def: $vgpr6
                                        ; implicit-def: $vgpr8
; %bb.4:
	s_andn2_saveexec_b32 s2, s1
	s_cbranch_execz .LBB821_6
; %bb.5:
	s_lshl_b64 s[6:7], s[10:11], 1
	v_add_co_u32 v8, s1, v8, s6
	v_add_co_ci_u32_e64 v9, null, s7, v9, s1
	v_add_co_u32 v6, s1, v6, s6
	v_add_co_ci_u32_e64 v7, null, s7, v7, s1
	global_load_ushort v8, v[8:9], off
	global_load_ushort v6, v[6:7], off
	s_waitcnt vmcnt(1)
	v_cvt_f32_f16_e32 v13, v8
	s_waitcnt vmcnt(0)
	v_cvt_f32_f16_e32 v14, v6
.LBB821_6:
	s_or_b32 exec_lo, exec_lo, s2
	s_load_dwordx2 s[2:3], s[4:5], 0x28
	v_add_f32_e32 v7, 0, v12
	v_add_f32_e32 v8, 0, v13
	s_waitcnt lgkmcnt(0)
	v_add_co_u32 v2, s1, s2, v2
	v_add_co_ci_u32_e64 v3, null, s3, v3, s1
	v_add_co_u32 v4, s1, v2, v4
	v_add_co_ci_u32_e64 v5, null, v3, v5, s1
	s_clause 0x1
	global_load_ubyte v2, v[2:3], off
	global_load_ubyte v3, v[4:5], off
	v_mbcnt_lo_u32_b32 v4, -1, 0
	v_and_b32_e32 v5, 16, v4
	v_xor_b32_e32 v6, 8, v4
	v_add_nc_u32_e32 v5, 16, v5
	v_cmp_lt_i32_e64 s1, v6, v5
	v_cndmask_b32_e64 v6, v4, v6, s1
	v_lshlrev_b32_e32 v6, 2, v6
	s_waitcnt vmcnt(1)
	v_and_b32_e32 v2, 1, v2
	s_waitcnt vmcnt(0)
	v_and_b32_e32 v3, 1, v3
	v_cmp_eq_u32_e64 s2, 1, v2
	v_cmp_eq_u32_e64 s1, 1, v3
	v_cndmask_b32_e64 v2, v7, 0, s2
	v_cndmask_b32_e64 v3, v8, 0, s1
	v_xor_b32_e32 v8, 4, v4
	ds_bpermute_b32 v7, v6, v2
	ds_bpermute_b32 v6, v6, v3
	v_cmp_lt_i32_e64 s3, v8, v5
	v_cndmask_b32_e64 v8, v4, v8, s3
	s_waitcnt lgkmcnt(1)
	v_add_f32_e32 v2, v2, v7
	v_lshlrev_b32_e32 v7, 2, v8
	s_waitcnt lgkmcnt(0)
	v_add_f32_e32 v3, v3, v6
	v_xor_b32_e32 v8, 2, v4
	ds_bpermute_b32 v6, v7, v2
	ds_bpermute_b32 v7, v7, v3
	v_cmp_lt_i32_e64 s3, v8, v5
	v_cndmask_b32_e64 v8, v4, v8, s3
	s_waitcnt lgkmcnt(1)
	v_add_f32_e32 v2, v2, v6
	v_lshlrev_b32_e32 v6, 2, v8
	s_waitcnt lgkmcnt(0)
	v_add_f32_e32 v3, v3, v7
	;; [unrolled: 10-line block ×3, first 2 shown]
	ds_bpermute_b32 v5, v7, v4
	ds_bpermute_b32 v3, v7, v2
	s_and_saveexec_b32 s3, s0
	s_cbranch_execz .LBB821_18
; %bb.7:
	v_add_co_u32 v0, s0, s12, v0
	v_add_co_ci_u32_e64 v1, null, s13, v1, s0
	s_and_saveexec_b32 s0, vcc_lo
	s_cbranch_execz .LBB821_12
; %bb.8:
	s_xor_b32 s2, s2, -1
	s_and_saveexec_b32 s3, s2
	s_xor_b32 s2, exec_lo, s3
	s_cbranch_execz .LBB821_10
; %bb.9:
	s_waitcnt lgkmcnt(1)
	v_add_f32_e32 v4, v4, v5
	v_fma_mixlo_f16 v4, -v11, v4, v12
	global_store_short v[0:1], v4, off
.LBB821_10:
	s_andn2_saveexec_b32 s2, s2
	s_cbranch_execz .LBB821_12
; %bb.11:
	v_mov_b32_e32 v4, 0
	global_store_short v[0:1], v4, off
.LBB821_12:
	s_or_b32 exec_lo, exec_lo, s0
	v_cmp_ne_u32_e64 s0, 1, v10
	s_and_b32 exec_lo, exec_lo, s0
	s_cbranch_execz .LBB821_18
; %bb.13:
	s_and_b32 exec_lo, exec_lo, vcc_lo
	s_cbranch_execz .LBB821_18
; %bb.14:
	s_lshl_b64 s[2:3], s[10:11], 1
	s_xor_b32 s0, s1, -1
	v_add_co_u32 v0, vcc_lo, v0, s2
	v_add_co_ci_u32_e64 v1, null, s3, v1, vcc_lo
	s_and_saveexec_b32 s1, s0
	s_xor_b32 s0, exec_lo, s1
	s_cbranch_execz .LBB821_16
; %bb.15:
	s_waitcnt lgkmcnt(0)
	v_add_f32_e32 v2, v2, v3
	v_fma_mixlo_f16 v2, -v14, v2, v13
	global_store_short v[0:1], v2, off
                                        ; implicit-def: $vgpr0_vgpr1
.LBB821_16:
	s_andn2_saveexec_b32 s0, s0
	s_cbranch_execz .LBB821_18
; %bb.17:
	v_mov_b32_e32 v2, 0
	global_store_short v[0:1], v2, off
.LBB821_18:
	s_endpgm
	.section	.rodata,"a",@progbits
	.p2align	6, 0x0
	.amdhsa_kernel _ZN12_GLOBAL__N_121softmax_warp_backwardIN3c104HalfES2_fLi4ELb0ELb1ELi32EEEvPT0_PKT_S7_iiiPKb
		.amdhsa_group_segment_fixed_size 0
		.amdhsa_private_segment_fixed_size 0
		.amdhsa_kernarg_size 304
		.amdhsa_user_sgpr_count 6
		.amdhsa_user_sgpr_private_segment_buffer 1
		.amdhsa_user_sgpr_dispatch_ptr 0
		.amdhsa_user_sgpr_queue_ptr 0
		.amdhsa_user_sgpr_kernarg_segment_ptr 1
		.amdhsa_user_sgpr_dispatch_id 0
		.amdhsa_user_sgpr_flat_scratch_init 0
		.amdhsa_user_sgpr_private_segment_size 0
		.amdhsa_wavefront_size32 1
		.amdhsa_uses_dynamic_stack 0
		.amdhsa_system_sgpr_private_segment_wavefront_offset 0
		.amdhsa_system_sgpr_workgroup_id_x 1
		.amdhsa_system_sgpr_workgroup_id_y 0
		.amdhsa_system_sgpr_workgroup_id_z 0
		.amdhsa_system_sgpr_workgroup_info 0
		.amdhsa_system_vgpr_workitem_id 1
		.amdhsa_next_free_vgpr 15
		.amdhsa_next_free_sgpr 16
		.amdhsa_reserve_vcc 1
		.amdhsa_reserve_flat_scratch 0
		.amdhsa_float_round_mode_32 0
		.amdhsa_float_round_mode_16_64 0
		.amdhsa_float_denorm_mode_32 3
		.amdhsa_float_denorm_mode_16_64 3
		.amdhsa_dx10_clamp 1
		.amdhsa_ieee_mode 1
		.amdhsa_fp16_overflow 0
		.amdhsa_workgroup_processor_mode 1
		.amdhsa_memory_ordered 1
		.amdhsa_forward_progress 1
		.amdhsa_shared_vgpr_count 0
		.amdhsa_exception_fp_ieee_invalid_op 0
		.amdhsa_exception_fp_denorm_src 0
		.amdhsa_exception_fp_ieee_div_zero 0
		.amdhsa_exception_fp_ieee_overflow 0
		.amdhsa_exception_fp_ieee_underflow 0
		.amdhsa_exception_fp_ieee_inexact 0
		.amdhsa_exception_int_div_zero 0
	.end_amdhsa_kernel
	.section	.text._ZN12_GLOBAL__N_121softmax_warp_backwardIN3c104HalfES2_fLi4ELb0ELb1ELi32EEEvPT0_PKT_S7_iiiPKb,"axG",@progbits,_ZN12_GLOBAL__N_121softmax_warp_backwardIN3c104HalfES2_fLi4ELb0ELb1ELi32EEEvPT0_PKT_S7_iiiPKb,comdat
.Lfunc_end821:
	.size	_ZN12_GLOBAL__N_121softmax_warp_backwardIN3c104HalfES2_fLi4ELb0ELb1ELi32EEEvPT0_PKT_S7_iiiPKb, .Lfunc_end821-_ZN12_GLOBAL__N_121softmax_warp_backwardIN3c104HalfES2_fLi4ELb0ELb1ELi32EEEvPT0_PKT_S7_iiiPKb
                                        ; -- End function
	.set _ZN12_GLOBAL__N_121softmax_warp_backwardIN3c104HalfES2_fLi4ELb0ELb1ELi32EEEvPT0_PKT_S7_iiiPKb.num_vgpr, 15
	.set _ZN12_GLOBAL__N_121softmax_warp_backwardIN3c104HalfES2_fLi4ELb0ELb1ELi32EEEvPT0_PKT_S7_iiiPKb.num_agpr, 0
	.set _ZN12_GLOBAL__N_121softmax_warp_backwardIN3c104HalfES2_fLi4ELb0ELb1ELi32EEEvPT0_PKT_S7_iiiPKb.numbered_sgpr, 16
	.set _ZN12_GLOBAL__N_121softmax_warp_backwardIN3c104HalfES2_fLi4ELb0ELb1ELi32EEEvPT0_PKT_S7_iiiPKb.num_named_barrier, 0
	.set _ZN12_GLOBAL__N_121softmax_warp_backwardIN3c104HalfES2_fLi4ELb0ELb1ELi32EEEvPT0_PKT_S7_iiiPKb.private_seg_size, 0
	.set _ZN12_GLOBAL__N_121softmax_warp_backwardIN3c104HalfES2_fLi4ELb0ELb1ELi32EEEvPT0_PKT_S7_iiiPKb.uses_vcc, 1
	.set _ZN12_GLOBAL__N_121softmax_warp_backwardIN3c104HalfES2_fLi4ELb0ELb1ELi32EEEvPT0_PKT_S7_iiiPKb.uses_flat_scratch, 0
	.set _ZN12_GLOBAL__N_121softmax_warp_backwardIN3c104HalfES2_fLi4ELb0ELb1ELi32EEEvPT0_PKT_S7_iiiPKb.has_dyn_sized_stack, 0
	.set _ZN12_GLOBAL__N_121softmax_warp_backwardIN3c104HalfES2_fLi4ELb0ELb1ELi32EEEvPT0_PKT_S7_iiiPKb.has_recursion, 0
	.set _ZN12_GLOBAL__N_121softmax_warp_backwardIN3c104HalfES2_fLi4ELb0ELb1ELi32EEEvPT0_PKT_S7_iiiPKb.has_indirect_call, 0
	.section	.AMDGPU.csdata,"",@progbits
; Kernel info:
; codeLenInByte = 884
; TotalNumSgprs: 18
; NumVgprs: 15
; ScratchSize: 0
; MemoryBound: 0
; FloatMode: 240
; IeeeMode: 1
; LDSByteSize: 0 bytes/workgroup (compile time only)
; SGPRBlocks: 0
; VGPRBlocks: 1
; NumSGPRsForWavesPerEU: 18
; NumVGPRsForWavesPerEU: 15
; Occupancy: 16
; WaveLimiterHint : 0
; COMPUTE_PGM_RSRC2:SCRATCH_EN: 0
; COMPUTE_PGM_RSRC2:USER_SGPR: 6
; COMPUTE_PGM_RSRC2:TRAP_HANDLER: 0
; COMPUTE_PGM_RSRC2:TGID_X_EN: 1
; COMPUTE_PGM_RSRC2:TGID_Y_EN: 0
; COMPUTE_PGM_RSRC2:TGID_Z_EN: 0
; COMPUTE_PGM_RSRC2:TIDIG_COMP_CNT: 1
	.section	.text._ZN12_GLOBAL__N_121softmax_warp_backwardIN3c104HalfES2_fLi5ELb0ELb1ELi64EEEvPT0_PKT_S7_iiiPKb,"axG",@progbits,_ZN12_GLOBAL__N_121softmax_warp_backwardIN3c104HalfES2_fLi5ELb0ELb1ELi64EEEvPT0_PKT_S7_iiiPKb,comdat
	.globl	_ZN12_GLOBAL__N_121softmax_warp_backwardIN3c104HalfES2_fLi5ELb0ELb1ELi64EEEvPT0_PKT_S7_iiiPKb ; -- Begin function _ZN12_GLOBAL__N_121softmax_warp_backwardIN3c104HalfES2_fLi5ELb0ELb1ELi64EEEvPT0_PKT_S7_iiiPKb
	.p2align	8
	.type	_ZN12_GLOBAL__N_121softmax_warp_backwardIN3c104HalfES2_fLi5ELb0ELb1ELi64EEEvPT0_PKT_S7_iiiPKb,@function
_ZN12_GLOBAL__N_121softmax_warp_backwardIN3c104HalfES2_fLi5ELb0ELb1ELi64EEEvPT0_PKT_S7_iiiPKb: ; @_ZN12_GLOBAL__N_121softmax_warp_backwardIN3c104HalfES2_fLi5ELb0ELb1ELi64EEEvPT0_PKT_S7_iiiPKb
; %bb.0:
	s_clause 0x1
	s_load_dword s0, s[4:5], 0x3c
	s_load_dwordx4 s[8:11], s[4:5], 0x18
	v_and_b32_e32 v4, 31, v0
	s_clause 0x1
	s_load_dwordx4 s[12:15], s[4:5], 0x0
	s_load_dwordx2 s[2:3], s[4:5], 0x10
	v_mov_b32_e32 v11, 0
	v_mov_b32_e32 v12, 0
	s_waitcnt lgkmcnt(0)
	s_mov_b32 s11, 0
	s_lshr_b32 s0, s0, 16
	v_cmp_gt_i32_e32 vcc_lo, s10, v4
	s_and_b32 s0, s0, 0xffff
	s_mul_i32 s6, s6, s0
	v_add_lshl_u32 v0, s6, v1, 1
	v_mad_u64_u32 v[2:3], null, v0, s9, v[4:5]
	v_sub_nc_u32_e32 v10, s8, v0
	v_cmp_lt_i32_e64 s0, 0, v10
	v_ashrrev_i32_e32 v3, 31, v2
	v_lshlrev_b64 v[0:1], 1, v[2:3]
	v_add_co_u32 v8, s1, s14, v0
	v_add_co_ci_u32_e64 v9, null, s15, v1, s1
	v_add_co_u32 v6, s1, s2, v0
	v_add_co_ci_u32_e64 v7, null, s3, v1, s1
	s_and_b32 s2, vcc_lo, s0
	s_and_saveexec_b32 s1, s2
	s_cbranch_execz .LBB822_2
; %bb.1:
	global_load_ushort v4, v[8:9], off
	global_load_ushort v5, v[6:7], off
	s_waitcnt vmcnt(1)
	v_cvt_f32_f16_e32 v12, v4
	s_waitcnt vmcnt(0)
	v_cvt_f32_f16_e32 v11, v5
.LBB822_2:
	s_or_b32 exec_lo, exec_lo, s1
	v_cmp_gt_i32_e64 s1, 2, v10
	v_mov_b32_e32 v4, s10
	v_mov_b32_e32 v5, s11
	s_xor_b32 s2, vcc_lo, -1
	s_or_b32 s1, s2, s1
	s_and_saveexec_b32 s2, s1
	s_xor_b32 s1, exec_lo, s2
                                        ; implicit-def: $vgpr14
                                        ; implicit-def: $vgpr13
; %bb.3:
	v_mov_b32_e32 v13, 0
	s_ashr_i32 s3, s10, 31
	s_mov_b32 s2, s10
	v_mov_b32_e32 v5, s3
	v_mov_b32_e32 v4, s2
	;; [unrolled: 1-line block ×3, first 2 shown]
                                        ; implicit-def: $vgpr6
                                        ; implicit-def: $vgpr8
; %bb.4:
	s_andn2_saveexec_b32 s2, s1
	s_cbranch_execz .LBB822_6
; %bb.5:
	s_lshl_b64 s[6:7], s[10:11], 1
	v_add_co_u32 v8, s1, v8, s6
	v_add_co_ci_u32_e64 v9, null, s7, v9, s1
	v_add_co_u32 v6, s1, v6, s6
	v_add_co_ci_u32_e64 v7, null, s7, v7, s1
	global_load_ushort v8, v[8:9], off
	global_load_ushort v6, v[6:7], off
	s_waitcnt vmcnt(1)
	v_cvt_f32_f16_e32 v13, v8
	s_waitcnt vmcnt(0)
	v_cvt_f32_f16_e32 v14, v6
.LBB822_6:
	s_or_b32 exec_lo, exec_lo, s2
	s_load_dwordx2 s[2:3], s[4:5], 0x28
	v_add_f32_e32 v6, 0, v12
	v_add_f32_e32 v7, 0, v13
	s_waitcnt lgkmcnt(0)
	v_add_co_u32 v2, s1, s2, v2
	v_add_co_ci_u32_e64 v3, null, s3, v3, s1
	v_add_co_u32 v4, s1, v2, v4
	v_add_co_ci_u32_e64 v5, null, v3, v5, s1
	s_clause 0x1
	global_load_ubyte v2, v[2:3], off
	global_load_ubyte v3, v[4:5], off
	v_mbcnt_lo_u32_b32 v4, -1, 0
	v_xor_b32_e32 v5, 16, v4
	v_cmp_gt_i32_e64 s1, 32, v5
	v_cndmask_b32_e64 v5, v4, v5, s1
	v_lshlrev_b32_e32 v5, 2, v5
	s_waitcnt vmcnt(1)
	v_and_b32_e32 v2, 1, v2
	s_waitcnt vmcnt(0)
	v_and_b32_e32 v3, 1, v3
	v_cmp_eq_u32_e64 s2, 1, v2
	v_cmp_eq_u32_e64 s1, 1, v3
	v_cndmask_b32_e64 v2, v6, 0, s2
	v_cndmask_b32_e64 v3, v7, 0, s1
	v_xor_b32_e32 v7, 8, v4
	ds_bpermute_b32 v6, v5, v2
	ds_bpermute_b32 v5, v5, v3
	v_cmp_gt_i32_e64 s3, 32, v7
	v_cndmask_b32_e64 v7, v4, v7, s3
	s_waitcnt lgkmcnt(1)
	v_add_f32_e32 v2, v2, v6
	v_lshlrev_b32_e32 v6, 2, v7
	s_waitcnt lgkmcnt(0)
	v_add_f32_e32 v3, v3, v5
	v_xor_b32_e32 v7, 4, v4
	ds_bpermute_b32 v5, v6, v2
	ds_bpermute_b32 v6, v6, v3
	v_cmp_gt_i32_e64 s3, 32, v7
	v_cndmask_b32_e64 v7, v4, v7, s3
	s_waitcnt lgkmcnt(1)
	v_add_f32_e32 v2, v2, v5
	v_lshlrev_b32_e32 v5, 2, v7
	s_waitcnt lgkmcnt(0)
	v_add_f32_e32 v3, v3, v6
	;; [unrolled: 10-line block ×3, first 2 shown]
	v_xor_b32_e32 v7, 1, v4
	ds_bpermute_b32 v5, v6, v2
	ds_bpermute_b32 v6, v6, v3
	v_cmp_gt_i32_e64 s3, 32, v7
	v_cndmask_b32_e64 v7, v4, v7, s3
	v_lshlrev_b32_e32 v7, 2, v7
	s_waitcnt lgkmcnt(1)
	v_add_f32_e32 v4, v2, v5
	s_waitcnt lgkmcnt(0)
	v_add_f32_e32 v2, v3, v6
	ds_bpermute_b32 v5, v7, v4
	ds_bpermute_b32 v3, v7, v2
	s_and_saveexec_b32 s3, s0
	s_cbranch_execz .LBB822_18
; %bb.7:
	v_add_co_u32 v0, s0, s12, v0
	v_add_co_ci_u32_e64 v1, null, s13, v1, s0
	s_and_saveexec_b32 s0, vcc_lo
	s_cbranch_execz .LBB822_12
; %bb.8:
	s_xor_b32 s2, s2, -1
	s_and_saveexec_b32 s3, s2
	s_xor_b32 s2, exec_lo, s3
	s_cbranch_execz .LBB822_10
; %bb.9:
	s_waitcnt lgkmcnt(1)
	v_add_f32_e32 v4, v4, v5
	v_fma_mixlo_f16 v4, -v11, v4, v12
	global_store_short v[0:1], v4, off
.LBB822_10:
	s_andn2_saveexec_b32 s2, s2
	s_cbranch_execz .LBB822_12
; %bb.11:
	v_mov_b32_e32 v4, 0
	global_store_short v[0:1], v4, off
.LBB822_12:
	s_or_b32 exec_lo, exec_lo, s0
	v_cmp_ne_u32_e64 s0, 1, v10
	s_and_b32 exec_lo, exec_lo, s0
	s_cbranch_execz .LBB822_18
; %bb.13:
	s_and_b32 exec_lo, exec_lo, vcc_lo
	s_cbranch_execz .LBB822_18
; %bb.14:
	s_lshl_b64 s[2:3], s[10:11], 1
	s_xor_b32 s0, s1, -1
	v_add_co_u32 v0, vcc_lo, v0, s2
	v_add_co_ci_u32_e64 v1, null, s3, v1, vcc_lo
	s_and_saveexec_b32 s1, s0
	s_xor_b32 s0, exec_lo, s1
	s_cbranch_execz .LBB822_16
; %bb.15:
	s_waitcnt lgkmcnt(0)
	v_add_f32_e32 v2, v2, v3
	v_fma_mixlo_f16 v2, -v14, v2, v13
	global_store_short v[0:1], v2, off
                                        ; implicit-def: $vgpr0_vgpr1
.LBB822_16:
	s_andn2_saveexec_b32 s0, s0
	s_cbranch_execz .LBB822_18
; %bb.17:
	v_mov_b32_e32 v2, 0
	global_store_short v[0:1], v2, off
.LBB822_18:
	s_endpgm
	.section	.rodata,"a",@progbits
	.p2align	6, 0x0
	.amdhsa_kernel _ZN12_GLOBAL__N_121softmax_warp_backwardIN3c104HalfES2_fLi5ELb0ELb1ELi64EEEvPT0_PKT_S7_iiiPKb
		.amdhsa_group_segment_fixed_size 0
		.amdhsa_private_segment_fixed_size 0
		.amdhsa_kernarg_size 304
		.amdhsa_user_sgpr_count 6
		.amdhsa_user_sgpr_private_segment_buffer 1
		.amdhsa_user_sgpr_dispatch_ptr 0
		.amdhsa_user_sgpr_queue_ptr 0
		.amdhsa_user_sgpr_kernarg_segment_ptr 1
		.amdhsa_user_sgpr_dispatch_id 0
		.amdhsa_user_sgpr_flat_scratch_init 0
		.amdhsa_user_sgpr_private_segment_size 0
		.amdhsa_wavefront_size32 1
		.amdhsa_uses_dynamic_stack 0
		.amdhsa_system_sgpr_private_segment_wavefront_offset 0
		.amdhsa_system_sgpr_workgroup_id_x 1
		.amdhsa_system_sgpr_workgroup_id_y 0
		.amdhsa_system_sgpr_workgroup_id_z 0
		.amdhsa_system_sgpr_workgroup_info 0
		.amdhsa_system_vgpr_workitem_id 1
		.amdhsa_next_free_vgpr 15
		.amdhsa_next_free_sgpr 16
		.amdhsa_reserve_vcc 1
		.amdhsa_reserve_flat_scratch 0
		.amdhsa_float_round_mode_32 0
		.amdhsa_float_round_mode_16_64 0
		.amdhsa_float_denorm_mode_32 3
		.amdhsa_float_denorm_mode_16_64 3
		.amdhsa_dx10_clamp 1
		.amdhsa_ieee_mode 1
		.amdhsa_fp16_overflow 0
		.amdhsa_workgroup_processor_mode 1
		.amdhsa_memory_ordered 1
		.amdhsa_forward_progress 1
		.amdhsa_shared_vgpr_count 0
		.amdhsa_exception_fp_ieee_invalid_op 0
		.amdhsa_exception_fp_denorm_src 0
		.amdhsa_exception_fp_ieee_div_zero 0
		.amdhsa_exception_fp_ieee_overflow 0
		.amdhsa_exception_fp_ieee_underflow 0
		.amdhsa_exception_fp_ieee_inexact 0
		.amdhsa_exception_int_div_zero 0
	.end_amdhsa_kernel
	.section	.text._ZN12_GLOBAL__N_121softmax_warp_backwardIN3c104HalfES2_fLi5ELb0ELb1ELi64EEEvPT0_PKT_S7_iiiPKb,"axG",@progbits,_ZN12_GLOBAL__N_121softmax_warp_backwardIN3c104HalfES2_fLi5ELb0ELb1ELi64EEEvPT0_PKT_S7_iiiPKb,comdat
.Lfunc_end822:
	.size	_ZN12_GLOBAL__N_121softmax_warp_backwardIN3c104HalfES2_fLi5ELb0ELb1ELi64EEEvPT0_PKT_S7_iiiPKb, .Lfunc_end822-_ZN12_GLOBAL__N_121softmax_warp_backwardIN3c104HalfES2_fLi5ELb0ELb1ELi64EEEvPT0_PKT_S7_iiiPKb
                                        ; -- End function
	.set _ZN12_GLOBAL__N_121softmax_warp_backwardIN3c104HalfES2_fLi5ELb0ELb1ELi64EEEvPT0_PKT_S7_iiiPKb.num_vgpr, 15
	.set _ZN12_GLOBAL__N_121softmax_warp_backwardIN3c104HalfES2_fLi5ELb0ELb1ELi64EEEvPT0_PKT_S7_iiiPKb.num_agpr, 0
	.set _ZN12_GLOBAL__N_121softmax_warp_backwardIN3c104HalfES2_fLi5ELb0ELb1ELi64EEEvPT0_PKT_S7_iiiPKb.numbered_sgpr, 16
	.set _ZN12_GLOBAL__N_121softmax_warp_backwardIN3c104HalfES2_fLi5ELb0ELb1ELi64EEEvPT0_PKT_S7_iiiPKb.num_named_barrier, 0
	.set _ZN12_GLOBAL__N_121softmax_warp_backwardIN3c104HalfES2_fLi5ELb0ELb1ELi64EEEvPT0_PKT_S7_iiiPKb.private_seg_size, 0
	.set _ZN12_GLOBAL__N_121softmax_warp_backwardIN3c104HalfES2_fLi5ELb0ELb1ELi64EEEvPT0_PKT_S7_iiiPKb.uses_vcc, 1
	.set _ZN12_GLOBAL__N_121softmax_warp_backwardIN3c104HalfES2_fLi5ELb0ELb1ELi64EEEvPT0_PKT_S7_iiiPKb.uses_flat_scratch, 0
	.set _ZN12_GLOBAL__N_121softmax_warp_backwardIN3c104HalfES2_fLi5ELb0ELb1ELi64EEEvPT0_PKT_S7_iiiPKb.has_dyn_sized_stack, 0
	.set _ZN12_GLOBAL__N_121softmax_warp_backwardIN3c104HalfES2_fLi5ELb0ELb1ELi64EEEvPT0_PKT_S7_iiiPKb.has_recursion, 0
	.set _ZN12_GLOBAL__N_121softmax_warp_backwardIN3c104HalfES2_fLi5ELb0ELb1ELi64EEEvPT0_PKT_S7_iiiPKb.has_indirect_call, 0
	.section	.AMDGPU.csdata,"",@progbits
; Kernel info:
; codeLenInByte = 932
; TotalNumSgprs: 18
; NumVgprs: 15
; ScratchSize: 0
; MemoryBound: 0
; FloatMode: 240
; IeeeMode: 1
; LDSByteSize: 0 bytes/workgroup (compile time only)
; SGPRBlocks: 0
; VGPRBlocks: 1
; NumSGPRsForWavesPerEU: 18
; NumVGPRsForWavesPerEU: 15
; Occupancy: 16
; WaveLimiterHint : 0
; COMPUTE_PGM_RSRC2:SCRATCH_EN: 0
; COMPUTE_PGM_RSRC2:USER_SGPR: 6
; COMPUTE_PGM_RSRC2:TRAP_HANDLER: 0
; COMPUTE_PGM_RSRC2:TGID_X_EN: 1
; COMPUTE_PGM_RSRC2:TGID_Y_EN: 0
; COMPUTE_PGM_RSRC2:TGID_Z_EN: 0
; COMPUTE_PGM_RSRC2:TIDIG_COMP_CNT: 1
	.section	.text._ZN12_GLOBAL__N_121softmax_warp_backwardIN3c104HalfES2_fLi5ELb0ELb1ELi32EEEvPT0_PKT_S7_iiiPKb,"axG",@progbits,_ZN12_GLOBAL__N_121softmax_warp_backwardIN3c104HalfES2_fLi5ELb0ELb1ELi32EEEvPT0_PKT_S7_iiiPKb,comdat
	.globl	_ZN12_GLOBAL__N_121softmax_warp_backwardIN3c104HalfES2_fLi5ELb0ELb1ELi32EEEvPT0_PKT_S7_iiiPKb ; -- Begin function _ZN12_GLOBAL__N_121softmax_warp_backwardIN3c104HalfES2_fLi5ELb0ELb1ELi32EEEvPT0_PKT_S7_iiiPKb
	.p2align	8
	.type	_ZN12_GLOBAL__N_121softmax_warp_backwardIN3c104HalfES2_fLi5ELb0ELb1ELi32EEEvPT0_PKT_S7_iiiPKb,@function
_ZN12_GLOBAL__N_121softmax_warp_backwardIN3c104HalfES2_fLi5ELb0ELb1ELi32EEEvPT0_PKT_S7_iiiPKb: ; @_ZN12_GLOBAL__N_121softmax_warp_backwardIN3c104HalfES2_fLi5ELb0ELb1ELi32EEEvPT0_PKT_S7_iiiPKb
; %bb.0:
	s_clause 0x1
	s_load_dword s0, s[4:5], 0x3c
	s_load_dwordx4 s[8:11], s[4:5], 0x18
	v_and_b32_e32 v4, 31, v0
	s_clause 0x1
	s_load_dwordx4 s[12:15], s[4:5], 0x0
	s_load_dwordx2 s[2:3], s[4:5], 0x10
	v_mov_b32_e32 v11, 0
	v_mov_b32_e32 v12, 0
	s_waitcnt lgkmcnt(0)
	s_mov_b32 s11, 0
	s_lshr_b32 s0, s0, 16
	v_cmp_gt_i32_e32 vcc_lo, s10, v4
	s_and_b32 s0, s0, 0xffff
	s_mul_i32 s6, s6, s0
	v_add_lshl_u32 v0, s6, v1, 1
	v_mad_u64_u32 v[2:3], null, v0, s9, v[4:5]
	v_sub_nc_u32_e32 v10, s8, v0
	v_cmp_lt_i32_e64 s0, 0, v10
	v_ashrrev_i32_e32 v3, 31, v2
	v_lshlrev_b64 v[0:1], 1, v[2:3]
	v_add_co_u32 v8, s1, s14, v0
	v_add_co_ci_u32_e64 v9, null, s15, v1, s1
	v_add_co_u32 v6, s1, s2, v0
	v_add_co_ci_u32_e64 v7, null, s3, v1, s1
	s_and_b32 s2, vcc_lo, s0
	s_and_saveexec_b32 s1, s2
	s_cbranch_execz .LBB823_2
; %bb.1:
	global_load_ushort v4, v[8:9], off
	global_load_ushort v5, v[6:7], off
	s_waitcnt vmcnt(1)
	v_cvt_f32_f16_e32 v12, v4
	s_waitcnt vmcnt(0)
	v_cvt_f32_f16_e32 v11, v5
.LBB823_2:
	s_or_b32 exec_lo, exec_lo, s1
	v_cmp_gt_i32_e64 s1, 2, v10
	v_mov_b32_e32 v4, s10
	v_mov_b32_e32 v5, s11
	s_xor_b32 s2, vcc_lo, -1
	s_or_b32 s1, s2, s1
	s_and_saveexec_b32 s2, s1
	s_xor_b32 s1, exec_lo, s2
                                        ; implicit-def: $vgpr14
                                        ; implicit-def: $vgpr13
; %bb.3:
	v_mov_b32_e32 v13, 0
	s_ashr_i32 s3, s10, 31
	s_mov_b32 s2, s10
	v_mov_b32_e32 v5, s3
	v_mov_b32_e32 v4, s2
	;; [unrolled: 1-line block ×3, first 2 shown]
                                        ; implicit-def: $vgpr6
                                        ; implicit-def: $vgpr8
; %bb.4:
	s_andn2_saveexec_b32 s2, s1
	s_cbranch_execz .LBB823_6
; %bb.5:
	s_lshl_b64 s[6:7], s[10:11], 1
	v_add_co_u32 v8, s1, v8, s6
	v_add_co_ci_u32_e64 v9, null, s7, v9, s1
	v_add_co_u32 v6, s1, v6, s6
	v_add_co_ci_u32_e64 v7, null, s7, v7, s1
	global_load_ushort v8, v[8:9], off
	global_load_ushort v6, v[6:7], off
	s_waitcnt vmcnt(1)
	v_cvt_f32_f16_e32 v13, v8
	s_waitcnt vmcnt(0)
	v_cvt_f32_f16_e32 v14, v6
.LBB823_6:
	s_or_b32 exec_lo, exec_lo, s2
	s_load_dwordx2 s[2:3], s[4:5], 0x28
	v_add_f32_e32 v6, 0, v12
	v_add_f32_e32 v7, 0, v13
	s_waitcnt lgkmcnt(0)
	v_add_co_u32 v2, s1, s2, v2
	v_add_co_ci_u32_e64 v3, null, s3, v3, s1
	v_add_co_u32 v4, s1, v2, v4
	v_add_co_ci_u32_e64 v5, null, v3, v5, s1
	s_clause 0x1
	global_load_ubyte v2, v[2:3], off
	global_load_ubyte v3, v[4:5], off
	v_mbcnt_lo_u32_b32 v4, -1, 0
	v_xor_b32_e32 v5, 16, v4
	v_cmp_gt_i32_e64 s1, 32, v5
	v_cndmask_b32_e64 v5, v4, v5, s1
	v_lshlrev_b32_e32 v5, 2, v5
	s_waitcnt vmcnt(1)
	v_and_b32_e32 v2, 1, v2
	s_waitcnt vmcnt(0)
	v_and_b32_e32 v3, 1, v3
	v_cmp_eq_u32_e64 s2, 1, v2
	v_cmp_eq_u32_e64 s1, 1, v3
	v_cndmask_b32_e64 v2, v6, 0, s2
	v_cndmask_b32_e64 v3, v7, 0, s1
	v_xor_b32_e32 v7, 8, v4
	ds_bpermute_b32 v6, v5, v2
	ds_bpermute_b32 v5, v5, v3
	v_cmp_gt_i32_e64 s3, 32, v7
	v_cndmask_b32_e64 v7, v4, v7, s3
	s_waitcnt lgkmcnt(1)
	v_add_f32_e32 v2, v2, v6
	v_lshlrev_b32_e32 v6, 2, v7
	s_waitcnt lgkmcnt(0)
	v_add_f32_e32 v3, v3, v5
	v_xor_b32_e32 v7, 4, v4
	ds_bpermute_b32 v5, v6, v2
	ds_bpermute_b32 v6, v6, v3
	v_cmp_gt_i32_e64 s3, 32, v7
	v_cndmask_b32_e64 v7, v4, v7, s3
	s_waitcnt lgkmcnt(1)
	v_add_f32_e32 v2, v2, v5
	v_lshlrev_b32_e32 v5, 2, v7
	s_waitcnt lgkmcnt(0)
	v_add_f32_e32 v3, v3, v6
	;; [unrolled: 10-line block ×3, first 2 shown]
	v_xor_b32_e32 v7, 1, v4
	ds_bpermute_b32 v5, v6, v2
	ds_bpermute_b32 v6, v6, v3
	v_cmp_gt_i32_e64 s3, 32, v7
	v_cndmask_b32_e64 v7, v4, v7, s3
	v_lshlrev_b32_e32 v7, 2, v7
	s_waitcnt lgkmcnt(1)
	v_add_f32_e32 v4, v2, v5
	s_waitcnt lgkmcnt(0)
	v_add_f32_e32 v2, v3, v6
	ds_bpermute_b32 v5, v7, v4
	ds_bpermute_b32 v3, v7, v2
	s_and_saveexec_b32 s3, s0
	s_cbranch_execz .LBB823_18
; %bb.7:
	v_add_co_u32 v0, s0, s12, v0
	v_add_co_ci_u32_e64 v1, null, s13, v1, s0
	s_and_saveexec_b32 s0, vcc_lo
	s_cbranch_execz .LBB823_12
; %bb.8:
	s_xor_b32 s2, s2, -1
	s_and_saveexec_b32 s3, s2
	s_xor_b32 s2, exec_lo, s3
	s_cbranch_execz .LBB823_10
; %bb.9:
	s_waitcnt lgkmcnt(1)
	v_add_f32_e32 v4, v4, v5
	v_fma_mixlo_f16 v4, -v11, v4, v12
	global_store_short v[0:1], v4, off
.LBB823_10:
	s_andn2_saveexec_b32 s2, s2
	s_cbranch_execz .LBB823_12
; %bb.11:
	v_mov_b32_e32 v4, 0
	global_store_short v[0:1], v4, off
.LBB823_12:
	s_or_b32 exec_lo, exec_lo, s0
	v_cmp_ne_u32_e64 s0, 1, v10
	s_and_b32 exec_lo, exec_lo, s0
	s_cbranch_execz .LBB823_18
; %bb.13:
	s_and_b32 exec_lo, exec_lo, vcc_lo
	s_cbranch_execz .LBB823_18
; %bb.14:
	s_lshl_b64 s[2:3], s[10:11], 1
	s_xor_b32 s0, s1, -1
	v_add_co_u32 v0, vcc_lo, v0, s2
	v_add_co_ci_u32_e64 v1, null, s3, v1, vcc_lo
	s_and_saveexec_b32 s1, s0
	s_xor_b32 s0, exec_lo, s1
	s_cbranch_execz .LBB823_16
; %bb.15:
	s_waitcnt lgkmcnt(0)
	v_add_f32_e32 v2, v2, v3
	v_fma_mixlo_f16 v2, -v14, v2, v13
	global_store_short v[0:1], v2, off
                                        ; implicit-def: $vgpr0_vgpr1
.LBB823_16:
	s_andn2_saveexec_b32 s0, s0
	s_cbranch_execz .LBB823_18
; %bb.17:
	v_mov_b32_e32 v2, 0
	global_store_short v[0:1], v2, off
.LBB823_18:
	s_endpgm
	.section	.rodata,"a",@progbits
	.p2align	6, 0x0
	.amdhsa_kernel _ZN12_GLOBAL__N_121softmax_warp_backwardIN3c104HalfES2_fLi5ELb0ELb1ELi32EEEvPT0_PKT_S7_iiiPKb
		.amdhsa_group_segment_fixed_size 0
		.amdhsa_private_segment_fixed_size 0
		.amdhsa_kernarg_size 304
		.amdhsa_user_sgpr_count 6
		.amdhsa_user_sgpr_private_segment_buffer 1
		.amdhsa_user_sgpr_dispatch_ptr 0
		.amdhsa_user_sgpr_queue_ptr 0
		.amdhsa_user_sgpr_kernarg_segment_ptr 1
		.amdhsa_user_sgpr_dispatch_id 0
		.amdhsa_user_sgpr_flat_scratch_init 0
		.amdhsa_user_sgpr_private_segment_size 0
		.amdhsa_wavefront_size32 1
		.amdhsa_uses_dynamic_stack 0
		.amdhsa_system_sgpr_private_segment_wavefront_offset 0
		.amdhsa_system_sgpr_workgroup_id_x 1
		.amdhsa_system_sgpr_workgroup_id_y 0
		.amdhsa_system_sgpr_workgroup_id_z 0
		.amdhsa_system_sgpr_workgroup_info 0
		.amdhsa_system_vgpr_workitem_id 1
		.amdhsa_next_free_vgpr 15
		.amdhsa_next_free_sgpr 16
		.amdhsa_reserve_vcc 1
		.amdhsa_reserve_flat_scratch 0
		.amdhsa_float_round_mode_32 0
		.amdhsa_float_round_mode_16_64 0
		.amdhsa_float_denorm_mode_32 3
		.amdhsa_float_denorm_mode_16_64 3
		.amdhsa_dx10_clamp 1
		.amdhsa_ieee_mode 1
		.amdhsa_fp16_overflow 0
		.amdhsa_workgroup_processor_mode 1
		.amdhsa_memory_ordered 1
		.amdhsa_forward_progress 1
		.amdhsa_shared_vgpr_count 0
		.amdhsa_exception_fp_ieee_invalid_op 0
		.amdhsa_exception_fp_denorm_src 0
		.amdhsa_exception_fp_ieee_div_zero 0
		.amdhsa_exception_fp_ieee_overflow 0
		.amdhsa_exception_fp_ieee_underflow 0
		.amdhsa_exception_fp_ieee_inexact 0
		.amdhsa_exception_int_div_zero 0
	.end_amdhsa_kernel
	.section	.text._ZN12_GLOBAL__N_121softmax_warp_backwardIN3c104HalfES2_fLi5ELb0ELb1ELi32EEEvPT0_PKT_S7_iiiPKb,"axG",@progbits,_ZN12_GLOBAL__N_121softmax_warp_backwardIN3c104HalfES2_fLi5ELb0ELb1ELi32EEEvPT0_PKT_S7_iiiPKb,comdat
.Lfunc_end823:
	.size	_ZN12_GLOBAL__N_121softmax_warp_backwardIN3c104HalfES2_fLi5ELb0ELb1ELi32EEEvPT0_PKT_S7_iiiPKb, .Lfunc_end823-_ZN12_GLOBAL__N_121softmax_warp_backwardIN3c104HalfES2_fLi5ELb0ELb1ELi32EEEvPT0_PKT_S7_iiiPKb
                                        ; -- End function
	.set _ZN12_GLOBAL__N_121softmax_warp_backwardIN3c104HalfES2_fLi5ELb0ELb1ELi32EEEvPT0_PKT_S7_iiiPKb.num_vgpr, 15
	.set _ZN12_GLOBAL__N_121softmax_warp_backwardIN3c104HalfES2_fLi5ELb0ELb1ELi32EEEvPT0_PKT_S7_iiiPKb.num_agpr, 0
	.set _ZN12_GLOBAL__N_121softmax_warp_backwardIN3c104HalfES2_fLi5ELb0ELb1ELi32EEEvPT0_PKT_S7_iiiPKb.numbered_sgpr, 16
	.set _ZN12_GLOBAL__N_121softmax_warp_backwardIN3c104HalfES2_fLi5ELb0ELb1ELi32EEEvPT0_PKT_S7_iiiPKb.num_named_barrier, 0
	.set _ZN12_GLOBAL__N_121softmax_warp_backwardIN3c104HalfES2_fLi5ELb0ELb1ELi32EEEvPT0_PKT_S7_iiiPKb.private_seg_size, 0
	.set _ZN12_GLOBAL__N_121softmax_warp_backwardIN3c104HalfES2_fLi5ELb0ELb1ELi32EEEvPT0_PKT_S7_iiiPKb.uses_vcc, 1
	.set _ZN12_GLOBAL__N_121softmax_warp_backwardIN3c104HalfES2_fLi5ELb0ELb1ELi32EEEvPT0_PKT_S7_iiiPKb.uses_flat_scratch, 0
	.set _ZN12_GLOBAL__N_121softmax_warp_backwardIN3c104HalfES2_fLi5ELb0ELb1ELi32EEEvPT0_PKT_S7_iiiPKb.has_dyn_sized_stack, 0
	.set _ZN12_GLOBAL__N_121softmax_warp_backwardIN3c104HalfES2_fLi5ELb0ELb1ELi32EEEvPT0_PKT_S7_iiiPKb.has_recursion, 0
	.set _ZN12_GLOBAL__N_121softmax_warp_backwardIN3c104HalfES2_fLi5ELb0ELb1ELi32EEEvPT0_PKT_S7_iiiPKb.has_indirect_call, 0
	.section	.AMDGPU.csdata,"",@progbits
; Kernel info:
; codeLenInByte = 932
; TotalNumSgprs: 18
; NumVgprs: 15
; ScratchSize: 0
; MemoryBound: 0
; FloatMode: 240
; IeeeMode: 1
; LDSByteSize: 0 bytes/workgroup (compile time only)
; SGPRBlocks: 0
; VGPRBlocks: 1
; NumSGPRsForWavesPerEU: 18
; NumVGPRsForWavesPerEU: 15
; Occupancy: 16
; WaveLimiterHint : 0
; COMPUTE_PGM_RSRC2:SCRATCH_EN: 0
; COMPUTE_PGM_RSRC2:USER_SGPR: 6
; COMPUTE_PGM_RSRC2:TRAP_HANDLER: 0
; COMPUTE_PGM_RSRC2:TGID_X_EN: 1
; COMPUTE_PGM_RSRC2:TGID_Y_EN: 0
; COMPUTE_PGM_RSRC2:TGID_Z_EN: 0
; COMPUTE_PGM_RSRC2:TIDIG_COMP_CNT: 1
	.section	.text._ZN12_GLOBAL__N_121softmax_warp_backwardIN3c104HalfES2_fLi6ELb0ELb1ELi64EEEvPT0_PKT_S7_iiiPKb,"axG",@progbits,_ZN12_GLOBAL__N_121softmax_warp_backwardIN3c104HalfES2_fLi6ELb0ELb1ELi64EEEvPT0_PKT_S7_iiiPKb,comdat
	.globl	_ZN12_GLOBAL__N_121softmax_warp_backwardIN3c104HalfES2_fLi6ELb0ELb1ELi64EEEvPT0_PKT_S7_iiiPKb ; -- Begin function _ZN12_GLOBAL__N_121softmax_warp_backwardIN3c104HalfES2_fLi6ELb0ELb1ELi64EEEvPT0_PKT_S7_iiiPKb
	.p2align	8
	.type	_ZN12_GLOBAL__N_121softmax_warp_backwardIN3c104HalfES2_fLi6ELb0ELb1ELi64EEEvPT0_PKT_S7_iiiPKb,@function
_ZN12_GLOBAL__N_121softmax_warp_backwardIN3c104HalfES2_fLi6ELb0ELb1ELi64EEEvPT0_PKT_S7_iiiPKb: ; @_ZN12_GLOBAL__N_121softmax_warp_backwardIN3c104HalfES2_fLi6ELb0ELb1ELi64EEEvPT0_PKT_S7_iiiPKb
; %bb.0:
	s_clause 0x1
	s_load_dword s0, s[4:5], 0x3c
	s_load_dwordx4 s[8:11], s[4:5], 0x18
	v_and_b32_e32 v4, 63, v0
	s_clause 0x1
	s_load_dwordx4 s[12:15], s[4:5], 0x0
	s_load_dwordx2 s[2:3], s[4:5], 0x10
	v_mov_b32_e32 v11, 0
	v_mov_b32_e32 v12, 0
	s_waitcnt lgkmcnt(0)
	s_mov_b32 s11, 0
	s_lshr_b32 s0, s0, 16
	v_cmp_gt_i32_e32 vcc_lo, s10, v4
	s_and_b32 s0, s0, 0xffff
	s_mul_i32 s6, s6, s0
	v_add_lshl_u32 v0, s6, v1, 1
	v_mad_u64_u32 v[2:3], null, v0, s9, v[4:5]
	v_sub_nc_u32_e32 v10, s8, v0
	v_cmp_lt_i32_e64 s0, 0, v10
	v_ashrrev_i32_e32 v3, 31, v2
	v_lshlrev_b64 v[0:1], 1, v[2:3]
	v_add_co_u32 v8, s1, s14, v0
	v_add_co_ci_u32_e64 v9, null, s15, v1, s1
	v_add_co_u32 v6, s1, s2, v0
	v_add_co_ci_u32_e64 v7, null, s3, v1, s1
	s_and_b32 s2, vcc_lo, s0
	s_and_saveexec_b32 s1, s2
	s_cbranch_execz .LBB824_2
; %bb.1:
	global_load_ushort v4, v[8:9], off
	global_load_ushort v5, v[6:7], off
	s_waitcnt vmcnt(1)
	v_cvt_f32_f16_e32 v12, v4
	s_waitcnt vmcnt(0)
	v_cvt_f32_f16_e32 v11, v5
.LBB824_2:
	s_or_b32 exec_lo, exec_lo, s1
	v_cmp_gt_i32_e64 s1, 2, v10
	v_mov_b32_e32 v4, s10
	v_mov_b32_e32 v5, s11
	s_xor_b32 s2, vcc_lo, -1
	s_or_b32 s1, s2, s1
	s_and_saveexec_b32 s2, s1
	s_xor_b32 s1, exec_lo, s2
                                        ; implicit-def: $vgpr14
                                        ; implicit-def: $vgpr13
; %bb.3:
	v_mov_b32_e32 v13, 0
	s_ashr_i32 s3, s10, 31
	s_mov_b32 s2, s10
	v_mov_b32_e32 v5, s3
	v_mov_b32_e32 v4, s2
	;; [unrolled: 1-line block ×3, first 2 shown]
                                        ; implicit-def: $vgpr6
                                        ; implicit-def: $vgpr8
; %bb.4:
	s_andn2_saveexec_b32 s2, s1
	s_cbranch_execz .LBB824_6
; %bb.5:
	s_lshl_b64 s[6:7], s[10:11], 1
	v_add_co_u32 v8, s1, v8, s6
	v_add_co_ci_u32_e64 v9, null, s7, v9, s1
	v_add_co_u32 v6, s1, v6, s6
	v_add_co_ci_u32_e64 v7, null, s7, v7, s1
	global_load_ushort v8, v[8:9], off
	global_load_ushort v6, v[6:7], off
	s_waitcnt vmcnt(1)
	v_cvt_f32_f16_e32 v13, v8
	s_waitcnt vmcnt(0)
	v_cvt_f32_f16_e32 v14, v6
.LBB824_6:
	s_or_b32 exec_lo, exec_lo, s2
	s_load_dwordx2 s[2:3], s[4:5], 0x28
	v_add_f32_e32 v6, 0, v12
	v_add_f32_e32 v7, 0, v13
	s_waitcnt lgkmcnt(0)
	v_add_co_u32 v2, s1, s2, v2
	v_add_co_ci_u32_e64 v3, null, s3, v3, s1
	v_add_co_u32 v4, s1, v2, v4
	v_add_co_ci_u32_e64 v5, null, v3, v5, s1
	s_clause 0x1
	global_load_ubyte v2, v[2:3], off
	global_load_ubyte v3, v[4:5], off
	v_mbcnt_lo_u32_b32 v4, -1, 0
	v_or_b32_e32 v5, 32, v4
	v_cmp_gt_i32_e64 s1, 64, v5
	v_cndmask_b32_e64 v5, v4, v5, s1
	v_lshlrev_b32_e32 v5, 2, v5
	s_waitcnt vmcnt(1)
	v_and_b32_e32 v2, 1, v2
	s_waitcnt vmcnt(0)
	v_and_b32_e32 v3, 1, v3
	v_cmp_eq_u32_e64 s2, 1, v2
	v_cmp_eq_u32_e64 s1, 1, v3
	v_cndmask_b32_e64 v2, v6, 0, s2
	v_cndmask_b32_e64 v3, v7, 0, s1
	v_xor_b32_e32 v7, 16, v4
	ds_bpermute_b32 v6, v5, v2
	ds_bpermute_b32 v5, v5, v3
	v_cmp_gt_i32_e64 s3, 64, v7
	v_cndmask_b32_e64 v7, v4, v7, s3
	v_lshlrev_b32_e32 v7, 2, v7
	s_waitcnt lgkmcnt(1)
	v_add_f32_e32 v2, v2, v6
	s_waitcnt lgkmcnt(0)
	v_add_f32_e32 v3, v3, v5
	ds_bpermute_b32 v5, v7, v2
	ds_bpermute_b32 v6, v7, v3
	v_xor_b32_e32 v7, 8, v4
	v_cmp_gt_i32_e64 s3, 64, v7
	v_cndmask_b32_e64 v7, v4, v7, s3
	s_waitcnt lgkmcnt(1)
	v_add_f32_e32 v2, v2, v5
	v_lshlrev_b32_e32 v5, 2, v7
	s_waitcnt lgkmcnt(0)
	v_add_f32_e32 v3, v3, v6
	v_xor_b32_e32 v7, 4, v4
	ds_bpermute_b32 v6, v5, v2
	ds_bpermute_b32 v5, v5, v3
	v_cmp_gt_i32_e64 s3, 64, v7
	v_cndmask_b32_e64 v7, v4, v7, s3
	s_waitcnt lgkmcnt(1)
	v_add_f32_e32 v2, v2, v6
	v_lshlrev_b32_e32 v6, 2, v7
	s_waitcnt lgkmcnt(0)
	v_add_f32_e32 v3, v3, v5
	v_xor_b32_e32 v7, 2, v4
	ds_bpermute_b32 v5, v6, v2
	ds_bpermute_b32 v6, v6, v3
	;; [unrolled: 10-line block ×3, first 2 shown]
	v_cmp_gt_i32_e64 s3, 64, v7
	v_cndmask_b32_e64 v7, v4, v7, s3
	s_waitcnt lgkmcnt(1)
	v_add_f32_e32 v4, v2, v6
	v_lshlrev_b32_e32 v6, 2, v7
	s_waitcnt lgkmcnt(0)
	v_add_f32_e32 v2, v3, v5
	ds_bpermute_b32 v5, v6, v4
	ds_bpermute_b32 v3, v6, v2
	s_and_saveexec_b32 s3, s0
	s_cbranch_execz .LBB824_18
; %bb.7:
	v_add_co_u32 v0, s0, s12, v0
	v_add_co_ci_u32_e64 v1, null, s13, v1, s0
	s_and_saveexec_b32 s0, vcc_lo
	s_cbranch_execz .LBB824_12
; %bb.8:
	s_xor_b32 s2, s2, -1
	s_and_saveexec_b32 s3, s2
	s_xor_b32 s2, exec_lo, s3
	s_cbranch_execz .LBB824_10
; %bb.9:
	s_waitcnt lgkmcnt(1)
	v_add_f32_e32 v4, v4, v5
	v_fma_mixlo_f16 v4, -v11, v4, v12
	global_store_short v[0:1], v4, off
.LBB824_10:
	s_andn2_saveexec_b32 s2, s2
	s_cbranch_execz .LBB824_12
; %bb.11:
	v_mov_b32_e32 v4, 0
	global_store_short v[0:1], v4, off
.LBB824_12:
	s_or_b32 exec_lo, exec_lo, s0
	v_cmp_ne_u32_e64 s0, 1, v10
	s_and_b32 exec_lo, exec_lo, s0
	s_cbranch_execz .LBB824_18
; %bb.13:
	s_and_b32 exec_lo, exec_lo, vcc_lo
	s_cbranch_execz .LBB824_18
; %bb.14:
	s_lshl_b64 s[2:3], s[10:11], 1
	s_xor_b32 s0, s1, -1
	v_add_co_u32 v0, vcc_lo, v0, s2
	v_add_co_ci_u32_e64 v1, null, s3, v1, vcc_lo
	s_and_saveexec_b32 s1, s0
	s_xor_b32 s0, exec_lo, s1
	s_cbranch_execz .LBB824_16
; %bb.15:
	s_waitcnt lgkmcnt(0)
	v_add_f32_e32 v2, v2, v3
	v_fma_mixlo_f16 v2, -v14, v2, v13
	global_store_short v[0:1], v2, off
                                        ; implicit-def: $vgpr0_vgpr1
.LBB824_16:
	s_andn2_saveexec_b32 s0, s0
	s_cbranch_execz .LBB824_18
; %bb.17:
	v_mov_b32_e32 v2, 0
	global_store_short v[0:1], v2, off
.LBB824_18:
	s_endpgm
	.section	.rodata,"a",@progbits
	.p2align	6, 0x0
	.amdhsa_kernel _ZN12_GLOBAL__N_121softmax_warp_backwardIN3c104HalfES2_fLi6ELb0ELb1ELi64EEEvPT0_PKT_S7_iiiPKb
		.amdhsa_group_segment_fixed_size 0
		.amdhsa_private_segment_fixed_size 0
		.amdhsa_kernarg_size 304
		.amdhsa_user_sgpr_count 6
		.amdhsa_user_sgpr_private_segment_buffer 1
		.amdhsa_user_sgpr_dispatch_ptr 0
		.amdhsa_user_sgpr_queue_ptr 0
		.amdhsa_user_sgpr_kernarg_segment_ptr 1
		.amdhsa_user_sgpr_dispatch_id 0
		.amdhsa_user_sgpr_flat_scratch_init 0
		.amdhsa_user_sgpr_private_segment_size 0
		.amdhsa_wavefront_size32 1
		.amdhsa_uses_dynamic_stack 0
		.amdhsa_system_sgpr_private_segment_wavefront_offset 0
		.amdhsa_system_sgpr_workgroup_id_x 1
		.amdhsa_system_sgpr_workgroup_id_y 0
		.amdhsa_system_sgpr_workgroup_id_z 0
		.amdhsa_system_sgpr_workgroup_info 0
		.amdhsa_system_vgpr_workitem_id 1
		.amdhsa_next_free_vgpr 15
		.amdhsa_next_free_sgpr 16
		.amdhsa_reserve_vcc 1
		.amdhsa_reserve_flat_scratch 0
		.amdhsa_float_round_mode_32 0
		.amdhsa_float_round_mode_16_64 0
		.amdhsa_float_denorm_mode_32 3
		.amdhsa_float_denorm_mode_16_64 3
		.amdhsa_dx10_clamp 1
		.amdhsa_ieee_mode 1
		.amdhsa_fp16_overflow 0
		.amdhsa_workgroup_processor_mode 1
		.amdhsa_memory_ordered 1
		.amdhsa_forward_progress 1
		.amdhsa_shared_vgpr_count 0
		.amdhsa_exception_fp_ieee_invalid_op 0
		.amdhsa_exception_fp_denorm_src 0
		.amdhsa_exception_fp_ieee_div_zero 0
		.amdhsa_exception_fp_ieee_overflow 0
		.amdhsa_exception_fp_ieee_underflow 0
		.amdhsa_exception_fp_ieee_inexact 0
		.amdhsa_exception_int_div_zero 0
	.end_amdhsa_kernel
	.section	.text._ZN12_GLOBAL__N_121softmax_warp_backwardIN3c104HalfES2_fLi6ELb0ELb1ELi64EEEvPT0_PKT_S7_iiiPKb,"axG",@progbits,_ZN12_GLOBAL__N_121softmax_warp_backwardIN3c104HalfES2_fLi6ELb0ELb1ELi64EEEvPT0_PKT_S7_iiiPKb,comdat
.Lfunc_end824:
	.size	_ZN12_GLOBAL__N_121softmax_warp_backwardIN3c104HalfES2_fLi6ELb0ELb1ELi64EEEvPT0_PKT_S7_iiiPKb, .Lfunc_end824-_ZN12_GLOBAL__N_121softmax_warp_backwardIN3c104HalfES2_fLi6ELb0ELb1ELi64EEEvPT0_PKT_S7_iiiPKb
                                        ; -- End function
	.set _ZN12_GLOBAL__N_121softmax_warp_backwardIN3c104HalfES2_fLi6ELb0ELb1ELi64EEEvPT0_PKT_S7_iiiPKb.num_vgpr, 15
	.set _ZN12_GLOBAL__N_121softmax_warp_backwardIN3c104HalfES2_fLi6ELb0ELb1ELi64EEEvPT0_PKT_S7_iiiPKb.num_agpr, 0
	.set _ZN12_GLOBAL__N_121softmax_warp_backwardIN3c104HalfES2_fLi6ELb0ELb1ELi64EEEvPT0_PKT_S7_iiiPKb.numbered_sgpr, 16
	.set _ZN12_GLOBAL__N_121softmax_warp_backwardIN3c104HalfES2_fLi6ELb0ELb1ELi64EEEvPT0_PKT_S7_iiiPKb.num_named_barrier, 0
	.set _ZN12_GLOBAL__N_121softmax_warp_backwardIN3c104HalfES2_fLi6ELb0ELb1ELi64EEEvPT0_PKT_S7_iiiPKb.private_seg_size, 0
	.set _ZN12_GLOBAL__N_121softmax_warp_backwardIN3c104HalfES2_fLi6ELb0ELb1ELi64EEEvPT0_PKT_S7_iiiPKb.uses_vcc, 1
	.set _ZN12_GLOBAL__N_121softmax_warp_backwardIN3c104HalfES2_fLi6ELb0ELb1ELi64EEEvPT0_PKT_S7_iiiPKb.uses_flat_scratch, 0
	.set _ZN12_GLOBAL__N_121softmax_warp_backwardIN3c104HalfES2_fLi6ELb0ELb1ELi64EEEvPT0_PKT_S7_iiiPKb.has_dyn_sized_stack, 0
	.set _ZN12_GLOBAL__N_121softmax_warp_backwardIN3c104HalfES2_fLi6ELb0ELb1ELi64EEEvPT0_PKT_S7_iiiPKb.has_recursion, 0
	.set _ZN12_GLOBAL__N_121softmax_warp_backwardIN3c104HalfES2_fLi6ELb0ELb1ELi64EEEvPT0_PKT_S7_iiiPKb.has_indirect_call, 0
	.section	.AMDGPU.csdata,"",@progbits
; Kernel info:
; codeLenInByte = 988
; TotalNumSgprs: 18
; NumVgprs: 15
; ScratchSize: 0
; MemoryBound: 0
; FloatMode: 240
; IeeeMode: 1
; LDSByteSize: 0 bytes/workgroup (compile time only)
; SGPRBlocks: 0
; VGPRBlocks: 1
; NumSGPRsForWavesPerEU: 18
; NumVGPRsForWavesPerEU: 15
; Occupancy: 16
; WaveLimiterHint : 0
; COMPUTE_PGM_RSRC2:SCRATCH_EN: 0
; COMPUTE_PGM_RSRC2:USER_SGPR: 6
; COMPUTE_PGM_RSRC2:TRAP_HANDLER: 0
; COMPUTE_PGM_RSRC2:TGID_X_EN: 1
; COMPUTE_PGM_RSRC2:TGID_Y_EN: 0
; COMPUTE_PGM_RSRC2:TGID_Z_EN: 0
; COMPUTE_PGM_RSRC2:TIDIG_COMP_CNT: 1
	.section	.text._ZN12_GLOBAL__N_121softmax_warp_backwardIN3c104HalfES2_fLi6ELb0ELb1ELi32EEEvPT0_PKT_S7_iiiPKb,"axG",@progbits,_ZN12_GLOBAL__N_121softmax_warp_backwardIN3c104HalfES2_fLi6ELb0ELb1ELi32EEEvPT0_PKT_S7_iiiPKb,comdat
	.globl	_ZN12_GLOBAL__N_121softmax_warp_backwardIN3c104HalfES2_fLi6ELb0ELb1ELi32EEEvPT0_PKT_S7_iiiPKb ; -- Begin function _ZN12_GLOBAL__N_121softmax_warp_backwardIN3c104HalfES2_fLi6ELb0ELb1ELi32EEEvPT0_PKT_S7_iiiPKb
	.p2align	8
	.type	_ZN12_GLOBAL__N_121softmax_warp_backwardIN3c104HalfES2_fLi6ELb0ELb1ELi32EEEvPT0_PKT_S7_iiiPKb,@function
_ZN12_GLOBAL__N_121softmax_warp_backwardIN3c104HalfES2_fLi6ELb0ELb1ELi32EEEvPT0_PKT_S7_iiiPKb: ; @_ZN12_GLOBAL__N_121softmax_warp_backwardIN3c104HalfES2_fLi6ELb0ELb1ELi32EEEvPT0_PKT_S7_iiiPKb
; %bb.0:
	s_clause 0x1
	s_load_dword s0, s[4:5], 0x3c
	s_load_dwordx4 s[8:11], s[4:5], 0x18
	v_and_b32_e32 v8, 31, v0
	s_clause 0x1
	s_load_dwordx4 s[12:15], s[4:5], 0x0
	s_load_dwordx2 s[2:3], s[4:5], 0x10
	v_mov_b32_e32 v10, 0
	v_mov_b32_e32 v14, 0
	;; [unrolled: 1-line block ×3, first 2 shown]
	s_waitcnt lgkmcnt(0)
	s_lshr_b32 s0, s0, 16
	s_and_b32 s0, s0, 0xffff
	s_mul_i32 s6, s6, s0
	v_cmp_gt_i32_e64 s0, s10, v8
	v_add_lshl_u32 v0, s6, v1, 1
	v_mad_u64_u32 v[2:3], null, v0, s9, v[8:9]
	v_sub_nc_u32_e32 v9, s8, v0
	v_cmp_lt_i32_e64 s1, 0, v9
	v_ashrrev_i32_e32 v3, 31, v2
	v_lshlrev_b64 v[0:1], 1, v[2:3]
	v_add_co_u32 v6, vcc_lo, s14, v0
	v_add_co_ci_u32_e64 v7, null, s15, v1, vcc_lo
	v_add_co_u32 v4, vcc_lo, s2, v0
	v_add_co_ci_u32_e64 v5, null, s3, v1, vcc_lo
	s_and_b32 s3, s1, s0
	s_and_saveexec_b32 s2, s3
	s_cbranch_execz .LBB825_2
; %bb.1:
	global_load_ushort v11, v[6:7], off
	global_load_ushort v12, v[4:5], off
	s_waitcnt vmcnt(1)
	v_cvt_f32_f16_e32 v14, v11
	s_waitcnt vmcnt(0)
	v_cvt_f32_f16_e32 v16, v12
.LBB825_2:
	s_or_b32 exec_lo, exec_lo, s2
	v_or_b32_e32 v8, 32, v8
	v_mov_b32_e32 v15, 0
	v_cmp_gt_i32_e32 vcc_lo, s10, v8
	s_and_b32 s3, s1, vcc_lo
	s_and_saveexec_b32 s2, s3
	s_cbranch_execz .LBB825_4
; %bb.3:
	global_load_ushort v8, v[6:7], off offset:64
	global_load_ushort v11, v[4:5], off offset:64
	s_waitcnt vmcnt(1)
	v_cvt_f32_f16_e32 v10, v8
	s_waitcnt vmcnt(0)
	v_cvt_f32_f16_e32 v15, v11
.LBB825_4:
	s_or_b32 exec_lo, exec_lo, s2
	v_cmp_lt_i32_e64 s2, 1, v9
	v_mov_b32_e32 v8, 0
	v_mov_b32_e32 v12, 0
	;; [unrolled: 1-line block ×3, first 2 shown]
	s_and_b32 s3, s2, s0
	s_and_saveexec_b32 s6, s3
	s_cbranch_execz .LBB825_6
; %bb.5:
	s_mov_b32 s11, 0
	s_lshl_b64 s[8:9], s[10:11], 1
	v_add_co_u32 v11, s3, v6, s8
	v_add_co_ci_u32_e64 v12, null, s9, v7, s3
	v_add_co_u32 v17, s3, v4, s8
	v_add_co_ci_u32_e64 v18, null, s9, v5, s3
	global_load_ushort v11, v[11:12], off
	global_load_ushort v13, v[17:18], off
	s_waitcnt vmcnt(1)
	v_cvt_f32_f16_e32 v12, v11
	s_waitcnt vmcnt(0)
	v_cvt_f32_f16_e32 v13, v13
.LBB825_6:
	s_or_b32 exec_lo, exec_lo, s6
	v_mov_b32_e32 v11, 0
	s_and_b32 s2, s2, vcc_lo
	s_and_saveexec_b32 s3, s2
	s_cbranch_execz .LBB825_8
; %bb.7:
	s_mov_b32 s11, 0
	s_lshl_b64 s[6:7], s[10:11], 1
	v_add_co_u32 v6, s2, v6, s6
	v_add_co_ci_u32_e64 v7, null, s7, v7, s2
	v_add_co_u32 v4, s2, v4, s6
	v_add_co_ci_u32_e64 v5, null, s7, v5, s2
	global_load_ushort v6, v[6:7], off offset:64
	global_load_ushort v4, v[4:5], off offset:64
	s_waitcnt vmcnt(1)
	v_cvt_f32_f16_e32 v8, v6
	s_waitcnt vmcnt(0)
	v_cvt_f32_f16_e32 v11, v4
.LBB825_8:
	s_or_b32 exec_lo, exec_lo, s3
	s_load_dwordx2 s[2:3], s[4:5], 0x28
	v_add_f32_e32 v18, 0, v12
	s_waitcnt lgkmcnt(0)
	v_add_co_u32 v2, s2, s2, v2
	v_add_co_ci_u32_e64 v3, null, s3, v3, s2
	s_ashr_i32 s3, s10, 31
	v_add_co_u32 v4, s2, v2, s10
	v_add_co_ci_u32_e64 v5, null, s3, v3, s2
	s_clause 0x3
	global_load_ubyte v6, v[2:3], off
	global_load_ubyte v7, v[4:5], off
	global_load_ubyte v2, v[2:3], off offset:32
	global_load_ubyte v3, v[4:5], off offset:32
	v_mbcnt_lo_u32_b32 v4, -1, 0
	v_xor_b32_e32 v17, 16, v4
	v_cmp_gt_i32_e64 s2, 32, v17
	s_waitcnt vmcnt(3)
	v_and_b32_e32 v5, 1, v6
	s_waitcnt vmcnt(2)
	v_and_b32_e32 v7, 1, v7
	v_add_f32_e32 v6, 0, v14
	s_waitcnt vmcnt(1)
	v_and_b32_e32 v2, 1, v2
	s_waitcnt vmcnt(0)
	v_and_b32_e32 v3, 1, v3
	v_cmp_eq_u32_e64 s5, 1, v5
	v_cmp_eq_u32_e64 s3, 1, v7
	;; [unrolled: 1-line block ×3, first 2 shown]
	v_cndmask_b32_e64 v5, v6, 0, s5
	v_cndmask_b32_e64 v7, v18, 0, s3
	;; [unrolled: 1-line block ×3, first 2 shown]
	v_cmp_eq_u32_e64 s2, 1, v3
	v_add_f32_e32 v17, v5, v10
	v_add_f32_e32 v18, v7, v8
	v_lshlrev_b32_e32 v6, 2, v6
	v_cndmask_b32_e64 v2, v17, v5, s4
	v_cndmask_b32_e64 v3, v18, v7, s2
	v_xor_b32_e32 v7, 8, v4
	ds_bpermute_b32 v5, v6, v2
	ds_bpermute_b32 v6, v6, v3
	v_cmp_gt_i32_e64 s6, 32, v7
	v_cndmask_b32_e64 v7, v4, v7, s6
	s_waitcnt lgkmcnt(1)
	v_add_f32_e32 v2, v2, v5
	v_lshlrev_b32_e32 v5, 2, v7
	s_waitcnt lgkmcnt(0)
	v_add_f32_e32 v3, v3, v6
	v_xor_b32_e32 v7, 4, v4
	ds_bpermute_b32 v6, v5, v2
	ds_bpermute_b32 v5, v5, v3
	v_cmp_gt_i32_e64 s6, 32, v7
	v_cndmask_b32_e64 v7, v4, v7, s6
	s_waitcnt lgkmcnt(1)
	v_add_f32_e32 v2, v2, v6
	v_lshlrev_b32_e32 v6, 2, v7
	s_waitcnt lgkmcnt(0)
	v_add_f32_e32 v3, v3, v5
	;; [unrolled: 10-line block ×4, first 2 shown]
	ds_bpermute_b32 v5, v6, v4
	ds_bpermute_b32 v3, v6, v2
	s_and_saveexec_b32 s6, s1
	s_cbranch_execz .LBB825_30
; %bb.9:
	v_add_co_u32 v0, s1, s12, v0
	s_waitcnt lgkmcnt(1)
	v_add_f32_e32 v4, v4, v5
	v_add_co_ci_u32_e64 v1, null, s13, v1, s1
	s_and_saveexec_b32 s1, s0
	s_cbranch_execz .LBB825_14
; %bb.10:
	s_xor_b32 s5, s5, -1
	s_and_saveexec_b32 s6, s5
	s_xor_b32 s5, exec_lo, s6
	s_cbranch_execz .LBB825_12
; %bb.11:
	v_fma_mixlo_f16 v5, -v4, v16, v14
	global_store_short v[0:1], v5, off
.LBB825_12:
	s_andn2_saveexec_b32 s5, s5
	s_cbranch_execz .LBB825_14
; %bb.13:
	v_mov_b32_e32 v5, 0
	global_store_short v[0:1], v5, off
.LBB825_14:
	s_or_b32 exec_lo, exec_lo, s1
	s_and_saveexec_b32 s1, vcc_lo
	s_cbranch_execz .LBB825_19
; %bb.15:
	s_xor_b32 s4, s4, -1
	s_and_saveexec_b32 s5, s4
	s_xor_b32 s4, exec_lo, s5
	s_cbranch_execz .LBB825_17
; %bb.16:
	v_fma_mixlo_f16 v4, -v4, v15, v10
	global_store_short v[0:1], v4, off offset:64
.LBB825_17:
	s_andn2_saveexec_b32 s4, s4
	s_cbranch_execz .LBB825_19
; %bb.18:
	v_mov_b32_e32 v4, 0
	global_store_short v[0:1], v4, off offset:64
.LBB825_19:
	s_or_b32 exec_lo, exec_lo, s1
	v_cmp_ne_u32_e64 s1, 1, v9
	s_and_b32 exec_lo, exec_lo, s1
	s_cbranch_execz .LBB825_30
; %bb.20:
	s_waitcnt lgkmcnt(0)
	v_add_f32_e32 v2, v2, v3
	s_and_saveexec_b32 s1, s0
	s_cbranch_execz .LBB825_25
; %bb.21:
	s_xor_b32 s0, s3, -1
	s_mov_b32 s11, 0
	s_and_saveexec_b32 s3, s0
	s_xor_b32 s3, exec_lo, s3
	s_cbranch_execz .LBB825_23
; %bb.22:
	s_lshl_b64 s[4:5], s[10:11], 1
	v_fma_mixlo_f16 v5, -v2, v13, v12
	v_add_co_u32 v3, s0, v0, s4
	v_add_co_ci_u32_e64 v4, null, s5, v1, s0
	global_store_short v[3:4], v5, off
.LBB825_23:
	s_andn2_saveexec_b32 s0, s3
	s_cbranch_execz .LBB825_25
; %bb.24:
	s_lshl_b64 s[4:5], s[10:11], 1
	v_mov_b32_e32 v5, 0
	v_add_co_u32 v3, s0, v0, s4
	v_add_co_ci_u32_e64 v4, null, s5, v1, s0
	global_store_short v[3:4], v5, off
.LBB825_25:
	s_or_b32 exec_lo, exec_lo, s1
	s_and_b32 exec_lo, exec_lo, vcc_lo
	s_cbranch_execz .LBB825_30
; %bb.26:
	s_xor_b32 s2, s2, -1
	s_add_i32 s0, s10, 32
	s_mov_b32 s1, 0
	s_and_saveexec_b32 s3, s2
	s_xor_b32 s2, exec_lo, s3
	s_cbranch_execz .LBB825_28
; %bb.27:
	s_lshl_b64 s[4:5], s[0:1], 1
	v_fma_mixlo_f16 v2, -v2, v11, v8
	v_add_co_u32 v0, vcc_lo, v0, s4
	v_add_co_ci_u32_e64 v1, null, s5, v1, vcc_lo
	global_store_short v[0:1], v2, off
                                        ; implicit-def: $vgpr0
.LBB825_28:
	s_andn2_saveexec_b32 s2, s2
	s_cbranch_execz .LBB825_30
; %bb.29:
	s_lshl_b64 s[0:1], s[0:1], 1
	v_mov_b32_e32 v2, 0
	v_add_co_u32 v0, vcc_lo, v0, s0
	v_add_co_ci_u32_e64 v1, null, s1, v1, vcc_lo
	global_store_short v[0:1], v2, off
.LBB825_30:
	s_endpgm
	.section	.rodata,"a",@progbits
	.p2align	6, 0x0
	.amdhsa_kernel _ZN12_GLOBAL__N_121softmax_warp_backwardIN3c104HalfES2_fLi6ELb0ELb1ELi32EEEvPT0_PKT_S7_iiiPKb
		.amdhsa_group_segment_fixed_size 0
		.amdhsa_private_segment_fixed_size 0
		.amdhsa_kernarg_size 304
		.amdhsa_user_sgpr_count 6
		.amdhsa_user_sgpr_private_segment_buffer 1
		.amdhsa_user_sgpr_dispatch_ptr 0
		.amdhsa_user_sgpr_queue_ptr 0
		.amdhsa_user_sgpr_kernarg_segment_ptr 1
		.amdhsa_user_sgpr_dispatch_id 0
		.amdhsa_user_sgpr_flat_scratch_init 0
		.amdhsa_user_sgpr_private_segment_size 0
		.amdhsa_wavefront_size32 1
		.amdhsa_uses_dynamic_stack 0
		.amdhsa_system_sgpr_private_segment_wavefront_offset 0
		.amdhsa_system_sgpr_workgroup_id_x 1
		.amdhsa_system_sgpr_workgroup_id_y 0
		.amdhsa_system_sgpr_workgroup_id_z 0
		.amdhsa_system_sgpr_workgroup_info 0
		.amdhsa_system_vgpr_workitem_id 1
		.amdhsa_next_free_vgpr 19
		.amdhsa_next_free_sgpr 16
		.amdhsa_reserve_vcc 1
		.amdhsa_reserve_flat_scratch 0
		.amdhsa_float_round_mode_32 0
		.amdhsa_float_round_mode_16_64 0
		.amdhsa_float_denorm_mode_32 3
		.amdhsa_float_denorm_mode_16_64 3
		.amdhsa_dx10_clamp 1
		.amdhsa_ieee_mode 1
		.amdhsa_fp16_overflow 0
		.amdhsa_workgroup_processor_mode 1
		.amdhsa_memory_ordered 1
		.amdhsa_forward_progress 1
		.amdhsa_shared_vgpr_count 0
		.amdhsa_exception_fp_ieee_invalid_op 0
		.amdhsa_exception_fp_denorm_src 0
		.amdhsa_exception_fp_ieee_div_zero 0
		.amdhsa_exception_fp_ieee_overflow 0
		.amdhsa_exception_fp_ieee_underflow 0
		.amdhsa_exception_fp_ieee_inexact 0
		.amdhsa_exception_int_div_zero 0
	.end_amdhsa_kernel
	.section	.text._ZN12_GLOBAL__N_121softmax_warp_backwardIN3c104HalfES2_fLi6ELb0ELb1ELi32EEEvPT0_PKT_S7_iiiPKb,"axG",@progbits,_ZN12_GLOBAL__N_121softmax_warp_backwardIN3c104HalfES2_fLi6ELb0ELb1ELi32EEEvPT0_PKT_S7_iiiPKb,comdat
.Lfunc_end825:
	.size	_ZN12_GLOBAL__N_121softmax_warp_backwardIN3c104HalfES2_fLi6ELb0ELb1ELi32EEEvPT0_PKT_S7_iiiPKb, .Lfunc_end825-_ZN12_GLOBAL__N_121softmax_warp_backwardIN3c104HalfES2_fLi6ELb0ELb1ELi32EEEvPT0_PKT_S7_iiiPKb
                                        ; -- End function
	.set _ZN12_GLOBAL__N_121softmax_warp_backwardIN3c104HalfES2_fLi6ELb0ELb1ELi32EEEvPT0_PKT_S7_iiiPKb.num_vgpr, 19
	.set _ZN12_GLOBAL__N_121softmax_warp_backwardIN3c104HalfES2_fLi6ELb0ELb1ELi32EEEvPT0_PKT_S7_iiiPKb.num_agpr, 0
	.set _ZN12_GLOBAL__N_121softmax_warp_backwardIN3c104HalfES2_fLi6ELb0ELb1ELi32EEEvPT0_PKT_S7_iiiPKb.numbered_sgpr, 16
	.set _ZN12_GLOBAL__N_121softmax_warp_backwardIN3c104HalfES2_fLi6ELb0ELb1ELi32EEEvPT0_PKT_S7_iiiPKb.num_named_barrier, 0
	.set _ZN12_GLOBAL__N_121softmax_warp_backwardIN3c104HalfES2_fLi6ELb0ELb1ELi32EEEvPT0_PKT_S7_iiiPKb.private_seg_size, 0
	.set _ZN12_GLOBAL__N_121softmax_warp_backwardIN3c104HalfES2_fLi6ELb0ELb1ELi32EEEvPT0_PKT_S7_iiiPKb.uses_vcc, 1
	.set _ZN12_GLOBAL__N_121softmax_warp_backwardIN3c104HalfES2_fLi6ELb0ELb1ELi32EEEvPT0_PKT_S7_iiiPKb.uses_flat_scratch, 0
	.set _ZN12_GLOBAL__N_121softmax_warp_backwardIN3c104HalfES2_fLi6ELb0ELb1ELi32EEEvPT0_PKT_S7_iiiPKb.has_dyn_sized_stack, 0
	.set _ZN12_GLOBAL__N_121softmax_warp_backwardIN3c104HalfES2_fLi6ELb0ELb1ELi32EEEvPT0_PKT_S7_iiiPKb.has_recursion, 0
	.set _ZN12_GLOBAL__N_121softmax_warp_backwardIN3c104HalfES2_fLi6ELb0ELb1ELi32EEEvPT0_PKT_S7_iiiPKb.has_indirect_call, 0
	.section	.AMDGPU.csdata,"",@progbits
; Kernel info:
; codeLenInByte = 1336
; TotalNumSgprs: 18
; NumVgprs: 19
; ScratchSize: 0
; MemoryBound: 0
; FloatMode: 240
; IeeeMode: 1
; LDSByteSize: 0 bytes/workgroup (compile time only)
; SGPRBlocks: 0
; VGPRBlocks: 2
; NumSGPRsForWavesPerEU: 18
; NumVGPRsForWavesPerEU: 19
; Occupancy: 16
; WaveLimiterHint : 0
; COMPUTE_PGM_RSRC2:SCRATCH_EN: 0
; COMPUTE_PGM_RSRC2:USER_SGPR: 6
; COMPUTE_PGM_RSRC2:TRAP_HANDLER: 0
; COMPUTE_PGM_RSRC2:TGID_X_EN: 1
; COMPUTE_PGM_RSRC2:TGID_Y_EN: 0
; COMPUTE_PGM_RSRC2:TGID_Z_EN: 0
; COMPUTE_PGM_RSRC2:TIDIG_COMP_CNT: 1
	.section	.text._ZN12_GLOBAL__N_121softmax_warp_backwardIN3c104HalfES2_fLi7ELb0ELb1ELi64EEEvPT0_PKT_S7_iiiPKb,"axG",@progbits,_ZN12_GLOBAL__N_121softmax_warp_backwardIN3c104HalfES2_fLi7ELb0ELb1ELi64EEEvPT0_PKT_S7_iiiPKb,comdat
	.globl	_ZN12_GLOBAL__N_121softmax_warp_backwardIN3c104HalfES2_fLi7ELb0ELb1ELi64EEEvPT0_PKT_S7_iiiPKb ; -- Begin function _ZN12_GLOBAL__N_121softmax_warp_backwardIN3c104HalfES2_fLi7ELb0ELb1ELi64EEEvPT0_PKT_S7_iiiPKb
	.p2align	8
	.type	_ZN12_GLOBAL__N_121softmax_warp_backwardIN3c104HalfES2_fLi7ELb0ELb1ELi64EEEvPT0_PKT_S7_iiiPKb,@function
_ZN12_GLOBAL__N_121softmax_warp_backwardIN3c104HalfES2_fLi7ELb0ELb1ELi64EEEvPT0_PKT_S7_iiiPKb: ; @_ZN12_GLOBAL__N_121softmax_warp_backwardIN3c104HalfES2_fLi7ELb0ELb1ELi64EEEvPT0_PKT_S7_iiiPKb
; %bb.0:
	s_clause 0x1
	s_load_dword s0, s[4:5], 0x3c
	s_load_dwordx4 s[8:11], s[4:5], 0x18
	v_and_b32_e32 v8, 63, v0
	s_clause 0x1
	s_load_dwordx4 s[12:15], s[4:5], 0x0
	s_load_dwordx2 s[2:3], s[4:5], 0x10
	v_mov_b32_e32 v10, 0
	v_mov_b32_e32 v14, 0
	v_mov_b32_e32 v16, 0
	s_waitcnt lgkmcnt(0)
	s_lshr_b32 s0, s0, 16
	s_and_b32 s0, s0, 0xffff
	s_mul_i32 s6, s6, s0
	v_cmp_gt_i32_e64 s0, s10, v8
	v_add_lshl_u32 v0, s6, v1, 1
	v_mad_u64_u32 v[2:3], null, v0, s9, v[8:9]
	v_sub_nc_u32_e32 v9, s8, v0
	v_cmp_lt_i32_e64 s1, 0, v9
	v_ashrrev_i32_e32 v3, 31, v2
	v_lshlrev_b64 v[0:1], 1, v[2:3]
	v_add_co_u32 v6, vcc_lo, s14, v0
	v_add_co_ci_u32_e64 v7, null, s15, v1, vcc_lo
	v_add_co_u32 v4, vcc_lo, s2, v0
	v_add_co_ci_u32_e64 v5, null, s3, v1, vcc_lo
	s_and_b32 s3, s1, s0
	s_and_saveexec_b32 s2, s3
	s_cbranch_execz .LBB826_2
; %bb.1:
	global_load_ushort v11, v[6:7], off
	global_load_ushort v12, v[4:5], off
	s_waitcnt vmcnt(1)
	v_cvt_f32_f16_e32 v14, v11
	s_waitcnt vmcnt(0)
	v_cvt_f32_f16_e32 v16, v12
.LBB826_2:
	s_or_b32 exec_lo, exec_lo, s2
	v_or_b32_e32 v8, 64, v8
	v_mov_b32_e32 v15, 0
	v_cmp_gt_i32_e32 vcc_lo, s10, v8
	s_and_b32 s3, s1, vcc_lo
	s_and_saveexec_b32 s2, s3
	s_cbranch_execz .LBB826_4
; %bb.3:
	global_load_ushort v8, v[6:7], off offset:128
	global_load_ushort v11, v[4:5], off offset:128
	s_waitcnt vmcnt(1)
	v_cvt_f32_f16_e32 v10, v8
	s_waitcnt vmcnt(0)
	v_cvt_f32_f16_e32 v15, v11
.LBB826_4:
	s_or_b32 exec_lo, exec_lo, s2
	v_cmp_lt_i32_e64 s2, 1, v9
	v_mov_b32_e32 v8, 0
	v_mov_b32_e32 v12, 0
	;; [unrolled: 1-line block ×3, first 2 shown]
	s_and_b32 s3, s2, s0
	s_and_saveexec_b32 s6, s3
	s_cbranch_execz .LBB826_6
; %bb.5:
	s_mov_b32 s11, 0
	s_lshl_b64 s[8:9], s[10:11], 1
	v_add_co_u32 v11, s3, v6, s8
	v_add_co_ci_u32_e64 v12, null, s9, v7, s3
	v_add_co_u32 v17, s3, v4, s8
	v_add_co_ci_u32_e64 v18, null, s9, v5, s3
	global_load_ushort v11, v[11:12], off
	global_load_ushort v13, v[17:18], off
	s_waitcnt vmcnt(1)
	v_cvt_f32_f16_e32 v12, v11
	s_waitcnt vmcnt(0)
	v_cvt_f32_f16_e32 v13, v13
.LBB826_6:
	s_or_b32 exec_lo, exec_lo, s6
	v_mov_b32_e32 v11, 0
	s_and_b32 s2, s2, vcc_lo
	s_and_saveexec_b32 s3, s2
	s_cbranch_execz .LBB826_8
; %bb.7:
	s_mov_b32 s11, 0
	s_lshl_b64 s[6:7], s[10:11], 1
	v_add_co_u32 v6, s2, v6, s6
	v_add_co_ci_u32_e64 v7, null, s7, v7, s2
	v_add_co_u32 v4, s2, v4, s6
	v_add_co_ci_u32_e64 v5, null, s7, v5, s2
	global_load_ushort v6, v[6:7], off offset:128
	global_load_ushort v4, v[4:5], off offset:128
	s_waitcnt vmcnt(1)
	v_cvt_f32_f16_e32 v8, v6
	s_waitcnt vmcnt(0)
	v_cvt_f32_f16_e32 v11, v4
.LBB826_8:
	s_or_b32 exec_lo, exec_lo, s3
	s_load_dwordx2 s[2:3], s[4:5], 0x28
	v_add_f32_e32 v18, 0, v12
	s_waitcnt lgkmcnt(0)
	v_add_co_u32 v2, s2, s2, v2
	v_add_co_ci_u32_e64 v3, null, s3, v3, s2
	s_ashr_i32 s3, s10, 31
	v_add_co_u32 v4, s2, v2, s10
	v_add_co_ci_u32_e64 v5, null, s3, v3, s2
	s_clause 0x3
	global_load_ubyte v6, v[2:3], off
	global_load_ubyte v7, v[4:5], off
	global_load_ubyte v2, v[2:3], off offset:64
	global_load_ubyte v3, v[4:5], off offset:64
	v_mbcnt_lo_u32_b32 v4, -1, 0
	v_or_b32_e32 v17, 32, v4
	v_cmp_gt_i32_e64 s2, 64, v17
	s_waitcnt vmcnt(3)
	v_and_b32_e32 v5, 1, v6
	s_waitcnt vmcnt(2)
	v_and_b32_e32 v7, 1, v7
	v_add_f32_e32 v6, 0, v14
	s_waitcnt vmcnt(1)
	v_and_b32_e32 v2, 1, v2
	s_waitcnt vmcnt(0)
	v_and_b32_e32 v3, 1, v3
	v_cmp_eq_u32_e64 s5, 1, v5
	v_cmp_eq_u32_e64 s3, 1, v7
	;; [unrolled: 1-line block ×3, first 2 shown]
	v_cndmask_b32_e64 v5, v6, 0, s5
	v_cndmask_b32_e64 v7, v18, 0, s3
	;; [unrolled: 1-line block ×3, first 2 shown]
	v_cmp_eq_u32_e64 s2, 1, v3
	v_add_f32_e32 v17, v5, v10
	v_add_f32_e32 v18, v7, v8
	v_lshlrev_b32_e32 v6, 2, v6
	v_cndmask_b32_e64 v2, v17, v5, s4
	v_cndmask_b32_e64 v3, v18, v7, s2
	v_xor_b32_e32 v7, 16, v4
	ds_bpermute_b32 v5, v6, v2
	ds_bpermute_b32 v6, v6, v3
	v_cmp_gt_i32_e64 s6, 64, v7
	v_cndmask_b32_e64 v7, v4, v7, s6
	v_lshlrev_b32_e32 v7, 2, v7
	s_waitcnt lgkmcnt(1)
	v_add_f32_e32 v2, v2, v5
	s_waitcnt lgkmcnt(0)
	v_add_f32_e32 v3, v3, v6
	ds_bpermute_b32 v5, v7, v2
	ds_bpermute_b32 v6, v7, v3
	v_xor_b32_e32 v7, 8, v4
	v_cmp_gt_i32_e64 s6, 64, v7
	v_cndmask_b32_e64 v7, v4, v7, s6
	s_waitcnt lgkmcnt(1)
	v_add_f32_e32 v2, v2, v5
	v_lshlrev_b32_e32 v5, 2, v7
	s_waitcnt lgkmcnt(0)
	v_add_f32_e32 v3, v3, v6
	v_xor_b32_e32 v7, 4, v4
	ds_bpermute_b32 v6, v5, v2
	ds_bpermute_b32 v5, v5, v3
	v_cmp_gt_i32_e64 s6, 64, v7
	v_cndmask_b32_e64 v7, v4, v7, s6
	s_waitcnt lgkmcnt(1)
	v_add_f32_e32 v2, v2, v6
	v_lshlrev_b32_e32 v6, 2, v7
	s_waitcnt lgkmcnt(0)
	v_add_f32_e32 v3, v3, v5
	v_xor_b32_e32 v7, 2, v4
	ds_bpermute_b32 v5, v6, v2
	ds_bpermute_b32 v6, v6, v3
	;; [unrolled: 10-line block ×3, first 2 shown]
	v_cmp_gt_i32_e64 s6, 64, v7
	v_cndmask_b32_e64 v7, v4, v7, s6
	s_waitcnt lgkmcnt(1)
	v_add_f32_e32 v4, v2, v6
	v_lshlrev_b32_e32 v6, 2, v7
	s_waitcnt lgkmcnt(0)
	v_add_f32_e32 v2, v3, v5
	ds_bpermute_b32 v5, v6, v4
	ds_bpermute_b32 v3, v6, v2
	s_and_saveexec_b32 s6, s1
	s_cbranch_execz .LBB826_30
; %bb.9:
	v_add_co_u32 v0, s1, s12, v0
	s_waitcnt lgkmcnt(1)
	v_add_f32_e32 v4, v4, v5
	v_add_co_ci_u32_e64 v1, null, s13, v1, s1
	s_and_saveexec_b32 s1, s0
	s_cbranch_execz .LBB826_14
; %bb.10:
	s_xor_b32 s5, s5, -1
	s_and_saveexec_b32 s6, s5
	s_xor_b32 s5, exec_lo, s6
	s_cbranch_execz .LBB826_12
; %bb.11:
	v_fma_mixlo_f16 v5, -v4, v16, v14
	global_store_short v[0:1], v5, off
.LBB826_12:
	s_andn2_saveexec_b32 s5, s5
	s_cbranch_execz .LBB826_14
; %bb.13:
	v_mov_b32_e32 v5, 0
	global_store_short v[0:1], v5, off
.LBB826_14:
	s_or_b32 exec_lo, exec_lo, s1
	s_and_saveexec_b32 s1, vcc_lo
	s_cbranch_execz .LBB826_19
; %bb.15:
	s_xor_b32 s4, s4, -1
	s_and_saveexec_b32 s5, s4
	s_xor_b32 s4, exec_lo, s5
	s_cbranch_execz .LBB826_17
; %bb.16:
	v_fma_mixlo_f16 v4, -v4, v15, v10
	global_store_short v[0:1], v4, off offset:128
.LBB826_17:
	s_andn2_saveexec_b32 s4, s4
	s_cbranch_execz .LBB826_19
; %bb.18:
	v_mov_b32_e32 v4, 0
	global_store_short v[0:1], v4, off offset:128
.LBB826_19:
	s_or_b32 exec_lo, exec_lo, s1
	v_cmp_ne_u32_e64 s1, 1, v9
	s_and_b32 exec_lo, exec_lo, s1
	s_cbranch_execz .LBB826_30
; %bb.20:
	s_waitcnt lgkmcnt(0)
	v_add_f32_e32 v2, v2, v3
	s_and_saveexec_b32 s1, s0
	s_cbranch_execz .LBB826_25
; %bb.21:
	s_xor_b32 s0, s3, -1
	s_mov_b32 s11, 0
	s_and_saveexec_b32 s3, s0
	s_xor_b32 s3, exec_lo, s3
	s_cbranch_execz .LBB826_23
; %bb.22:
	s_lshl_b64 s[4:5], s[10:11], 1
	v_fma_mixlo_f16 v5, -v2, v13, v12
	v_add_co_u32 v3, s0, v0, s4
	v_add_co_ci_u32_e64 v4, null, s5, v1, s0
	global_store_short v[3:4], v5, off
.LBB826_23:
	s_andn2_saveexec_b32 s0, s3
	s_cbranch_execz .LBB826_25
; %bb.24:
	s_lshl_b64 s[4:5], s[10:11], 1
	v_mov_b32_e32 v5, 0
	v_add_co_u32 v3, s0, v0, s4
	v_add_co_ci_u32_e64 v4, null, s5, v1, s0
	global_store_short v[3:4], v5, off
.LBB826_25:
	s_or_b32 exec_lo, exec_lo, s1
	s_and_b32 exec_lo, exec_lo, vcc_lo
	s_cbranch_execz .LBB826_30
; %bb.26:
	s_xor_b32 s2, s2, -1
	s_add_i32 s0, s10, 64
	s_mov_b32 s1, 0
	s_and_saveexec_b32 s3, s2
	s_xor_b32 s2, exec_lo, s3
	s_cbranch_execz .LBB826_28
; %bb.27:
	s_lshl_b64 s[4:5], s[0:1], 1
	v_fma_mixlo_f16 v2, -v2, v11, v8
	v_add_co_u32 v0, vcc_lo, v0, s4
	v_add_co_ci_u32_e64 v1, null, s5, v1, vcc_lo
	global_store_short v[0:1], v2, off
                                        ; implicit-def: $vgpr0
.LBB826_28:
	s_andn2_saveexec_b32 s2, s2
	s_cbranch_execz .LBB826_30
; %bb.29:
	s_lshl_b64 s[0:1], s[0:1], 1
	v_mov_b32_e32 v2, 0
	v_add_co_u32 v0, vcc_lo, v0, s0
	v_add_co_ci_u32_e64 v1, null, s1, v1, vcc_lo
	global_store_short v[0:1], v2, off
.LBB826_30:
	s_endpgm
	.section	.rodata,"a",@progbits
	.p2align	6, 0x0
	.amdhsa_kernel _ZN12_GLOBAL__N_121softmax_warp_backwardIN3c104HalfES2_fLi7ELb0ELb1ELi64EEEvPT0_PKT_S7_iiiPKb
		.amdhsa_group_segment_fixed_size 0
		.amdhsa_private_segment_fixed_size 0
		.amdhsa_kernarg_size 304
		.amdhsa_user_sgpr_count 6
		.amdhsa_user_sgpr_private_segment_buffer 1
		.amdhsa_user_sgpr_dispatch_ptr 0
		.amdhsa_user_sgpr_queue_ptr 0
		.amdhsa_user_sgpr_kernarg_segment_ptr 1
		.amdhsa_user_sgpr_dispatch_id 0
		.amdhsa_user_sgpr_flat_scratch_init 0
		.amdhsa_user_sgpr_private_segment_size 0
		.amdhsa_wavefront_size32 1
		.amdhsa_uses_dynamic_stack 0
		.amdhsa_system_sgpr_private_segment_wavefront_offset 0
		.amdhsa_system_sgpr_workgroup_id_x 1
		.amdhsa_system_sgpr_workgroup_id_y 0
		.amdhsa_system_sgpr_workgroup_id_z 0
		.amdhsa_system_sgpr_workgroup_info 0
		.amdhsa_system_vgpr_workitem_id 1
		.amdhsa_next_free_vgpr 19
		.amdhsa_next_free_sgpr 16
		.amdhsa_reserve_vcc 1
		.amdhsa_reserve_flat_scratch 0
		.amdhsa_float_round_mode_32 0
		.amdhsa_float_round_mode_16_64 0
		.amdhsa_float_denorm_mode_32 3
		.amdhsa_float_denorm_mode_16_64 3
		.amdhsa_dx10_clamp 1
		.amdhsa_ieee_mode 1
		.amdhsa_fp16_overflow 0
		.amdhsa_workgroup_processor_mode 1
		.amdhsa_memory_ordered 1
		.amdhsa_forward_progress 1
		.amdhsa_shared_vgpr_count 0
		.amdhsa_exception_fp_ieee_invalid_op 0
		.amdhsa_exception_fp_denorm_src 0
		.amdhsa_exception_fp_ieee_div_zero 0
		.amdhsa_exception_fp_ieee_overflow 0
		.amdhsa_exception_fp_ieee_underflow 0
		.amdhsa_exception_fp_ieee_inexact 0
		.amdhsa_exception_int_div_zero 0
	.end_amdhsa_kernel
	.section	.text._ZN12_GLOBAL__N_121softmax_warp_backwardIN3c104HalfES2_fLi7ELb0ELb1ELi64EEEvPT0_PKT_S7_iiiPKb,"axG",@progbits,_ZN12_GLOBAL__N_121softmax_warp_backwardIN3c104HalfES2_fLi7ELb0ELb1ELi64EEEvPT0_PKT_S7_iiiPKb,comdat
.Lfunc_end826:
	.size	_ZN12_GLOBAL__N_121softmax_warp_backwardIN3c104HalfES2_fLi7ELb0ELb1ELi64EEEvPT0_PKT_S7_iiiPKb, .Lfunc_end826-_ZN12_GLOBAL__N_121softmax_warp_backwardIN3c104HalfES2_fLi7ELb0ELb1ELi64EEEvPT0_PKT_S7_iiiPKb
                                        ; -- End function
	.set _ZN12_GLOBAL__N_121softmax_warp_backwardIN3c104HalfES2_fLi7ELb0ELb1ELi64EEEvPT0_PKT_S7_iiiPKb.num_vgpr, 19
	.set _ZN12_GLOBAL__N_121softmax_warp_backwardIN3c104HalfES2_fLi7ELb0ELb1ELi64EEEvPT0_PKT_S7_iiiPKb.num_agpr, 0
	.set _ZN12_GLOBAL__N_121softmax_warp_backwardIN3c104HalfES2_fLi7ELb0ELb1ELi64EEEvPT0_PKT_S7_iiiPKb.numbered_sgpr, 16
	.set _ZN12_GLOBAL__N_121softmax_warp_backwardIN3c104HalfES2_fLi7ELb0ELb1ELi64EEEvPT0_PKT_S7_iiiPKb.num_named_barrier, 0
	.set _ZN12_GLOBAL__N_121softmax_warp_backwardIN3c104HalfES2_fLi7ELb0ELb1ELi64EEEvPT0_PKT_S7_iiiPKb.private_seg_size, 0
	.set _ZN12_GLOBAL__N_121softmax_warp_backwardIN3c104HalfES2_fLi7ELb0ELb1ELi64EEEvPT0_PKT_S7_iiiPKb.uses_vcc, 1
	.set _ZN12_GLOBAL__N_121softmax_warp_backwardIN3c104HalfES2_fLi7ELb0ELb1ELi64EEEvPT0_PKT_S7_iiiPKb.uses_flat_scratch, 0
	.set _ZN12_GLOBAL__N_121softmax_warp_backwardIN3c104HalfES2_fLi7ELb0ELb1ELi64EEEvPT0_PKT_S7_iiiPKb.has_dyn_sized_stack, 0
	.set _ZN12_GLOBAL__N_121softmax_warp_backwardIN3c104HalfES2_fLi7ELb0ELb1ELi64EEEvPT0_PKT_S7_iiiPKb.has_recursion, 0
	.set _ZN12_GLOBAL__N_121softmax_warp_backwardIN3c104HalfES2_fLi7ELb0ELb1ELi64EEEvPT0_PKT_S7_iiiPKb.has_indirect_call, 0
	.section	.AMDGPU.csdata,"",@progbits
; Kernel info:
; codeLenInByte = 1392
; TotalNumSgprs: 18
; NumVgprs: 19
; ScratchSize: 0
; MemoryBound: 0
; FloatMode: 240
; IeeeMode: 1
; LDSByteSize: 0 bytes/workgroup (compile time only)
; SGPRBlocks: 0
; VGPRBlocks: 2
; NumSGPRsForWavesPerEU: 18
; NumVGPRsForWavesPerEU: 19
; Occupancy: 16
; WaveLimiterHint : 0
; COMPUTE_PGM_RSRC2:SCRATCH_EN: 0
; COMPUTE_PGM_RSRC2:USER_SGPR: 6
; COMPUTE_PGM_RSRC2:TRAP_HANDLER: 0
; COMPUTE_PGM_RSRC2:TGID_X_EN: 1
; COMPUTE_PGM_RSRC2:TGID_Y_EN: 0
; COMPUTE_PGM_RSRC2:TGID_Z_EN: 0
; COMPUTE_PGM_RSRC2:TIDIG_COMP_CNT: 1
	.section	.text._ZN12_GLOBAL__N_121softmax_warp_backwardIN3c104HalfES2_fLi7ELb0ELb1ELi32EEEvPT0_PKT_S7_iiiPKb,"axG",@progbits,_ZN12_GLOBAL__N_121softmax_warp_backwardIN3c104HalfES2_fLi7ELb0ELb1ELi32EEEvPT0_PKT_S7_iiiPKb,comdat
	.globl	_ZN12_GLOBAL__N_121softmax_warp_backwardIN3c104HalfES2_fLi7ELb0ELb1ELi32EEEvPT0_PKT_S7_iiiPKb ; -- Begin function _ZN12_GLOBAL__N_121softmax_warp_backwardIN3c104HalfES2_fLi7ELb0ELb1ELi32EEEvPT0_PKT_S7_iiiPKb
	.p2align	8
	.type	_ZN12_GLOBAL__N_121softmax_warp_backwardIN3c104HalfES2_fLi7ELb0ELb1ELi32EEEvPT0_PKT_S7_iiiPKb,@function
_ZN12_GLOBAL__N_121softmax_warp_backwardIN3c104HalfES2_fLi7ELb0ELb1ELi32EEEvPT0_PKT_S7_iiiPKb: ; @_ZN12_GLOBAL__N_121softmax_warp_backwardIN3c104HalfES2_fLi7ELb0ELb1ELi32EEEvPT0_PKT_S7_iiiPKb
; %bb.0:
	s_clause 0x1
	s_load_dword s0, s[4:5], 0x3c
	s_load_dwordx4 s[12:15], s[4:5], 0x18
	v_and_b32_e32 v8, 31, v0
	s_load_dwordx4 s[16:19], s[4:5], 0x0
	v_mov_b32_e32 v12, 0
	v_mov_b32_e32 v22, 0
	;; [unrolled: 1-line block ×3, first 2 shown]
	s_waitcnt lgkmcnt(0)
	s_lshr_b32 s0, s0, 16
	v_cmp_gt_i32_e64 s2, s14, v8
	s_and_b32 s0, s0, 0xffff
	s_mul_i32 s6, s6, s0
	s_load_dwordx2 s[0:1], s[4:5], 0x10
	v_add_lshl_u32 v0, s6, v1, 1
	v_mad_u64_u32 v[2:3], null, v0, s13, v[8:9]
	v_sub_nc_u32_e32 v9, s12, v0
	v_cmp_lt_i32_e64 s3, 0, v9
	v_ashrrev_i32_e32 v3, 31, v2
	v_lshlrev_b64 v[0:1], 1, v[2:3]
	v_add_co_u32 v6, vcc_lo, s18, v0
	v_add_co_ci_u32_e64 v7, null, s19, v1, vcc_lo
	s_waitcnt lgkmcnt(0)
	v_add_co_u32 v4, vcc_lo, s0, v0
	v_add_co_ci_u32_e64 v5, null, s1, v1, vcc_lo
	s_and_b32 s1, s3, s2
	s_and_saveexec_b32 s0, s1
	s_cbranch_execz .LBB827_2
; %bb.1:
	global_load_ushort v10, v[6:7], off
	global_load_ushort v11, v[4:5], off
	s_waitcnt vmcnt(1)
	v_cvt_f32_f16_e32 v22, v10
	s_waitcnt vmcnt(0)
	v_cvt_f32_f16_e32 v24, v11
.LBB827_2:
	s_or_b32 exec_lo, exec_lo, s0
	v_or_b32_e32 v10, 32, v8
	v_mov_b32_e32 v23, 0
	v_cmp_gt_i32_e64 s1, s14, v10
	s_and_b32 s6, s3, s1
	s_and_saveexec_b32 s0, s6
	s_cbranch_execz .LBB827_4
; %bb.3:
	global_load_ushort v10, v[6:7], off offset:64
	global_load_ushort v11, v[4:5], off offset:64
	s_waitcnt vmcnt(1)
	v_cvt_f32_f16_e32 v12, v10
	s_waitcnt vmcnt(0)
	v_cvt_f32_f16_e32 v23, v11
.LBB827_4:
	s_or_b32 exec_lo, exec_lo, s0
	v_or_b32_e32 v10, 64, v8
	v_mov_b32_e32 v11, 0
	v_mov_b32_e32 v20, 0
	;; [unrolled: 1-line block ×3, first 2 shown]
	v_cmp_gt_i32_e64 s0, s14, v10
	s_and_b32 s7, s3, s0
	s_and_saveexec_b32 s6, s7
	s_cbranch_execz .LBB827_6
; %bb.5:
	global_load_ushort v10, v[6:7], off offset:128
	global_load_ushort v13, v[4:5], off offset:128
	s_waitcnt vmcnt(1)
	v_cvt_f32_f16_e32 v20, v10
	s_waitcnt vmcnt(0)
	v_cvt_f32_f16_e32 v21, v13
.LBB827_6:
	s_or_b32 exec_lo, exec_lo, s6
	v_or_b32_e32 v8, 0x60, v8
	v_mov_b32_e32 v19, 0
	v_cmp_gt_i32_e32 vcc_lo, s14, v8
	s_and_b32 s7, s3, vcc_lo
	s_and_saveexec_b32 s6, s7
	s_cbranch_execz .LBB827_8
; %bb.7:
	global_load_ushort v8, v[6:7], off offset:192
	global_load_ushort v10, v[4:5], off offset:192
	s_waitcnt vmcnt(1)
	v_cvt_f32_f16_e32 v11, v8
	s_waitcnt vmcnt(0)
	v_cvt_f32_f16_e32 v19, v10
.LBB827_8:
	s_or_b32 exec_lo, exec_lo, s6
	v_cmp_lt_i32_e64 s6, 1, v9
	v_mov_b32_e32 v10, 0
	v_mov_b32_e32 v17, 0
	;; [unrolled: 1-line block ×3, first 2 shown]
	s_and_b32 s7, s6, s2
	s_and_saveexec_b32 s8, s7
	s_cbranch_execz .LBB827_10
; %bb.9:
	s_mov_b32 s15, 0
	s_lshl_b64 s[10:11], s[14:15], 1
	v_add_co_u32 v13, s7, v6, s10
	v_add_co_ci_u32_e64 v14, null, s11, v7, s7
	v_add_co_u32 v15, s7, v4, s10
	v_add_co_ci_u32_e64 v16, null, s11, v5, s7
	global_load_ushort v8, v[13:14], off
	global_load_ushort v13, v[15:16], off
	s_waitcnt vmcnt(1)
	v_cvt_f32_f16_e32 v17, v8
	s_waitcnt vmcnt(0)
	v_cvt_f32_f16_e32 v18, v13
.LBB827_10:
	s_or_b32 exec_lo, exec_lo, s8
	v_mov_b32_e32 v16, 0
	s_and_b32 s7, s6, s1
	s_and_saveexec_b32 s8, s7
	s_cbranch_execz .LBB827_12
; %bb.11:
	s_mov_b32 s15, 0
	s_lshl_b64 s[10:11], s[14:15], 1
	v_add_co_u32 v13, s7, v6, s10
	v_add_co_ci_u32_e64 v14, null, s11, v7, s7
	v_add_co_u32 v15, s7, v4, s10
	v_add_co_ci_u32_e64 v16, null, s11, v5, s7
	global_load_ushort v8, v[13:14], off offset:64
	global_load_ushort v13, v[15:16], off offset:64
	s_waitcnt vmcnt(1)
	v_cvt_f32_f16_e32 v10, v8
	s_waitcnt vmcnt(0)
	v_cvt_f32_f16_e32 v16, v13
.LBB827_12:
	s_or_b32 exec_lo, exec_lo, s8
	v_mov_b32_e32 v8, 0
	v_mov_b32_e32 v14, 0
	;; [unrolled: 1-line block ×3, first 2 shown]
	s_and_b32 s7, s6, s0
	s_and_saveexec_b32 s8, s7
	s_cbranch_execz .LBB827_14
; %bb.13:
	s_mov_b32 s15, 0
	s_lshl_b64 s[10:11], s[14:15], 1
	v_add_co_u32 v13, s7, v6, s10
	v_add_co_ci_u32_e64 v14, null, s11, v7, s7
	v_add_co_u32 v25, s7, v4, s10
	v_add_co_ci_u32_e64 v26, null, s11, v5, s7
	global_load_ushort v13, v[13:14], off offset:128
	global_load_ushort v15, v[25:26], off offset:128
	s_waitcnt vmcnt(1)
	v_cvt_f32_f16_e32 v14, v13
	s_waitcnt vmcnt(0)
	v_cvt_f32_f16_e32 v15, v15
.LBB827_14:
	s_or_b32 exec_lo, exec_lo, s8
	v_mov_b32_e32 v13, 0
	s_and_b32 s6, s6, vcc_lo
	s_and_saveexec_b32 s7, s6
	s_cbranch_execz .LBB827_16
; %bb.15:
	s_mov_b32 s15, 0
	s_lshl_b64 s[8:9], s[14:15], 1
	v_add_co_u32 v6, s6, v6, s8
	v_add_co_ci_u32_e64 v7, null, s9, v7, s6
	v_add_co_u32 v4, s6, v4, s8
	v_add_co_ci_u32_e64 v5, null, s9, v5, s6
	global_load_ushort v6, v[6:7], off offset:192
	global_load_ushort v4, v[4:5], off offset:192
	s_waitcnt vmcnt(1)
	v_cvt_f32_f16_e32 v8, v6
	s_waitcnt vmcnt(0)
	v_cvt_f32_f16_e32 v13, v4
.LBB827_16:
	s_or_b32 exec_lo, exec_lo, s7
	s_load_dwordx2 s[4:5], s[4:5], 0x28
	s_ashr_i32 s15, s14, 31
	s_waitcnt lgkmcnt(0)
	v_add_co_u32 v2, s4, s4, v2
	v_add_co_ci_u32_e64 v3, null, s5, v3, s4
	v_add_co_u32 v4, s4, v2, s14
	v_add_co_ci_u32_e64 v5, null, s15, v3, s4
	s_clause 0x7
	global_load_ubyte v6, v[2:3], off
	global_load_ubyte v7, v[4:5], off
	global_load_ubyte v25, v[2:3], off offset:32
	global_load_ubyte v26, v[4:5], off offset:32
	;; [unrolled: 1-line block ×6, first 2 shown]
	v_add_f32_e32 v5, 0, v22
	s_waitcnt vmcnt(7)
	v_and_b32_e32 v4, 1, v6
	s_waitcnt vmcnt(6)
	v_and_b32_e32 v6, 1, v7
	v_add_f32_e32 v7, 0, v17
	v_cmp_eq_u32_e64 s11, 1, v4
	v_cmp_eq_u32_e64 s7, 1, v6
	s_waitcnt vmcnt(5)
	v_and_b32_e32 v6, 1, v25
	s_waitcnt vmcnt(4)
	v_and_b32_e32 v25, 1, v26
	;; [unrolled: 2-line block ×3, first 2 shown]
	v_cndmask_b32_e64 v4, v5, 0, s11
	v_cndmask_b32_e64 v5, v7, 0, s7
	v_cmp_eq_u32_e64 s10, 1, v6
	v_cmp_eq_u32_e64 s6, 1, v25
	v_mbcnt_lo_u32_b32 v6, -1, 0
	v_add_f32_e32 v7, v4, v12
	v_add_f32_e32 v26, v5, v10
	s_waitcnt vmcnt(0)
	v_and_b32_e32 v3, 1, v3
	v_cmp_eq_u32_e64 s8, 1, v2
	v_cndmask_b32_e64 v4, v7, v4, s10
	v_cndmask_b32_e64 v5, v26, v5, s6
	v_and_b32_e32 v7, 1, v27
	v_and_b32_e32 v27, 1, v28
	v_xor_b32_e32 v26, 16, v6
	v_add_f32_e32 v25, v4, v20
	v_add_f32_e32 v28, v5, v14
	v_cmp_eq_u32_e64 s9, 1, v7
	v_cmp_eq_u32_e64 s5, 1, v27
	v_cmp_gt_i32_e64 s4, 32, v26
	v_cndmask_b32_e64 v4, v25, v4, s9
	v_cndmask_b32_e64 v5, v28, v5, s5
	;; [unrolled: 1-line block ×3, first 2 shown]
	v_cmp_eq_u32_e64 s4, 1, v3
	v_add_f32_e32 v25, v4, v11
	v_add_f32_e32 v26, v5, v8
	v_lshlrev_b32_e32 v7, 2, v7
	v_cndmask_b32_e64 v2, v25, v4, s8
	v_cndmask_b32_e64 v3, v26, v5, s4
	ds_bpermute_b32 v4, v7, v2
	ds_bpermute_b32 v5, v7, v3
	v_xor_b32_e32 v7, 8, v6
	v_cmp_gt_i32_e64 s12, 32, v7
	v_cndmask_b32_e64 v7, v6, v7, s12
	s_waitcnt lgkmcnt(1)
	v_add_f32_e32 v2, v2, v4
	v_lshlrev_b32_e32 v4, 2, v7
	s_waitcnt lgkmcnt(0)
	v_add_f32_e32 v3, v3, v5
	v_xor_b32_e32 v7, 4, v6
	ds_bpermute_b32 v5, v4, v2
	ds_bpermute_b32 v4, v4, v3
	v_cmp_gt_i32_e64 s12, 32, v7
	v_cndmask_b32_e64 v7, v6, v7, s12
	s_waitcnt lgkmcnt(1)
	v_add_f32_e32 v2, v2, v5
	v_lshlrev_b32_e32 v5, 2, v7
	s_waitcnt lgkmcnt(0)
	v_add_f32_e32 v3, v3, v4
	v_xor_b32_e32 v7, 2, v6
	ds_bpermute_b32 v4, v5, v2
	ds_bpermute_b32 v5, v5, v3
	v_cmp_gt_i32_e64 s12, 32, v7
	v_cndmask_b32_e64 v7, v6, v7, s12
	s_waitcnt lgkmcnt(1)
	v_add_f32_e32 v2, v2, v4
	v_lshlrev_b32_e32 v4, 2, v7
	s_waitcnt lgkmcnt(0)
	v_add_f32_e32 v3, v3, v5
	ds_bpermute_b32 v5, v4, v2
	ds_bpermute_b32 v7, v4, v3
	v_xor_b32_e32 v4, 1, v6
	v_cmp_gt_i32_e64 s12, 32, v4
	v_cndmask_b32_e64 v6, v6, v4, s12
	v_lshlrev_b32_e32 v6, 2, v6
	s_waitcnt lgkmcnt(1)
	v_add_f32_e32 v4, v2, v5
	s_waitcnt lgkmcnt(0)
	v_add_f32_e32 v2, v3, v7
	ds_bpermute_b32 v5, v6, v4
	ds_bpermute_b32 v3, v6, v2
	s_and_saveexec_b32 s12, s3
	s_cbranch_execz .LBB827_58
; %bb.17:
	v_add_co_u32 v0, s3, s16, v0
	s_waitcnt lgkmcnt(1)
	v_add_f32_e32 v4, v4, v5
	v_add_co_ci_u32_e64 v1, null, s17, v1, s3
	s_and_saveexec_b32 s3, s2
	s_cbranch_execz .LBB827_22
; %bb.18:
	s_xor_b32 s11, s11, -1
	s_and_saveexec_b32 s12, s11
	s_xor_b32 s11, exec_lo, s12
	s_cbranch_execz .LBB827_20
; %bb.19:
	v_fma_mixlo_f16 v5, -v4, v24, v22
	global_store_short v[0:1], v5, off
.LBB827_20:
	s_andn2_saveexec_b32 s11, s11
	s_cbranch_execz .LBB827_22
; %bb.21:
	v_mov_b32_e32 v5, 0
	global_store_short v[0:1], v5, off
.LBB827_22:
	s_or_b32 exec_lo, exec_lo, s3
	s_and_saveexec_b32 s3, s1
	s_cbranch_execz .LBB827_27
; %bb.23:
	s_xor_b32 s10, s10, -1
	s_and_saveexec_b32 s11, s10
	s_xor_b32 s10, exec_lo, s11
	s_cbranch_execz .LBB827_25
; %bb.24:
	v_fma_mixlo_f16 v5, -v4, v23, v12
	global_store_short v[0:1], v5, off offset:64
.LBB827_25:
	s_andn2_saveexec_b32 s10, s10
	s_cbranch_execz .LBB827_27
; %bb.26:
	v_mov_b32_e32 v5, 0
	global_store_short v[0:1], v5, off offset:64
.LBB827_27:
	s_or_b32 exec_lo, exec_lo, s3
	s_and_saveexec_b32 s3, s0
	s_cbranch_execz .LBB827_32
; %bb.28:
	s_xor_b32 s9, s9, -1
	s_and_saveexec_b32 s10, s9
	s_xor_b32 s9, exec_lo, s10
	s_cbranch_execz .LBB827_30
; %bb.29:
	v_fma_mixlo_f16 v5, -v4, v21, v20
	global_store_short v[0:1], v5, off offset:128
.LBB827_30:
	s_andn2_saveexec_b32 s9, s9
	s_cbranch_execz .LBB827_32
; %bb.31:
	v_mov_b32_e32 v5, 0
	global_store_short v[0:1], v5, off offset:128
.LBB827_32:
	s_or_b32 exec_lo, exec_lo, s3
	s_and_saveexec_b32 s3, vcc_lo
	s_cbranch_execz .LBB827_37
; %bb.33:
	s_xor_b32 s8, s8, -1
	s_and_saveexec_b32 s9, s8
	s_xor_b32 s8, exec_lo, s9
	s_cbranch_execz .LBB827_35
; %bb.34:
	v_fma_mixlo_f16 v4, -v4, v19, v11
	global_store_short v[0:1], v4, off offset:192
.LBB827_35:
	s_andn2_saveexec_b32 s8, s8
	s_cbranch_execz .LBB827_37
; %bb.36:
	v_mov_b32_e32 v4, 0
	global_store_short v[0:1], v4, off offset:192
.LBB827_37:
	s_or_b32 exec_lo, exec_lo, s3
	v_cmp_ne_u32_e64 s3, 1, v9
	s_and_b32 exec_lo, exec_lo, s3
	s_cbranch_execz .LBB827_58
; %bb.38:
	s_waitcnt lgkmcnt(0)
	v_add_f32_e32 v2, v2, v3
	s_and_saveexec_b32 s3, s2
	s_cbranch_execz .LBB827_43
; %bb.39:
	s_xor_b32 s2, s7, -1
	s_and_saveexec_b32 s7, s2
	s_xor_b32 s7, exec_lo, s7
	s_cbranch_execz .LBB827_41
; %bb.40:
	s_lshl_b64 s[8:9], s[14:15], 1
	v_fma_mixlo_f16 v5, -v2, v18, v17
	v_add_co_u32 v3, s2, v0, s8
	v_add_co_ci_u32_e64 v4, null, s9, v1, s2
	global_store_short v[3:4], v5, off
.LBB827_41:
	s_andn2_saveexec_b32 s2, s7
	s_cbranch_execz .LBB827_43
; %bb.42:
	s_lshl_b64 s[8:9], s[14:15], 1
	v_mov_b32_e32 v5, 0
	v_add_co_u32 v3, s2, v0, s8
	v_add_co_ci_u32_e64 v4, null, s9, v1, s2
	global_store_short v[3:4], v5, off
.LBB827_43:
	s_or_b32 exec_lo, exec_lo, s3
	s_and_saveexec_b32 s2, s1
	s_cbranch_execz .LBB827_48
; %bb.44:
	s_xor_b32 s1, s6, -1
	s_and_saveexec_b32 s3, s1
	s_xor_b32 s3, exec_lo, s3
	s_cbranch_execz .LBB827_46
; %bb.45:
	s_lshl_b64 s[6:7], s[14:15], 1
	v_fma_mixlo_f16 v5, -v2, v16, v10
	v_add_co_u32 v3, s1, v0, s6
	v_add_co_ci_u32_e64 v4, null, s7, v1, s1
	global_store_short v[3:4], v5, off offset:64
.LBB827_46:
	s_andn2_saveexec_b32 s1, s3
	s_cbranch_execz .LBB827_48
; %bb.47:
	s_lshl_b64 s[6:7], s[14:15], 1
	v_mov_b32_e32 v5, 0
	v_add_co_u32 v3, s1, v0, s6
	v_add_co_ci_u32_e64 v4, null, s7, v1, s1
	global_store_short v[3:4], v5, off offset:64
.LBB827_48:
	s_or_b32 exec_lo, exec_lo, s2
	s_and_saveexec_b32 s1, s0
	s_cbranch_execz .LBB827_53
; %bb.49:
	s_xor_b32 s0, s5, -1
	s_and_saveexec_b32 s2, s0
	s_xor_b32 s2, exec_lo, s2
	s_cbranch_execz .LBB827_51
; %bb.50:
	s_lshl_b64 s[6:7], s[14:15], 1
	v_fma_mixlo_f16 v5, -v2, v15, v14
	v_add_co_u32 v3, s0, v0, s6
	v_add_co_ci_u32_e64 v4, null, s7, v1, s0
	global_store_short v[3:4], v5, off offset:128
.LBB827_51:
	s_andn2_saveexec_b32 s0, s2
	s_cbranch_execz .LBB827_53
; %bb.52:
	s_lshl_b64 s[2:3], s[14:15], 1
	v_mov_b32_e32 v5, 0
	v_add_co_u32 v3, s0, v0, s2
	v_add_co_ci_u32_e64 v4, null, s3, v1, s0
	global_store_short v[3:4], v5, off offset:128
.LBB827_53:
	s_or_b32 exec_lo, exec_lo, s1
	s_and_b32 exec_lo, exec_lo, vcc_lo
	s_cbranch_execz .LBB827_58
; %bb.54:
	s_xor_b32 s0, s4, -1
	s_and_saveexec_b32 s1, s0
	s_xor_b32 s0, exec_lo, s1
	s_cbranch_execz .LBB827_56
; %bb.55:
	s_lshl_b64 s[2:3], s[14:15], 1
	v_fma_mixlo_f16 v2, -v2, v13, v8
	v_add_co_u32 v0, vcc_lo, v0, s2
	v_add_co_ci_u32_e64 v1, null, s3, v1, vcc_lo
	global_store_short v[0:1], v2, off offset:192
                                        ; implicit-def: $vgpr0
.LBB827_56:
	s_andn2_saveexec_b32 s0, s0
	s_cbranch_execz .LBB827_58
; %bb.57:
	s_lshl_b64 s[0:1], s[14:15], 1
	v_mov_b32_e32 v2, 0
	v_add_co_u32 v0, vcc_lo, v0, s0
	v_add_co_ci_u32_e64 v1, null, s1, v1, vcc_lo
	global_store_short v[0:1], v2, off offset:192
.LBB827_58:
	s_endpgm
	.section	.rodata,"a",@progbits
	.p2align	6, 0x0
	.amdhsa_kernel _ZN12_GLOBAL__N_121softmax_warp_backwardIN3c104HalfES2_fLi7ELb0ELb1ELi32EEEvPT0_PKT_S7_iiiPKb
		.amdhsa_group_segment_fixed_size 0
		.amdhsa_private_segment_fixed_size 0
		.amdhsa_kernarg_size 304
		.amdhsa_user_sgpr_count 6
		.amdhsa_user_sgpr_private_segment_buffer 1
		.amdhsa_user_sgpr_dispatch_ptr 0
		.amdhsa_user_sgpr_queue_ptr 0
		.amdhsa_user_sgpr_kernarg_segment_ptr 1
		.amdhsa_user_sgpr_dispatch_id 0
		.amdhsa_user_sgpr_flat_scratch_init 0
		.amdhsa_user_sgpr_private_segment_size 0
		.amdhsa_wavefront_size32 1
		.amdhsa_uses_dynamic_stack 0
		.amdhsa_system_sgpr_private_segment_wavefront_offset 0
		.amdhsa_system_sgpr_workgroup_id_x 1
		.amdhsa_system_sgpr_workgroup_id_y 0
		.amdhsa_system_sgpr_workgroup_id_z 0
		.amdhsa_system_sgpr_workgroup_info 0
		.amdhsa_system_vgpr_workitem_id 1
		.amdhsa_next_free_vgpr 29
		.amdhsa_next_free_sgpr 20
		.amdhsa_reserve_vcc 1
		.amdhsa_reserve_flat_scratch 0
		.amdhsa_float_round_mode_32 0
		.amdhsa_float_round_mode_16_64 0
		.amdhsa_float_denorm_mode_32 3
		.amdhsa_float_denorm_mode_16_64 3
		.amdhsa_dx10_clamp 1
		.amdhsa_ieee_mode 1
		.amdhsa_fp16_overflow 0
		.amdhsa_workgroup_processor_mode 1
		.amdhsa_memory_ordered 1
		.amdhsa_forward_progress 1
		.amdhsa_shared_vgpr_count 0
		.amdhsa_exception_fp_ieee_invalid_op 0
		.amdhsa_exception_fp_denorm_src 0
		.amdhsa_exception_fp_ieee_div_zero 0
		.amdhsa_exception_fp_ieee_overflow 0
		.amdhsa_exception_fp_ieee_underflow 0
		.amdhsa_exception_fp_ieee_inexact 0
		.amdhsa_exception_int_div_zero 0
	.end_amdhsa_kernel
	.section	.text._ZN12_GLOBAL__N_121softmax_warp_backwardIN3c104HalfES2_fLi7ELb0ELb1ELi32EEEvPT0_PKT_S7_iiiPKb,"axG",@progbits,_ZN12_GLOBAL__N_121softmax_warp_backwardIN3c104HalfES2_fLi7ELb0ELb1ELi32EEEvPT0_PKT_S7_iiiPKb,comdat
.Lfunc_end827:
	.size	_ZN12_GLOBAL__N_121softmax_warp_backwardIN3c104HalfES2_fLi7ELb0ELb1ELi32EEEvPT0_PKT_S7_iiiPKb, .Lfunc_end827-_ZN12_GLOBAL__N_121softmax_warp_backwardIN3c104HalfES2_fLi7ELb0ELb1ELi32EEEvPT0_PKT_S7_iiiPKb
                                        ; -- End function
	.set _ZN12_GLOBAL__N_121softmax_warp_backwardIN3c104HalfES2_fLi7ELb0ELb1ELi32EEEvPT0_PKT_S7_iiiPKb.num_vgpr, 29
	.set _ZN12_GLOBAL__N_121softmax_warp_backwardIN3c104HalfES2_fLi7ELb0ELb1ELi32EEEvPT0_PKT_S7_iiiPKb.num_agpr, 0
	.set _ZN12_GLOBAL__N_121softmax_warp_backwardIN3c104HalfES2_fLi7ELb0ELb1ELi32EEEvPT0_PKT_S7_iiiPKb.numbered_sgpr, 20
	.set _ZN12_GLOBAL__N_121softmax_warp_backwardIN3c104HalfES2_fLi7ELb0ELb1ELi32EEEvPT0_PKT_S7_iiiPKb.num_named_barrier, 0
	.set _ZN12_GLOBAL__N_121softmax_warp_backwardIN3c104HalfES2_fLi7ELb0ELb1ELi32EEEvPT0_PKT_S7_iiiPKb.private_seg_size, 0
	.set _ZN12_GLOBAL__N_121softmax_warp_backwardIN3c104HalfES2_fLi7ELb0ELb1ELi32EEEvPT0_PKT_S7_iiiPKb.uses_vcc, 1
	.set _ZN12_GLOBAL__N_121softmax_warp_backwardIN3c104HalfES2_fLi7ELb0ELb1ELi32EEEvPT0_PKT_S7_iiiPKb.uses_flat_scratch, 0
	.set _ZN12_GLOBAL__N_121softmax_warp_backwardIN3c104HalfES2_fLi7ELb0ELb1ELi32EEEvPT0_PKT_S7_iiiPKb.has_dyn_sized_stack, 0
	.set _ZN12_GLOBAL__N_121softmax_warp_backwardIN3c104HalfES2_fLi7ELb0ELb1ELi32EEEvPT0_PKT_S7_iiiPKb.has_recursion, 0
	.set _ZN12_GLOBAL__N_121softmax_warp_backwardIN3c104HalfES2_fLi7ELb0ELb1ELi32EEEvPT0_PKT_S7_iiiPKb.has_indirect_call, 0
	.section	.AMDGPU.csdata,"",@progbits
; Kernel info:
; codeLenInByte = 2128
; TotalNumSgprs: 22
; NumVgprs: 29
; ScratchSize: 0
; MemoryBound: 0
; FloatMode: 240
; IeeeMode: 1
; LDSByteSize: 0 bytes/workgroup (compile time only)
; SGPRBlocks: 0
; VGPRBlocks: 3
; NumSGPRsForWavesPerEU: 22
; NumVGPRsForWavesPerEU: 29
; Occupancy: 16
; WaveLimiterHint : 0
; COMPUTE_PGM_RSRC2:SCRATCH_EN: 0
; COMPUTE_PGM_RSRC2:USER_SGPR: 6
; COMPUTE_PGM_RSRC2:TRAP_HANDLER: 0
; COMPUTE_PGM_RSRC2:TGID_X_EN: 1
; COMPUTE_PGM_RSRC2:TGID_Y_EN: 0
; COMPUTE_PGM_RSRC2:TGID_Z_EN: 0
; COMPUTE_PGM_RSRC2:TIDIG_COMP_CNT: 1
	.section	.text._ZN12_GLOBAL__N_121softmax_warp_backwardIN3c104HalfES2_fLi8ELb0ELb1ELi64EEEvPT0_PKT_S7_iiiPKb,"axG",@progbits,_ZN12_GLOBAL__N_121softmax_warp_backwardIN3c104HalfES2_fLi8ELb0ELb1ELi64EEEvPT0_PKT_S7_iiiPKb,comdat
	.globl	_ZN12_GLOBAL__N_121softmax_warp_backwardIN3c104HalfES2_fLi8ELb0ELb1ELi64EEEvPT0_PKT_S7_iiiPKb ; -- Begin function _ZN12_GLOBAL__N_121softmax_warp_backwardIN3c104HalfES2_fLi8ELb0ELb1ELi64EEEvPT0_PKT_S7_iiiPKb
	.p2align	8
	.type	_ZN12_GLOBAL__N_121softmax_warp_backwardIN3c104HalfES2_fLi8ELb0ELb1ELi64EEEvPT0_PKT_S7_iiiPKb,@function
_ZN12_GLOBAL__N_121softmax_warp_backwardIN3c104HalfES2_fLi8ELb0ELb1ELi64EEEvPT0_PKT_S7_iiiPKb: ; @_ZN12_GLOBAL__N_121softmax_warp_backwardIN3c104HalfES2_fLi8ELb0ELb1ELi64EEEvPT0_PKT_S7_iiiPKb
; %bb.0:
	s_clause 0x1
	s_load_dword s7, s[4:5], 0x3c
	s_load_dwordx4 s[0:3], s[4:5], 0x18
	v_and_b32_e32 v8, 63, v0
	s_load_dwordx4 s[8:11], s[4:5], 0x0
	v_mov_b32_e32 v11, 0
	v_mov_b32_e32 v13, 0
	s_waitcnt lgkmcnt(0)
	s_lshr_b32 s3, s7, 16
	v_mad_u64_u32 v[1:2], null, s6, s3, v[1:2]
	s_load_dwordx2 s[6:7], s[4:5], 0x10
	v_mad_u64_u32 v[2:3], null, v1, s1, v[8:9]
	v_sub_nc_u32_e32 v12, s0, v1
	v_cmp_gt_i32_e64 s0, s2, v8
	v_cmp_lt_i32_e64 s3, 0, v12
	v_ashrrev_i32_e32 v3, 31, v2
	v_lshlrev_b64 v[0:1], 1, v[2:3]
	v_add_co_u32 v4, vcc_lo, s10, v0
	v_add_co_ci_u32_e64 v5, null, s11, v1, vcc_lo
	s_waitcnt lgkmcnt(0)
	v_add_co_u32 v6, vcc_lo, s6, v0
	v_add_co_ci_u32_e64 v7, null, s7, v1, vcc_lo
	s_and_b32 s6, s3, s0
	s_and_saveexec_b32 s1, s6
	s_cbranch_execz .LBB828_2
; %bb.1:
	global_load_ushort v9, v[4:5], off
	global_load_ushort v10, v[6:7], off
	s_waitcnt vmcnt(1)
	v_cvt_f32_f16_e32 v13, v9
	s_waitcnt vmcnt(0)
	v_cvt_f32_f16_e32 v11, v10
.LBB828_2:
	s_or_b32 exec_lo, exec_lo, s1
	v_or_b32_e32 v9, 64, v8
	v_cmp_gt_i32_e32 vcc_lo, s2, v9
	s_and_b32 s1, s3, vcc_lo
	s_xor_b32 s1, s1, -1
	s_and_saveexec_b32 s6, s1
	s_xor_b32 s1, exec_lo, s6
                                        ; implicit-def: $vgpr10
                                        ; implicit-def: $vgpr14
                                        ; implicit-def: $vgpr9
; %bb.3:
	s_mov_b32 s6, 0
                                        ; implicit-def: $vgpr10
                                        ; implicit-def: $vgpr9
	v_mov_b32_e32 v14, s6
; %bb.4:
	s_or_saveexec_b32 s1, s1
	v_mov_b32_e32 v15, 0
	s_xor_b32 exec_lo, exec_lo, s1
	s_cbranch_execz .LBB828_6
; %bb.5:
	global_load_ushort v14, v[4:5], off offset:128
	global_load_ushort v15, v[6:7], off offset:128
	s_waitcnt vmcnt(1)
	v_cvt_f32_f16_e32 v14, v14
	s_waitcnt vmcnt(0)
	v_cvt_f32_f16_e32 v15, v15
.LBB828_6:
	s_or_b32 exec_lo, exec_lo, s1
	v_or_b32_e32 v16, 0x80, v8
	v_cmp_gt_i32_e64 s1, s2, v16
	s_and_b32 s6, s3, s1
	s_xor_b32 s6, s6, -1
	s_and_saveexec_b32 s7, s6
	s_xor_b32 s6, exec_lo, s7
; %bb.7:
	s_mov_b32 s7, 0
	v_mov_b32_e32 v10, s7
; %bb.8:
	s_or_saveexec_b32 s6, s6
	v_mov_b32_e32 v16, 0
	s_xor_b32 exec_lo, exec_lo, s6
	s_cbranch_execz .LBB828_10
; %bb.9:
	global_load_ushort v10, v[4:5], off offset:256
	global_load_ushort v16, v[6:7], off offset:256
	s_waitcnt vmcnt(1)
	v_cvt_f32_f16_e32 v10, v10
	s_waitcnt vmcnt(0)
	v_cvt_f32_f16_e32 v16, v16
.LBB828_10:
	s_or_b32 exec_lo, exec_lo, s6
	v_or_b32_e32 v8, 0xc0, v8
	v_cmp_gt_i32_e64 s2, s2, v8
	s_and_b32 s3, s3, s2
	s_xor_b32 s3, s3, -1
	s_and_saveexec_b32 s6, s3
	s_xor_b32 s3, exec_lo, s6
; %bb.11:
	s_mov_b32 s6, 0
                                        ; implicit-def: $vgpr4_vgpr5
                                        ; implicit-def: $vgpr6_vgpr7
	v_mov_b32_e32 v9, s6
; %bb.12:
	s_or_saveexec_b32 s3, s3
	v_mov_b32_e32 v8, 0
	s_xor_b32 exec_lo, exec_lo, s3
	s_cbranch_execz .LBB828_14
; %bb.13:
	global_load_ushort v4, v[4:5], off offset:384
	global_load_ushort v5, v[6:7], off offset:384
	s_waitcnt vmcnt(1)
	v_cvt_f32_f16_e32 v9, v4
	s_waitcnt vmcnt(0)
	v_cvt_f32_f16_e32 v8, v5
.LBB828_14:
	s_or_b32 exec_lo, exec_lo, s3
	s_load_dwordx2 s[4:5], s[4:5], 0x28
	s_mov_b32 s10, exec_lo
	s_waitcnt lgkmcnt(0)
	v_add_co_u32 v2, s3, s4, v2
	v_add_co_ci_u32_e64 v3, null, s5, v3, s3
	s_clause 0x3
	global_load_ubyte v4, v[2:3], off
	global_load_ubyte v5, v[2:3], off offset:64
	global_load_ubyte v6, v[2:3], off offset:128
	;; [unrolled: 1-line block ×3, first 2 shown]
	s_waitcnt vmcnt(3)
	v_and_b32_e32 v3, 1, v4
	v_add_f32_e32 v4, 0, v13
	s_waitcnt vmcnt(0)
	v_and_b32_e32 v2, 1, v2
	v_cmp_eq_u32_e64 s6, 1, v3
	v_cndmask_b32_e64 v3, v4, 0, s6
	v_and_b32_e32 v4, 1, v5
	v_add_f32_e32 v5, v3, v14
	v_cmp_eq_u32_e64 s5, 1, v4
	v_mbcnt_lo_u32_b32 v4, -1, 0
	v_cndmask_b32_e64 v3, v5, v3, s5
	v_and_b32_e32 v5, 1, v6
	v_or_b32_e32 v7, 32, v4
	v_add_f32_e32 v6, v3, v10
	v_cmp_eq_u32_e64 s4, 1, v5
	v_cmp_gt_i32_e64 s3, 64, v7
	v_cndmask_b32_e64 v3, v6, v3, s4
	v_cndmask_b32_e64 v5, v4, v7, s3
	v_cmp_eq_u32_e64 s3, 1, v2
	v_add_f32_e32 v6, v3, v9
	v_lshlrev_b32_e32 v5, 2, v5
	v_cndmask_b32_e64 v2, v6, v3, s3
	ds_bpermute_b32 v3, v5, v2
	v_xor_b32_e32 v5, 16, v4
	v_cmp_gt_i32_e64 s7, 64, v5
	v_cndmask_b32_e64 v5, v4, v5, s7
	v_lshlrev_b32_e32 v5, 2, v5
	s_waitcnt lgkmcnt(0)
	v_add_f32_e32 v2, v2, v3
	ds_bpermute_b32 v3, v5, v2
	v_xor_b32_e32 v5, 8, v4
	v_cmp_gt_i32_e64 s7, 64, v5
	v_cndmask_b32_e64 v5, v4, v5, s7
	v_lshlrev_b32_e32 v5, 2, v5
	s_waitcnt lgkmcnt(0)
	v_add_f32_e32 v2, v2, v3
	;; [unrolled: 7-line block ×4, first 2 shown]
	ds_bpermute_b32 v3, v5, v2
	v_xor_b32_e32 v5, 1, v4
	v_cmp_gt_i32_e64 s7, 64, v5
	v_cndmask_b32_e64 v4, v4, v5, s7
	s_waitcnt lgkmcnt(0)
	v_add_f32_e32 v2, v2, v3
	v_lshlrev_b32_e32 v3, 2, v4
	ds_bpermute_b32 v3, v3, v2
	v_cmpx_lt_i32_e32 0, v12
	s_cbranch_execz .LBB828_35
; %bb.15:
	v_add_co_u32 v0, s7, s8, v0
	s_waitcnt lgkmcnt(0)
	v_add_f32_e32 v2, v2, v3
	v_add_co_ci_u32_e64 v1, null, s9, v1, s7
	s_and_saveexec_b32 s7, s0
	s_cbranch_execz .LBB828_20
; %bb.16:
	s_xor_b32 s0, s6, -1
	s_and_saveexec_b32 s6, s0
	s_xor_b32 s0, exec_lo, s6
	s_cbranch_execz .LBB828_18
; %bb.17:
	v_fma_mixlo_f16 v3, -v2, v11, v13
	global_store_short v[0:1], v3, off
.LBB828_18:
	s_andn2_saveexec_b32 s0, s0
	s_cbranch_execz .LBB828_20
; %bb.19:
	v_mov_b32_e32 v3, 0
	global_store_short v[0:1], v3, off
.LBB828_20:
	s_or_b32 exec_lo, exec_lo, s7
	s_and_saveexec_b32 s0, vcc_lo
	s_cbranch_execz .LBB828_25
; %bb.21:
	s_xor_b32 s5, s5, -1
	s_and_saveexec_b32 s6, s5
	s_xor_b32 s5, exec_lo, s6
	s_cbranch_execz .LBB828_23
; %bb.22:
	v_fma_mixlo_f16 v3, -v2, v15, v14
	global_store_short v[0:1], v3, off offset:128
.LBB828_23:
	s_andn2_saveexec_b32 s5, s5
	s_cbranch_execz .LBB828_25
; %bb.24:
	v_mov_b32_e32 v3, 0
	global_store_short v[0:1], v3, off offset:128
.LBB828_25:
	s_or_b32 exec_lo, exec_lo, s0
	s_and_saveexec_b32 s0, s1
	s_cbranch_execz .LBB828_30
; %bb.26:
	s_xor_b32 s1, s4, -1
	s_and_saveexec_b32 s4, s1
	s_xor_b32 s1, exec_lo, s4
	s_cbranch_execz .LBB828_28
; %bb.27:
	v_fma_mixlo_f16 v3, -v2, v16, v10
	global_store_short v[0:1], v3, off offset:256
.LBB828_28:
	s_andn2_saveexec_b32 s1, s1
	s_cbranch_execz .LBB828_30
; %bb.29:
	v_mov_b32_e32 v3, 0
	global_store_short v[0:1], v3, off offset:256
.LBB828_30:
	s_or_b32 exec_lo, exec_lo, s0
	s_and_b32 exec_lo, exec_lo, s2
	s_cbranch_execz .LBB828_35
; %bb.31:
	s_xor_b32 s0, s3, -1
	s_and_saveexec_b32 s1, s0
	s_xor_b32 s0, exec_lo, s1
	s_cbranch_execz .LBB828_33
; %bb.32:
	v_fma_mixlo_f16 v2, -v2, v8, v9
	global_store_short v[0:1], v2, off offset:384
                                        ; implicit-def: $vgpr0_vgpr1
.LBB828_33:
	s_andn2_saveexec_b32 s0, s0
	s_cbranch_execz .LBB828_35
; %bb.34:
	v_mov_b32_e32 v2, 0
	global_store_short v[0:1], v2, off offset:384
.LBB828_35:
	s_endpgm
	.section	.rodata,"a",@progbits
	.p2align	6, 0x0
	.amdhsa_kernel _ZN12_GLOBAL__N_121softmax_warp_backwardIN3c104HalfES2_fLi8ELb0ELb1ELi64EEEvPT0_PKT_S7_iiiPKb
		.amdhsa_group_segment_fixed_size 0
		.amdhsa_private_segment_fixed_size 0
		.amdhsa_kernarg_size 304
		.amdhsa_user_sgpr_count 6
		.amdhsa_user_sgpr_private_segment_buffer 1
		.amdhsa_user_sgpr_dispatch_ptr 0
		.amdhsa_user_sgpr_queue_ptr 0
		.amdhsa_user_sgpr_kernarg_segment_ptr 1
		.amdhsa_user_sgpr_dispatch_id 0
		.amdhsa_user_sgpr_flat_scratch_init 0
		.amdhsa_user_sgpr_private_segment_size 0
		.amdhsa_wavefront_size32 1
		.amdhsa_uses_dynamic_stack 0
		.amdhsa_system_sgpr_private_segment_wavefront_offset 0
		.amdhsa_system_sgpr_workgroup_id_x 1
		.amdhsa_system_sgpr_workgroup_id_y 0
		.amdhsa_system_sgpr_workgroup_id_z 0
		.amdhsa_system_sgpr_workgroup_info 0
		.amdhsa_system_vgpr_workitem_id 1
		.amdhsa_next_free_vgpr 17
		.amdhsa_next_free_sgpr 12
		.amdhsa_reserve_vcc 1
		.amdhsa_reserve_flat_scratch 0
		.amdhsa_float_round_mode_32 0
		.amdhsa_float_round_mode_16_64 0
		.amdhsa_float_denorm_mode_32 3
		.amdhsa_float_denorm_mode_16_64 3
		.amdhsa_dx10_clamp 1
		.amdhsa_ieee_mode 1
		.amdhsa_fp16_overflow 0
		.amdhsa_workgroup_processor_mode 1
		.amdhsa_memory_ordered 1
		.amdhsa_forward_progress 1
		.amdhsa_shared_vgpr_count 0
		.amdhsa_exception_fp_ieee_invalid_op 0
		.amdhsa_exception_fp_denorm_src 0
		.amdhsa_exception_fp_ieee_div_zero 0
		.amdhsa_exception_fp_ieee_overflow 0
		.amdhsa_exception_fp_ieee_underflow 0
		.amdhsa_exception_fp_ieee_inexact 0
		.amdhsa_exception_int_div_zero 0
	.end_amdhsa_kernel
	.section	.text._ZN12_GLOBAL__N_121softmax_warp_backwardIN3c104HalfES2_fLi8ELb0ELb1ELi64EEEvPT0_PKT_S7_iiiPKb,"axG",@progbits,_ZN12_GLOBAL__N_121softmax_warp_backwardIN3c104HalfES2_fLi8ELb0ELb1ELi64EEEvPT0_PKT_S7_iiiPKb,comdat
.Lfunc_end828:
	.size	_ZN12_GLOBAL__N_121softmax_warp_backwardIN3c104HalfES2_fLi8ELb0ELb1ELi64EEEvPT0_PKT_S7_iiiPKb, .Lfunc_end828-_ZN12_GLOBAL__N_121softmax_warp_backwardIN3c104HalfES2_fLi8ELb0ELb1ELi64EEEvPT0_PKT_S7_iiiPKb
                                        ; -- End function
	.set _ZN12_GLOBAL__N_121softmax_warp_backwardIN3c104HalfES2_fLi8ELb0ELb1ELi64EEEvPT0_PKT_S7_iiiPKb.num_vgpr, 17
	.set _ZN12_GLOBAL__N_121softmax_warp_backwardIN3c104HalfES2_fLi8ELb0ELb1ELi64EEEvPT0_PKT_S7_iiiPKb.num_agpr, 0
	.set _ZN12_GLOBAL__N_121softmax_warp_backwardIN3c104HalfES2_fLi8ELb0ELb1ELi64EEEvPT0_PKT_S7_iiiPKb.numbered_sgpr, 12
	.set _ZN12_GLOBAL__N_121softmax_warp_backwardIN3c104HalfES2_fLi8ELb0ELb1ELi64EEEvPT0_PKT_S7_iiiPKb.num_named_barrier, 0
	.set _ZN12_GLOBAL__N_121softmax_warp_backwardIN3c104HalfES2_fLi8ELb0ELb1ELi64EEEvPT0_PKT_S7_iiiPKb.private_seg_size, 0
	.set _ZN12_GLOBAL__N_121softmax_warp_backwardIN3c104HalfES2_fLi8ELb0ELb1ELi64EEEvPT0_PKT_S7_iiiPKb.uses_vcc, 1
	.set _ZN12_GLOBAL__N_121softmax_warp_backwardIN3c104HalfES2_fLi8ELb0ELb1ELi64EEEvPT0_PKT_S7_iiiPKb.uses_flat_scratch, 0
	.set _ZN12_GLOBAL__N_121softmax_warp_backwardIN3c104HalfES2_fLi8ELb0ELb1ELi64EEEvPT0_PKT_S7_iiiPKb.has_dyn_sized_stack, 0
	.set _ZN12_GLOBAL__N_121softmax_warp_backwardIN3c104HalfES2_fLi8ELb0ELb1ELi64EEEvPT0_PKT_S7_iiiPKb.has_recursion, 0
	.set _ZN12_GLOBAL__N_121softmax_warp_backwardIN3c104HalfES2_fLi8ELb0ELb1ELi64EEEvPT0_PKT_S7_iiiPKb.has_indirect_call, 0
	.section	.AMDGPU.csdata,"",@progbits
; Kernel info:
; codeLenInByte = 1156
; TotalNumSgprs: 14
; NumVgprs: 17
; ScratchSize: 0
; MemoryBound: 0
; FloatMode: 240
; IeeeMode: 1
; LDSByteSize: 0 bytes/workgroup (compile time only)
; SGPRBlocks: 0
; VGPRBlocks: 2
; NumSGPRsForWavesPerEU: 14
; NumVGPRsForWavesPerEU: 17
; Occupancy: 16
; WaveLimiterHint : 0
; COMPUTE_PGM_RSRC2:SCRATCH_EN: 0
; COMPUTE_PGM_RSRC2:USER_SGPR: 6
; COMPUTE_PGM_RSRC2:TRAP_HANDLER: 0
; COMPUTE_PGM_RSRC2:TGID_X_EN: 1
; COMPUTE_PGM_RSRC2:TGID_Y_EN: 0
; COMPUTE_PGM_RSRC2:TGID_Z_EN: 0
; COMPUTE_PGM_RSRC2:TIDIG_COMP_CNT: 1
	.section	.text._ZN12_GLOBAL__N_121softmax_warp_backwardIN3c104HalfES2_fLi8ELb0ELb1ELi32EEEvPT0_PKT_S7_iiiPKb,"axG",@progbits,_ZN12_GLOBAL__N_121softmax_warp_backwardIN3c104HalfES2_fLi8ELb0ELb1ELi32EEEvPT0_PKT_S7_iiiPKb,comdat
	.globl	_ZN12_GLOBAL__N_121softmax_warp_backwardIN3c104HalfES2_fLi8ELb0ELb1ELi32EEEvPT0_PKT_S7_iiiPKb ; -- Begin function _ZN12_GLOBAL__N_121softmax_warp_backwardIN3c104HalfES2_fLi8ELb0ELb1ELi32EEEvPT0_PKT_S7_iiiPKb
	.p2align	8
	.type	_ZN12_GLOBAL__N_121softmax_warp_backwardIN3c104HalfES2_fLi8ELb0ELb1ELi32EEEvPT0_PKT_S7_iiiPKb,@function
_ZN12_GLOBAL__N_121softmax_warp_backwardIN3c104HalfES2_fLi8ELb0ELb1ELi32EEEvPT0_PKT_S7_iiiPKb: ; @_ZN12_GLOBAL__N_121softmax_warp_backwardIN3c104HalfES2_fLi8ELb0ELb1ELi32EEEvPT0_PKT_S7_iiiPKb
; %bb.0:
	s_clause 0x1
	s_load_dword s0, s[4:5], 0x3c
	s_load_dwordx4 s[8:11], s[4:5], 0x18
	v_and_b32_e32 v8, 31, v0
	s_clause 0x1
	s_load_dwordx4 s[16:19], s[4:5], 0x0
	s_load_dwordx2 s[2:3], s[4:5], 0x10
	v_mov_b32_e32 v15, 0
	v_mov_b32_e32 v17, 0
	s_waitcnt lgkmcnt(0)
	s_lshr_b32 s0, s0, 16
	v_mad_u64_u32 v[1:2], null, s6, s0, v[1:2]
	v_cmp_gt_i32_e64 s0, s10, v8
	v_mad_u64_u32 v[2:3], null, v1, s9, v[8:9]
	v_sub_nc_u32_e32 v16, s8, v1
	v_cmp_lt_i32_e64 s9, 0, v16
	v_ashrrev_i32_e32 v3, 31, v2
	v_lshlrev_b64 v[0:1], 1, v[2:3]
	v_add_co_u32 v4, vcc_lo, s18, v0
	v_add_co_ci_u32_e64 v5, null, s19, v1, vcc_lo
	v_add_co_u32 v6, vcc_lo, s2, v0
	v_add_co_ci_u32_e64 v7, null, s3, v1, vcc_lo
	s_and_b32 s2, s9, s0
	s_and_saveexec_b32 s1, s2
	s_cbranch_execz .LBB829_2
; %bb.1:
	global_load_ushort v9, v[4:5], off
	global_load_ushort v10, v[6:7], off
	s_waitcnt vmcnt(1)
	v_cvt_f32_f16_e32 v17, v9
	s_waitcnt vmcnt(0)
	v_cvt_f32_f16_e32 v15, v10
.LBB829_2:
	s_or_b32 exec_lo, exec_lo, s1
	v_or_b32_e32 v9, 32, v8
	v_cmp_gt_i32_e32 vcc_lo, s10, v9
	s_and_b32 s1, s9, vcc_lo
	s_xor_b32 s1, s1, -1
	s_and_saveexec_b32 s2, s1
	s_xor_b32 s1, exec_lo, s2
                                        ; implicit-def: $vgpr10
                                        ; implicit-def: $vgpr11
                                        ; implicit-def: $vgpr12
                                        ; implicit-def: $vgpr13
                                        ; implicit-def: $vgpr14
                                        ; implicit-def: $vgpr18
                                        ; implicit-def: $vgpr9
; %bb.3:
	s_mov_b32 s2, 0
                                        ; implicit-def: $vgpr10
                                        ; implicit-def: $vgpr11
                                        ; implicit-def: $vgpr12
                                        ; implicit-def: $vgpr13
                                        ; implicit-def: $vgpr14
                                        ; implicit-def: $vgpr9
	v_mov_b32_e32 v18, s2
; %bb.4:
	s_or_saveexec_b32 s1, s1
	v_mov_b32_e32 v19, 0
	s_xor_b32 exec_lo, exec_lo, s1
	s_cbranch_execz .LBB829_6
; %bb.5:
	global_load_ushort v18, v[4:5], off offset:64
	global_load_ushort v19, v[6:7], off offset:64
	s_waitcnt vmcnt(1)
	v_cvt_f32_f16_e32 v18, v18
	s_waitcnt vmcnt(0)
	v_cvt_f32_f16_e32 v19, v19
.LBB829_6:
	s_or_b32 exec_lo, exec_lo, s1
	v_or_b32_e32 v20, 64, v8
	v_cmp_gt_i32_e64 s1, s10, v20
	s_and_b32 s2, s9, s1
	s_xor_b32 s2, s2, -1
	s_and_saveexec_b32 s3, s2
	s_xor_b32 s2, exec_lo, s3
; %bb.7:
	s_mov_b32 s3, 0
	v_mov_b32_e32 v14, s3
; %bb.8:
	s_or_saveexec_b32 s2, s2
	v_mov_b32_e32 v20, 0
	s_xor_b32 exec_lo, exec_lo, s2
	s_cbranch_execz .LBB829_10
; %bb.9:
	global_load_ushort v14, v[4:5], off offset:128
	global_load_ushort v20, v[6:7], off offset:128
	s_waitcnt vmcnt(1)
	v_cvt_f32_f16_e32 v14, v14
	s_waitcnt vmcnt(0)
	v_cvt_f32_f16_e32 v20, v20
.LBB829_10:
	s_or_b32 exec_lo, exec_lo, s2
	v_or_b32_e32 v21, 0x60, v8
	v_cmp_gt_i32_e64 s2, s10, v21
	s_and_b32 s3, s9, s2
	s_xor_b32 s3, s3, -1
	s_and_saveexec_b32 s6, s3
	s_xor_b32 s3, exec_lo, s6
; %bb.11:
	s_mov_b32 s6, 0
	;; [unrolled: 23-line block ×6, first 2 shown]
                                        ; implicit-def: $vgpr4_vgpr5
                                        ; implicit-def: $vgpr6_vgpr7
	v_mov_b32_e32 v9, s10
; %bb.28:
	s_or_saveexec_b32 s9, s9
	v_mov_b32_e32 v8, 0
	s_xor_b32 exec_lo, exec_lo, s9
	s_cbranch_execz .LBB829_30
; %bb.29:
	global_load_ushort v4, v[4:5], off offset:448
	global_load_ushort v5, v[6:7], off offset:448
	s_waitcnt vmcnt(1)
	v_cvt_f32_f16_e32 v9, v4
	s_waitcnt vmcnt(0)
	v_cvt_f32_f16_e32 v8, v5
.LBB829_30:
	s_or_b32 exec_lo, exec_lo, s9
	s_load_dwordx2 s[4:5], s[4:5], 0x28
	s_mov_b32 s18, exec_lo
	s_waitcnt lgkmcnt(0)
	v_add_co_u32 v2, s4, s4, v2
	v_add_co_ci_u32_e64 v3, null, s5, v3, s4
	s_clause 0x7
	global_load_ubyte v4, v[2:3], off
	global_load_ubyte v5, v[2:3], off offset:32
	global_load_ubyte v6, v[2:3], off offset:64
	;; [unrolled: 1-line block ×7, first 2 shown]
	s_waitcnt vmcnt(7)
	v_and_b32_e32 v3, 1, v4
	v_add_f32_e32 v4, 0, v17
	v_cmp_eq_u32_e64 s14, 1, v3
	s_waitcnt vmcnt(0)
	v_and_b32_e32 v2, 1, v2
	v_cndmask_b32_e64 v3, v4, 0, s14
	v_and_b32_e32 v4, 1, v5
	v_add_f32_e32 v5, v3, v18
	v_cmp_eq_u32_e64 s13, 1, v4
	v_and_b32_e32 v4, 1, v6
	v_cndmask_b32_e64 v3, v5, v3, s13
	v_cmp_eq_u32_e64 s12, 1, v4
	v_and_b32_e32 v4, 1, v7
	v_add_f32_e32 v5, v3, v14
	v_cmp_eq_u32_e64 s11, 1, v4
	v_and_b32_e32 v4, 1, v25
	v_cndmask_b32_e64 v3, v5, v3, s12
	v_cmp_eq_u32_e64 s10, 1, v4
	v_and_b32_e32 v4, 1, v26
	v_add_f32_e32 v5, v3, v13
	v_cmp_eq_u32_e64 s9, 1, v4
	v_cndmask_b32_e64 v3, v5, v3, s11
	v_mbcnt_lo_u32_b32 v4, -1, 0
	v_add_f32_e32 v5, v3, v12
	v_xor_b32_e32 v7, 16, v4
	v_cndmask_b32_e64 v3, v5, v3, s10
	v_cmp_gt_i32_e64 s4, 32, v7
	v_add_f32_e32 v5, v3, v11
	v_cndmask_b32_e64 v3, v5, v3, s9
	v_and_b32_e32 v5, 1, v27
	v_add_f32_e32 v6, v3, v10
	v_cmp_eq_u32_e64 s5, 1, v5
	v_cndmask_b32_e64 v5, v4, v7, s4
	v_cmp_eq_u32_e64 s4, 1, v2
	v_cndmask_b32_e64 v3, v6, v3, s5
	v_lshlrev_b32_e32 v5, 2, v5
	v_add_f32_e32 v6, v3, v9
	v_cndmask_b32_e64 v2, v6, v3, s4
	ds_bpermute_b32 v3, v5, v2
	v_xor_b32_e32 v5, 8, v4
	v_cmp_gt_i32_e64 s15, 32, v5
	v_cndmask_b32_e64 v5, v4, v5, s15
	v_lshlrev_b32_e32 v5, 2, v5
	s_waitcnt lgkmcnt(0)
	v_add_f32_e32 v2, v2, v3
	ds_bpermute_b32 v3, v5, v2
	v_xor_b32_e32 v5, 4, v4
	v_cmp_gt_i32_e64 s15, 32, v5
	v_cndmask_b32_e64 v5, v4, v5, s15
	v_lshlrev_b32_e32 v5, 2, v5
	s_waitcnt lgkmcnt(0)
	v_add_f32_e32 v2, v2, v3
	;; [unrolled: 7-line block ×3, first 2 shown]
	ds_bpermute_b32 v3, v5, v2
	v_xor_b32_e32 v5, 1, v4
	v_cmp_gt_i32_e64 s15, 32, v5
	v_cndmask_b32_e64 v4, v4, v5, s15
	s_waitcnt lgkmcnt(0)
	v_add_f32_e32 v2, v2, v3
	v_lshlrev_b32_e32 v3, 2, v4
	ds_bpermute_b32 v3, v3, v2
	v_cmpx_lt_i32_e32 0, v16
	s_cbranch_execz .LBB829_71
; %bb.31:
	v_add_co_u32 v0, s15, s16, v0
	s_waitcnt lgkmcnt(0)
	v_add_f32_e32 v2, v2, v3
	v_add_co_ci_u32_e64 v1, null, s17, v1, s15
	s_and_saveexec_b32 s15, s0
	s_cbranch_execz .LBB829_36
; %bb.32:
	s_xor_b32 s0, s14, -1
	s_and_saveexec_b32 s14, s0
	s_xor_b32 s0, exec_lo, s14
	s_cbranch_execz .LBB829_34
; %bb.33:
	v_fma_mixlo_f16 v3, -v2, v15, v17
	global_store_short v[0:1], v3, off
.LBB829_34:
	s_andn2_saveexec_b32 s0, s0
	s_cbranch_execz .LBB829_36
; %bb.35:
	v_mov_b32_e32 v3, 0
	global_store_short v[0:1], v3, off
.LBB829_36:
	s_or_b32 exec_lo, exec_lo, s15
	s_and_saveexec_b32 s0, vcc_lo
	s_cbranch_execz .LBB829_41
; %bb.37:
	s_xor_b32 s13, s13, -1
	s_and_saveexec_b32 s14, s13
	s_xor_b32 s13, exec_lo, s14
	s_cbranch_execz .LBB829_39
; %bb.38:
	v_fma_mixlo_f16 v3, -v2, v19, v18
	global_store_short v[0:1], v3, off offset:64
.LBB829_39:
	s_andn2_saveexec_b32 s13, s13
	s_cbranch_execz .LBB829_41
; %bb.40:
	v_mov_b32_e32 v3, 0
	global_store_short v[0:1], v3, off offset:64
.LBB829_41:
	s_or_b32 exec_lo, exec_lo, s0
	s_and_saveexec_b32 s0, s1
	s_cbranch_execz .LBB829_46
; %bb.42:
	s_xor_b32 s1, s12, -1
	s_and_saveexec_b32 s12, s1
	s_xor_b32 s1, exec_lo, s12
	s_cbranch_execz .LBB829_44
; %bb.43:
	v_fma_mixlo_f16 v3, -v2, v20, v14
	global_store_short v[0:1], v3, off offset:128
.LBB829_44:
	s_andn2_saveexec_b32 s1, s1
	s_cbranch_execz .LBB829_46
; %bb.45:
	v_mov_b32_e32 v3, 0
	global_store_short v[0:1], v3, off offset:128
.LBB829_46:
	s_or_b32 exec_lo, exec_lo, s0
	s_and_saveexec_b32 s0, s2
	;; [unrolled: 18-line block ×5, first 2 shown]
	s_cbranch_execz .LBB829_66
; %bb.62:
	s_xor_b32 s1, s5, -1
	s_and_saveexec_b32 s2, s1
	s_xor_b32 s1, exec_lo, s2
	s_cbranch_execz .LBB829_64
; %bb.63:
	v_fma_mixlo_f16 v3, -v2, v24, v10
	global_store_short v[0:1], v3, off offset:384
.LBB829_64:
	s_andn2_saveexec_b32 s1, s1
	s_cbranch_execz .LBB829_66
; %bb.65:
	v_mov_b32_e32 v3, 0
	global_store_short v[0:1], v3, off offset:384
.LBB829_66:
	s_or_b32 exec_lo, exec_lo, s0
	s_and_b32 exec_lo, exec_lo, s8
	s_cbranch_execz .LBB829_71
; %bb.67:
	s_xor_b32 s0, s4, -1
	s_and_saveexec_b32 s1, s0
	s_xor_b32 s0, exec_lo, s1
	s_cbranch_execz .LBB829_69
; %bb.68:
	v_fma_mixlo_f16 v2, -v2, v8, v9
	global_store_short v[0:1], v2, off offset:448
                                        ; implicit-def: $vgpr0_vgpr1
.LBB829_69:
	s_andn2_saveexec_b32 s0, s0
	s_cbranch_execz .LBB829_71
; %bb.70:
	v_mov_b32_e32 v2, 0
	global_store_short v[0:1], v2, off offset:448
.LBB829_71:
	s_endpgm
	.section	.rodata,"a",@progbits
	.p2align	6, 0x0
	.amdhsa_kernel _ZN12_GLOBAL__N_121softmax_warp_backwardIN3c104HalfES2_fLi8ELb0ELb1ELi32EEEvPT0_PKT_S7_iiiPKb
		.amdhsa_group_segment_fixed_size 0
		.amdhsa_private_segment_fixed_size 0
		.amdhsa_kernarg_size 304
		.amdhsa_user_sgpr_count 6
		.amdhsa_user_sgpr_private_segment_buffer 1
		.amdhsa_user_sgpr_dispatch_ptr 0
		.amdhsa_user_sgpr_queue_ptr 0
		.amdhsa_user_sgpr_kernarg_segment_ptr 1
		.amdhsa_user_sgpr_dispatch_id 0
		.amdhsa_user_sgpr_flat_scratch_init 0
		.amdhsa_user_sgpr_private_segment_size 0
		.amdhsa_wavefront_size32 1
		.amdhsa_uses_dynamic_stack 0
		.amdhsa_system_sgpr_private_segment_wavefront_offset 0
		.amdhsa_system_sgpr_workgroup_id_x 1
		.amdhsa_system_sgpr_workgroup_id_y 0
		.amdhsa_system_sgpr_workgroup_id_z 0
		.amdhsa_system_sgpr_workgroup_info 0
		.amdhsa_system_vgpr_workitem_id 1
		.amdhsa_next_free_vgpr 28
		.amdhsa_next_free_sgpr 20
		.amdhsa_reserve_vcc 1
		.amdhsa_reserve_flat_scratch 0
		.amdhsa_float_round_mode_32 0
		.amdhsa_float_round_mode_16_64 0
		.amdhsa_float_denorm_mode_32 3
		.amdhsa_float_denorm_mode_16_64 3
		.amdhsa_dx10_clamp 1
		.amdhsa_ieee_mode 1
		.amdhsa_fp16_overflow 0
		.amdhsa_workgroup_processor_mode 1
		.amdhsa_memory_ordered 1
		.amdhsa_forward_progress 1
		.amdhsa_shared_vgpr_count 0
		.amdhsa_exception_fp_ieee_invalid_op 0
		.amdhsa_exception_fp_denorm_src 0
		.amdhsa_exception_fp_ieee_div_zero 0
		.amdhsa_exception_fp_ieee_overflow 0
		.amdhsa_exception_fp_ieee_underflow 0
		.amdhsa_exception_fp_ieee_inexact 0
		.amdhsa_exception_int_div_zero 0
	.end_amdhsa_kernel
	.section	.text._ZN12_GLOBAL__N_121softmax_warp_backwardIN3c104HalfES2_fLi8ELb0ELb1ELi32EEEvPT0_PKT_S7_iiiPKb,"axG",@progbits,_ZN12_GLOBAL__N_121softmax_warp_backwardIN3c104HalfES2_fLi8ELb0ELb1ELi32EEEvPT0_PKT_S7_iiiPKb,comdat
.Lfunc_end829:
	.size	_ZN12_GLOBAL__N_121softmax_warp_backwardIN3c104HalfES2_fLi8ELb0ELb1ELi32EEEvPT0_PKT_S7_iiiPKb, .Lfunc_end829-_ZN12_GLOBAL__N_121softmax_warp_backwardIN3c104HalfES2_fLi8ELb0ELb1ELi32EEEvPT0_PKT_S7_iiiPKb
                                        ; -- End function
	.set _ZN12_GLOBAL__N_121softmax_warp_backwardIN3c104HalfES2_fLi8ELb0ELb1ELi32EEEvPT0_PKT_S7_iiiPKb.num_vgpr, 28
	.set _ZN12_GLOBAL__N_121softmax_warp_backwardIN3c104HalfES2_fLi8ELb0ELb1ELi32EEEvPT0_PKT_S7_iiiPKb.num_agpr, 0
	.set _ZN12_GLOBAL__N_121softmax_warp_backwardIN3c104HalfES2_fLi8ELb0ELb1ELi32EEEvPT0_PKT_S7_iiiPKb.numbered_sgpr, 20
	.set _ZN12_GLOBAL__N_121softmax_warp_backwardIN3c104HalfES2_fLi8ELb0ELb1ELi32EEEvPT0_PKT_S7_iiiPKb.num_named_barrier, 0
	.set _ZN12_GLOBAL__N_121softmax_warp_backwardIN3c104HalfES2_fLi8ELb0ELb1ELi32EEEvPT0_PKT_S7_iiiPKb.private_seg_size, 0
	.set _ZN12_GLOBAL__N_121softmax_warp_backwardIN3c104HalfES2_fLi8ELb0ELb1ELi32EEEvPT0_PKT_S7_iiiPKb.uses_vcc, 1
	.set _ZN12_GLOBAL__N_121softmax_warp_backwardIN3c104HalfES2_fLi8ELb0ELb1ELi32EEEvPT0_PKT_S7_iiiPKb.uses_flat_scratch, 0
	.set _ZN12_GLOBAL__N_121softmax_warp_backwardIN3c104HalfES2_fLi8ELb0ELb1ELi32EEEvPT0_PKT_S7_iiiPKb.has_dyn_sized_stack, 0
	.set _ZN12_GLOBAL__N_121softmax_warp_backwardIN3c104HalfES2_fLi8ELb0ELb1ELi32EEEvPT0_PKT_S7_iiiPKb.has_recursion, 0
	.set _ZN12_GLOBAL__N_121softmax_warp_backwardIN3c104HalfES2_fLi8ELb0ELb1ELi32EEEvPT0_PKT_S7_iiiPKb.has_indirect_call, 0
	.section	.AMDGPU.csdata,"",@progbits
; Kernel info:
; codeLenInByte = 1864
; TotalNumSgprs: 22
; NumVgprs: 28
; ScratchSize: 0
; MemoryBound: 0
; FloatMode: 240
; IeeeMode: 1
; LDSByteSize: 0 bytes/workgroup (compile time only)
; SGPRBlocks: 0
; VGPRBlocks: 3
; NumSGPRsForWavesPerEU: 22
; NumVGPRsForWavesPerEU: 28
; Occupancy: 16
; WaveLimiterHint : 0
; COMPUTE_PGM_RSRC2:SCRATCH_EN: 0
; COMPUTE_PGM_RSRC2:USER_SGPR: 6
; COMPUTE_PGM_RSRC2:TRAP_HANDLER: 0
; COMPUTE_PGM_RSRC2:TGID_X_EN: 1
; COMPUTE_PGM_RSRC2:TGID_Y_EN: 0
; COMPUTE_PGM_RSRC2:TGID_Z_EN: 0
; COMPUTE_PGM_RSRC2:TIDIG_COMP_CNT: 1
	.section	.text._ZN12_GLOBAL__N_121softmax_warp_backwardIN3c104HalfES2_fLi9ELb0ELb1ELi64EEEvPT0_PKT_S7_iiiPKb,"axG",@progbits,_ZN12_GLOBAL__N_121softmax_warp_backwardIN3c104HalfES2_fLi9ELb0ELb1ELi64EEEvPT0_PKT_S7_iiiPKb,comdat
	.globl	_ZN12_GLOBAL__N_121softmax_warp_backwardIN3c104HalfES2_fLi9ELb0ELb1ELi64EEEvPT0_PKT_S7_iiiPKb ; -- Begin function _ZN12_GLOBAL__N_121softmax_warp_backwardIN3c104HalfES2_fLi9ELb0ELb1ELi64EEEvPT0_PKT_S7_iiiPKb
	.p2align	8
	.type	_ZN12_GLOBAL__N_121softmax_warp_backwardIN3c104HalfES2_fLi9ELb0ELb1ELi64EEEvPT0_PKT_S7_iiiPKb,@function
_ZN12_GLOBAL__N_121softmax_warp_backwardIN3c104HalfES2_fLi9ELb0ELb1ELi64EEEvPT0_PKT_S7_iiiPKb: ; @_ZN12_GLOBAL__N_121softmax_warp_backwardIN3c104HalfES2_fLi9ELb0ELb1ELi64EEEvPT0_PKT_S7_iiiPKb
; %bb.0:
	s_clause 0x1
	s_load_dword s0, s[4:5], 0x3c
	s_load_dwordx4 s[8:11], s[4:5], 0x18
	v_and_b32_e32 v8, 63, v0
	s_clause 0x1
	s_load_dwordx4 s[16:19], s[4:5], 0x0
	s_load_dwordx2 s[2:3], s[4:5], 0x10
	v_mov_b32_e32 v15, 0
	v_mov_b32_e32 v17, 0
	s_waitcnt lgkmcnt(0)
	s_lshr_b32 s0, s0, 16
	v_mad_u64_u32 v[1:2], null, s6, s0, v[1:2]
	v_cmp_gt_i32_e64 s0, s10, v8
	v_mad_u64_u32 v[2:3], null, v1, s9, v[8:9]
	v_sub_nc_u32_e32 v16, s8, v1
	v_cmp_lt_i32_e64 s9, 0, v16
	v_ashrrev_i32_e32 v3, 31, v2
	v_lshlrev_b64 v[0:1], 1, v[2:3]
	v_add_co_u32 v4, vcc_lo, s18, v0
	v_add_co_ci_u32_e64 v5, null, s19, v1, vcc_lo
	v_add_co_u32 v6, vcc_lo, s2, v0
	v_add_co_ci_u32_e64 v7, null, s3, v1, vcc_lo
	s_and_b32 s2, s9, s0
	s_and_saveexec_b32 s1, s2
	s_cbranch_execz .LBB830_2
; %bb.1:
	global_load_ushort v9, v[4:5], off
	global_load_ushort v10, v[6:7], off
	s_waitcnt vmcnt(1)
	v_cvt_f32_f16_e32 v17, v9
	s_waitcnt vmcnt(0)
	v_cvt_f32_f16_e32 v15, v10
.LBB830_2:
	s_or_b32 exec_lo, exec_lo, s1
	v_or_b32_e32 v9, 64, v8
	v_cmp_gt_i32_e32 vcc_lo, s10, v9
	s_and_b32 s1, s9, vcc_lo
	s_xor_b32 s1, s1, -1
	s_and_saveexec_b32 s2, s1
	s_xor_b32 s1, exec_lo, s2
                                        ; implicit-def: $vgpr10
                                        ; implicit-def: $vgpr11
                                        ; implicit-def: $vgpr12
                                        ; implicit-def: $vgpr13
                                        ; implicit-def: $vgpr14
                                        ; implicit-def: $vgpr18
                                        ; implicit-def: $vgpr9
; %bb.3:
	s_mov_b32 s2, 0
                                        ; implicit-def: $vgpr10
                                        ; implicit-def: $vgpr11
                                        ; implicit-def: $vgpr12
                                        ; implicit-def: $vgpr13
                                        ; implicit-def: $vgpr14
                                        ; implicit-def: $vgpr9
	v_mov_b32_e32 v18, s2
; %bb.4:
	s_or_saveexec_b32 s1, s1
	v_mov_b32_e32 v19, 0
	s_xor_b32 exec_lo, exec_lo, s1
	s_cbranch_execz .LBB830_6
; %bb.5:
	global_load_ushort v18, v[4:5], off offset:128
	global_load_ushort v19, v[6:7], off offset:128
	s_waitcnt vmcnt(1)
	v_cvt_f32_f16_e32 v18, v18
	s_waitcnt vmcnt(0)
	v_cvt_f32_f16_e32 v19, v19
.LBB830_6:
	s_or_b32 exec_lo, exec_lo, s1
	v_or_b32_e32 v20, 0x80, v8
	v_cmp_gt_i32_e64 s1, s10, v20
	s_and_b32 s2, s9, s1
	s_xor_b32 s2, s2, -1
	s_and_saveexec_b32 s3, s2
	s_xor_b32 s2, exec_lo, s3
; %bb.7:
	s_mov_b32 s3, 0
	v_mov_b32_e32 v14, s3
; %bb.8:
	s_or_saveexec_b32 s2, s2
	v_mov_b32_e32 v20, 0
	s_xor_b32 exec_lo, exec_lo, s2
	s_cbranch_execz .LBB830_10
; %bb.9:
	global_load_ushort v14, v[4:5], off offset:256
	global_load_ushort v20, v[6:7], off offset:256
	s_waitcnt vmcnt(1)
	v_cvt_f32_f16_e32 v14, v14
	s_waitcnt vmcnt(0)
	v_cvt_f32_f16_e32 v20, v20
.LBB830_10:
	s_or_b32 exec_lo, exec_lo, s2
	v_or_b32_e32 v21, 0xc0, v8
	v_cmp_gt_i32_e64 s2, s10, v21
	s_and_b32 s3, s9, s2
	s_xor_b32 s3, s3, -1
	s_and_saveexec_b32 s6, s3
	s_xor_b32 s3, exec_lo, s6
; %bb.11:
	s_mov_b32 s6, 0
	v_mov_b32_e32 v13, s6
; %bb.12:
	s_or_saveexec_b32 s3, s3
	v_mov_b32_e32 v21, 0
	s_xor_b32 exec_lo, exec_lo, s3
	s_cbranch_execz .LBB830_14
; %bb.13:
	global_load_ushort v13, v[4:5], off offset:384
	global_load_ushort v21, v[6:7], off offset:384
	s_waitcnt vmcnt(1)
	v_cvt_f32_f16_e32 v13, v13
	s_waitcnt vmcnt(0)
	v_cvt_f32_f16_e32 v21, v21
.LBB830_14:
	s_or_b32 exec_lo, exec_lo, s3
	v_or_b32_e32 v22, 0x100, v8
	v_cmp_gt_i32_e64 s3, s10, v22
	s_and_b32 s6, s9, s3
	s_xor_b32 s6, s6, -1
	s_and_saveexec_b32 s7, s6
	s_xor_b32 s6, exec_lo, s7
; %bb.15:
	s_mov_b32 s7, 0
	v_mov_b32_e32 v12, s7
; %bb.16:
	s_or_saveexec_b32 s6, s6
	v_mov_b32_e32 v22, 0
	s_xor_b32 exec_lo, exec_lo, s6
	s_cbranch_execz .LBB830_18
; %bb.17:
	global_load_ushort v12, v[4:5], off offset:512
	global_load_ushort v22, v[6:7], off offset:512
	s_waitcnt vmcnt(1)
	v_cvt_f32_f16_e32 v12, v12
	s_waitcnt vmcnt(0)
	v_cvt_f32_f16_e32 v22, v22
.LBB830_18:
	s_or_b32 exec_lo, exec_lo, s6
	v_or_b32_e32 v23, 0x140, v8
	v_cmp_gt_i32_e64 s6, s10, v23
	s_and_b32 s7, s9, s6
	s_xor_b32 s7, s7, -1
	s_and_saveexec_b32 s8, s7
	s_xor_b32 s7, exec_lo, s8
; %bb.19:
	s_mov_b32 s8, 0
	v_mov_b32_e32 v11, s8
; %bb.20:
	s_or_saveexec_b32 s7, s7
	v_mov_b32_e32 v23, 0
	s_xor_b32 exec_lo, exec_lo, s7
	s_cbranch_execz .LBB830_22
; %bb.21:
	global_load_ushort v11, v[4:5], off offset:640
	global_load_ushort v23, v[6:7], off offset:640
	s_waitcnt vmcnt(1)
	v_cvt_f32_f16_e32 v11, v11
	s_waitcnt vmcnt(0)
	v_cvt_f32_f16_e32 v23, v23
.LBB830_22:
	s_or_b32 exec_lo, exec_lo, s7
	v_or_b32_e32 v24, 0x180, v8
	v_cmp_gt_i32_e64 s7, s10, v24
	s_and_b32 s8, s9, s7
	s_xor_b32 s8, s8, -1
	s_and_saveexec_b32 s11, s8
	s_xor_b32 s8, exec_lo, s11
; %bb.23:
	s_mov_b32 s11, 0
	v_mov_b32_e32 v10, s11
; %bb.24:
	s_or_saveexec_b32 s8, s8
	v_mov_b32_e32 v24, 0
	s_xor_b32 exec_lo, exec_lo, s8
	s_cbranch_execz .LBB830_26
; %bb.25:
	global_load_ushort v10, v[4:5], off offset:768
	global_load_ushort v24, v[6:7], off offset:768
	s_waitcnt vmcnt(1)
	v_cvt_f32_f16_e32 v10, v10
	s_waitcnt vmcnt(0)
	v_cvt_f32_f16_e32 v24, v24
.LBB830_26:
	s_or_b32 exec_lo, exec_lo, s8
	v_or_b32_e32 v8, 0x1c0, v8
	v_cmp_gt_i32_e64 s8, s10, v8
	s_and_b32 s9, s9, s8
	s_xor_b32 s9, s9, -1
	s_and_saveexec_b32 s10, s9
	s_xor_b32 s9, exec_lo, s10
; %bb.27:
	s_mov_b32 s10, 0
                                        ; implicit-def: $vgpr4_vgpr5
                                        ; implicit-def: $vgpr6_vgpr7
	v_mov_b32_e32 v9, s10
; %bb.28:
	s_or_saveexec_b32 s9, s9
	v_mov_b32_e32 v8, 0
	s_xor_b32 exec_lo, exec_lo, s9
	s_cbranch_execz .LBB830_30
; %bb.29:
	global_load_ushort v4, v[4:5], off offset:896
	global_load_ushort v5, v[6:7], off offset:896
	s_waitcnt vmcnt(1)
	v_cvt_f32_f16_e32 v9, v4
	s_waitcnt vmcnt(0)
	v_cvt_f32_f16_e32 v8, v5
.LBB830_30:
	s_or_b32 exec_lo, exec_lo, s9
	s_load_dwordx2 s[4:5], s[4:5], 0x28
	s_mov_b32 s18, exec_lo
	s_waitcnt lgkmcnt(0)
	v_add_co_u32 v2, s4, s4, v2
	v_add_co_ci_u32_e64 v3, null, s5, v3, s4
	s_clause 0x7
	global_load_ubyte v4, v[2:3], off
	global_load_ubyte v5, v[2:3], off offset:64
	global_load_ubyte v6, v[2:3], off offset:128
	;; [unrolled: 1-line block ×7, first 2 shown]
	s_waitcnt vmcnt(7)
	v_and_b32_e32 v3, 1, v4
	v_add_f32_e32 v4, 0, v17
	v_cmp_eq_u32_e64 s14, 1, v3
	s_waitcnt vmcnt(0)
	v_and_b32_e32 v2, 1, v2
	v_cndmask_b32_e64 v3, v4, 0, s14
	v_and_b32_e32 v4, 1, v5
	v_add_f32_e32 v5, v3, v18
	v_cmp_eq_u32_e64 s13, 1, v4
	v_and_b32_e32 v4, 1, v6
	v_cndmask_b32_e64 v3, v5, v3, s13
	v_cmp_eq_u32_e64 s12, 1, v4
	v_and_b32_e32 v4, 1, v7
	v_add_f32_e32 v5, v3, v14
	v_cmp_eq_u32_e64 s11, 1, v4
	v_and_b32_e32 v4, 1, v25
	v_cndmask_b32_e64 v3, v5, v3, s12
	v_cmp_eq_u32_e64 s10, 1, v4
	v_and_b32_e32 v4, 1, v26
	v_add_f32_e32 v5, v3, v13
	v_cmp_eq_u32_e64 s9, 1, v4
	v_cndmask_b32_e64 v3, v5, v3, s11
	v_mbcnt_lo_u32_b32 v4, -1, 0
	v_add_f32_e32 v5, v3, v12
	v_or_b32_e32 v7, 32, v4
	v_cndmask_b32_e64 v3, v5, v3, s10
	v_cmp_gt_i32_e64 s4, 64, v7
	v_add_f32_e32 v5, v3, v11
	v_cndmask_b32_e64 v3, v5, v3, s9
	v_and_b32_e32 v5, 1, v27
	v_add_f32_e32 v6, v3, v10
	v_cmp_eq_u32_e64 s5, 1, v5
	v_cndmask_b32_e64 v5, v4, v7, s4
	v_cmp_eq_u32_e64 s4, 1, v2
	v_cndmask_b32_e64 v3, v6, v3, s5
	v_lshlrev_b32_e32 v5, 2, v5
	v_add_f32_e32 v6, v3, v9
	v_cndmask_b32_e64 v2, v6, v3, s4
	ds_bpermute_b32 v3, v5, v2
	v_xor_b32_e32 v5, 16, v4
	v_cmp_gt_i32_e64 s15, 64, v5
	v_cndmask_b32_e64 v5, v4, v5, s15
	v_lshlrev_b32_e32 v5, 2, v5
	s_waitcnt lgkmcnt(0)
	v_add_f32_e32 v2, v2, v3
	ds_bpermute_b32 v3, v5, v2
	v_xor_b32_e32 v5, 8, v4
	v_cmp_gt_i32_e64 s15, 64, v5
	v_cndmask_b32_e64 v5, v4, v5, s15
	v_lshlrev_b32_e32 v5, 2, v5
	s_waitcnt lgkmcnt(0)
	v_add_f32_e32 v2, v2, v3
	;; [unrolled: 7-line block ×4, first 2 shown]
	ds_bpermute_b32 v3, v5, v2
	v_xor_b32_e32 v5, 1, v4
	v_cmp_gt_i32_e64 s15, 64, v5
	v_cndmask_b32_e64 v4, v4, v5, s15
	s_waitcnt lgkmcnt(0)
	v_add_f32_e32 v2, v2, v3
	v_lshlrev_b32_e32 v3, 2, v4
	ds_bpermute_b32 v3, v3, v2
	v_cmpx_lt_i32_e32 0, v16
	s_cbranch_execz .LBB830_71
; %bb.31:
	v_add_co_u32 v0, s15, s16, v0
	s_waitcnt lgkmcnt(0)
	v_add_f32_e32 v2, v2, v3
	v_add_co_ci_u32_e64 v1, null, s17, v1, s15
	s_and_saveexec_b32 s15, s0
	s_cbranch_execz .LBB830_36
; %bb.32:
	s_xor_b32 s0, s14, -1
	s_and_saveexec_b32 s14, s0
	s_xor_b32 s0, exec_lo, s14
	s_cbranch_execz .LBB830_34
; %bb.33:
	v_fma_mixlo_f16 v3, -v2, v15, v17
	global_store_short v[0:1], v3, off
.LBB830_34:
	s_andn2_saveexec_b32 s0, s0
	s_cbranch_execz .LBB830_36
; %bb.35:
	v_mov_b32_e32 v3, 0
	global_store_short v[0:1], v3, off
.LBB830_36:
	s_or_b32 exec_lo, exec_lo, s15
	s_and_saveexec_b32 s0, vcc_lo
	s_cbranch_execz .LBB830_41
; %bb.37:
	s_xor_b32 s13, s13, -1
	s_and_saveexec_b32 s14, s13
	s_xor_b32 s13, exec_lo, s14
	s_cbranch_execz .LBB830_39
; %bb.38:
	v_fma_mixlo_f16 v3, -v2, v19, v18
	global_store_short v[0:1], v3, off offset:128
.LBB830_39:
	s_andn2_saveexec_b32 s13, s13
	s_cbranch_execz .LBB830_41
; %bb.40:
	v_mov_b32_e32 v3, 0
	global_store_short v[0:1], v3, off offset:128
.LBB830_41:
	s_or_b32 exec_lo, exec_lo, s0
	s_and_saveexec_b32 s0, s1
	s_cbranch_execz .LBB830_46
; %bb.42:
	s_xor_b32 s1, s12, -1
	s_and_saveexec_b32 s12, s1
	s_xor_b32 s1, exec_lo, s12
	s_cbranch_execz .LBB830_44
; %bb.43:
	v_fma_mixlo_f16 v3, -v2, v20, v14
	global_store_short v[0:1], v3, off offset:256
.LBB830_44:
	s_andn2_saveexec_b32 s1, s1
	s_cbranch_execz .LBB830_46
; %bb.45:
	v_mov_b32_e32 v3, 0
	global_store_short v[0:1], v3, off offset:256
.LBB830_46:
	s_or_b32 exec_lo, exec_lo, s0
	s_and_saveexec_b32 s0, s2
	;; [unrolled: 18-line block ×5, first 2 shown]
	s_cbranch_execz .LBB830_66
; %bb.62:
	s_xor_b32 s1, s5, -1
	s_and_saveexec_b32 s2, s1
	s_xor_b32 s1, exec_lo, s2
	s_cbranch_execz .LBB830_64
; %bb.63:
	v_fma_mixlo_f16 v3, -v2, v24, v10
	global_store_short v[0:1], v3, off offset:768
.LBB830_64:
	s_andn2_saveexec_b32 s1, s1
	s_cbranch_execz .LBB830_66
; %bb.65:
	v_mov_b32_e32 v3, 0
	global_store_short v[0:1], v3, off offset:768
.LBB830_66:
	s_or_b32 exec_lo, exec_lo, s0
	s_and_b32 exec_lo, exec_lo, s8
	s_cbranch_execz .LBB830_71
; %bb.67:
	s_xor_b32 s0, s4, -1
	s_and_saveexec_b32 s1, s0
	s_xor_b32 s0, exec_lo, s1
	s_cbranch_execz .LBB830_69
; %bb.68:
	v_fma_mixlo_f16 v2, -v2, v8, v9
	global_store_short v[0:1], v2, off offset:896
                                        ; implicit-def: $vgpr0_vgpr1
.LBB830_69:
	s_andn2_saveexec_b32 s0, s0
	s_cbranch_execz .LBB830_71
; %bb.70:
	v_mov_b32_e32 v2, 0
	global_store_short v[0:1], v2, off offset:896
.LBB830_71:
	s_endpgm
	.section	.rodata,"a",@progbits
	.p2align	6, 0x0
	.amdhsa_kernel _ZN12_GLOBAL__N_121softmax_warp_backwardIN3c104HalfES2_fLi9ELb0ELb1ELi64EEEvPT0_PKT_S7_iiiPKb
		.amdhsa_group_segment_fixed_size 0
		.amdhsa_private_segment_fixed_size 0
		.amdhsa_kernarg_size 304
		.amdhsa_user_sgpr_count 6
		.amdhsa_user_sgpr_private_segment_buffer 1
		.amdhsa_user_sgpr_dispatch_ptr 0
		.amdhsa_user_sgpr_queue_ptr 0
		.amdhsa_user_sgpr_kernarg_segment_ptr 1
		.amdhsa_user_sgpr_dispatch_id 0
		.amdhsa_user_sgpr_flat_scratch_init 0
		.amdhsa_user_sgpr_private_segment_size 0
		.amdhsa_wavefront_size32 1
		.amdhsa_uses_dynamic_stack 0
		.amdhsa_system_sgpr_private_segment_wavefront_offset 0
		.amdhsa_system_sgpr_workgroup_id_x 1
		.amdhsa_system_sgpr_workgroup_id_y 0
		.amdhsa_system_sgpr_workgroup_id_z 0
		.amdhsa_system_sgpr_workgroup_info 0
		.amdhsa_system_vgpr_workitem_id 1
		.amdhsa_next_free_vgpr 28
		.amdhsa_next_free_sgpr 20
		.amdhsa_reserve_vcc 1
		.amdhsa_reserve_flat_scratch 0
		.amdhsa_float_round_mode_32 0
		.amdhsa_float_round_mode_16_64 0
		.amdhsa_float_denorm_mode_32 3
		.amdhsa_float_denorm_mode_16_64 3
		.amdhsa_dx10_clamp 1
		.amdhsa_ieee_mode 1
		.amdhsa_fp16_overflow 0
		.amdhsa_workgroup_processor_mode 1
		.amdhsa_memory_ordered 1
		.amdhsa_forward_progress 1
		.amdhsa_shared_vgpr_count 0
		.amdhsa_exception_fp_ieee_invalid_op 0
		.amdhsa_exception_fp_denorm_src 0
		.amdhsa_exception_fp_ieee_div_zero 0
		.amdhsa_exception_fp_ieee_overflow 0
		.amdhsa_exception_fp_ieee_underflow 0
		.amdhsa_exception_fp_ieee_inexact 0
		.amdhsa_exception_int_div_zero 0
	.end_amdhsa_kernel
	.section	.text._ZN12_GLOBAL__N_121softmax_warp_backwardIN3c104HalfES2_fLi9ELb0ELb1ELi64EEEvPT0_PKT_S7_iiiPKb,"axG",@progbits,_ZN12_GLOBAL__N_121softmax_warp_backwardIN3c104HalfES2_fLi9ELb0ELb1ELi64EEEvPT0_PKT_S7_iiiPKb,comdat
.Lfunc_end830:
	.size	_ZN12_GLOBAL__N_121softmax_warp_backwardIN3c104HalfES2_fLi9ELb0ELb1ELi64EEEvPT0_PKT_S7_iiiPKb, .Lfunc_end830-_ZN12_GLOBAL__N_121softmax_warp_backwardIN3c104HalfES2_fLi9ELb0ELb1ELi64EEEvPT0_PKT_S7_iiiPKb
                                        ; -- End function
	.set _ZN12_GLOBAL__N_121softmax_warp_backwardIN3c104HalfES2_fLi9ELb0ELb1ELi64EEEvPT0_PKT_S7_iiiPKb.num_vgpr, 28
	.set _ZN12_GLOBAL__N_121softmax_warp_backwardIN3c104HalfES2_fLi9ELb0ELb1ELi64EEEvPT0_PKT_S7_iiiPKb.num_agpr, 0
	.set _ZN12_GLOBAL__N_121softmax_warp_backwardIN3c104HalfES2_fLi9ELb0ELb1ELi64EEEvPT0_PKT_S7_iiiPKb.numbered_sgpr, 20
	.set _ZN12_GLOBAL__N_121softmax_warp_backwardIN3c104HalfES2_fLi9ELb0ELb1ELi64EEEvPT0_PKT_S7_iiiPKb.num_named_barrier, 0
	.set _ZN12_GLOBAL__N_121softmax_warp_backwardIN3c104HalfES2_fLi9ELb0ELb1ELi64EEEvPT0_PKT_S7_iiiPKb.private_seg_size, 0
	.set _ZN12_GLOBAL__N_121softmax_warp_backwardIN3c104HalfES2_fLi9ELb0ELb1ELi64EEEvPT0_PKT_S7_iiiPKb.uses_vcc, 1
	.set _ZN12_GLOBAL__N_121softmax_warp_backwardIN3c104HalfES2_fLi9ELb0ELb1ELi64EEEvPT0_PKT_S7_iiiPKb.uses_flat_scratch, 0
	.set _ZN12_GLOBAL__N_121softmax_warp_backwardIN3c104HalfES2_fLi9ELb0ELb1ELi64EEEvPT0_PKT_S7_iiiPKb.has_dyn_sized_stack, 0
	.set _ZN12_GLOBAL__N_121softmax_warp_backwardIN3c104HalfES2_fLi9ELb0ELb1ELi64EEEvPT0_PKT_S7_iiiPKb.has_recursion, 0
	.set _ZN12_GLOBAL__N_121softmax_warp_backwardIN3c104HalfES2_fLi9ELb0ELb1ELi64EEEvPT0_PKT_S7_iiiPKb.has_indirect_call, 0
	.section	.AMDGPU.csdata,"",@progbits
; Kernel info:
; codeLenInByte = 1908
; TotalNumSgprs: 22
; NumVgprs: 28
; ScratchSize: 0
; MemoryBound: 0
; FloatMode: 240
; IeeeMode: 1
; LDSByteSize: 0 bytes/workgroup (compile time only)
; SGPRBlocks: 0
; VGPRBlocks: 3
; NumSGPRsForWavesPerEU: 22
; NumVGPRsForWavesPerEU: 28
; Occupancy: 16
; WaveLimiterHint : 0
; COMPUTE_PGM_RSRC2:SCRATCH_EN: 0
; COMPUTE_PGM_RSRC2:USER_SGPR: 6
; COMPUTE_PGM_RSRC2:TRAP_HANDLER: 0
; COMPUTE_PGM_RSRC2:TGID_X_EN: 1
; COMPUTE_PGM_RSRC2:TGID_Y_EN: 0
; COMPUTE_PGM_RSRC2:TGID_Z_EN: 0
; COMPUTE_PGM_RSRC2:TIDIG_COMP_CNT: 1
	.section	.text._ZN12_GLOBAL__N_121softmax_warp_backwardIN3c104HalfES2_fLi9ELb0ELb1ELi32EEEvPT0_PKT_S7_iiiPKb,"axG",@progbits,_ZN12_GLOBAL__N_121softmax_warp_backwardIN3c104HalfES2_fLi9ELb0ELb1ELi32EEEvPT0_PKT_S7_iiiPKb,comdat
	.globl	_ZN12_GLOBAL__N_121softmax_warp_backwardIN3c104HalfES2_fLi9ELb0ELb1ELi32EEEvPT0_PKT_S7_iiiPKb ; -- Begin function _ZN12_GLOBAL__N_121softmax_warp_backwardIN3c104HalfES2_fLi9ELb0ELb1ELi32EEEvPT0_PKT_S7_iiiPKb
	.p2align	8
	.type	_ZN12_GLOBAL__N_121softmax_warp_backwardIN3c104HalfES2_fLi9ELb0ELb1ELi32EEEvPT0_PKT_S7_iiiPKb,@function
_ZN12_GLOBAL__N_121softmax_warp_backwardIN3c104HalfES2_fLi9ELb0ELb1ELi32EEEvPT0_PKT_S7_iiiPKb: ; @_ZN12_GLOBAL__N_121softmax_warp_backwardIN3c104HalfES2_fLi9ELb0ELb1ELi32EEEvPT0_PKT_S7_iiiPKb
; %bb.0:
	s_clause 0x1
	s_load_dword s0, s[4:5], 0x3c
	s_load_dwordx4 s[16:19], s[4:5], 0x18
	v_and_b32_e32 v8, 31, v0
	s_clause 0x1
	s_load_dwordx4 s[28:31], s[4:5], 0x0
	s_load_dwordx2 s[2:3], s[4:5], 0x10
	v_mov_b32_e32 v22, 0
	v_mov_b32_e32 v24, 0
	s_waitcnt lgkmcnt(0)
	s_lshr_b32 s0, s0, 16
	v_mad_u64_u32 v[1:2], null, s6, s0, v[1:2]
	v_cmp_gt_i32_e64 s0, s18, v8
	v_mad_u64_u32 v[2:3], null, v1, s17, v[8:9]
	v_sub_nc_u32_e32 v23, s16, v1
	v_cmp_lt_i32_e64 s17, 0, v23
	v_ashrrev_i32_e32 v3, 31, v2
	v_lshlrev_b64 v[0:1], 1, v[2:3]
	v_add_co_u32 v4, vcc_lo, s30, v0
	v_add_co_ci_u32_e64 v5, null, s31, v1, vcc_lo
	v_add_co_u32 v6, vcc_lo, s2, v0
	v_add_co_ci_u32_e64 v7, null, s3, v1, vcc_lo
	s_and_b32 s2, s17, s0
	s_and_saveexec_b32 s1, s2
	s_cbranch_execz .LBB831_2
; %bb.1:
	global_load_ushort v9, v[4:5], off
	global_load_ushort v10, v[6:7], off
	s_waitcnt vmcnt(1)
	v_cvt_f32_f16_e32 v24, v9
	s_waitcnt vmcnt(0)
	v_cvt_f32_f16_e32 v22, v10
.LBB831_2:
	s_or_b32 exec_lo, exec_lo, s1
	v_or_b32_e32 v9, 32, v8
	v_cmp_gt_i32_e32 vcc_lo, s18, v9
	s_and_b32 s1, s17, vcc_lo
	s_xor_b32 s1, s1, -1
	s_and_saveexec_b32 s2, s1
	s_xor_b32 s1, exec_lo, s2
                                        ; implicit-def: $vgpr10
                                        ; implicit-def: $vgpr11
                                        ; implicit-def: $vgpr12
                                        ; implicit-def: $vgpr13
                                        ; implicit-def: $vgpr14
                                        ; implicit-def: $vgpr15
                                        ; implicit-def: $vgpr16
                                        ; implicit-def: $vgpr17
                                        ; implicit-def: $vgpr18
                                        ; implicit-def: $vgpr19
                                        ; implicit-def: $vgpr20
                                        ; implicit-def: $vgpr21
                                        ; implicit-def: $vgpr25
                                        ; implicit-def: $vgpr26
                                        ; implicit-def: $vgpr9
; %bb.3:
	s_mov_b32 s2, 0
                                        ; implicit-def: $vgpr10
                                        ; implicit-def: $vgpr11
                                        ; implicit-def: $vgpr12
                                        ; implicit-def: $vgpr13
                                        ; implicit-def: $vgpr14
                                        ; implicit-def: $vgpr15
                                        ; implicit-def: $vgpr16
                                        ; implicit-def: $vgpr17
                                        ; implicit-def: $vgpr18
                                        ; implicit-def: $vgpr19
                                        ; implicit-def: $vgpr20
                                        ; implicit-def: $vgpr21
                                        ; implicit-def: $vgpr25
                                        ; implicit-def: $vgpr9
	v_mov_b32_e32 v26, s2
; %bb.4:
	s_or_saveexec_b32 s1, s1
	v_mov_b32_e32 v27, 0
	s_xor_b32 exec_lo, exec_lo, s1
	s_cbranch_execz .LBB831_6
; %bb.5:
	global_load_ushort v26, v[4:5], off offset:64
	global_load_ushort v27, v[6:7], off offset:64
	s_waitcnt vmcnt(1)
	v_cvt_f32_f16_e32 v26, v26
	s_waitcnt vmcnt(0)
	v_cvt_f32_f16_e32 v27, v27
.LBB831_6:
	s_or_b32 exec_lo, exec_lo, s1
	v_or_b32_e32 v28, 64, v8
	v_cmp_gt_i32_e64 s1, s18, v28
	s_and_b32 s2, s17, s1
	s_xor_b32 s2, s2, -1
	s_and_saveexec_b32 s3, s2
	s_xor_b32 s2, exec_lo, s3
; %bb.7:
	s_mov_b32 s3, 0
	v_mov_b32_e32 v25, s3
; %bb.8:
	s_or_saveexec_b32 s2, s2
	v_mov_b32_e32 v28, 0
	s_xor_b32 exec_lo, exec_lo, s2
	s_cbranch_execz .LBB831_10
; %bb.9:
	global_load_ushort v25, v[4:5], off offset:128
	global_load_ushort v28, v[6:7], off offset:128
	s_waitcnt vmcnt(1)
	v_cvt_f32_f16_e32 v25, v25
	s_waitcnt vmcnt(0)
	v_cvt_f32_f16_e32 v28, v28
.LBB831_10:
	s_or_b32 exec_lo, exec_lo, s2
	v_or_b32_e32 v29, 0x60, v8
	v_cmp_gt_i32_e64 s2, s18, v29
	s_and_b32 s3, s17, s2
	s_xor_b32 s3, s3, -1
	s_and_saveexec_b32 s6, s3
	s_xor_b32 s3, exec_lo, s6
; %bb.11:
	s_mov_b32 s6, 0
	;; [unrolled: 23-line block ×14, first 2 shown]
                                        ; implicit-def: $vgpr4_vgpr5
                                        ; implicit-def: $vgpr6_vgpr7
	v_mov_b32_e32 v9, s18
; %bb.60:
	s_or_saveexec_b32 s17, s17
	v_mov_b32_e32 v8, 0
	s_xor_b32 exec_lo, exec_lo, s17
	s_cbranch_execz .LBB831_62
; %bb.61:
	global_load_ushort v4, v[4:5], off offset:960
	global_load_ushort v5, v[6:7], off offset:960
	s_waitcnt vmcnt(1)
	v_cvt_f32_f16_e32 v9, v4
	s_waitcnt vmcnt(0)
	v_cvt_f32_f16_e32 v8, v5
.LBB831_62:
	s_or_b32 exec_lo, exec_lo, s17
	s_load_dwordx2 s[4:5], s[4:5], 0x28
	v_add_f32_e32 v53, 0, v24
	s_mov_b32 s26, exec_lo
	s_waitcnt lgkmcnt(0)
	v_add_co_u32 v2, s4, s4, v2
	v_add_co_ci_u32_e64 v3, null, s5, v3, s4
	s_clause 0xf
	global_load_ubyte v4, v[2:3], off
	global_load_ubyte v5, v[2:3], off offset:32
	global_load_ubyte v6, v[2:3], off offset:64
	;; [unrolled: 1-line block ×15, first 2 shown]
	s_waitcnt vmcnt(15)
	v_and_b32_e32 v4, 1, v4
	s_waitcnt vmcnt(14)
	v_and_b32_e32 v5, 1, v5
	v_cmp_eq_u32_e64 s24, 1, v4
	v_cmp_eq_u32_e64 s4, 1, v5
	s_waitcnt vmcnt(13)
	v_and_b32_e32 v5, 1, v6
	v_cndmask_b32_e64 v4, v53, 0, s24
	v_add_f32_e32 v53, v4, v26
	v_cndmask_b32_e64 v4, v53, v4, s4
	v_cmp_eq_u32_e64 s4, 1, v5
	s_waitcnt vmcnt(12)
	v_and_b32_e32 v5, 1, v7
	v_add_f32_e32 v6, v4, v25
	v_cndmask_b32_e64 v4, v6, v4, s4
	v_cmp_eq_u32_e64 s4, 1, v5
	s_waitcnt vmcnt(11)
	v_and_b32_e32 v5, 1, v41
	;; [unrolled: 5-line block ×5, first 2 shown]
	v_add_f32_e32 v6, v4, v18
	v_cmp_eq_u32_e64 s23, 1, v5
	s_waitcnt vmcnt(7)
	v_and_b32_e32 v5, 1, v45
	v_cndmask_b32_e64 v4, v6, v4, s4
	v_cmp_eq_u32_e64 s22, 1, v5
	s_waitcnt vmcnt(6)
	v_and_b32_e32 v5, 1, v46
	v_add_f32_e32 v6, v4, v17
	v_cmp_eq_u32_e64 s21, 1, v5
	v_cndmask_b32_e64 v4, v6, v4, s23
	s_waitcnt vmcnt(5)
	v_and_b32_e32 v5, 1, v47
	v_add_f32_e32 v6, v4, v16
	v_cmp_eq_u32_e64 s20, 1, v5
	s_waitcnt vmcnt(4)
	v_and_b32_e32 v5, 1, v48
	v_cndmask_b32_e64 v4, v6, v4, s22
	v_cmp_eq_u32_e64 s19, 1, v5
	s_waitcnt vmcnt(3)
	v_and_b32_e32 v5, 1, v49
	v_add_f32_e32 v6, v4, v15
	v_cmp_eq_u32_e64 s18, 1, v5
	s_waitcnt vmcnt(2)
	v_and_b32_e32 v5, 1, v50
	v_cndmask_b32_e64 v4, v6, v4, s21
	v_cmp_eq_u32_e64 s17, 1, v5
	v_add_f32_e32 v6, v4, v14
	v_mbcnt_lo_u32_b32 v5, -1, 0
	v_cndmask_b32_e64 v4, v6, v4, s20
	v_xor_b32_e32 v41, 16, v5
	v_add_f32_e32 v6, v4, v13
	v_cmp_gt_i32_e64 s4, 32, v41
	v_cndmask_b32_e64 v4, v6, v4, s19
	v_add_f32_e32 v6, v4, v12
	v_cndmask_b32_e64 v4, v6, v4, s18
	v_add_f32_e32 v6, v4, v11
	v_cndmask_b32_e64 v4, v6, v4, s17
	s_waitcnt vmcnt(1)
	v_and_b32_e32 v6, 1, v51
	v_add_f32_e32 v7, v4, v10
	v_cmp_eq_u32_e64 s5, 1, v6
	v_cndmask_b32_e64 v6, v5, v41, s4
	v_cndmask_b32_e64 v4, v7, v4, s5
	s_waitcnt vmcnt(0)
	v_and_b32_e32 v7, 1, v52
	v_lshlrev_b32_e32 v6, 2, v6
	v_add_f32_e32 v41, v4, v9
	v_cmp_eq_u32_e64 s4, 1, v7
	v_xor_b32_e32 v7, 8, v5
	v_cndmask_b32_e64 v4, v41, v4, s4
	v_cmp_gt_i32_e64 s25, 32, v7
	ds_bpermute_b32 v6, v6, v4
	v_cndmask_b32_e64 v7, v5, v7, s25
	v_lshlrev_b32_e32 v7, 2, v7
	s_waitcnt lgkmcnt(0)
	v_add_f32_e32 v4, v4, v6
	ds_bpermute_b32 v6, v7, v4
	v_xor_b32_e32 v7, 4, v5
	v_cmp_gt_i32_e64 s25, 32, v7
	v_cndmask_b32_e64 v7, v5, v7, s25
	v_lshlrev_b32_e32 v7, 2, v7
	s_waitcnt lgkmcnt(0)
	v_add_f32_e32 v4, v4, v6
	ds_bpermute_b32 v6, v7, v4
	v_xor_b32_e32 v7, 2, v5
	v_cmp_gt_i32_e64 s25, 32, v7
	;; [unrolled: 7-line block ×3, first 2 shown]
	v_cndmask_b32_e64 v5, v5, v7, s25
	v_lshlrev_b32_e32 v5, 2, v5
	s_waitcnt lgkmcnt(0)
	v_add_f32_e32 v4, v4, v6
	ds_bpermute_b32 v5, v5, v4
	v_cmpx_lt_i32_e32 0, v23
	s_cbranch_execz .LBB831_143
; %bb.63:
	v_add_co_u32 v0, s25, s28, v0
	s_waitcnt lgkmcnt(0)
	v_add_f32_e32 v4, v4, v5
	v_add_co_ci_u32_e64 v1, null, s29, v1, s25
	s_and_saveexec_b32 s25, s0
	s_cbranch_execz .LBB831_68
; %bb.64:
	s_xor_b32 s0, s24, -1
	s_and_saveexec_b32 s24, s0
	s_xor_b32 s0, exec_lo, s24
	s_cbranch_execz .LBB831_66
; %bb.65:
	v_fma_mixlo_f16 v5, -v4, v22, v24
	global_store_short v[0:1], v5, off
.LBB831_66:
	s_andn2_saveexec_b32 s0, s0
	s_cbranch_execz .LBB831_68
; %bb.67:
	v_mov_b32_e32 v5, 0
	global_store_short v[0:1], v5, off
.LBB831_68:
	s_or_b32 exec_lo, exec_lo, s25
	s_and_saveexec_b32 s0, vcc_lo
	s_cbranch_execz .LBB831_73
; %bb.69:
	global_load_ubyte v5, v[2:3], off offset:32
	s_waitcnt vmcnt(0)
	v_and_b32_e32 v5, 1, v5
	v_cmp_eq_u32_e32 vcc_lo, 1, v5
	s_xor_b32 s24, vcc_lo, -1
	s_and_saveexec_b32 s25, s24
	s_xor_b32 s24, exec_lo, s25
	s_cbranch_execz .LBB831_71
; %bb.70:
	v_fma_mixlo_f16 v5, -v4, v27, v26
	global_store_short v[0:1], v5, off offset:64
.LBB831_71:
	s_andn2_saveexec_b32 s24, s24
	s_cbranch_execz .LBB831_73
; %bb.72:
	v_mov_b32_e32 v5, 0
	global_store_short v[0:1], v5, off offset:64
.LBB831_73:
	s_or_b32 exec_lo, exec_lo, s0
	s_and_saveexec_b32 s0, s1
	s_cbranch_execz .LBB831_78
; %bb.74:
	global_load_ubyte v5, v[2:3], off offset:64
	s_waitcnt vmcnt(0)
	v_and_b32_e32 v5, 1, v5
	v_cmp_eq_u32_e32 vcc_lo, 1, v5
	s_xor_b32 s1, vcc_lo, -1
	s_and_saveexec_b32 s24, s1
	s_xor_b32 s1, exec_lo, s24
	s_cbranch_execz .LBB831_76
; %bb.75:
	v_fma_mixlo_f16 v5, -v4, v28, v25
	global_store_short v[0:1], v5, off offset:128
.LBB831_76:
	s_andn2_saveexec_b32 s1, s1
	s_cbranch_execz .LBB831_78
; %bb.77:
	v_mov_b32_e32 v5, 0
	global_store_short v[0:1], v5, off offset:128
.LBB831_78:
	s_or_b32 exec_lo, exec_lo, s0
	s_and_saveexec_b32 s0, s2
	;; [unrolled: 22-line block ×6, first 2 shown]
	s_cbranch_execz .LBB831_103
; %bb.99:
	s_xor_b32 s1, s23, -1
	s_and_saveexec_b32 s2, s1
	s_xor_b32 s1, exec_lo, s2
	s_cbranch_execz .LBB831_101
; %bb.100:
	v_fma_mixlo_f16 v2, -v4, v33, v17
	global_store_short v[0:1], v2, off offset:448
.LBB831_101:
	s_andn2_saveexec_b32 s1, s1
	s_cbranch_execz .LBB831_103
; %bb.102:
	v_mov_b32_e32 v2, 0
	global_store_short v[0:1], v2, off offset:448
.LBB831_103:
	s_or_b32 exec_lo, exec_lo, s0
	s_and_saveexec_b32 s0, s9
	s_cbranch_execz .LBB831_108
; %bb.104:
	s_xor_b32 s1, s22, -1
	s_and_saveexec_b32 s2, s1
	s_xor_b32 s1, exec_lo, s2
	s_cbranch_execz .LBB831_106
; %bb.105:
	v_fma_mixlo_f16 v2, -v4, v34, v16
	global_store_short v[0:1], v2, off offset:512
.LBB831_106:
	s_andn2_saveexec_b32 s1, s1
	s_cbranch_execz .LBB831_108
; %bb.107:
	v_mov_b32_e32 v2, 0
	global_store_short v[0:1], v2, off offset:512
.LBB831_108:
	s_or_b32 exec_lo, exec_lo, s0
	s_and_saveexec_b32 s0, s10
	s_cbranch_execz .LBB831_113
; %bb.109:
	s_xor_b32 s1, s21, -1
	s_and_saveexec_b32 s2, s1
	s_xor_b32 s1, exec_lo, s2
	s_cbranch_execz .LBB831_111
; %bb.110:
	v_fma_mixlo_f16 v2, -v4, v35, v15
	global_store_short v[0:1], v2, off offset:576
.LBB831_111:
	s_andn2_saveexec_b32 s1, s1
	s_cbranch_execz .LBB831_113
; %bb.112:
	v_mov_b32_e32 v2, 0
	global_store_short v[0:1], v2, off offset:576
.LBB831_113:
	s_or_b32 exec_lo, exec_lo, s0
	s_and_saveexec_b32 s0, s11
	s_cbranch_execz .LBB831_118
; %bb.114:
	s_xor_b32 s1, s20, -1
	s_and_saveexec_b32 s2, s1
	s_xor_b32 s1, exec_lo, s2
	s_cbranch_execz .LBB831_116
; %bb.115:
	v_fma_mixlo_f16 v2, -v4, v36, v14
	global_store_short v[0:1], v2, off offset:640
.LBB831_116:
	s_andn2_saveexec_b32 s1, s1
	s_cbranch_execz .LBB831_118
; %bb.117:
	v_mov_b32_e32 v2, 0
	global_store_short v[0:1], v2, off offset:640
.LBB831_118:
	s_or_b32 exec_lo, exec_lo, s0
	s_and_saveexec_b32 s0, s12
	s_cbranch_execz .LBB831_123
; %bb.119:
	s_xor_b32 s1, s19, -1
	s_and_saveexec_b32 s2, s1
	s_xor_b32 s1, exec_lo, s2
	s_cbranch_execz .LBB831_121
; %bb.120:
	v_fma_mixlo_f16 v2, -v4, v37, v13
	global_store_short v[0:1], v2, off offset:704
.LBB831_121:
	s_andn2_saveexec_b32 s1, s1
	s_cbranch_execz .LBB831_123
; %bb.122:
	v_mov_b32_e32 v2, 0
	global_store_short v[0:1], v2, off offset:704
.LBB831_123:
	s_or_b32 exec_lo, exec_lo, s0
	s_and_saveexec_b32 s0, s13
	s_cbranch_execz .LBB831_128
; %bb.124:
	s_xor_b32 s1, s18, -1
	s_and_saveexec_b32 s2, s1
	s_xor_b32 s1, exec_lo, s2
	s_cbranch_execz .LBB831_126
; %bb.125:
	v_fma_mixlo_f16 v2, -v4, v38, v12
	global_store_short v[0:1], v2, off offset:768
.LBB831_126:
	s_andn2_saveexec_b32 s1, s1
	s_cbranch_execz .LBB831_128
; %bb.127:
	v_mov_b32_e32 v2, 0
	global_store_short v[0:1], v2, off offset:768
.LBB831_128:
	s_or_b32 exec_lo, exec_lo, s0
	s_and_saveexec_b32 s0, s14
	s_cbranch_execz .LBB831_133
; %bb.129:
	s_xor_b32 s1, s17, -1
	s_and_saveexec_b32 s2, s1
	s_xor_b32 s1, exec_lo, s2
	s_cbranch_execz .LBB831_131
; %bb.130:
	v_fma_mixlo_f16 v2, -v4, v39, v11
	global_store_short v[0:1], v2, off offset:832
.LBB831_131:
	s_andn2_saveexec_b32 s1, s1
	s_cbranch_execz .LBB831_133
; %bb.132:
	v_mov_b32_e32 v2, 0
	global_store_short v[0:1], v2, off offset:832
.LBB831_133:
	s_or_b32 exec_lo, exec_lo, s0
	s_and_saveexec_b32 s0, s15
	s_cbranch_execz .LBB831_138
; %bb.134:
	s_xor_b32 s1, s5, -1
	s_and_saveexec_b32 s2, s1
	s_xor_b32 s1, exec_lo, s2
	s_cbranch_execz .LBB831_136
; %bb.135:
	v_fma_mixlo_f16 v2, -v4, v40, v10
	global_store_short v[0:1], v2, off offset:896
.LBB831_136:
	s_andn2_saveexec_b32 s1, s1
	s_cbranch_execz .LBB831_138
; %bb.137:
	v_mov_b32_e32 v2, 0
	global_store_short v[0:1], v2, off offset:896
.LBB831_138:
	s_or_b32 exec_lo, exec_lo, s0
	s_and_b32 exec_lo, exec_lo, s16
	s_cbranch_execz .LBB831_143
; %bb.139:
	s_xor_b32 s0, s4, -1
	s_and_saveexec_b32 s1, s0
	s_xor_b32 s0, exec_lo, s1
	s_cbranch_execz .LBB831_141
; %bb.140:
	v_fma_mixlo_f16 v2, -v4, v8, v9
	global_store_short v[0:1], v2, off offset:960
                                        ; implicit-def: $vgpr0_vgpr1
.LBB831_141:
	s_andn2_saveexec_b32 s0, s0
	s_cbranch_execz .LBB831_143
; %bb.142:
	v_mov_b32_e32 v2, 0
	global_store_short v[0:1], v2, off offset:960
.LBB831_143:
	s_endpgm
	.section	.rodata,"a",@progbits
	.p2align	6, 0x0
	.amdhsa_kernel _ZN12_GLOBAL__N_121softmax_warp_backwardIN3c104HalfES2_fLi9ELb0ELb1ELi32EEEvPT0_PKT_S7_iiiPKb
		.amdhsa_group_segment_fixed_size 0
		.amdhsa_private_segment_fixed_size 0
		.amdhsa_kernarg_size 304
		.amdhsa_user_sgpr_count 6
		.amdhsa_user_sgpr_private_segment_buffer 1
		.amdhsa_user_sgpr_dispatch_ptr 0
		.amdhsa_user_sgpr_queue_ptr 0
		.amdhsa_user_sgpr_kernarg_segment_ptr 1
		.amdhsa_user_sgpr_dispatch_id 0
		.amdhsa_user_sgpr_flat_scratch_init 0
		.amdhsa_user_sgpr_private_segment_size 0
		.amdhsa_wavefront_size32 1
		.amdhsa_uses_dynamic_stack 0
		.amdhsa_system_sgpr_private_segment_wavefront_offset 0
		.amdhsa_system_sgpr_workgroup_id_x 1
		.amdhsa_system_sgpr_workgroup_id_y 0
		.amdhsa_system_sgpr_workgroup_id_z 0
		.amdhsa_system_sgpr_workgroup_info 0
		.amdhsa_system_vgpr_workitem_id 1
		.amdhsa_next_free_vgpr 54
		.amdhsa_next_free_sgpr 32
		.amdhsa_reserve_vcc 1
		.amdhsa_reserve_flat_scratch 0
		.amdhsa_float_round_mode_32 0
		.amdhsa_float_round_mode_16_64 0
		.amdhsa_float_denorm_mode_32 3
		.amdhsa_float_denorm_mode_16_64 3
		.amdhsa_dx10_clamp 1
		.amdhsa_ieee_mode 1
		.amdhsa_fp16_overflow 0
		.amdhsa_workgroup_processor_mode 1
		.amdhsa_memory_ordered 1
		.amdhsa_forward_progress 1
		.amdhsa_shared_vgpr_count 0
		.amdhsa_exception_fp_ieee_invalid_op 0
		.amdhsa_exception_fp_denorm_src 0
		.amdhsa_exception_fp_ieee_div_zero 0
		.amdhsa_exception_fp_ieee_overflow 0
		.amdhsa_exception_fp_ieee_underflow 0
		.amdhsa_exception_fp_ieee_inexact 0
		.amdhsa_exception_int_div_zero 0
	.end_amdhsa_kernel
	.section	.text._ZN12_GLOBAL__N_121softmax_warp_backwardIN3c104HalfES2_fLi9ELb0ELb1ELi32EEEvPT0_PKT_S7_iiiPKb,"axG",@progbits,_ZN12_GLOBAL__N_121softmax_warp_backwardIN3c104HalfES2_fLi9ELb0ELb1ELi32EEEvPT0_PKT_S7_iiiPKb,comdat
.Lfunc_end831:
	.size	_ZN12_GLOBAL__N_121softmax_warp_backwardIN3c104HalfES2_fLi9ELb0ELb1ELi32EEEvPT0_PKT_S7_iiiPKb, .Lfunc_end831-_ZN12_GLOBAL__N_121softmax_warp_backwardIN3c104HalfES2_fLi9ELb0ELb1ELi32EEEvPT0_PKT_S7_iiiPKb
                                        ; -- End function
	.set _ZN12_GLOBAL__N_121softmax_warp_backwardIN3c104HalfES2_fLi9ELb0ELb1ELi32EEEvPT0_PKT_S7_iiiPKb.num_vgpr, 54
	.set _ZN12_GLOBAL__N_121softmax_warp_backwardIN3c104HalfES2_fLi9ELb0ELb1ELi32EEEvPT0_PKT_S7_iiiPKb.num_agpr, 0
	.set _ZN12_GLOBAL__N_121softmax_warp_backwardIN3c104HalfES2_fLi9ELb0ELb1ELi32EEEvPT0_PKT_S7_iiiPKb.numbered_sgpr, 32
	.set _ZN12_GLOBAL__N_121softmax_warp_backwardIN3c104HalfES2_fLi9ELb0ELb1ELi32EEEvPT0_PKT_S7_iiiPKb.num_named_barrier, 0
	.set _ZN12_GLOBAL__N_121softmax_warp_backwardIN3c104HalfES2_fLi9ELb0ELb1ELi32EEEvPT0_PKT_S7_iiiPKb.private_seg_size, 0
	.set _ZN12_GLOBAL__N_121softmax_warp_backwardIN3c104HalfES2_fLi9ELb0ELb1ELi32EEEvPT0_PKT_S7_iiiPKb.uses_vcc, 1
	.set _ZN12_GLOBAL__N_121softmax_warp_backwardIN3c104HalfES2_fLi9ELb0ELb1ELi32EEEvPT0_PKT_S7_iiiPKb.uses_flat_scratch, 0
	.set _ZN12_GLOBAL__N_121softmax_warp_backwardIN3c104HalfES2_fLi9ELb0ELb1ELi32EEEvPT0_PKT_S7_iiiPKb.has_dyn_sized_stack, 0
	.set _ZN12_GLOBAL__N_121softmax_warp_backwardIN3c104HalfES2_fLi9ELb0ELb1ELi32EEEvPT0_PKT_S7_iiiPKb.has_recursion, 0
	.set _ZN12_GLOBAL__N_121softmax_warp_backwardIN3c104HalfES2_fLi9ELb0ELb1ELi32EEEvPT0_PKT_S7_iiiPKb.has_indirect_call, 0
	.section	.AMDGPU.csdata,"",@progbits
; Kernel info:
; codeLenInByte = 3544
; TotalNumSgprs: 34
; NumVgprs: 54
; ScratchSize: 0
; MemoryBound: 0
; FloatMode: 240
; IeeeMode: 1
; LDSByteSize: 0 bytes/workgroup (compile time only)
; SGPRBlocks: 0
; VGPRBlocks: 6
; NumSGPRsForWavesPerEU: 34
; NumVGPRsForWavesPerEU: 54
; Occupancy: 16
; WaveLimiterHint : 0
; COMPUTE_PGM_RSRC2:SCRATCH_EN: 0
; COMPUTE_PGM_RSRC2:USER_SGPR: 6
; COMPUTE_PGM_RSRC2:TRAP_HANDLER: 0
; COMPUTE_PGM_RSRC2:TGID_X_EN: 1
; COMPUTE_PGM_RSRC2:TGID_Y_EN: 0
; COMPUTE_PGM_RSRC2:TGID_Z_EN: 0
; COMPUTE_PGM_RSRC2:TIDIG_COMP_CNT: 1
	.section	.text._ZN12_GLOBAL__N_121softmax_warp_backwardIN3c104HalfES2_fLi10ELb0ELb1ELi64EEEvPT0_PKT_S7_iiiPKb,"axG",@progbits,_ZN12_GLOBAL__N_121softmax_warp_backwardIN3c104HalfES2_fLi10ELb0ELb1ELi64EEEvPT0_PKT_S7_iiiPKb,comdat
	.globl	_ZN12_GLOBAL__N_121softmax_warp_backwardIN3c104HalfES2_fLi10ELb0ELb1ELi64EEEvPT0_PKT_S7_iiiPKb ; -- Begin function _ZN12_GLOBAL__N_121softmax_warp_backwardIN3c104HalfES2_fLi10ELb0ELb1ELi64EEEvPT0_PKT_S7_iiiPKb
	.p2align	8
	.type	_ZN12_GLOBAL__N_121softmax_warp_backwardIN3c104HalfES2_fLi10ELb0ELb1ELi64EEEvPT0_PKT_S7_iiiPKb,@function
_ZN12_GLOBAL__N_121softmax_warp_backwardIN3c104HalfES2_fLi10ELb0ELb1ELi64EEEvPT0_PKT_S7_iiiPKb: ; @_ZN12_GLOBAL__N_121softmax_warp_backwardIN3c104HalfES2_fLi10ELb0ELb1ELi64EEEvPT0_PKT_S7_iiiPKb
; %bb.0:
	s_clause 0x1
	s_load_dword s0, s[4:5], 0x3c
	s_load_dwordx4 s[16:19], s[4:5], 0x18
	v_and_b32_e32 v9, 63, v0
	s_clause 0x1
	s_load_dwordx4 s[24:27], s[4:5], 0x0
	s_load_dwordx2 s[2:3], s[4:5], 0x10
	v_mov_b32_e32 v23, 0
	v_mov_b32_e32 v25, 0
	s_waitcnt lgkmcnt(0)
	s_lshr_b32 s0, s0, 16
	v_mad_u64_u32 v[1:2], null, s6, s0, v[1:2]
	v_cmp_gt_i32_e64 s0, s18, v9
	v_mad_u64_u32 v[3:4], null, v1, s17, v[9:10]
	v_sub_nc_u32_e32 v24, s16, v1
	v_cmp_lt_i32_e64 s17, 0, v24
	v_ashrrev_i32_e32 v4, 31, v3
	v_lshlrev_b64 v[1:2], 1, v[3:4]
	v_add_co_u32 v5, vcc_lo, s26, v1
	v_add_co_ci_u32_e64 v6, null, s27, v2, vcc_lo
	v_add_co_u32 v7, vcc_lo, s2, v1
	v_add_co_ci_u32_e64 v8, null, s3, v2, vcc_lo
	s_and_b32 s2, s17, s0
	s_and_saveexec_b32 s1, s2
	s_cbranch_execz .LBB832_2
; %bb.1:
	global_load_ushort v10, v[5:6], off
	global_load_ushort v11, v[7:8], off
	s_waitcnt vmcnt(1)
	v_cvt_f32_f16_e32 v25, v10
	s_waitcnt vmcnt(0)
	v_cvt_f32_f16_e32 v23, v11
.LBB832_2:
	s_or_b32 exec_lo, exec_lo, s1
	v_or_b32_e32 v10, 64, v9
	v_cmp_gt_i32_e32 vcc_lo, s18, v10
	s_and_b32 s1, s17, vcc_lo
	s_xor_b32 s1, s1, -1
	s_and_saveexec_b32 s2, s1
	s_xor_b32 s1, exec_lo, s2
                                        ; implicit-def: $vgpr11
                                        ; implicit-def: $vgpr12
                                        ; implicit-def: $vgpr13
                                        ; implicit-def: $vgpr14
                                        ; implicit-def: $vgpr15
                                        ; implicit-def: $vgpr16
                                        ; implicit-def: $vgpr17
                                        ; implicit-def: $vgpr18
                                        ; implicit-def: $vgpr19
                                        ; implicit-def: $vgpr20
                                        ; implicit-def: $vgpr21
                                        ; implicit-def: $vgpr22
                                        ; implicit-def: $vgpr26
                                        ; implicit-def: $vgpr27
                                        ; implicit-def: $vgpr10
; %bb.3:
	s_mov_b32 s2, 0
                                        ; implicit-def: $vgpr11
                                        ; implicit-def: $vgpr12
                                        ; implicit-def: $vgpr13
                                        ; implicit-def: $vgpr14
                                        ; implicit-def: $vgpr15
                                        ; implicit-def: $vgpr16
                                        ; implicit-def: $vgpr17
                                        ; implicit-def: $vgpr18
                                        ; implicit-def: $vgpr19
                                        ; implicit-def: $vgpr20
                                        ; implicit-def: $vgpr21
                                        ; implicit-def: $vgpr22
                                        ; implicit-def: $vgpr26
                                        ; implicit-def: $vgpr10
	v_mov_b32_e32 v27, s2
; %bb.4:
	s_or_saveexec_b32 s1, s1
	v_mov_b32_e32 v28, 0
	s_xor_b32 exec_lo, exec_lo, s1
	s_cbranch_execz .LBB832_6
; %bb.5:
	global_load_ushort v27, v[5:6], off offset:128
	global_load_ushort v28, v[7:8], off offset:128
	s_waitcnt vmcnt(1)
	v_cvt_f32_f16_e32 v27, v27
	s_waitcnt vmcnt(0)
	v_cvt_f32_f16_e32 v28, v28
.LBB832_6:
	s_or_b32 exec_lo, exec_lo, s1
	v_or_b32_e32 v29, 0x80, v9
	v_cmp_gt_i32_e64 s1, s18, v29
	s_and_b32 s2, s17, s1
	s_xor_b32 s2, s2, -1
	s_and_saveexec_b32 s3, s2
	s_xor_b32 s2, exec_lo, s3
; %bb.7:
	s_mov_b32 s3, 0
	v_mov_b32_e32 v26, s3
; %bb.8:
	s_or_saveexec_b32 s2, s2
	v_mov_b32_e32 v29, 0
	s_xor_b32 exec_lo, exec_lo, s2
	s_cbranch_execz .LBB832_10
; %bb.9:
	global_load_ushort v26, v[5:6], off offset:256
	global_load_ushort v29, v[7:8], off offset:256
	s_waitcnt vmcnt(1)
	v_cvt_f32_f16_e32 v26, v26
	s_waitcnt vmcnt(0)
	v_cvt_f32_f16_e32 v29, v29
.LBB832_10:
	s_or_b32 exec_lo, exec_lo, s2
	v_or_b32_e32 v30, 0xc0, v9
	v_cmp_gt_i32_e64 s2, s18, v30
	s_and_b32 s3, s17, s2
	s_xor_b32 s3, s3, -1
	s_and_saveexec_b32 s6, s3
	s_xor_b32 s3, exec_lo, s6
; %bb.11:
	s_mov_b32 s6, 0
	;; [unrolled: 23-line block ×14, first 2 shown]
                                        ; implicit-def: $vgpr5_vgpr6
                                        ; implicit-def: $vgpr7_vgpr8
	v_mov_b32_e32 v10, s18
; %bb.60:
	s_or_saveexec_b32 s17, s17
	v_mov_b32_e32 v41, 0
	s_xor_b32 exec_lo, exec_lo, s17
	s_cbranch_execz .LBB832_62
; %bb.61:
	global_load_ushort v0, v[5:6], off offset:1920
	global_load_ushort v5, v[7:8], off offset:1920
	s_waitcnt vmcnt(1)
	v_cvt_f32_f16_e32 v10, v0
	s_waitcnt vmcnt(0)
	v_cvt_f32_f16_e32 v41, v5
.LBB832_62:
	s_or_b32 exec_lo, exec_lo, s17
	s_load_dwordx2 s[4:5], s[4:5], 0x28
	v_add_f32_e32 v53, 0, v25
	s_mov_b32 s26, exec_lo
	s_waitcnt lgkmcnt(0)
	v_add_co_u32 v3, s4, s4, v3
	v_add_co_ci_u32_e64 v4, null, s5, v4, s4
	s_clause 0xf
	global_load_ubyte v0, v[3:4], off
	global_load_ubyte v5, v[3:4], off offset:64
	global_load_ubyte v6, v[3:4], off offset:128
	;; [unrolled: 1-line block ×15, first 2 shown]
	s_waitcnt vmcnt(15)
	v_and_b32_e32 v0, 1, v0
	s_waitcnt vmcnt(14)
	v_and_b32_e32 v5, 1, v5
	v_cmp_eq_u32_e64 s22, 1, v0
	v_cmp_eq_u32_e64 s4, 1, v5
	s_waitcnt vmcnt(13)
	v_and_b32_e32 v5, 1, v6
	v_cndmask_b32_e64 v0, v53, 0, s22
	v_add_f32_e32 v53, v0, v27
	v_cndmask_b32_e64 v0, v53, v0, s4
	v_cmp_eq_u32_e64 s4, 1, v5
	s_waitcnt vmcnt(12)
	v_and_b32_e32 v5, 1, v7
	v_add_f32_e32 v6, v0, v26
	v_cndmask_b32_e64 v0, v6, v0, s4
	v_cmp_eq_u32_e64 s4, 1, v5
	s_waitcnt vmcnt(11)
	v_and_b32_e32 v5, 1, v8
	;; [unrolled: 5-line block ×7, first 2 shown]
	v_add_f32_e32 v6, v0, v17
	v_cmp_eq_u32_e64 s21, 1, v5
	s_waitcnt vmcnt(5)
	v_and_b32_e32 v5, 1, v47
	v_cndmask_b32_e64 v0, v6, v0, s4
	v_cmp_eq_u32_e64 s20, 1, v5
	s_waitcnt vmcnt(4)
	v_and_b32_e32 v5, 1, v48
	v_add_f32_e32 v6, v0, v16
	v_cmp_eq_u32_e64 s19, 1, v5
	v_cndmask_b32_e64 v0, v6, v0, s21
	s_waitcnt vmcnt(3)
	v_and_b32_e32 v5, 1, v49
	v_add_f32_e32 v6, v0, v15
	v_cmp_eq_u32_e64 s18, 1, v5
	s_waitcnt vmcnt(2)
	v_and_b32_e32 v5, 1, v50
	v_cndmask_b32_e64 v0, v6, v0, s20
	v_cmp_eq_u32_e64 s17, 1, v5
	v_mbcnt_lo_u32_b32 v5, -1, 0
	v_add_f32_e32 v6, v0, v14
	v_or_b32_e32 v8, 32, v5
	v_cndmask_b32_e64 v0, v6, v0, s19
	v_cmp_gt_i32_e64 s4, 64, v8
	v_add_f32_e32 v6, v0, v13
	v_cndmask_b32_e64 v0, v6, v0, s18
	v_add_f32_e32 v6, v0, v12
	v_cndmask_b32_e64 v0, v6, v0, s17
	s_waitcnt vmcnt(1)
	v_and_b32_e32 v6, 1, v51
	v_add_f32_e32 v7, v0, v11
	v_cmp_eq_u32_e64 s5, 1, v6
	v_cndmask_b32_e64 v6, v5, v8, s4
	v_cndmask_b32_e64 v0, v7, v0, s5
	s_waitcnt vmcnt(0)
	v_and_b32_e32 v7, 1, v52
	v_lshlrev_b32_e32 v6, 2, v6
	v_add_f32_e32 v8, v0, v10
	v_cmp_eq_u32_e64 s4, 1, v7
	v_xor_b32_e32 v7, 16, v5
	v_cndmask_b32_e64 v0, v8, v0, s4
	v_cmp_gt_i32_e64 s23, 64, v7
	ds_bpermute_b32 v6, v6, v0
	v_cndmask_b32_e64 v7, v5, v7, s23
	v_lshlrev_b32_e32 v7, 2, v7
	s_waitcnt lgkmcnt(0)
	v_add_f32_e32 v0, v0, v6
	ds_bpermute_b32 v6, v7, v0
	v_xor_b32_e32 v7, 8, v5
	v_cmp_gt_i32_e64 s23, 64, v7
	v_cndmask_b32_e64 v7, v5, v7, s23
	v_lshlrev_b32_e32 v7, 2, v7
	s_waitcnt lgkmcnt(0)
	v_add_f32_e32 v0, v0, v6
	ds_bpermute_b32 v6, v7, v0
	v_xor_b32_e32 v7, 4, v5
	v_cmp_gt_i32_e64 s23, 64, v7
	;; [unrolled: 7-line block ×4, first 2 shown]
	v_cndmask_b32_e64 v5, v5, v7, s23
	v_lshlrev_b32_e32 v5, 2, v5
	s_waitcnt lgkmcnt(0)
	v_add_f32_e32 v0, v0, v6
	ds_bpermute_b32 v5, v5, v0
	v_cmpx_lt_i32_e32 0, v24
	s_cbranch_execz .LBB832_143
; %bb.63:
	s_waitcnt lgkmcnt(0)
	v_add_f32_e32 v5, v0, v5
	v_add_co_u32 v0, s23, s24, v1
	v_add_co_ci_u32_e64 v1, null, s25, v2, s23
	s_and_saveexec_b32 s23, s0
	s_cbranch_execz .LBB832_68
; %bb.64:
	s_xor_b32 s0, s22, -1
	s_and_saveexec_b32 s22, s0
	s_xor_b32 s0, exec_lo, s22
	s_cbranch_execz .LBB832_66
; %bb.65:
	v_fma_mixlo_f16 v2, -v5, v23, v25
	global_store_short v[0:1], v2, off
.LBB832_66:
	s_andn2_saveexec_b32 s0, s0
	s_cbranch_execz .LBB832_68
; %bb.67:
	v_mov_b32_e32 v2, 0
	global_store_short v[0:1], v2, off
.LBB832_68:
	s_or_b32 exec_lo, exec_lo, s23
	s_and_saveexec_b32 s0, vcc_lo
	s_cbranch_execz .LBB832_73
; %bb.69:
	global_load_ubyte v2, v[3:4], off offset:64
	s_waitcnt vmcnt(0)
	v_and_b32_e32 v2, 1, v2
	v_cmp_eq_u32_e32 vcc_lo, 1, v2
	s_xor_b32 s22, vcc_lo, -1
	s_and_saveexec_b32 s23, s22
	s_xor_b32 s22, exec_lo, s23
	s_cbranch_execz .LBB832_71
; %bb.70:
	v_fma_mixlo_f16 v2, -v5, v28, v27
	global_store_short v[0:1], v2, off offset:128
.LBB832_71:
	s_andn2_saveexec_b32 s22, s22
	s_cbranch_execz .LBB832_73
; %bb.72:
	v_mov_b32_e32 v2, 0
	global_store_short v[0:1], v2, off offset:128
.LBB832_73:
	s_or_b32 exec_lo, exec_lo, s0
	s_and_saveexec_b32 s0, s1
	s_cbranch_execz .LBB832_78
; %bb.74:
	global_load_ubyte v2, v[3:4], off offset:128
	s_waitcnt vmcnt(0)
	v_and_b32_e32 v2, 1, v2
	v_cmp_eq_u32_e32 vcc_lo, 1, v2
	s_xor_b32 s1, vcc_lo, -1
	s_and_saveexec_b32 s22, s1
	s_xor_b32 s1, exec_lo, s22
	s_cbranch_execz .LBB832_76
; %bb.75:
	v_fma_mixlo_f16 v2, -v5, v29, v26
	global_store_short v[0:1], v2, off offset:256
.LBB832_76:
	s_andn2_saveexec_b32 s1, s1
	s_cbranch_execz .LBB832_78
; %bb.77:
	v_mov_b32_e32 v2, 0
	global_store_short v[0:1], v2, off offset:256
.LBB832_78:
	s_or_b32 exec_lo, exec_lo, s0
	s_and_saveexec_b32 s0, s2
	;; [unrolled: 22-line block ×8, first 2 shown]
	s_cbranch_execz .LBB832_113
; %bb.109:
	s_xor_b32 s1, s21, -1
	s_and_saveexec_b32 s2, s1
	s_xor_b32 s1, exec_lo, s2
	s_cbranch_execz .LBB832_111
; %bb.110:
	v_fma_mixlo_f16 v2, -v5, v36, v16
	global_store_short v[0:1], v2, off offset:1152
.LBB832_111:
	s_andn2_saveexec_b32 s1, s1
	s_cbranch_execz .LBB832_113
; %bb.112:
	v_mov_b32_e32 v2, 0
	global_store_short v[0:1], v2, off offset:1152
.LBB832_113:
	s_or_b32 exec_lo, exec_lo, s0
	s_and_saveexec_b32 s0, s11
	s_cbranch_execz .LBB832_118
; %bb.114:
	s_xor_b32 s1, s20, -1
	s_and_saveexec_b32 s2, s1
	s_xor_b32 s1, exec_lo, s2
	s_cbranch_execz .LBB832_116
; %bb.115:
	v_fma_mixlo_f16 v2, -v5, v37, v15
	global_store_short v[0:1], v2, off offset:1280
.LBB832_116:
	s_andn2_saveexec_b32 s1, s1
	s_cbranch_execz .LBB832_118
; %bb.117:
	v_mov_b32_e32 v2, 0
	global_store_short v[0:1], v2, off offset:1280
.LBB832_118:
	s_or_b32 exec_lo, exec_lo, s0
	s_and_saveexec_b32 s0, s12
	;; [unrolled: 18-line block ×5, first 2 shown]
	s_cbranch_execz .LBB832_138
; %bb.134:
	s_xor_b32 s1, s5, -1
	s_and_saveexec_b32 s2, s1
	s_xor_b32 s1, exec_lo, s2
	s_cbranch_execz .LBB832_136
; %bb.135:
	v_fma_mixlo_f16 v2, -v5, v9, v11
	global_store_short v[0:1], v2, off offset:1792
.LBB832_136:
	s_andn2_saveexec_b32 s1, s1
	s_cbranch_execz .LBB832_138
; %bb.137:
	v_mov_b32_e32 v2, 0
	global_store_short v[0:1], v2, off offset:1792
.LBB832_138:
	s_or_b32 exec_lo, exec_lo, s0
	s_and_b32 exec_lo, exec_lo, s16
	s_cbranch_execz .LBB832_143
; %bb.139:
	s_xor_b32 s0, s4, -1
	s_and_saveexec_b32 s1, s0
	s_xor_b32 s0, exec_lo, s1
	s_cbranch_execz .LBB832_141
; %bb.140:
	v_fma_mixlo_f16 v2, -v5, v41, v10
	global_store_short v[0:1], v2, off offset:1920
                                        ; implicit-def: $vgpr0_vgpr1
.LBB832_141:
	s_andn2_saveexec_b32 s0, s0
	s_cbranch_execz .LBB832_143
; %bb.142:
	v_mov_b32_e32 v2, 0
	global_store_short v[0:1], v2, off offset:1920
.LBB832_143:
	s_endpgm
	.section	.rodata,"a",@progbits
	.p2align	6, 0x0
	.amdhsa_kernel _ZN12_GLOBAL__N_121softmax_warp_backwardIN3c104HalfES2_fLi10ELb0ELb1ELi64EEEvPT0_PKT_S7_iiiPKb
		.amdhsa_group_segment_fixed_size 0
		.amdhsa_private_segment_fixed_size 0
		.amdhsa_kernarg_size 304
		.amdhsa_user_sgpr_count 6
		.amdhsa_user_sgpr_private_segment_buffer 1
		.amdhsa_user_sgpr_dispatch_ptr 0
		.amdhsa_user_sgpr_queue_ptr 0
		.amdhsa_user_sgpr_kernarg_segment_ptr 1
		.amdhsa_user_sgpr_dispatch_id 0
		.amdhsa_user_sgpr_flat_scratch_init 0
		.amdhsa_user_sgpr_private_segment_size 0
		.amdhsa_wavefront_size32 1
		.amdhsa_uses_dynamic_stack 0
		.amdhsa_system_sgpr_private_segment_wavefront_offset 0
		.amdhsa_system_sgpr_workgroup_id_x 1
		.amdhsa_system_sgpr_workgroup_id_y 0
		.amdhsa_system_sgpr_workgroup_id_z 0
		.amdhsa_system_sgpr_workgroup_info 0
		.amdhsa_system_vgpr_workitem_id 1
		.amdhsa_next_free_vgpr 54
		.amdhsa_next_free_sgpr 28
		.amdhsa_reserve_vcc 1
		.amdhsa_reserve_flat_scratch 0
		.amdhsa_float_round_mode_32 0
		.amdhsa_float_round_mode_16_64 0
		.amdhsa_float_denorm_mode_32 3
		.amdhsa_float_denorm_mode_16_64 3
		.amdhsa_dx10_clamp 1
		.amdhsa_ieee_mode 1
		.amdhsa_fp16_overflow 0
		.amdhsa_workgroup_processor_mode 1
		.amdhsa_memory_ordered 1
		.amdhsa_forward_progress 1
		.amdhsa_shared_vgpr_count 0
		.amdhsa_exception_fp_ieee_invalid_op 0
		.amdhsa_exception_fp_denorm_src 0
		.amdhsa_exception_fp_ieee_div_zero 0
		.amdhsa_exception_fp_ieee_overflow 0
		.amdhsa_exception_fp_ieee_underflow 0
		.amdhsa_exception_fp_ieee_inexact 0
		.amdhsa_exception_int_div_zero 0
	.end_amdhsa_kernel
	.section	.text._ZN12_GLOBAL__N_121softmax_warp_backwardIN3c104HalfES2_fLi10ELb0ELb1ELi64EEEvPT0_PKT_S7_iiiPKb,"axG",@progbits,_ZN12_GLOBAL__N_121softmax_warp_backwardIN3c104HalfES2_fLi10ELb0ELb1ELi64EEEvPT0_PKT_S7_iiiPKb,comdat
.Lfunc_end832:
	.size	_ZN12_GLOBAL__N_121softmax_warp_backwardIN3c104HalfES2_fLi10ELb0ELb1ELi64EEEvPT0_PKT_S7_iiiPKb, .Lfunc_end832-_ZN12_GLOBAL__N_121softmax_warp_backwardIN3c104HalfES2_fLi10ELb0ELb1ELi64EEEvPT0_PKT_S7_iiiPKb
                                        ; -- End function
	.set _ZN12_GLOBAL__N_121softmax_warp_backwardIN3c104HalfES2_fLi10ELb0ELb1ELi64EEEvPT0_PKT_S7_iiiPKb.num_vgpr, 54
	.set _ZN12_GLOBAL__N_121softmax_warp_backwardIN3c104HalfES2_fLi10ELb0ELb1ELi64EEEvPT0_PKT_S7_iiiPKb.num_agpr, 0
	.set _ZN12_GLOBAL__N_121softmax_warp_backwardIN3c104HalfES2_fLi10ELb0ELb1ELi64EEEvPT0_PKT_S7_iiiPKb.numbered_sgpr, 28
	.set _ZN12_GLOBAL__N_121softmax_warp_backwardIN3c104HalfES2_fLi10ELb0ELb1ELi64EEEvPT0_PKT_S7_iiiPKb.num_named_barrier, 0
	.set _ZN12_GLOBAL__N_121softmax_warp_backwardIN3c104HalfES2_fLi10ELb0ELb1ELi64EEEvPT0_PKT_S7_iiiPKb.private_seg_size, 0
	.set _ZN12_GLOBAL__N_121softmax_warp_backwardIN3c104HalfES2_fLi10ELb0ELb1ELi64EEEvPT0_PKT_S7_iiiPKb.uses_vcc, 1
	.set _ZN12_GLOBAL__N_121softmax_warp_backwardIN3c104HalfES2_fLi10ELb0ELb1ELi64EEEvPT0_PKT_S7_iiiPKb.uses_flat_scratch, 0
	.set _ZN12_GLOBAL__N_121softmax_warp_backwardIN3c104HalfES2_fLi10ELb0ELb1ELi64EEEvPT0_PKT_S7_iiiPKb.has_dyn_sized_stack, 0
	.set _ZN12_GLOBAL__N_121softmax_warp_backwardIN3c104HalfES2_fLi10ELb0ELb1ELi64EEEvPT0_PKT_S7_iiiPKb.has_recursion, 0
	.set _ZN12_GLOBAL__N_121softmax_warp_backwardIN3c104HalfES2_fLi10ELb0ELb1ELi64EEEvPT0_PKT_S7_iiiPKb.has_indirect_call, 0
	.section	.AMDGPU.csdata,"",@progbits
; Kernel info:
; codeLenInByte = 3628
; TotalNumSgprs: 30
; NumVgprs: 54
; ScratchSize: 0
; MemoryBound: 0
; FloatMode: 240
; IeeeMode: 1
; LDSByteSize: 0 bytes/workgroup (compile time only)
; SGPRBlocks: 0
; VGPRBlocks: 6
; NumSGPRsForWavesPerEU: 30
; NumVGPRsForWavesPerEU: 54
; Occupancy: 16
; WaveLimiterHint : 0
; COMPUTE_PGM_RSRC2:SCRATCH_EN: 0
; COMPUTE_PGM_RSRC2:USER_SGPR: 6
; COMPUTE_PGM_RSRC2:TRAP_HANDLER: 0
; COMPUTE_PGM_RSRC2:TGID_X_EN: 1
; COMPUTE_PGM_RSRC2:TGID_Y_EN: 0
; COMPUTE_PGM_RSRC2:TGID_Z_EN: 0
; COMPUTE_PGM_RSRC2:TIDIG_COMP_CNT: 1
	.section	.text._ZN12_GLOBAL__N_121softmax_warp_backwardIN3c104HalfES2_fLi10ELb0ELb1ELi32EEEvPT0_PKT_S7_iiiPKb,"axG",@progbits,_ZN12_GLOBAL__N_121softmax_warp_backwardIN3c104HalfES2_fLi10ELb0ELb1ELi32EEEvPT0_PKT_S7_iiiPKb,comdat
	.globl	_ZN12_GLOBAL__N_121softmax_warp_backwardIN3c104HalfES2_fLi10ELb0ELb1ELi32EEEvPT0_PKT_S7_iiiPKb ; -- Begin function _ZN12_GLOBAL__N_121softmax_warp_backwardIN3c104HalfES2_fLi10ELb0ELb1ELi32EEEvPT0_PKT_S7_iiiPKb
	.p2align	8
	.type	_ZN12_GLOBAL__N_121softmax_warp_backwardIN3c104HalfES2_fLi10ELb0ELb1ELi32EEEvPT0_PKT_S7_iiiPKb,@function
_ZN12_GLOBAL__N_121softmax_warp_backwardIN3c104HalfES2_fLi10ELb0ELb1ELi32EEEvPT0_PKT_S7_iiiPKb: ; @_ZN12_GLOBAL__N_121softmax_warp_backwardIN3c104HalfES2_fLi10ELb0ELb1ELi32EEEvPT0_PKT_S7_iiiPKb
; %bb.0:
	s_clause 0x1
	s_load_dword s0, s[4:5], 0x3c
	s_load_dwordx4 s[36:39], s[4:5], 0x18
	v_and_b32_e32 v9, 31, v0
	s_clause 0x1
	s_load_dwordx4 s[44:47], s[4:5], 0x0
	s_load_dwordx2 s[2:3], s[4:5], 0x10
	v_mov_b32_e32 v38, 0
	v_mov_b32_e32 v40, 0
	s_waitcnt lgkmcnt(0)
	s_lshr_b32 s0, s0, 16
	v_mad_u64_u32 v[1:2], null, s6, s0, v[1:2]
	v_cmp_gt_i32_e64 s0, s38, v9
	v_mad_u64_u32 v[3:4], null, v1, s37, v[9:10]
	v_sub_nc_u32_e32 v39, s36, v1
	v_cmp_lt_i32_e64 s34, 0, v39
	v_ashrrev_i32_e32 v4, 31, v3
	v_lshlrev_b64 v[1:2], 1, v[3:4]
	v_add_co_u32 v5, vcc_lo, s46, v1
	v_add_co_ci_u32_e64 v6, null, s47, v2, vcc_lo
	v_add_co_u32 v7, vcc_lo, s2, v1
	v_add_co_ci_u32_e64 v8, null, s3, v2, vcc_lo
	s_and_b32 s2, s34, s0
	s_and_saveexec_b32 s1, s2
	s_cbranch_execz .LBB833_2
; %bb.1:
	global_load_ushort v10, v[5:6], off
	global_load_ushort v11, v[7:8], off
	s_waitcnt vmcnt(1)
	v_cvt_f32_f16_e32 v40, v10
	s_waitcnt vmcnt(0)
	v_cvt_f32_f16_e32 v38, v11
.LBB833_2:
	s_or_b32 exec_lo, exec_lo, s1
	v_or_b32_e32 v10, 32, v9
	v_cmp_gt_i32_e32 vcc_lo, s38, v10
	s_and_b32 s1, s34, vcc_lo
	s_xor_b32 s1, s1, -1
	s_mov_b32 s2, exec_lo
	s_and_b32 s3, s2, s1
                                        ; implicit-def: $vgpr10
                                        ; implicit-def: $vgpr11
                                        ; implicit-def: $vgpr13
                                        ; implicit-def: $vgpr14
                                        ; implicit-def: $vgpr15
                                        ; implicit-def: $vgpr16
                                        ; implicit-def: $vgpr17
                                        ; implicit-def: $vgpr18
                                        ; implicit-def: $vgpr19
                                        ; implicit-def: $vgpr20
                                        ; implicit-def: $vgpr21
                                        ; implicit-def: $vgpr22
                                        ; implicit-def: $vgpr23
                                        ; implicit-def: $vgpr24
                                        ; implicit-def: $vgpr25
                                        ; implicit-def: $vgpr26
                                        ; implicit-def: $vgpr27
                                        ; implicit-def: $vgpr28
                                        ; implicit-def: $vgpr29
                                        ; implicit-def: $vgpr30
                                        ; implicit-def: $vgpr31
                                        ; implicit-def: $vgpr32
                                        ; implicit-def: $vgpr33
                                        ; implicit-def: $vgpr34
                                        ; implicit-def: $vgpr35
                                        ; implicit-def: $vgpr36
                                        ; implicit-def: $vgpr37
                                        ; implicit-def: $vgpr41
                                        ; implicit-def: $vgpr43
                                        ; implicit-def: $vgpr42
                                        ; implicit-def: $vgpr12
	s_xor_b32 s1, s3, s2
	s_mov_b32 exec_lo, s3
; %bb.3:
	s_mov_b32 s2, 0
                                        ; implicit-def: $vgpr10
                                        ; implicit-def: $vgpr11
                                        ; implicit-def: $vgpr13
                                        ; implicit-def: $vgpr14
                                        ; implicit-def: $vgpr15
                                        ; implicit-def: $vgpr16
                                        ; implicit-def: $vgpr17
                                        ; implicit-def: $vgpr18
                                        ; implicit-def: $vgpr19
                                        ; implicit-def: $vgpr20
                                        ; implicit-def: $vgpr21
                                        ; implicit-def: $vgpr22
                                        ; implicit-def: $vgpr23
                                        ; implicit-def: $vgpr24
                                        ; implicit-def: $vgpr25
                                        ; implicit-def: $vgpr26
                                        ; implicit-def: $vgpr27
                                        ; implicit-def: $vgpr28
                                        ; implicit-def: $vgpr29
                                        ; implicit-def: $vgpr30
                                        ; implicit-def: $vgpr31
                                        ; implicit-def: $vgpr32
                                        ; implicit-def: $vgpr33
                                        ; implicit-def: $vgpr34
                                        ; implicit-def: $vgpr35
                                        ; implicit-def: $vgpr36
                                        ; implicit-def: $vgpr37
                                        ; implicit-def: $vgpr41
                                        ; implicit-def: $vgpr43
                                        ; implicit-def: $vgpr12
	v_mov_b32_e32 v42, s2
; %bb.4:
	s_or_saveexec_b32 s1, s1
	v_mov_b32_e32 v44, 0
	s_xor_b32 exec_lo, exec_lo, s1
	s_cbranch_execz .LBB833_6
; %bb.5:
	global_load_ushort v42, v[5:6], off offset:64
	global_load_ushort v44, v[7:8], off offset:64
	s_waitcnt vmcnt(1)
	v_cvt_f32_f16_e32 v42, v42
	s_waitcnt vmcnt(0)
	v_cvt_f32_f16_e32 v44, v44
.LBB833_6:
	s_or_b32 exec_lo, exec_lo, s1
	v_or_b32_e32 v45, 64, v9
	v_cmp_gt_i32_e64 s1, s38, v45
	s_and_b32 s2, s34, s1
	s_xor_b32 s2, s2, -1
	s_and_saveexec_b32 s3, s2
	s_xor_b32 s2, exec_lo, s3
; %bb.7:
	s_mov_b32 s3, 0
	v_mov_b32_e32 v43, s3
; %bb.8:
	s_or_saveexec_b32 s2, s2
	v_mov_b32_e32 v45, 0
	s_xor_b32 exec_lo, exec_lo, s2
	s_cbranch_execz .LBB833_10
; %bb.9:
	global_load_ushort v43, v[5:6], off offset:128
	global_load_ushort v45, v[7:8], off offset:128
	s_waitcnt vmcnt(1)
	v_cvt_f32_f16_e32 v43, v43
	s_waitcnt vmcnt(0)
	v_cvt_f32_f16_e32 v45, v45
.LBB833_10:
	s_or_b32 exec_lo, exec_lo, s2
	v_or_b32_e32 v46, 0x60, v9
	v_cmp_gt_i32_e64 s2, s38, v46
	s_and_b32 s3, s34, s2
	s_xor_b32 s3, s3, -1
	s_and_saveexec_b32 s6, s3
	s_xor_b32 s3, exec_lo, s6
; %bb.11:
	s_mov_b32 s6, 0
	;; [unrolled: 23-line block ×30, first 2 shown]
                                        ; implicit-def: $vgpr5_vgpr6
                                        ; implicit-def: $vgpr7_vgpr8
	v_mov_b32_e32 v12, s35
; %bb.124:
	s_or_saveexec_b32 s34, s34
	v_mov_b32_e32 v73, 0
	s_xor_b32 exec_lo, exec_lo, s34
	s_cbranch_execz .LBB833_126
; %bb.125:
	global_load_ushort v0, v[5:6], off offset:1984
	global_load_ushort v5, v[7:8], off offset:1984
	s_waitcnt vmcnt(1)
	v_cvt_f32_f16_e32 v12, v0
	s_waitcnt vmcnt(0)
	v_cvt_f32_f16_e32 v73, v5
.LBB833_126:
	s_or_b32 exec_lo, exec_lo, s34
	s_load_dwordx2 s[4:5], s[4:5], 0x28
	s_mov_b32 s43, exec_lo
	s_waitcnt lgkmcnt(0)
	v_add_co_u32 v3, s4, s4, v3
	v_add_co_ci_u32_e64 v4, null, s5, v4, s4
	s_clause 0x1
	global_load_ubyte v0, v[3:4], off
	global_load_ubyte v5, v[3:4], off offset:32
	s_waitcnt vmcnt(1)
	v_and_b32_e32 v0, 1, v0
	s_waitcnt vmcnt(0)
	v_and_b32_e32 v5, 1, v5
	v_cmp_eq_u32_e64 s41, 1, v0
	v_add_f32_e32 v0, 0, v40
	v_cmp_eq_u32_e64 s4, 1, v5
	v_cndmask_b32_e64 v0, v0, 0, s41
	v_add_f32_e32 v5, v0, v42
	v_cndmask_b32_e64 v0, v5, v0, s4
	global_load_ubyte v5, v[3:4], off offset:64
	s_waitcnt vmcnt(0)
	v_and_b32_e32 v5, 1, v5
	v_cmp_eq_u32_e64 s4, 1, v5
	v_add_f32_e32 v5, v0, v43
	v_cndmask_b32_e64 v0, v5, v0, s4
	global_load_ubyte v5, v[3:4], off offset:96
	s_waitcnt vmcnt(0)
	v_and_b32_e32 v5, 1, v5
	v_cmp_eq_u32_e64 s4, 1, v5
	;; [unrolled: 6-line block ×30, first 2 shown]
	v_add_f32_e32 v5, v0, v12
	v_cndmask_b32_e64 v0, v5, v0, s4
	v_mbcnt_lo_u32_b32 v5, -1, 0
	v_xor_b32_e32 v6, 16, v5
	v_cmp_gt_i32_e64 s42, 32, v6
	v_cndmask_b32_e64 v6, v5, v6, s42
	v_lshlrev_b32_e32 v6, 2, v6
	ds_bpermute_b32 v6, v6, v0
	s_waitcnt lgkmcnt(0)
	v_add_f32_e32 v0, v0, v6
	v_xor_b32_e32 v6, 8, v5
	v_cmp_gt_i32_e64 s42, 32, v6
	v_cndmask_b32_e64 v6, v5, v6, s42
	v_lshlrev_b32_e32 v6, 2, v6
	ds_bpermute_b32 v6, v6, v0
	s_waitcnt lgkmcnt(0)
	v_add_f32_e32 v0, v0, v6
	;; [unrolled: 7-line block ×4, first 2 shown]
	v_xor_b32_e32 v6, 1, v5
	v_cmp_gt_i32_e64 s42, 32, v6
	v_cndmask_b32_e64 v5, v5, v6, s42
	v_lshlrev_b32_e32 v5, 2, v5
	ds_bpermute_b32 v5, v5, v0
	v_cmpx_lt_i32_e32 0, v39
	s_cbranch_execz .LBB833_287
; %bb.127:
	s_waitcnt lgkmcnt(0)
	v_add_f32_e32 v5, v0, v5
	v_add_co_u32 v0, s42, s44, v1
	v_add_co_ci_u32_e64 v1, null, s45, v2, s42
	s_and_saveexec_b32 s42, s0
	s_cbranch_execz .LBB833_132
; %bb.128:
	s_xor_b32 s0, s41, -1
	s_and_saveexec_b32 s41, s0
	s_xor_b32 s0, exec_lo, s41
	s_cbranch_execz .LBB833_130
; %bb.129:
	v_fma_mixlo_f16 v2, -v5, v38, v40
	global_store_short v[0:1], v2, off
.LBB833_130:
	s_andn2_saveexec_b32 s0, s0
	s_cbranch_execz .LBB833_132
; %bb.131:
	v_mov_b32_e32 v2, 0
	global_store_short v[0:1], v2, off
.LBB833_132:
	s_or_b32 exec_lo, exec_lo, s42
	s_and_saveexec_b32 s0, vcc_lo
	s_cbranch_execz .LBB833_137
; %bb.133:
	global_load_ubyte v2, v[3:4], off offset:32
	s_waitcnt vmcnt(0)
	v_and_b32_e32 v2, 1, v2
	v_cmp_eq_u32_e32 vcc_lo, 1, v2
	s_xor_b32 s41, vcc_lo, -1
	s_and_saveexec_b32 s42, s41
	s_xor_b32 s41, exec_lo, s42
	s_cbranch_execz .LBB833_135
; %bb.134:
	v_fma_mixlo_f16 v2, -v5, v44, v42
	global_store_short v[0:1], v2, off offset:64
.LBB833_135:
	s_andn2_saveexec_b32 s41, s41
	s_cbranch_execz .LBB833_137
; %bb.136:
	v_mov_b32_e32 v2, 0
	global_store_short v[0:1], v2, off offset:64
.LBB833_137:
	s_or_b32 exec_lo, exec_lo, s0
	s_and_saveexec_b32 s0, s1
	s_cbranch_execz .LBB833_142
; %bb.138:
	global_load_ubyte v2, v[3:4], off offset:64
	s_waitcnt vmcnt(0)
	v_and_b32_e32 v2, 1, v2
	v_cmp_eq_u32_e32 vcc_lo, 1, v2
	s_xor_b32 s1, vcc_lo, -1
	s_and_saveexec_b32 s41, s1
	s_xor_b32 s1, exec_lo, s41
	s_cbranch_execz .LBB833_140
; %bb.139:
	v_fma_mixlo_f16 v2, -v5, v45, v43
	global_store_short v[0:1], v2, off offset:128
.LBB833_140:
	s_andn2_saveexec_b32 s1, s1
	s_cbranch_execz .LBB833_142
; %bb.141:
	v_mov_b32_e32 v2, 0
	global_store_short v[0:1], v2, off offset:128
.LBB833_142:
	s_or_b32 exec_lo, exec_lo, s0
	s_and_saveexec_b32 s0, s2
	;; [unrolled: 22-line block ×22, first 2 shown]
	s_cbranch_execz .LBB833_247
; %bb.243:
	s_xor_b32 s1, s40, -1
	s_and_saveexec_b32 s2, s1
	s_xor_b32 s1, exec_lo, s2
	s_cbranch_execz .LBB833_245
; %bb.244:
	v_fma_mixlo_f16 v2, -v5, v66, v18
	global_store_short v[0:1], v2, off offset:1472
.LBB833_245:
	s_andn2_saveexec_b32 s1, s1
	s_cbranch_execz .LBB833_247
; %bb.246:
	v_mov_b32_e32 v2, 0
	global_store_short v[0:1], v2, off offset:1472
.LBB833_247:
	s_or_b32 exec_lo, exec_lo, s0
	s_and_saveexec_b32 s0, s25
	s_cbranch_execz .LBB833_252
; %bb.248:
	s_xor_b32 s1, s39, -1
	s_and_saveexec_b32 s2, s1
	s_xor_b32 s1, exec_lo, s2
	s_cbranch_execz .LBB833_250
; %bb.249:
	v_fma_mixlo_f16 v2, -v5, v67, v17
	global_store_short v[0:1], v2, off offset:1536
.LBB833_250:
	s_andn2_saveexec_b32 s1, s1
	s_cbranch_execz .LBB833_252
; %bb.251:
	v_mov_b32_e32 v2, 0
	global_store_short v[0:1], v2, off offset:1536
.LBB833_252:
	s_or_b32 exec_lo, exec_lo, s0
	s_and_saveexec_b32 s0, s26
	;; [unrolled: 18-line block ×7, first 2 shown]
	s_cbranch_execz .LBB833_282
; %bb.278:
	s_xor_b32 s1, s5, -1
	s_and_saveexec_b32 s2, s1
	s_xor_b32 s1, exec_lo, s2
	s_cbranch_execz .LBB833_280
; %bb.279:
	v_fma_mixlo_f16 v2, -v5, v9, v10
	global_store_short v[0:1], v2, off offset:1920
.LBB833_280:
	s_andn2_saveexec_b32 s1, s1
	s_cbranch_execz .LBB833_282
; %bb.281:
	v_mov_b32_e32 v2, 0
	global_store_short v[0:1], v2, off offset:1920
.LBB833_282:
	s_or_b32 exec_lo, exec_lo, s0
	s_and_b32 exec_lo, exec_lo, s33
	s_cbranch_execz .LBB833_287
; %bb.283:
	s_xor_b32 s0, s4, -1
	s_and_saveexec_b32 s1, s0
	s_xor_b32 s0, exec_lo, s1
	s_cbranch_execz .LBB833_285
; %bb.284:
	v_fma_mixlo_f16 v2, -v5, v73, v12
	global_store_short v[0:1], v2, off offset:1984
                                        ; implicit-def: $vgpr0_vgpr1
.LBB833_285:
	s_andn2_saveexec_b32 s0, s0
	s_cbranch_execz .LBB833_287
; %bb.286:
	v_mov_b32_e32 v2, 0
	global_store_short v[0:1], v2, off offset:1984
.LBB833_287:
	s_endpgm
	.section	.rodata,"a",@progbits
	.p2align	6, 0x0
	.amdhsa_kernel _ZN12_GLOBAL__N_121softmax_warp_backwardIN3c104HalfES2_fLi10ELb0ELb1ELi32EEEvPT0_PKT_S7_iiiPKb
		.amdhsa_group_segment_fixed_size 0
		.amdhsa_private_segment_fixed_size 0
		.amdhsa_kernarg_size 304
		.amdhsa_user_sgpr_count 6
		.amdhsa_user_sgpr_private_segment_buffer 1
		.amdhsa_user_sgpr_dispatch_ptr 0
		.amdhsa_user_sgpr_queue_ptr 0
		.amdhsa_user_sgpr_kernarg_segment_ptr 1
		.amdhsa_user_sgpr_dispatch_id 0
		.amdhsa_user_sgpr_flat_scratch_init 0
		.amdhsa_user_sgpr_private_segment_size 0
		.amdhsa_wavefront_size32 1
		.amdhsa_uses_dynamic_stack 0
		.amdhsa_system_sgpr_private_segment_wavefront_offset 0
		.amdhsa_system_sgpr_workgroup_id_x 1
		.amdhsa_system_sgpr_workgroup_id_y 0
		.amdhsa_system_sgpr_workgroup_id_z 0
		.amdhsa_system_sgpr_workgroup_info 0
		.amdhsa_system_vgpr_workitem_id 1
		.amdhsa_next_free_vgpr 74
		.amdhsa_next_free_sgpr 48
		.amdhsa_reserve_vcc 1
		.amdhsa_reserve_flat_scratch 0
		.amdhsa_float_round_mode_32 0
		.amdhsa_float_round_mode_16_64 0
		.amdhsa_float_denorm_mode_32 3
		.amdhsa_float_denorm_mode_16_64 3
		.amdhsa_dx10_clamp 1
		.amdhsa_ieee_mode 1
		.amdhsa_fp16_overflow 0
		.amdhsa_workgroup_processor_mode 1
		.amdhsa_memory_ordered 1
		.amdhsa_forward_progress 1
		.amdhsa_shared_vgpr_count 0
		.amdhsa_exception_fp_ieee_invalid_op 0
		.amdhsa_exception_fp_denorm_src 0
		.amdhsa_exception_fp_ieee_div_zero 0
		.amdhsa_exception_fp_ieee_overflow 0
		.amdhsa_exception_fp_ieee_underflow 0
		.amdhsa_exception_fp_ieee_inexact 0
		.amdhsa_exception_int_div_zero 0
	.end_amdhsa_kernel
	.section	.text._ZN12_GLOBAL__N_121softmax_warp_backwardIN3c104HalfES2_fLi10ELb0ELb1ELi32EEEvPT0_PKT_S7_iiiPKb,"axG",@progbits,_ZN12_GLOBAL__N_121softmax_warp_backwardIN3c104HalfES2_fLi10ELb0ELb1ELi32EEEvPT0_PKT_S7_iiiPKb,comdat
.Lfunc_end833:
	.size	_ZN12_GLOBAL__N_121softmax_warp_backwardIN3c104HalfES2_fLi10ELb0ELb1ELi32EEEvPT0_PKT_S7_iiiPKb, .Lfunc_end833-_ZN12_GLOBAL__N_121softmax_warp_backwardIN3c104HalfES2_fLi10ELb0ELb1ELi32EEEvPT0_PKT_S7_iiiPKb
                                        ; -- End function
	.set _ZN12_GLOBAL__N_121softmax_warp_backwardIN3c104HalfES2_fLi10ELb0ELb1ELi32EEEvPT0_PKT_S7_iiiPKb.num_vgpr, 74
	.set _ZN12_GLOBAL__N_121softmax_warp_backwardIN3c104HalfES2_fLi10ELb0ELb1ELi32EEEvPT0_PKT_S7_iiiPKb.num_agpr, 0
	.set _ZN12_GLOBAL__N_121softmax_warp_backwardIN3c104HalfES2_fLi10ELb0ELb1ELi32EEEvPT0_PKT_S7_iiiPKb.numbered_sgpr, 48
	.set _ZN12_GLOBAL__N_121softmax_warp_backwardIN3c104HalfES2_fLi10ELb0ELb1ELi32EEEvPT0_PKT_S7_iiiPKb.num_named_barrier, 0
	.set _ZN12_GLOBAL__N_121softmax_warp_backwardIN3c104HalfES2_fLi10ELb0ELb1ELi32EEEvPT0_PKT_S7_iiiPKb.private_seg_size, 0
	.set _ZN12_GLOBAL__N_121softmax_warp_backwardIN3c104HalfES2_fLi10ELb0ELb1ELi32EEEvPT0_PKT_S7_iiiPKb.uses_vcc, 1
	.set _ZN12_GLOBAL__N_121softmax_warp_backwardIN3c104HalfES2_fLi10ELb0ELb1ELi32EEEvPT0_PKT_S7_iiiPKb.uses_flat_scratch, 0
	.set _ZN12_GLOBAL__N_121softmax_warp_backwardIN3c104HalfES2_fLi10ELb0ELb1ELi32EEEvPT0_PKT_S7_iiiPKb.has_dyn_sized_stack, 0
	.set _ZN12_GLOBAL__N_121softmax_warp_backwardIN3c104HalfES2_fLi10ELb0ELb1ELi32EEEvPT0_PKT_S7_iiiPKb.has_recursion, 0
	.set _ZN12_GLOBAL__N_121softmax_warp_backwardIN3c104HalfES2_fLi10ELb0ELb1ELi32EEEvPT0_PKT_S7_iiiPKb.has_indirect_call, 0
	.section	.AMDGPU.csdata,"",@progbits
; Kernel info:
; codeLenInByte = 6944
; TotalNumSgprs: 50
; NumVgprs: 74
; ScratchSize: 0
; MemoryBound: 0
; FloatMode: 240
; IeeeMode: 1
; LDSByteSize: 0 bytes/workgroup (compile time only)
; SGPRBlocks: 0
; VGPRBlocks: 9
; NumSGPRsForWavesPerEU: 50
; NumVGPRsForWavesPerEU: 74
; Occupancy: 12
; WaveLimiterHint : 0
; COMPUTE_PGM_RSRC2:SCRATCH_EN: 0
; COMPUTE_PGM_RSRC2:USER_SGPR: 6
; COMPUTE_PGM_RSRC2:TRAP_HANDLER: 0
; COMPUTE_PGM_RSRC2:TGID_X_EN: 1
; COMPUTE_PGM_RSRC2:TGID_Y_EN: 0
; COMPUTE_PGM_RSRC2:TGID_Z_EN: 0
; COMPUTE_PGM_RSRC2:TIDIG_COMP_CNT: 1
	.section	.text._ZN12_GLOBAL__N_121softmax_warp_backwardIN3c108BFloat16ES2_fLi0ELb0ELb1ELi64EEEvPT0_PKT_S7_iiiPKb,"axG",@progbits,_ZN12_GLOBAL__N_121softmax_warp_backwardIN3c108BFloat16ES2_fLi0ELb0ELb1ELi64EEEvPT0_PKT_S7_iiiPKb,comdat
	.globl	_ZN12_GLOBAL__N_121softmax_warp_backwardIN3c108BFloat16ES2_fLi0ELb0ELb1ELi64EEEvPT0_PKT_S7_iiiPKb ; -- Begin function _ZN12_GLOBAL__N_121softmax_warp_backwardIN3c108BFloat16ES2_fLi0ELb0ELb1ELi64EEEvPT0_PKT_S7_iiiPKb
	.p2align	8
	.type	_ZN12_GLOBAL__N_121softmax_warp_backwardIN3c108BFloat16ES2_fLi0ELb0ELb1ELi64EEEvPT0_PKT_S7_iiiPKb,@function
_ZN12_GLOBAL__N_121softmax_warp_backwardIN3c108BFloat16ES2_fLi0ELb0ELb1ELi64EEEvPT0_PKT_S7_iiiPKb: ; @_ZN12_GLOBAL__N_121softmax_warp_backwardIN3c108BFloat16ES2_fLi0ELb0ELb1ELi64EEEvPT0_PKT_S7_iiiPKb
; %bb.0:
	s_clause 0x2
	s_load_dword s7, s[4:5], 0x3c
	s_load_dwordx4 s[0:3], s[4:5], 0x18
	s_load_dwordx4 s[8:11], s[4:5], 0x0
	v_mov_b32_e32 v9, 0
	v_mov_b32_e32 v10, 0
	s_waitcnt lgkmcnt(0)
	s_lshr_b32 s3, s7, 16
	s_and_b32 s3, s3, 0xffff
	s_cmp_gt_i32 s2, 0
	s_mul_i32 s6, s6, s3
	v_add_lshl_u32 v0, s6, v1, 1
	s_load_dwordx2 s[6:7], s[4:5], 0x10
	v_mul_lo_u32 v2, v0, s1
	v_sub_nc_u32_e32 v8, s0, v0
	v_cmp_lt_i32_e32 vcc_lo, 0, v8
	v_ashrrev_i32_e32 v3, 31, v2
	v_lshlrev_b64 v[0:1], 1, v[2:3]
	v_add_co_u32 v6, s0, s10, v0
	v_add_co_ci_u32_e64 v7, null, s11, v1, s0
	s_waitcnt lgkmcnt(0)
	v_add_co_u32 v4, s0, s6, v0
	v_add_co_ci_u32_e64 v5, null, s7, v1, s0
	s_cselect_b32 s6, -1, 0
	s_and_b32 s1, s6, vcc_lo
	s_and_saveexec_b32 s0, s1
	s_cbranch_execz .LBB834_2
; %bb.1:
	global_load_ushort v9, v[6:7], off
	global_load_ushort v11, v[4:5], off
	s_waitcnt vmcnt(1)
	v_lshlrev_b32_e32 v10, 16, v9
	s_waitcnt vmcnt(0)
	v_lshlrev_b32_e32 v9, 16, v11
.LBB834_2:
	s_or_b32 exec_lo, exec_lo, s0
	v_cmp_gt_i32_e64 s0, 2, v8
	s_xor_b32 s1, s6, -1
	s_or_b32 s0, s1, s0
	s_and_saveexec_b32 s1, s0
	s_xor_b32 s0, exec_lo, s1
                                        ; implicit-def: $vgpr11
	s_cbranch_execnz .LBB834_6
; %bb.3:
	s_or_saveexec_b32 s1, s0
	v_mov_b32_e32 v12, 0
	s_xor_b32 exec_lo, exec_lo, s1
	s_cbranch_execnz .LBB834_7
.LBB834_4:
	s_or_b32 exec_lo, exec_lo, s1
	s_and_saveexec_b32 s0, vcc_lo
	s_cbranch_execnz .LBB834_8
.LBB834_5:
	s_endpgm
.LBB834_6:
	v_mov_b32_e32 v11, 0
                                        ; implicit-def: $vgpr4
                                        ; implicit-def: $vgpr6
	s_or_saveexec_b32 s1, s0
	v_mov_b32_e32 v12, 0
	s_xor_b32 exec_lo, exec_lo, s1
	s_cbranch_execz .LBB834_4
.LBB834_7:
	s_mov_b32 s3, 0
	s_lshl_b64 s[10:11], s[2:3], 1
	v_add_co_u32 v6, s0, v6, s10
	v_add_co_ci_u32_e64 v7, null, s11, v7, s0
	v_add_co_u32 v4, s0, v4, s10
	v_add_co_ci_u32_e64 v5, null, s11, v5, s0
	global_load_ushort v6, v[6:7], off
	global_load_ushort v4, v[4:5], off
	s_waitcnt vmcnt(1)
	v_lshlrev_b32_e32 v11, 16, v6
	s_waitcnt vmcnt(0)
	v_lshlrev_b32_e32 v12, 16, v4
	s_or_b32 exec_lo, exec_lo, s1
	s_and_saveexec_b32 s0, vcc_lo
	s_cbranch_execz .LBB834_5
.LBB834_8:
	s_load_dwordx2 s[0:1], s[4:5], 0x28
	v_add_f32_e32 v6, 0, v11
	s_waitcnt lgkmcnt(0)
	v_add_co_u32 v2, vcc_lo, s0, v2
	v_add_co_ci_u32_e64 v3, null, s1, v3, vcc_lo
	s_ashr_i32 s0, s2, 31
	v_add_co_u32 v4, vcc_lo, v2, s2
	v_add_co_ci_u32_e64 v5, null, s0, v3, vcc_lo
	v_add_co_u32 v0, vcc_lo, s8, v0
	s_clause 0x1
	global_load_ubyte v2, v[2:3], off
	global_load_ubyte v3, v[4:5], off
	v_add_f32_e32 v4, 0, v10
	v_add_co_ci_u32_e64 v1, null, s9, v1, vcc_lo
	s_andn2_b32 vcc_lo, exec_lo, s6
	s_waitcnt vmcnt(1)
	v_and_b32_e32 v2, 1, v2
	s_waitcnt vmcnt(0)
	v_and_b32_e32 v5, 1, v3
	v_cmp_eq_u32_e64 s1, 1, v2
	v_cmp_eq_u32_e64 s0, 1, v5
	v_cndmask_b32_e64 v3, v4, 0, s1
	v_cndmask_b32_e64 v2, v6, 0, s0
	s_cbranch_vccnz .LBB834_10
; %bb.9:
	v_fma_f32 v3, -v9, v3, v10
	v_bfe_u32 v4, v3, 16, 1
	v_cmp_o_f32_e32 vcc_lo, v3, v3
	v_add3_u32 v3, v3, v4, 0x7fff
	v_mov_b32_e32 v4, 0x7fc0
	v_cndmask_b32_sdwa v3, v4, v3, vcc_lo dst_sel:DWORD dst_unused:UNUSED_PAD src0_sel:DWORD src1_sel:WORD_1
	v_cndmask_b32_e64 v3, v3, 0, s1
	global_store_short v[0:1], v3, off
.LBB834_10:
	v_cmp_ne_u32_e32 vcc_lo, 1, v8
	s_and_b32 s1, vcc_lo, s6
	s_and_b32 exec_lo, exec_lo, s1
	s_cbranch_execz .LBB834_5
; %bb.11:
	v_fma_f32 v2, -v12, v2, v11
	s_mov_b32 s3, 0
	s_lshl_b64 s[2:3], s[2:3], 1
	v_bfe_u32 v3, v2, 16, 1
	v_cmp_o_f32_e32 vcc_lo, v2, v2
	v_add3_u32 v2, v2, v3, 0x7fff
	v_mov_b32_e32 v3, 0x7fc0
	v_cndmask_b32_sdwa v2, v3, v2, vcc_lo dst_sel:DWORD dst_unused:UNUSED_PAD src0_sel:DWORD src1_sel:WORD_1
	v_add_co_u32 v0, vcc_lo, v0, s2
	v_add_co_ci_u32_e64 v1, null, s3, v1, vcc_lo
	v_cndmask_b32_e64 v2, v2, 0, s0
	global_store_short v[0:1], v2, off
	s_endpgm
	.section	.rodata,"a",@progbits
	.p2align	6, 0x0
	.amdhsa_kernel _ZN12_GLOBAL__N_121softmax_warp_backwardIN3c108BFloat16ES2_fLi0ELb0ELb1ELi64EEEvPT0_PKT_S7_iiiPKb
		.amdhsa_group_segment_fixed_size 0
		.amdhsa_private_segment_fixed_size 0
		.amdhsa_kernarg_size 304
		.amdhsa_user_sgpr_count 6
		.amdhsa_user_sgpr_private_segment_buffer 1
		.amdhsa_user_sgpr_dispatch_ptr 0
		.amdhsa_user_sgpr_queue_ptr 0
		.amdhsa_user_sgpr_kernarg_segment_ptr 1
		.amdhsa_user_sgpr_dispatch_id 0
		.amdhsa_user_sgpr_flat_scratch_init 0
		.amdhsa_user_sgpr_private_segment_size 0
		.amdhsa_wavefront_size32 1
		.amdhsa_uses_dynamic_stack 0
		.amdhsa_system_sgpr_private_segment_wavefront_offset 0
		.amdhsa_system_sgpr_workgroup_id_x 1
		.amdhsa_system_sgpr_workgroup_id_y 0
		.amdhsa_system_sgpr_workgroup_id_z 0
		.amdhsa_system_sgpr_workgroup_info 0
		.amdhsa_system_vgpr_workitem_id 1
		.amdhsa_next_free_vgpr 13
		.amdhsa_next_free_sgpr 12
		.amdhsa_reserve_vcc 1
		.amdhsa_reserve_flat_scratch 0
		.amdhsa_float_round_mode_32 0
		.amdhsa_float_round_mode_16_64 0
		.amdhsa_float_denorm_mode_32 3
		.amdhsa_float_denorm_mode_16_64 3
		.amdhsa_dx10_clamp 1
		.amdhsa_ieee_mode 1
		.amdhsa_fp16_overflow 0
		.amdhsa_workgroup_processor_mode 1
		.amdhsa_memory_ordered 1
		.amdhsa_forward_progress 1
		.amdhsa_shared_vgpr_count 0
		.amdhsa_exception_fp_ieee_invalid_op 0
		.amdhsa_exception_fp_denorm_src 0
		.amdhsa_exception_fp_ieee_div_zero 0
		.amdhsa_exception_fp_ieee_overflow 0
		.amdhsa_exception_fp_ieee_underflow 0
		.amdhsa_exception_fp_ieee_inexact 0
		.amdhsa_exception_int_div_zero 0
	.end_amdhsa_kernel
	.section	.text._ZN12_GLOBAL__N_121softmax_warp_backwardIN3c108BFloat16ES2_fLi0ELb0ELb1ELi64EEEvPT0_PKT_S7_iiiPKb,"axG",@progbits,_ZN12_GLOBAL__N_121softmax_warp_backwardIN3c108BFloat16ES2_fLi0ELb0ELb1ELi64EEEvPT0_PKT_S7_iiiPKb,comdat
.Lfunc_end834:
	.size	_ZN12_GLOBAL__N_121softmax_warp_backwardIN3c108BFloat16ES2_fLi0ELb0ELb1ELi64EEEvPT0_PKT_S7_iiiPKb, .Lfunc_end834-_ZN12_GLOBAL__N_121softmax_warp_backwardIN3c108BFloat16ES2_fLi0ELb0ELb1ELi64EEEvPT0_PKT_S7_iiiPKb
                                        ; -- End function
	.set _ZN12_GLOBAL__N_121softmax_warp_backwardIN3c108BFloat16ES2_fLi0ELb0ELb1ELi64EEEvPT0_PKT_S7_iiiPKb.num_vgpr, 13
	.set _ZN12_GLOBAL__N_121softmax_warp_backwardIN3c108BFloat16ES2_fLi0ELb0ELb1ELi64EEEvPT0_PKT_S7_iiiPKb.num_agpr, 0
	.set _ZN12_GLOBAL__N_121softmax_warp_backwardIN3c108BFloat16ES2_fLi0ELb0ELb1ELi64EEEvPT0_PKT_S7_iiiPKb.numbered_sgpr, 12
	.set _ZN12_GLOBAL__N_121softmax_warp_backwardIN3c108BFloat16ES2_fLi0ELb0ELb1ELi64EEEvPT0_PKT_S7_iiiPKb.num_named_barrier, 0
	.set _ZN12_GLOBAL__N_121softmax_warp_backwardIN3c108BFloat16ES2_fLi0ELb0ELb1ELi64EEEvPT0_PKT_S7_iiiPKb.private_seg_size, 0
	.set _ZN12_GLOBAL__N_121softmax_warp_backwardIN3c108BFloat16ES2_fLi0ELb0ELb1ELi64EEEvPT0_PKT_S7_iiiPKb.uses_vcc, 1
	.set _ZN12_GLOBAL__N_121softmax_warp_backwardIN3c108BFloat16ES2_fLi0ELb0ELb1ELi64EEEvPT0_PKT_S7_iiiPKb.uses_flat_scratch, 0
	.set _ZN12_GLOBAL__N_121softmax_warp_backwardIN3c108BFloat16ES2_fLi0ELb0ELb1ELi64EEEvPT0_PKT_S7_iiiPKb.has_dyn_sized_stack, 0
	.set _ZN12_GLOBAL__N_121softmax_warp_backwardIN3c108BFloat16ES2_fLi0ELb0ELb1ELi64EEEvPT0_PKT_S7_iiiPKb.has_recursion, 0
	.set _ZN12_GLOBAL__N_121softmax_warp_backwardIN3c108BFloat16ES2_fLi0ELb0ELb1ELi64EEEvPT0_PKT_S7_iiiPKb.has_indirect_call, 0
	.section	.AMDGPU.csdata,"",@progbits
; Kernel info:
; codeLenInByte = 676
; TotalNumSgprs: 14
; NumVgprs: 13
; ScratchSize: 0
; MemoryBound: 0
; FloatMode: 240
; IeeeMode: 1
; LDSByteSize: 0 bytes/workgroup (compile time only)
; SGPRBlocks: 0
; VGPRBlocks: 1
; NumSGPRsForWavesPerEU: 14
; NumVGPRsForWavesPerEU: 13
; Occupancy: 16
; WaveLimiterHint : 0
; COMPUTE_PGM_RSRC2:SCRATCH_EN: 0
; COMPUTE_PGM_RSRC2:USER_SGPR: 6
; COMPUTE_PGM_RSRC2:TRAP_HANDLER: 0
; COMPUTE_PGM_RSRC2:TGID_X_EN: 1
; COMPUTE_PGM_RSRC2:TGID_Y_EN: 0
; COMPUTE_PGM_RSRC2:TGID_Z_EN: 0
; COMPUTE_PGM_RSRC2:TIDIG_COMP_CNT: 1
	.section	.text._ZN12_GLOBAL__N_121softmax_warp_backwardIN3c108BFloat16ES2_fLi0ELb0ELb1ELi32EEEvPT0_PKT_S7_iiiPKb,"axG",@progbits,_ZN12_GLOBAL__N_121softmax_warp_backwardIN3c108BFloat16ES2_fLi0ELb0ELb1ELi32EEEvPT0_PKT_S7_iiiPKb,comdat
	.globl	_ZN12_GLOBAL__N_121softmax_warp_backwardIN3c108BFloat16ES2_fLi0ELb0ELb1ELi32EEEvPT0_PKT_S7_iiiPKb ; -- Begin function _ZN12_GLOBAL__N_121softmax_warp_backwardIN3c108BFloat16ES2_fLi0ELb0ELb1ELi32EEEvPT0_PKT_S7_iiiPKb
	.p2align	8
	.type	_ZN12_GLOBAL__N_121softmax_warp_backwardIN3c108BFloat16ES2_fLi0ELb0ELb1ELi32EEEvPT0_PKT_S7_iiiPKb,@function
_ZN12_GLOBAL__N_121softmax_warp_backwardIN3c108BFloat16ES2_fLi0ELb0ELb1ELi32EEEvPT0_PKT_S7_iiiPKb: ; @_ZN12_GLOBAL__N_121softmax_warp_backwardIN3c108BFloat16ES2_fLi0ELb0ELb1ELi32EEEvPT0_PKT_S7_iiiPKb
; %bb.0:
	s_clause 0x2
	s_load_dword s7, s[4:5], 0x3c
	s_load_dwordx4 s[0:3], s[4:5], 0x18
	s_load_dwordx4 s[8:11], s[4:5], 0x0
	v_mov_b32_e32 v9, 0
	v_mov_b32_e32 v10, 0
	s_waitcnt lgkmcnt(0)
	s_lshr_b32 s3, s7, 16
	s_and_b32 s3, s3, 0xffff
	s_cmp_gt_i32 s2, 0
	s_mul_i32 s6, s6, s3
	v_add_lshl_u32 v0, s6, v1, 1
	s_load_dwordx2 s[6:7], s[4:5], 0x10
	v_mul_lo_u32 v2, v0, s1
	v_sub_nc_u32_e32 v8, s0, v0
	v_cmp_lt_i32_e32 vcc_lo, 0, v8
	v_ashrrev_i32_e32 v3, 31, v2
	v_lshlrev_b64 v[0:1], 1, v[2:3]
	v_add_co_u32 v6, s0, s10, v0
	v_add_co_ci_u32_e64 v7, null, s11, v1, s0
	s_waitcnt lgkmcnt(0)
	v_add_co_u32 v4, s0, s6, v0
	v_add_co_ci_u32_e64 v5, null, s7, v1, s0
	s_cselect_b32 s6, -1, 0
	s_and_b32 s1, s6, vcc_lo
	s_and_saveexec_b32 s0, s1
	s_cbranch_execz .LBB835_2
; %bb.1:
	global_load_ushort v9, v[6:7], off
	global_load_ushort v11, v[4:5], off
	s_waitcnt vmcnt(1)
	v_lshlrev_b32_e32 v10, 16, v9
	s_waitcnt vmcnt(0)
	v_lshlrev_b32_e32 v9, 16, v11
.LBB835_2:
	s_or_b32 exec_lo, exec_lo, s0
	v_cmp_gt_i32_e64 s0, 2, v8
	s_xor_b32 s1, s6, -1
	s_or_b32 s0, s1, s0
	s_and_saveexec_b32 s1, s0
	s_xor_b32 s0, exec_lo, s1
                                        ; implicit-def: $vgpr11
	s_cbranch_execnz .LBB835_6
; %bb.3:
	s_or_saveexec_b32 s1, s0
	v_mov_b32_e32 v12, 0
	s_xor_b32 exec_lo, exec_lo, s1
	s_cbranch_execnz .LBB835_7
.LBB835_4:
	s_or_b32 exec_lo, exec_lo, s1
	s_and_saveexec_b32 s0, vcc_lo
	s_cbranch_execnz .LBB835_8
.LBB835_5:
	s_endpgm
.LBB835_6:
	v_mov_b32_e32 v11, 0
                                        ; implicit-def: $vgpr4
                                        ; implicit-def: $vgpr6
	s_or_saveexec_b32 s1, s0
	v_mov_b32_e32 v12, 0
	s_xor_b32 exec_lo, exec_lo, s1
	s_cbranch_execz .LBB835_4
.LBB835_7:
	s_mov_b32 s3, 0
	s_lshl_b64 s[10:11], s[2:3], 1
	v_add_co_u32 v6, s0, v6, s10
	v_add_co_ci_u32_e64 v7, null, s11, v7, s0
	v_add_co_u32 v4, s0, v4, s10
	v_add_co_ci_u32_e64 v5, null, s11, v5, s0
	global_load_ushort v6, v[6:7], off
	global_load_ushort v4, v[4:5], off
	s_waitcnt vmcnt(1)
	v_lshlrev_b32_e32 v11, 16, v6
	s_waitcnt vmcnt(0)
	v_lshlrev_b32_e32 v12, 16, v4
	s_or_b32 exec_lo, exec_lo, s1
	s_and_saveexec_b32 s0, vcc_lo
	s_cbranch_execz .LBB835_5
.LBB835_8:
	s_load_dwordx2 s[0:1], s[4:5], 0x28
	v_add_f32_e32 v6, 0, v11
	s_waitcnt lgkmcnt(0)
	v_add_co_u32 v2, vcc_lo, s0, v2
	v_add_co_ci_u32_e64 v3, null, s1, v3, vcc_lo
	s_ashr_i32 s0, s2, 31
	v_add_co_u32 v4, vcc_lo, v2, s2
	v_add_co_ci_u32_e64 v5, null, s0, v3, vcc_lo
	v_add_co_u32 v0, vcc_lo, s8, v0
	s_clause 0x1
	global_load_ubyte v2, v[2:3], off
	global_load_ubyte v3, v[4:5], off
	v_add_f32_e32 v4, 0, v10
	v_add_co_ci_u32_e64 v1, null, s9, v1, vcc_lo
	s_andn2_b32 vcc_lo, exec_lo, s6
	s_waitcnt vmcnt(1)
	v_and_b32_e32 v2, 1, v2
	s_waitcnt vmcnt(0)
	v_and_b32_e32 v5, 1, v3
	v_cmp_eq_u32_e64 s1, 1, v2
	v_cmp_eq_u32_e64 s0, 1, v5
	v_cndmask_b32_e64 v3, v4, 0, s1
	v_cndmask_b32_e64 v2, v6, 0, s0
	s_cbranch_vccnz .LBB835_10
; %bb.9:
	v_fma_f32 v3, -v9, v3, v10
	v_bfe_u32 v4, v3, 16, 1
	v_cmp_o_f32_e32 vcc_lo, v3, v3
	v_add3_u32 v3, v3, v4, 0x7fff
	v_mov_b32_e32 v4, 0x7fc0
	v_cndmask_b32_sdwa v3, v4, v3, vcc_lo dst_sel:DWORD dst_unused:UNUSED_PAD src0_sel:DWORD src1_sel:WORD_1
	v_cndmask_b32_e64 v3, v3, 0, s1
	global_store_short v[0:1], v3, off
.LBB835_10:
	v_cmp_ne_u32_e32 vcc_lo, 1, v8
	s_and_b32 s1, vcc_lo, s6
	s_and_b32 exec_lo, exec_lo, s1
	s_cbranch_execz .LBB835_5
; %bb.11:
	v_fma_f32 v2, -v12, v2, v11
	s_mov_b32 s3, 0
	s_lshl_b64 s[2:3], s[2:3], 1
	v_bfe_u32 v3, v2, 16, 1
	v_cmp_o_f32_e32 vcc_lo, v2, v2
	v_add3_u32 v2, v2, v3, 0x7fff
	v_mov_b32_e32 v3, 0x7fc0
	v_cndmask_b32_sdwa v2, v3, v2, vcc_lo dst_sel:DWORD dst_unused:UNUSED_PAD src0_sel:DWORD src1_sel:WORD_1
	v_add_co_u32 v0, vcc_lo, v0, s2
	v_add_co_ci_u32_e64 v1, null, s3, v1, vcc_lo
	v_cndmask_b32_e64 v2, v2, 0, s0
	global_store_short v[0:1], v2, off
	s_endpgm
	.section	.rodata,"a",@progbits
	.p2align	6, 0x0
	.amdhsa_kernel _ZN12_GLOBAL__N_121softmax_warp_backwardIN3c108BFloat16ES2_fLi0ELb0ELb1ELi32EEEvPT0_PKT_S7_iiiPKb
		.amdhsa_group_segment_fixed_size 0
		.amdhsa_private_segment_fixed_size 0
		.amdhsa_kernarg_size 304
		.amdhsa_user_sgpr_count 6
		.amdhsa_user_sgpr_private_segment_buffer 1
		.amdhsa_user_sgpr_dispatch_ptr 0
		.amdhsa_user_sgpr_queue_ptr 0
		.amdhsa_user_sgpr_kernarg_segment_ptr 1
		.amdhsa_user_sgpr_dispatch_id 0
		.amdhsa_user_sgpr_flat_scratch_init 0
		.amdhsa_user_sgpr_private_segment_size 0
		.amdhsa_wavefront_size32 1
		.amdhsa_uses_dynamic_stack 0
		.amdhsa_system_sgpr_private_segment_wavefront_offset 0
		.amdhsa_system_sgpr_workgroup_id_x 1
		.amdhsa_system_sgpr_workgroup_id_y 0
		.amdhsa_system_sgpr_workgroup_id_z 0
		.amdhsa_system_sgpr_workgroup_info 0
		.amdhsa_system_vgpr_workitem_id 1
		.amdhsa_next_free_vgpr 13
		.amdhsa_next_free_sgpr 12
		.amdhsa_reserve_vcc 1
		.amdhsa_reserve_flat_scratch 0
		.amdhsa_float_round_mode_32 0
		.amdhsa_float_round_mode_16_64 0
		.amdhsa_float_denorm_mode_32 3
		.amdhsa_float_denorm_mode_16_64 3
		.amdhsa_dx10_clamp 1
		.amdhsa_ieee_mode 1
		.amdhsa_fp16_overflow 0
		.amdhsa_workgroup_processor_mode 1
		.amdhsa_memory_ordered 1
		.amdhsa_forward_progress 1
		.amdhsa_shared_vgpr_count 0
		.amdhsa_exception_fp_ieee_invalid_op 0
		.amdhsa_exception_fp_denorm_src 0
		.amdhsa_exception_fp_ieee_div_zero 0
		.amdhsa_exception_fp_ieee_overflow 0
		.amdhsa_exception_fp_ieee_underflow 0
		.amdhsa_exception_fp_ieee_inexact 0
		.amdhsa_exception_int_div_zero 0
	.end_amdhsa_kernel
	.section	.text._ZN12_GLOBAL__N_121softmax_warp_backwardIN3c108BFloat16ES2_fLi0ELb0ELb1ELi32EEEvPT0_PKT_S7_iiiPKb,"axG",@progbits,_ZN12_GLOBAL__N_121softmax_warp_backwardIN3c108BFloat16ES2_fLi0ELb0ELb1ELi32EEEvPT0_PKT_S7_iiiPKb,comdat
.Lfunc_end835:
	.size	_ZN12_GLOBAL__N_121softmax_warp_backwardIN3c108BFloat16ES2_fLi0ELb0ELb1ELi32EEEvPT0_PKT_S7_iiiPKb, .Lfunc_end835-_ZN12_GLOBAL__N_121softmax_warp_backwardIN3c108BFloat16ES2_fLi0ELb0ELb1ELi32EEEvPT0_PKT_S7_iiiPKb
                                        ; -- End function
	.set _ZN12_GLOBAL__N_121softmax_warp_backwardIN3c108BFloat16ES2_fLi0ELb0ELb1ELi32EEEvPT0_PKT_S7_iiiPKb.num_vgpr, 13
	.set _ZN12_GLOBAL__N_121softmax_warp_backwardIN3c108BFloat16ES2_fLi0ELb0ELb1ELi32EEEvPT0_PKT_S7_iiiPKb.num_agpr, 0
	.set _ZN12_GLOBAL__N_121softmax_warp_backwardIN3c108BFloat16ES2_fLi0ELb0ELb1ELi32EEEvPT0_PKT_S7_iiiPKb.numbered_sgpr, 12
	.set _ZN12_GLOBAL__N_121softmax_warp_backwardIN3c108BFloat16ES2_fLi0ELb0ELb1ELi32EEEvPT0_PKT_S7_iiiPKb.num_named_barrier, 0
	.set _ZN12_GLOBAL__N_121softmax_warp_backwardIN3c108BFloat16ES2_fLi0ELb0ELb1ELi32EEEvPT0_PKT_S7_iiiPKb.private_seg_size, 0
	.set _ZN12_GLOBAL__N_121softmax_warp_backwardIN3c108BFloat16ES2_fLi0ELb0ELb1ELi32EEEvPT0_PKT_S7_iiiPKb.uses_vcc, 1
	.set _ZN12_GLOBAL__N_121softmax_warp_backwardIN3c108BFloat16ES2_fLi0ELb0ELb1ELi32EEEvPT0_PKT_S7_iiiPKb.uses_flat_scratch, 0
	.set _ZN12_GLOBAL__N_121softmax_warp_backwardIN3c108BFloat16ES2_fLi0ELb0ELb1ELi32EEEvPT0_PKT_S7_iiiPKb.has_dyn_sized_stack, 0
	.set _ZN12_GLOBAL__N_121softmax_warp_backwardIN3c108BFloat16ES2_fLi0ELb0ELb1ELi32EEEvPT0_PKT_S7_iiiPKb.has_recursion, 0
	.set _ZN12_GLOBAL__N_121softmax_warp_backwardIN3c108BFloat16ES2_fLi0ELb0ELb1ELi32EEEvPT0_PKT_S7_iiiPKb.has_indirect_call, 0
	.section	.AMDGPU.csdata,"",@progbits
; Kernel info:
; codeLenInByte = 676
; TotalNumSgprs: 14
; NumVgprs: 13
; ScratchSize: 0
; MemoryBound: 0
; FloatMode: 240
; IeeeMode: 1
; LDSByteSize: 0 bytes/workgroup (compile time only)
; SGPRBlocks: 0
; VGPRBlocks: 1
; NumSGPRsForWavesPerEU: 14
; NumVGPRsForWavesPerEU: 13
; Occupancy: 16
; WaveLimiterHint : 0
; COMPUTE_PGM_RSRC2:SCRATCH_EN: 0
; COMPUTE_PGM_RSRC2:USER_SGPR: 6
; COMPUTE_PGM_RSRC2:TRAP_HANDLER: 0
; COMPUTE_PGM_RSRC2:TGID_X_EN: 1
; COMPUTE_PGM_RSRC2:TGID_Y_EN: 0
; COMPUTE_PGM_RSRC2:TGID_Z_EN: 0
; COMPUTE_PGM_RSRC2:TIDIG_COMP_CNT: 1
	.section	.text._ZN12_GLOBAL__N_121softmax_warp_backwardIN3c108BFloat16ES2_fLi1ELb0ELb1ELi64EEEvPT0_PKT_S7_iiiPKb,"axG",@progbits,_ZN12_GLOBAL__N_121softmax_warp_backwardIN3c108BFloat16ES2_fLi1ELb0ELb1ELi64EEEvPT0_PKT_S7_iiiPKb,comdat
	.globl	_ZN12_GLOBAL__N_121softmax_warp_backwardIN3c108BFloat16ES2_fLi1ELb0ELb1ELi64EEEvPT0_PKT_S7_iiiPKb ; -- Begin function _ZN12_GLOBAL__N_121softmax_warp_backwardIN3c108BFloat16ES2_fLi1ELb0ELb1ELi64EEEvPT0_PKT_S7_iiiPKb
	.p2align	8
	.type	_ZN12_GLOBAL__N_121softmax_warp_backwardIN3c108BFloat16ES2_fLi1ELb0ELb1ELi64EEEvPT0_PKT_S7_iiiPKb,@function
_ZN12_GLOBAL__N_121softmax_warp_backwardIN3c108BFloat16ES2_fLi1ELb0ELb1ELi64EEEvPT0_PKT_S7_iiiPKb: ; @_ZN12_GLOBAL__N_121softmax_warp_backwardIN3c108BFloat16ES2_fLi1ELb0ELb1ELi64EEEvPT0_PKT_S7_iiiPKb
; %bb.0:
	s_clause 0x1
	s_load_dword s0, s[4:5], 0x3c
	s_load_dwordx4 s[8:11], s[4:5], 0x18
	v_and_b32_e32 v4, 1, v0
	s_clause 0x1
	s_load_dwordx4 s[12:15], s[4:5], 0x0
	s_load_dwordx2 s[2:3], s[4:5], 0x10
	v_mov_b32_e32 v11, 0
	v_mov_b32_e32 v12, 0
	s_waitcnt lgkmcnt(0)
	s_mov_b32 s11, 0
	s_lshr_b32 s0, s0, 16
	s_and_b32 s0, s0, 0xffff
	s_mul_i32 s6, s6, s0
	v_cmp_gt_i32_e64 s0, s10, v4
	v_add_lshl_u32 v1, s6, v1, 1
	v_mul_lo_u32 v2, v1, s9
	v_sub_nc_u32_e32 v10, s8, v1
	v_cmp_lt_i32_e32 vcc_lo, 0, v10
	v_or_b32_e32 v2, v2, v4
	v_ashrrev_i32_e32 v3, 31, v2
	v_lshlrev_b64 v[0:1], 1, v[2:3]
	v_add_co_u32 v8, s1, s14, v0
	v_add_co_ci_u32_e64 v9, null, s15, v1, s1
	v_add_co_u32 v6, s1, s2, v0
	v_add_co_ci_u32_e64 v7, null, s3, v1, s1
	s_and_b32 s2, s0, vcc_lo
	s_and_saveexec_b32 s1, s2
	s_cbranch_execz .LBB836_2
; %bb.1:
	global_load_ushort v4, v[8:9], off
	global_load_ushort v5, v[6:7], off
	s_waitcnt vmcnt(1)
	v_lshlrev_b32_e32 v12, 16, v4
	s_waitcnt vmcnt(0)
	v_lshlrev_b32_e32 v11, 16, v5
.LBB836_2:
	s_or_b32 exec_lo, exec_lo, s1
	v_cmp_gt_i32_e64 s1, 2, v10
	v_mov_b32_e32 v4, s10
	v_mov_b32_e32 v5, s11
	s_xor_b32 s2, s0, -1
	s_or_b32 s1, s2, s1
	s_and_saveexec_b32 s2, s1
	s_xor_b32 s1, exec_lo, s2
                                        ; implicit-def: $vgpr14
                                        ; implicit-def: $vgpr13
; %bb.3:
	v_mov_b32_e32 v13, 0
	s_ashr_i32 s3, s10, 31
	s_mov_b32 s2, s10
	v_mov_b32_e32 v5, s3
	v_mov_b32_e32 v4, s2
	;; [unrolled: 1-line block ×3, first 2 shown]
                                        ; implicit-def: $vgpr6
                                        ; implicit-def: $vgpr8
; %bb.4:
	s_andn2_saveexec_b32 s2, s1
	s_cbranch_execz .LBB836_6
; %bb.5:
	s_lshl_b64 s[6:7], s[10:11], 1
	v_add_co_u32 v8, s1, v8, s6
	v_add_co_ci_u32_e64 v9, null, s7, v9, s1
	v_add_co_u32 v6, s1, v6, s6
	v_add_co_ci_u32_e64 v7, null, s7, v7, s1
	global_load_ushort v8, v[8:9], off
	global_load_ushort v6, v[6:7], off
	s_waitcnt vmcnt(1)
	v_lshlrev_b32_e32 v13, 16, v8
	s_waitcnt vmcnt(0)
	v_lshlrev_b32_e32 v14, 16, v6
.LBB836_6:
	s_or_b32 exec_lo, exec_lo, s2
	s_load_dwordx2 s[2:3], s[4:5], 0x28
	s_waitcnt lgkmcnt(0)
	v_add_co_u32 v2, s1, s2, v2
	v_add_co_ci_u32_e64 v3, null, s3, v3, s1
	v_add_co_u32 v4, s1, v2, v4
	v_add_co_ci_u32_e64 v5, null, v3, v5, s1
	s_clause 0x1
	global_load_ubyte v2, v[2:3], off
	global_load_ubyte v3, v[4:5], off
	v_mbcnt_lo_u32_b32 v4, -1, 0
	v_and_b32_e32 v5, 30, v4
	v_xor_b32_e32 v6, 1, v4
	v_add_nc_u32_e32 v5, 2, v5
	v_cmp_lt_i32_e64 s1, v6, v5
	v_add_f32_e32 v5, 0, v12
	v_cndmask_b32_e64 v4, v4, v6, s1
	v_add_f32_e32 v6, 0, v13
	v_lshlrev_b32_e32 v7, 2, v4
	s_waitcnt vmcnt(1)
	v_and_b32_e32 v2, 1, v2
	s_waitcnt vmcnt(0)
	v_and_b32_e32 v3, 1, v3
	v_cmp_eq_u32_e64 s2, 1, v2
	v_cmp_eq_u32_e64 s1, 1, v3
	v_cndmask_b32_e64 v4, v5, 0, s2
	v_cndmask_b32_e64 v2, v6, 0, s1
	ds_bpermute_b32 v5, v7, v4
	ds_bpermute_b32 v3, v7, v2
	s_and_saveexec_b32 s3, vcc_lo
	s_cbranch_execz .LBB836_11
; %bb.7:
	v_add_co_u32 v0, vcc_lo, s12, v0
	v_add_co_ci_u32_e64 v1, null, s13, v1, vcc_lo
	s_and_saveexec_b32 s3, s0
	s_cbranch_execz .LBB836_9
; %bb.8:
	s_waitcnt lgkmcnt(1)
	v_add_f32_e32 v4, v4, v5
	v_fma_f32 v4, -v11, v4, v12
	v_bfe_u32 v5, v4, 16, 1
	v_cmp_o_f32_e32 vcc_lo, v4, v4
	v_add3_u32 v4, v4, v5, 0x7fff
	v_mov_b32_e32 v5, 0x7fc0
	v_cndmask_b32_sdwa v4, v5, v4, vcc_lo dst_sel:DWORD dst_unused:UNUSED_PAD src0_sel:DWORD src1_sel:WORD_1
	v_cndmask_b32_e64 v4, v4, 0, s2
	global_store_short v[0:1], v4, off
.LBB836_9:
	s_or_b32 exec_lo, exec_lo, s3
	v_cmp_ne_u32_e32 vcc_lo, 1, v10
	s_and_b32 s0, vcc_lo, s0
	s_and_b32 exec_lo, exec_lo, s0
	s_cbranch_execz .LBB836_11
; %bb.10:
	s_waitcnt lgkmcnt(0)
	v_add_f32_e32 v2, v2, v3
	s_lshl_b64 s[2:3], s[10:11], 1
	v_fma_f32 v2, -v14, v2, v13
	v_bfe_u32 v3, v2, 16, 1
	v_cmp_o_f32_e32 vcc_lo, v2, v2
	v_add3_u32 v2, v2, v3, 0x7fff
	v_mov_b32_e32 v3, 0x7fc0
	v_cndmask_b32_sdwa v2, v3, v2, vcc_lo dst_sel:DWORD dst_unused:UNUSED_PAD src0_sel:DWORD src1_sel:WORD_1
	v_add_co_u32 v0, vcc_lo, v0, s2
	v_add_co_ci_u32_e64 v1, null, s3, v1, vcc_lo
	v_cndmask_b32_e64 v2, v2, 0, s1
	global_store_short v[0:1], v2, off
.LBB836_11:
	s_endpgm
	.section	.rodata,"a",@progbits
	.p2align	6, 0x0
	.amdhsa_kernel _ZN12_GLOBAL__N_121softmax_warp_backwardIN3c108BFloat16ES2_fLi1ELb0ELb1ELi64EEEvPT0_PKT_S7_iiiPKb
		.amdhsa_group_segment_fixed_size 0
		.amdhsa_private_segment_fixed_size 0
		.amdhsa_kernarg_size 304
		.amdhsa_user_sgpr_count 6
		.amdhsa_user_sgpr_private_segment_buffer 1
		.amdhsa_user_sgpr_dispatch_ptr 0
		.amdhsa_user_sgpr_queue_ptr 0
		.amdhsa_user_sgpr_kernarg_segment_ptr 1
		.amdhsa_user_sgpr_dispatch_id 0
		.amdhsa_user_sgpr_flat_scratch_init 0
		.amdhsa_user_sgpr_private_segment_size 0
		.amdhsa_wavefront_size32 1
		.amdhsa_uses_dynamic_stack 0
		.amdhsa_system_sgpr_private_segment_wavefront_offset 0
		.amdhsa_system_sgpr_workgroup_id_x 1
		.amdhsa_system_sgpr_workgroup_id_y 0
		.amdhsa_system_sgpr_workgroup_id_z 0
		.amdhsa_system_sgpr_workgroup_info 0
		.amdhsa_system_vgpr_workitem_id 1
		.amdhsa_next_free_vgpr 15
		.amdhsa_next_free_sgpr 16
		.amdhsa_reserve_vcc 1
		.amdhsa_reserve_flat_scratch 0
		.amdhsa_float_round_mode_32 0
		.amdhsa_float_round_mode_16_64 0
		.amdhsa_float_denorm_mode_32 3
		.amdhsa_float_denorm_mode_16_64 3
		.amdhsa_dx10_clamp 1
		.amdhsa_ieee_mode 1
		.amdhsa_fp16_overflow 0
		.amdhsa_workgroup_processor_mode 1
		.amdhsa_memory_ordered 1
		.amdhsa_forward_progress 1
		.amdhsa_shared_vgpr_count 0
		.amdhsa_exception_fp_ieee_invalid_op 0
		.amdhsa_exception_fp_denorm_src 0
		.amdhsa_exception_fp_ieee_div_zero 0
		.amdhsa_exception_fp_ieee_overflow 0
		.amdhsa_exception_fp_ieee_underflow 0
		.amdhsa_exception_fp_ieee_inexact 0
		.amdhsa_exception_int_div_zero 0
	.end_amdhsa_kernel
	.section	.text._ZN12_GLOBAL__N_121softmax_warp_backwardIN3c108BFloat16ES2_fLi1ELb0ELb1ELi64EEEvPT0_PKT_S7_iiiPKb,"axG",@progbits,_ZN12_GLOBAL__N_121softmax_warp_backwardIN3c108BFloat16ES2_fLi1ELb0ELb1ELi64EEEvPT0_PKT_S7_iiiPKb,comdat
.Lfunc_end836:
	.size	_ZN12_GLOBAL__N_121softmax_warp_backwardIN3c108BFloat16ES2_fLi1ELb0ELb1ELi64EEEvPT0_PKT_S7_iiiPKb, .Lfunc_end836-_ZN12_GLOBAL__N_121softmax_warp_backwardIN3c108BFloat16ES2_fLi1ELb0ELb1ELi64EEEvPT0_PKT_S7_iiiPKb
                                        ; -- End function
	.set _ZN12_GLOBAL__N_121softmax_warp_backwardIN3c108BFloat16ES2_fLi1ELb0ELb1ELi64EEEvPT0_PKT_S7_iiiPKb.num_vgpr, 15
	.set _ZN12_GLOBAL__N_121softmax_warp_backwardIN3c108BFloat16ES2_fLi1ELb0ELb1ELi64EEEvPT0_PKT_S7_iiiPKb.num_agpr, 0
	.set _ZN12_GLOBAL__N_121softmax_warp_backwardIN3c108BFloat16ES2_fLi1ELb0ELb1ELi64EEEvPT0_PKT_S7_iiiPKb.numbered_sgpr, 16
	.set _ZN12_GLOBAL__N_121softmax_warp_backwardIN3c108BFloat16ES2_fLi1ELb0ELb1ELi64EEEvPT0_PKT_S7_iiiPKb.num_named_barrier, 0
	.set _ZN12_GLOBAL__N_121softmax_warp_backwardIN3c108BFloat16ES2_fLi1ELb0ELb1ELi64EEEvPT0_PKT_S7_iiiPKb.private_seg_size, 0
	.set _ZN12_GLOBAL__N_121softmax_warp_backwardIN3c108BFloat16ES2_fLi1ELb0ELb1ELi64EEEvPT0_PKT_S7_iiiPKb.uses_vcc, 1
	.set _ZN12_GLOBAL__N_121softmax_warp_backwardIN3c108BFloat16ES2_fLi1ELb0ELb1ELi64EEEvPT0_PKT_S7_iiiPKb.uses_flat_scratch, 0
	.set _ZN12_GLOBAL__N_121softmax_warp_backwardIN3c108BFloat16ES2_fLi1ELb0ELb1ELi64EEEvPT0_PKT_S7_iiiPKb.has_dyn_sized_stack, 0
	.set _ZN12_GLOBAL__N_121softmax_warp_backwardIN3c108BFloat16ES2_fLi1ELb0ELb1ELi64EEEvPT0_PKT_S7_iiiPKb.has_recursion, 0
	.set _ZN12_GLOBAL__N_121softmax_warp_backwardIN3c108BFloat16ES2_fLi1ELb0ELb1ELi64EEEvPT0_PKT_S7_iiiPKb.has_indirect_call, 0
	.section	.AMDGPU.csdata,"",@progbits
; Kernel info:
; codeLenInByte = 736
; TotalNumSgprs: 18
; NumVgprs: 15
; ScratchSize: 0
; MemoryBound: 0
; FloatMode: 240
; IeeeMode: 1
; LDSByteSize: 0 bytes/workgroup (compile time only)
; SGPRBlocks: 0
; VGPRBlocks: 1
; NumSGPRsForWavesPerEU: 18
; NumVGPRsForWavesPerEU: 15
; Occupancy: 16
; WaveLimiterHint : 0
; COMPUTE_PGM_RSRC2:SCRATCH_EN: 0
; COMPUTE_PGM_RSRC2:USER_SGPR: 6
; COMPUTE_PGM_RSRC2:TRAP_HANDLER: 0
; COMPUTE_PGM_RSRC2:TGID_X_EN: 1
; COMPUTE_PGM_RSRC2:TGID_Y_EN: 0
; COMPUTE_PGM_RSRC2:TGID_Z_EN: 0
; COMPUTE_PGM_RSRC2:TIDIG_COMP_CNT: 1
	.section	.text._ZN12_GLOBAL__N_121softmax_warp_backwardIN3c108BFloat16ES2_fLi1ELb0ELb1ELi32EEEvPT0_PKT_S7_iiiPKb,"axG",@progbits,_ZN12_GLOBAL__N_121softmax_warp_backwardIN3c108BFloat16ES2_fLi1ELb0ELb1ELi32EEEvPT0_PKT_S7_iiiPKb,comdat
	.globl	_ZN12_GLOBAL__N_121softmax_warp_backwardIN3c108BFloat16ES2_fLi1ELb0ELb1ELi32EEEvPT0_PKT_S7_iiiPKb ; -- Begin function _ZN12_GLOBAL__N_121softmax_warp_backwardIN3c108BFloat16ES2_fLi1ELb0ELb1ELi32EEEvPT0_PKT_S7_iiiPKb
	.p2align	8
	.type	_ZN12_GLOBAL__N_121softmax_warp_backwardIN3c108BFloat16ES2_fLi1ELb0ELb1ELi32EEEvPT0_PKT_S7_iiiPKb,@function
_ZN12_GLOBAL__N_121softmax_warp_backwardIN3c108BFloat16ES2_fLi1ELb0ELb1ELi32EEEvPT0_PKT_S7_iiiPKb: ; @_ZN12_GLOBAL__N_121softmax_warp_backwardIN3c108BFloat16ES2_fLi1ELb0ELb1ELi32EEEvPT0_PKT_S7_iiiPKb
; %bb.0:
	s_clause 0x1
	s_load_dword s0, s[4:5], 0x3c
	s_load_dwordx4 s[8:11], s[4:5], 0x18
	v_and_b32_e32 v4, 1, v0
	s_clause 0x1
	s_load_dwordx4 s[12:15], s[4:5], 0x0
	s_load_dwordx2 s[2:3], s[4:5], 0x10
	v_mov_b32_e32 v11, 0
	v_mov_b32_e32 v12, 0
	s_waitcnt lgkmcnt(0)
	s_mov_b32 s11, 0
	s_lshr_b32 s0, s0, 16
	s_and_b32 s0, s0, 0xffff
	s_mul_i32 s6, s6, s0
	v_cmp_gt_i32_e64 s0, s10, v4
	v_add_lshl_u32 v1, s6, v1, 1
	v_mul_lo_u32 v2, v1, s9
	v_sub_nc_u32_e32 v10, s8, v1
	v_cmp_lt_i32_e32 vcc_lo, 0, v10
	v_or_b32_e32 v2, v2, v4
	v_ashrrev_i32_e32 v3, 31, v2
	v_lshlrev_b64 v[0:1], 1, v[2:3]
	v_add_co_u32 v8, s1, s14, v0
	v_add_co_ci_u32_e64 v9, null, s15, v1, s1
	v_add_co_u32 v6, s1, s2, v0
	v_add_co_ci_u32_e64 v7, null, s3, v1, s1
	s_and_b32 s2, s0, vcc_lo
	s_and_saveexec_b32 s1, s2
	s_cbranch_execz .LBB837_2
; %bb.1:
	global_load_ushort v4, v[8:9], off
	global_load_ushort v5, v[6:7], off
	s_waitcnt vmcnt(1)
	v_lshlrev_b32_e32 v12, 16, v4
	s_waitcnt vmcnt(0)
	v_lshlrev_b32_e32 v11, 16, v5
.LBB837_2:
	s_or_b32 exec_lo, exec_lo, s1
	v_cmp_gt_i32_e64 s1, 2, v10
	v_mov_b32_e32 v4, s10
	v_mov_b32_e32 v5, s11
	s_xor_b32 s2, s0, -1
	s_or_b32 s1, s2, s1
	s_and_saveexec_b32 s2, s1
	s_xor_b32 s1, exec_lo, s2
                                        ; implicit-def: $vgpr14
                                        ; implicit-def: $vgpr13
; %bb.3:
	v_mov_b32_e32 v13, 0
	s_ashr_i32 s3, s10, 31
	s_mov_b32 s2, s10
	v_mov_b32_e32 v5, s3
	v_mov_b32_e32 v4, s2
	;; [unrolled: 1-line block ×3, first 2 shown]
                                        ; implicit-def: $vgpr6
                                        ; implicit-def: $vgpr8
; %bb.4:
	s_andn2_saveexec_b32 s2, s1
	s_cbranch_execz .LBB837_6
; %bb.5:
	s_lshl_b64 s[6:7], s[10:11], 1
	v_add_co_u32 v8, s1, v8, s6
	v_add_co_ci_u32_e64 v9, null, s7, v9, s1
	v_add_co_u32 v6, s1, v6, s6
	v_add_co_ci_u32_e64 v7, null, s7, v7, s1
	global_load_ushort v8, v[8:9], off
	global_load_ushort v6, v[6:7], off
	s_waitcnt vmcnt(1)
	v_lshlrev_b32_e32 v13, 16, v8
	s_waitcnt vmcnt(0)
	v_lshlrev_b32_e32 v14, 16, v6
.LBB837_6:
	s_or_b32 exec_lo, exec_lo, s2
	s_load_dwordx2 s[2:3], s[4:5], 0x28
	s_waitcnt lgkmcnt(0)
	v_add_co_u32 v2, s1, s2, v2
	v_add_co_ci_u32_e64 v3, null, s3, v3, s1
	v_add_co_u32 v4, s1, v2, v4
	v_add_co_ci_u32_e64 v5, null, v3, v5, s1
	s_clause 0x1
	global_load_ubyte v2, v[2:3], off
	global_load_ubyte v3, v[4:5], off
	v_mbcnt_lo_u32_b32 v4, -1, 0
	v_and_b32_e32 v5, 30, v4
	v_xor_b32_e32 v6, 1, v4
	v_add_nc_u32_e32 v5, 2, v5
	v_cmp_lt_i32_e64 s1, v6, v5
	v_add_f32_e32 v5, 0, v12
	v_cndmask_b32_e64 v4, v4, v6, s1
	v_add_f32_e32 v6, 0, v13
	v_lshlrev_b32_e32 v7, 2, v4
	s_waitcnt vmcnt(1)
	v_and_b32_e32 v2, 1, v2
	s_waitcnt vmcnt(0)
	v_and_b32_e32 v3, 1, v3
	v_cmp_eq_u32_e64 s2, 1, v2
	v_cmp_eq_u32_e64 s1, 1, v3
	v_cndmask_b32_e64 v4, v5, 0, s2
	v_cndmask_b32_e64 v2, v6, 0, s1
	ds_bpermute_b32 v5, v7, v4
	ds_bpermute_b32 v3, v7, v2
	s_and_saveexec_b32 s3, vcc_lo
	s_cbranch_execz .LBB837_11
; %bb.7:
	v_add_co_u32 v0, vcc_lo, s12, v0
	v_add_co_ci_u32_e64 v1, null, s13, v1, vcc_lo
	s_and_saveexec_b32 s3, s0
	s_cbranch_execz .LBB837_9
; %bb.8:
	s_waitcnt lgkmcnt(1)
	v_add_f32_e32 v4, v4, v5
	v_fma_f32 v4, -v11, v4, v12
	v_bfe_u32 v5, v4, 16, 1
	v_cmp_o_f32_e32 vcc_lo, v4, v4
	v_add3_u32 v4, v4, v5, 0x7fff
	v_mov_b32_e32 v5, 0x7fc0
	v_cndmask_b32_sdwa v4, v5, v4, vcc_lo dst_sel:DWORD dst_unused:UNUSED_PAD src0_sel:DWORD src1_sel:WORD_1
	v_cndmask_b32_e64 v4, v4, 0, s2
	global_store_short v[0:1], v4, off
.LBB837_9:
	s_or_b32 exec_lo, exec_lo, s3
	v_cmp_ne_u32_e32 vcc_lo, 1, v10
	s_and_b32 s0, vcc_lo, s0
	s_and_b32 exec_lo, exec_lo, s0
	s_cbranch_execz .LBB837_11
; %bb.10:
	s_waitcnt lgkmcnt(0)
	v_add_f32_e32 v2, v2, v3
	s_lshl_b64 s[2:3], s[10:11], 1
	v_fma_f32 v2, -v14, v2, v13
	v_bfe_u32 v3, v2, 16, 1
	v_cmp_o_f32_e32 vcc_lo, v2, v2
	v_add3_u32 v2, v2, v3, 0x7fff
	v_mov_b32_e32 v3, 0x7fc0
	v_cndmask_b32_sdwa v2, v3, v2, vcc_lo dst_sel:DWORD dst_unused:UNUSED_PAD src0_sel:DWORD src1_sel:WORD_1
	v_add_co_u32 v0, vcc_lo, v0, s2
	v_add_co_ci_u32_e64 v1, null, s3, v1, vcc_lo
	v_cndmask_b32_e64 v2, v2, 0, s1
	global_store_short v[0:1], v2, off
.LBB837_11:
	s_endpgm
	.section	.rodata,"a",@progbits
	.p2align	6, 0x0
	.amdhsa_kernel _ZN12_GLOBAL__N_121softmax_warp_backwardIN3c108BFloat16ES2_fLi1ELb0ELb1ELi32EEEvPT0_PKT_S7_iiiPKb
		.amdhsa_group_segment_fixed_size 0
		.amdhsa_private_segment_fixed_size 0
		.amdhsa_kernarg_size 304
		.amdhsa_user_sgpr_count 6
		.amdhsa_user_sgpr_private_segment_buffer 1
		.amdhsa_user_sgpr_dispatch_ptr 0
		.amdhsa_user_sgpr_queue_ptr 0
		.amdhsa_user_sgpr_kernarg_segment_ptr 1
		.amdhsa_user_sgpr_dispatch_id 0
		.amdhsa_user_sgpr_flat_scratch_init 0
		.amdhsa_user_sgpr_private_segment_size 0
		.amdhsa_wavefront_size32 1
		.amdhsa_uses_dynamic_stack 0
		.amdhsa_system_sgpr_private_segment_wavefront_offset 0
		.amdhsa_system_sgpr_workgroup_id_x 1
		.amdhsa_system_sgpr_workgroup_id_y 0
		.amdhsa_system_sgpr_workgroup_id_z 0
		.amdhsa_system_sgpr_workgroup_info 0
		.amdhsa_system_vgpr_workitem_id 1
		.amdhsa_next_free_vgpr 15
		.amdhsa_next_free_sgpr 16
		.amdhsa_reserve_vcc 1
		.amdhsa_reserve_flat_scratch 0
		.amdhsa_float_round_mode_32 0
		.amdhsa_float_round_mode_16_64 0
		.amdhsa_float_denorm_mode_32 3
		.amdhsa_float_denorm_mode_16_64 3
		.amdhsa_dx10_clamp 1
		.amdhsa_ieee_mode 1
		.amdhsa_fp16_overflow 0
		.amdhsa_workgroup_processor_mode 1
		.amdhsa_memory_ordered 1
		.amdhsa_forward_progress 1
		.amdhsa_shared_vgpr_count 0
		.amdhsa_exception_fp_ieee_invalid_op 0
		.amdhsa_exception_fp_denorm_src 0
		.amdhsa_exception_fp_ieee_div_zero 0
		.amdhsa_exception_fp_ieee_overflow 0
		.amdhsa_exception_fp_ieee_underflow 0
		.amdhsa_exception_fp_ieee_inexact 0
		.amdhsa_exception_int_div_zero 0
	.end_amdhsa_kernel
	.section	.text._ZN12_GLOBAL__N_121softmax_warp_backwardIN3c108BFloat16ES2_fLi1ELb0ELb1ELi32EEEvPT0_PKT_S7_iiiPKb,"axG",@progbits,_ZN12_GLOBAL__N_121softmax_warp_backwardIN3c108BFloat16ES2_fLi1ELb0ELb1ELi32EEEvPT0_PKT_S7_iiiPKb,comdat
.Lfunc_end837:
	.size	_ZN12_GLOBAL__N_121softmax_warp_backwardIN3c108BFloat16ES2_fLi1ELb0ELb1ELi32EEEvPT0_PKT_S7_iiiPKb, .Lfunc_end837-_ZN12_GLOBAL__N_121softmax_warp_backwardIN3c108BFloat16ES2_fLi1ELb0ELb1ELi32EEEvPT0_PKT_S7_iiiPKb
                                        ; -- End function
	.set _ZN12_GLOBAL__N_121softmax_warp_backwardIN3c108BFloat16ES2_fLi1ELb0ELb1ELi32EEEvPT0_PKT_S7_iiiPKb.num_vgpr, 15
	.set _ZN12_GLOBAL__N_121softmax_warp_backwardIN3c108BFloat16ES2_fLi1ELb0ELb1ELi32EEEvPT0_PKT_S7_iiiPKb.num_agpr, 0
	.set _ZN12_GLOBAL__N_121softmax_warp_backwardIN3c108BFloat16ES2_fLi1ELb0ELb1ELi32EEEvPT0_PKT_S7_iiiPKb.numbered_sgpr, 16
	.set _ZN12_GLOBAL__N_121softmax_warp_backwardIN3c108BFloat16ES2_fLi1ELb0ELb1ELi32EEEvPT0_PKT_S7_iiiPKb.num_named_barrier, 0
	.set _ZN12_GLOBAL__N_121softmax_warp_backwardIN3c108BFloat16ES2_fLi1ELb0ELb1ELi32EEEvPT0_PKT_S7_iiiPKb.private_seg_size, 0
	.set _ZN12_GLOBAL__N_121softmax_warp_backwardIN3c108BFloat16ES2_fLi1ELb0ELb1ELi32EEEvPT0_PKT_S7_iiiPKb.uses_vcc, 1
	.set _ZN12_GLOBAL__N_121softmax_warp_backwardIN3c108BFloat16ES2_fLi1ELb0ELb1ELi32EEEvPT0_PKT_S7_iiiPKb.uses_flat_scratch, 0
	.set _ZN12_GLOBAL__N_121softmax_warp_backwardIN3c108BFloat16ES2_fLi1ELb0ELb1ELi32EEEvPT0_PKT_S7_iiiPKb.has_dyn_sized_stack, 0
	.set _ZN12_GLOBAL__N_121softmax_warp_backwardIN3c108BFloat16ES2_fLi1ELb0ELb1ELi32EEEvPT0_PKT_S7_iiiPKb.has_recursion, 0
	.set _ZN12_GLOBAL__N_121softmax_warp_backwardIN3c108BFloat16ES2_fLi1ELb0ELb1ELi32EEEvPT0_PKT_S7_iiiPKb.has_indirect_call, 0
	.section	.AMDGPU.csdata,"",@progbits
; Kernel info:
; codeLenInByte = 736
; TotalNumSgprs: 18
; NumVgprs: 15
; ScratchSize: 0
; MemoryBound: 0
; FloatMode: 240
; IeeeMode: 1
; LDSByteSize: 0 bytes/workgroup (compile time only)
; SGPRBlocks: 0
; VGPRBlocks: 1
; NumSGPRsForWavesPerEU: 18
; NumVGPRsForWavesPerEU: 15
; Occupancy: 16
; WaveLimiterHint : 0
; COMPUTE_PGM_RSRC2:SCRATCH_EN: 0
; COMPUTE_PGM_RSRC2:USER_SGPR: 6
; COMPUTE_PGM_RSRC2:TRAP_HANDLER: 0
; COMPUTE_PGM_RSRC2:TGID_X_EN: 1
; COMPUTE_PGM_RSRC2:TGID_Y_EN: 0
; COMPUTE_PGM_RSRC2:TGID_Z_EN: 0
; COMPUTE_PGM_RSRC2:TIDIG_COMP_CNT: 1
	.section	.text._ZN12_GLOBAL__N_121softmax_warp_backwardIN3c108BFloat16ES2_fLi2ELb0ELb1ELi64EEEvPT0_PKT_S7_iiiPKb,"axG",@progbits,_ZN12_GLOBAL__N_121softmax_warp_backwardIN3c108BFloat16ES2_fLi2ELb0ELb1ELi64EEEvPT0_PKT_S7_iiiPKb,comdat
	.globl	_ZN12_GLOBAL__N_121softmax_warp_backwardIN3c108BFloat16ES2_fLi2ELb0ELb1ELi64EEEvPT0_PKT_S7_iiiPKb ; -- Begin function _ZN12_GLOBAL__N_121softmax_warp_backwardIN3c108BFloat16ES2_fLi2ELb0ELb1ELi64EEEvPT0_PKT_S7_iiiPKb
	.p2align	8
	.type	_ZN12_GLOBAL__N_121softmax_warp_backwardIN3c108BFloat16ES2_fLi2ELb0ELb1ELi64EEEvPT0_PKT_S7_iiiPKb,@function
_ZN12_GLOBAL__N_121softmax_warp_backwardIN3c108BFloat16ES2_fLi2ELb0ELb1ELi64EEEvPT0_PKT_S7_iiiPKb: ; @_ZN12_GLOBAL__N_121softmax_warp_backwardIN3c108BFloat16ES2_fLi2ELb0ELb1ELi64EEEvPT0_PKT_S7_iiiPKb
; %bb.0:
	s_clause 0x1
	s_load_dword s0, s[4:5], 0x3c
	s_load_dwordx4 s[8:11], s[4:5], 0x18
	v_and_b32_e32 v4, 3, v0
	s_clause 0x1
	s_load_dwordx4 s[12:15], s[4:5], 0x0
	s_load_dwordx2 s[2:3], s[4:5], 0x10
	v_mov_b32_e32 v11, 0
	v_mov_b32_e32 v12, 0
	s_waitcnt lgkmcnt(0)
	s_mov_b32 s11, 0
	s_lshr_b32 s0, s0, 16
	s_and_b32 s0, s0, 0xffff
	s_mul_i32 s6, s6, s0
	v_cmp_gt_i32_e64 s0, s10, v4
	v_add_lshl_u32 v0, s6, v1, 1
	v_mad_u64_u32 v[2:3], null, v0, s9, v[4:5]
	v_sub_nc_u32_e32 v10, s8, v0
	v_cmp_lt_i32_e32 vcc_lo, 0, v10
	v_ashrrev_i32_e32 v3, 31, v2
	v_lshlrev_b64 v[0:1], 1, v[2:3]
	v_add_co_u32 v8, s1, s14, v0
	v_add_co_ci_u32_e64 v9, null, s15, v1, s1
	v_add_co_u32 v6, s1, s2, v0
	v_add_co_ci_u32_e64 v7, null, s3, v1, s1
	s_and_b32 s2, s0, vcc_lo
	s_and_saveexec_b32 s1, s2
	s_cbranch_execz .LBB838_2
; %bb.1:
	global_load_ushort v4, v[8:9], off
	global_load_ushort v5, v[6:7], off
	s_waitcnt vmcnt(1)
	v_lshlrev_b32_e32 v12, 16, v4
	s_waitcnt vmcnt(0)
	v_lshlrev_b32_e32 v11, 16, v5
.LBB838_2:
	s_or_b32 exec_lo, exec_lo, s1
	v_cmp_gt_i32_e64 s1, 2, v10
	v_mov_b32_e32 v4, s10
	v_mov_b32_e32 v5, s11
	s_xor_b32 s2, s0, -1
	s_or_b32 s1, s2, s1
	s_and_saveexec_b32 s2, s1
	s_xor_b32 s1, exec_lo, s2
                                        ; implicit-def: $vgpr14
                                        ; implicit-def: $vgpr13
; %bb.3:
	v_mov_b32_e32 v13, 0
	s_ashr_i32 s3, s10, 31
	s_mov_b32 s2, s10
	v_mov_b32_e32 v5, s3
	v_mov_b32_e32 v4, s2
	;; [unrolled: 1-line block ×3, first 2 shown]
                                        ; implicit-def: $vgpr6
                                        ; implicit-def: $vgpr8
; %bb.4:
	s_andn2_saveexec_b32 s2, s1
	s_cbranch_execz .LBB838_6
; %bb.5:
	s_lshl_b64 s[6:7], s[10:11], 1
	v_add_co_u32 v8, s1, v8, s6
	v_add_co_ci_u32_e64 v9, null, s7, v9, s1
	v_add_co_u32 v6, s1, v6, s6
	v_add_co_ci_u32_e64 v7, null, s7, v7, s1
	global_load_ushort v8, v[8:9], off
	global_load_ushort v6, v[6:7], off
	s_waitcnt vmcnt(1)
	v_lshlrev_b32_e32 v13, 16, v8
	s_waitcnt vmcnt(0)
	v_lshlrev_b32_e32 v14, 16, v6
.LBB838_6:
	s_or_b32 exec_lo, exec_lo, s2
	s_load_dwordx2 s[2:3], s[4:5], 0x28
	v_add_f32_e32 v7, 0, v12
	v_add_f32_e32 v8, 0, v13
	s_waitcnt lgkmcnt(0)
	v_add_co_u32 v2, s1, s2, v2
	v_add_co_ci_u32_e64 v3, null, s3, v3, s1
	v_add_co_u32 v4, s1, v2, v4
	v_add_co_ci_u32_e64 v5, null, v3, v5, s1
	s_clause 0x1
	global_load_ubyte v2, v[2:3], off
	global_load_ubyte v3, v[4:5], off
	v_mbcnt_lo_u32_b32 v4, -1, 0
	v_and_b32_e32 v5, 28, v4
	v_xor_b32_e32 v6, 2, v4
	v_add_nc_u32_e32 v5, 4, v5
	v_cmp_lt_i32_e64 s1, v6, v5
	v_cndmask_b32_e64 v6, v4, v6, s1
	v_lshlrev_b32_e32 v6, 2, v6
	s_waitcnt vmcnt(1)
	v_and_b32_e32 v2, 1, v2
	s_waitcnt vmcnt(0)
	v_and_b32_e32 v3, 1, v3
	v_cmp_eq_u32_e64 s2, 1, v2
	v_cmp_eq_u32_e64 s1, 1, v3
	v_cndmask_b32_e64 v2, v7, 0, s2
	v_cndmask_b32_e64 v3, v8, 0, s1
	v_xor_b32_e32 v8, 1, v4
	ds_bpermute_b32 v7, v6, v2
	ds_bpermute_b32 v6, v6, v3
	v_cmp_lt_i32_e64 s3, v8, v5
	v_cndmask_b32_e64 v5, v4, v8, s3
	s_waitcnt lgkmcnt(1)
	v_add_f32_e32 v4, v2, v7
	v_lshlrev_b32_e32 v7, 2, v5
	s_waitcnt lgkmcnt(0)
	v_add_f32_e32 v2, v3, v6
	ds_bpermute_b32 v5, v7, v4
	ds_bpermute_b32 v3, v7, v2
	s_and_saveexec_b32 s3, vcc_lo
	s_cbranch_execz .LBB838_11
; %bb.7:
	v_add_co_u32 v0, vcc_lo, s12, v0
	v_add_co_ci_u32_e64 v1, null, s13, v1, vcc_lo
	s_and_saveexec_b32 s3, s0
	s_cbranch_execz .LBB838_9
; %bb.8:
	s_waitcnt lgkmcnt(1)
	v_add_f32_e32 v4, v4, v5
	v_fma_f32 v4, -v11, v4, v12
	v_bfe_u32 v5, v4, 16, 1
	v_cmp_o_f32_e32 vcc_lo, v4, v4
	v_add3_u32 v4, v4, v5, 0x7fff
	v_mov_b32_e32 v5, 0x7fc0
	v_cndmask_b32_sdwa v4, v5, v4, vcc_lo dst_sel:DWORD dst_unused:UNUSED_PAD src0_sel:DWORD src1_sel:WORD_1
	v_cndmask_b32_e64 v4, v4, 0, s2
	global_store_short v[0:1], v4, off
.LBB838_9:
	s_or_b32 exec_lo, exec_lo, s3
	v_cmp_ne_u32_e32 vcc_lo, 1, v10
	s_and_b32 s0, vcc_lo, s0
	s_and_b32 exec_lo, exec_lo, s0
	s_cbranch_execz .LBB838_11
; %bb.10:
	s_waitcnt lgkmcnt(0)
	v_add_f32_e32 v2, v2, v3
	s_lshl_b64 s[2:3], s[10:11], 1
	v_fma_f32 v2, -v14, v2, v13
	v_bfe_u32 v3, v2, 16, 1
	v_cmp_o_f32_e32 vcc_lo, v2, v2
	v_add3_u32 v2, v2, v3, 0x7fff
	v_mov_b32_e32 v3, 0x7fc0
	v_cndmask_b32_sdwa v2, v3, v2, vcc_lo dst_sel:DWORD dst_unused:UNUSED_PAD src0_sel:DWORD src1_sel:WORD_1
	v_add_co_u32 v0, vcc_lo, v0, s2
	v_add_co_ci_u32_e64 v1, null, s3, v1, vcc_lo
	v_cndmask_b32_e64 v2, v2, 0, s1
	global_store_short v[0:1], v2, off
.LBB838_11:
	s_endpgm
	.section	.rodata,"a",@progbits
	.p2align	6, 0x0
	.amdhsa_kernel _ZN12_GLOBAL__N_121softmax_warp_backwardIN3c108BFloat16ES2_fLi2ELb0ELb1ELi64EEEvPT0_PKT_S7_iiiPKb
		.amdhsa_group_segment_fixed_size 0
		.amdhsa_private_segment_fixed_size 0
		.amdhsa_kernarg_size 304
		.amdhsa_user_sgpr_count 6
		.amdhsa_user_sgpr_private_segment_buffer 1
		.amdhsa_user_sgpr_dispatch_ptr 0
		.amdhsa_user_sgpr_queue_ptr 0
		.amdhsa_user_sgpr_kernarg_segment_ptr 1
		.amdhsa_user_sgpr_dispatch_id 0
		.amdhsa_user_sgpr_flat_scratch_init 0
		.amdhsa_user_sgpr_private_segment_size 0
		.amdhsa_wavefront_size32 1
		.amdhsa_uses_dynamic_stack 0
		.amdhsa_system_sgpr_private_segment_wavefront_offset 0
		.amdhsa_system_sgpr_workgroup_id_x 1
		.amdhsa_system_sgpr_workgroup_id_y 0
		.amdhsa_system_sgpr_workgroup_id_z 0
		.amdhsa_system_sgpr_workgroup_info 0
		.amdhsa_system_vgpr_workitem_id 1
		.amdhsa_next_free_vgpr 15
		.amdhsa_next_free_sgpr 16
		.amdhsa_reserve_vcc 1
		.amdhsa_reserve_flat_scratch 0
		.amdhsa_float_round_mode_32 0
		.amdhsa_float_round_mode_16_64 0
		.amdhsa_float_denorm_mode_32 3
		.amdhsa_float_denorm_mode_16_64 3
		.amdhsa_dx10_clamp 1
		.amdhsa_ieee_mode 1
		.amdhsa_fp16_overflow 0
		.amdhsa_workgroup_processor_mode 1
		.amdhsa_memory_ordered 1
		.amdhsa_forward_progress 1
		.amdhsa_shared_vgpr_count 0
		.amdhsa_exception_fp_ieee_invalid_op 0
		.amdhsa_exception_fp_denorm_src 0
		.amdhsa_exception_fp_ieee_div_zero 0
		.amdhsa_exception_fp_ieee_overflow 0
		.amdhsa_exception_fp_ieee_underflow 0
		.amdhsa_exception_fp_ieee_inexact 0
		.amdhsa_exception_int_div_zero 0
	.end_amdhsa_kernel
	.section	.text._ZN12_GLOBAL__N_121softmax_warp_backwardIN3c108BFloat16ES2_fLi2ELb0ELb1ELi64EEEvPT0_PKT_S7_iiiPKb,"axG",@progbits,_ZN12_GLOBAL__N_121softmax_warp_backwardIN3c108BFloat16ES2_fLi2ELb0ELb1ELi64EEEvPT0_PKT_S7_iiiPKb,comdat
.Lfunc_end838:
	.size	_ZN12_GLOBAL__N_121softmax_warp_backwardIN3c108BFloat16ES2_fLi2ELb0ELb1ELi64EEEvPT0_PKT_S7_iiiPKb, .Lfunc_end838-_ZN12_GLOBAL__N_121softmax_warp_backwardIN3c108BFloat16ES2_fLi2ELb0ELb1ELi64EEEvPT0_PKT_S7_iiiPKb
                                        ; -- End function
	.set _ZN12_GLOBAL__N_121softmax_warp_backwardIN3c108BFloat16ES2_fLi2ELb0ELb1ELi64EEEvPT0_PKT_S7_iiiPKb.num_vgpr, 15
	.set _ZN12_GLOBAL__N_121softmax_warp_backwardIN3c108BFloat16ES2_fLi2ELb0ELb1ELi64EEEvPT0_PKT_S7_iiiPKb.num_agpr, 0
	.set _ZN12_GLOBAL__N_121softmax_warp_backwardIN3c108BFloat16ES2_fLi2ELb0ELb1ELi64EEEvPT0_PKT_S7_iiiPKb.numbered_sgpr, 16
	.set _ZN12_GLOBAL__N_121softmax_warp_backwardIN3c108BFloat16ES2_fLi2ELb0ELb1ELi64EEEvPT0_PKT_S7_iiiPKb.num_named_barrier, 0
	.set _ZN12_GLOBAL__N_121softmax_warp_backwardIN3c108BFloat16ES2_fLi2ELb0ELb1ELi64EEEvPT0_PKT_S7_iiiPKb.private_seg_size, 0
	.set _ZN12_GLOBAL__N_121softmax_warp_backwardIN3c108BFloat16ES2_fLi2ELb0ELb1ELi64EEEvPT0_PKT_S7_iiiPKb.uses_vcc, 1
	.set _ZN12_GLOBAL__N_121softmax_warp_backwardIN3c108BFloat16ES2_fLi2ELb0ELb1ELi64EEEvPT0_PKT_S7_iiiPKb.uses_flat_scratch, 0
	.set _ZN12_GLOBAL__N_121softmax_warp_backwardIN3c108BFloat16ES2_fLi2ELb0ELb1ELi64EEEvPT0_PKT_S7_iiiPKb.has_dyn_sized_stack, 0
	.set _ZN12_GLOBAL__N_121softmax_warp_backwardIN3c108BFloat16ES2_fLi2ELb0ELb1ELi64EEEvPT0_PKT_S7_iiiPKb.has_recursion, 0
	.set _ZN12_GLOBAL__N_121softmax_warp_backwardIN3c108BFloat16ES2_fLi2ELb0ELb1ELi64EEEvPT0_PKT_S7_iiiPKb.has_indirect_call, 0
	.section	.AMDGPU.csdata,"",@progbits
; Kernel info:
; codeLenInByte = 788
; TotalNumSgprs: 18
; NumVgprs: 15
; ScratchSize: 0
; MemoryBound: 0
; FloatMode: 240
; IeeeMode: 1
; LDSByteSize: 0 bytes/workgroup (compile time only)
; SGPRBlocks: 0
; VGPRBlocks: 1
; NumSGPRsForWavesPerEU: 18
; NumVGPRsForWavesPerEU: 15
; Occupancy: 16
; WaveLimiterHint : 0
; COMPUTE_PGM_RSRC2:SCRATCH_EN: 0
; COMPUTE_PGM_RSRC2:USER_SGPR: 6
; COMPUTE_PGM_RSRC2:TRAP_HANDLER: 0
; COMPUTE_PGM_RSRC2:TGID_X_EN: 1
; COMPUTE_PGM_RSRC2:TGID_Y_EN: 0
; COMPUTE_PGM_RSRC2:TGID_Z_EN: 0
; COMPUTE_PGM_RSRC2:TIDIG_COMP_CNT: 1
	.section	.text._ZN12_GLOBAL__N_121softmax_warp_backwardIN3c108BFloat16ES2_fLi2ELb0ELb1ELi32EEEvPT0_PKT_S7_iiiPKb,"axG",@progbits,_ZN12_GLOBAL__N_121softmax_warp_backwardIN3c108BFloat16ES2_fLi2ELb0ELb1ELi32EEEvPT0_PKT_S7_iiiPKb,comdat
	.globl	_ZN12_GLOBAL__N_121softmax_warp_backwardIN3c108BFloat16ES2_fLi2ELb0ELb1ELi32EEEvPT0_PKT_S7_iiiPKb ; -- Begin function _ZN12_GLOBAL__N_121softmax_warp_backwardIN3c108BFloat16ES2_fLi2ELb0ELb1ELi32EEEvPT0_PKT_S7_iiiPKb
	.p2align	8
	.type	_ZN12_GLOBAL__N_121softmax_warp_backwardIN3c108BFloat16ES2_fLi2ELb0ELb1ELi32EEEvPT0_PKT_S7_iiiPKb,@function
_ZN12_GLOBAL__N_121softmax_warp_backwardIN3c108BFloat16ES2_fLi2ELb0ELb1ELi32EEEvPT0_PKT_S7_iiiPKb: ; @_ZN12_GLOBAL__N_121softmax_warp_backwardIN3c108BFloat16ES2_fLi2ELb0ELb1ELi32EEEvPT0_PKT_S7_iiiPKb
; %bb.0:
	s_clause 0x1
	s_load_dword s0, s[4:5], 0x3c
	s_load_dwordx4 s[8:11], s[4:5], 0x18
	v_and_b32_e32 v4, 3, v0
	s_clause 0x1
	s_load_dwordx4 s[12:15], s[4:5], 0x0
	s_load_dwordx2 s[2:3], s[4:5], 0x10
	v_mov_b32_e32 v11, 0
	v_mov_b32_e32 v12, 0
	s_waitcnt lgkmcnt(0)
	s_mov_b32 s11, 0
	s_lshr_b32 s0, s0, 16
	s_and_b32 s0, s0, 0xffff
	s_mul_i32 s6, s6, s0
	v_cmp_gt_i32_e64 s0, s10, v4
	v_add_lshl_u32 v0, s6, v1, 1
	v_mad_u64_u32 v[2:3], null, v0, s9, v[4:5]
	v_sub_nc_u32_e32 v10, s8, v0
	v_cmp_lt_i32_e32 vcc_lo, 0, v10
	v_ashrrev_i32_e32 v3, 31, v2
	v_lshlrev_b64 v[0:1], 1, v[2:3]
	v_add_co_u32 v8, s1, s14, v0
	v_add_co_ci_u32_e64 v9, null, s15, v1, s1
	v_add_co_u32 v6, s1, s2, v0
	v_add_co_ci_u32_e64 v7, null, s3, v1, s1
	s_and_b32 s2, s0, vcc_lo
	s_and_saveexec_b32 s1, s2
	s_cbranch_execz .LBB839_2
; %bb.1:
	global_load_ushort v4, v[8:9], off
	global_load_ushort v5, v[6:7], off
	s_waitcnt vmcnt(1)
	v_lshlrev_b32_e32 v12, 16, v4
	s_waitcnt vmcnt(0)
	v_lshlrev_b32_e32 v11, 16, v5
.LBB839_2:
	s_or_b32 exec_lo, exec_lo, s1
	v_cmp_gt_i32_e64 s1, 2, v10
	v_mov_b32_e32 v4, s10
	v_mov_b32_e32 v5, s11
	s_xor_b32 s2, s0, -1
	s_or_b32 s1, s2, s1
	s_and_saveexec_b32 s2, s1
	s_xor_b32 s1, exec_lo, s2
                                        ; implicit-def: $vgpr14
                                        ; implicit-def: $vgpr13
; %bb.3:
	v_mov_b32_e32 v13, 0
	s_ashr_i32 s3, s10, 31
	s_mov_b32 s2, s10
	v_mov_b32_e32 v5, s3
	v_mov_b32_e32 v4, s2
	;; [unrolled: 1-line block ×3, first 2 shown]
                                        ; implicit-def: $vgpr6
                                        ; implicit-def: $vgpr8
; %bb.4:
	s_andn2_saveexec_b32 s2, s1
	s_cbranch_execz .LBB839_6
; %bb.5:
	s_lshl_b64 s[6:7], s[10:11], 1
	v_add_co_u32 v8, s1, v8, s6
	v_add_co_ci_u32_e64 v9, null, s7, v9, s1
	v_add_co_u32 v6, s1, v6, s6
	v_add_co_ci_u32_e64 v7, null, s7, v7, s1
	global_load_ushort v8, v[8:9], off
	global_load_ushort v6, v[6:7], off
	s_waitcnt vmcnt(1)
	v_lshlrev_b32_e32 v13, 16, v8
	s_waitcnt vmcnt(0)
	v_lshlrev_b32_e32 v14, 16, v6
.LBB839_6:
	s_or_b32 exec_lo, exec_lo, s2
	s_load_dwordx2 s[2:3], s[4:5], 0x28
	v_add_f32_e32 v7, 0, v12
	v_add_f32_e32 v8, 0, v13
	s_waitcnt lgkmcnt(0)
	v_add_co_u32 v2, s1, s2, v2
	v_add_co_ci_u32_e64 v3, null, s3, v3, s1
	v_add_co_u32 v4, s1, v2, v4
	v_add_co_ci_u32_e64 v5, null, v3, v5, s1
	s_clause 0x1
	global_load_ubyte v2, v[2:3], off
	global_load_ubyte v3, v[4:5], off
	v_mbcnt_lo_u32_b32 v4, -1, 0
	v_and_b32_e32 v5, 28, v4
	v_xor_b32_e32 v6, 2, v4
	v_add_nc_u32_e32 v5, 4, v5
	v_cmp_lt_i32_e64 s1, v6, v5
	v_cndmask_b32_e64 v6, v4, v6, s1
	v_lshlrev_b32_e32 v6, 2, v6
	s_waitcnt vmcnt(1)
	v_and_b32_e32 v2, 1, v2
	s_waitcnt vmcnt(0)
	v_and_b32_e32 v3, 1, v3
	v_cmp_eq_u32_e64 s2, 1, v2
	v_cmp_eq_u32_e64 s1, 1, v3
	v_cndmask_b32_e64 v2, v7, 0, s2
	v_cndmask_b32_e64 v3, v8, 0, s1
	v_xor_b32_e32 v8, 1, v4
	ds_bpermute_b32 v7, v6, v2
	ds_bpermute_b32 v6, v6, v3
	v_cmp_lt_i32_e64 s3, v8, v5
	v_cndmask_b32_e64 v5, v4, v8, s3
	s_waitcnt lgkmcnt(1)
	v_add_f32_e32 v4, v2, v7
	v_lshlrev_b32_e32 v7, 2, v5
	s_waitcnt lgkmcnt(0)
	v_add_f32_e32 v2, v3, v6
	ds_bpermute_b32 v5, v7, v4
	ds_bpermute_b32 v3, v7, v2
	s_and_saveexec_b32 s3, vcc_lo
	s_cbranch_execz .LBB839_11
; %bb.7:
	v_add_co_u32 v0, vcc_lo, s12, v0
	v_add_co_ci_u32_e64 v1, null, s13, v1, vcc_lo
	s_and_saveexec_b32 s3, s0
	s_cbranch_execz .LBB839_9
; %bb.8:
	s_waitcnt lgkmcnt(1)
	v_add_f32_e32 v4, v4, v5
	v_fma_f32 v4, -v11, v4, v12
	v_bfe_u32 v5, v4, 16, 1
	v_cmp_o_f32_e32 vcc_lo, v4, v4
	v_add3_u32 v4, v4, v5, 0x7fff
	v_mov_b32_e32 v5, 0x7fc0
	v_cndmask_b32_sdwa v4, v5, v4, vcc_lo dst_sel:DWORD dst_unused:UNUSED_PAD src0_sel:DWORD src1_sel:WORD_1
	v_cndmask_b32_e64 v4, v4, 0, s2
	global_store_short v[0:1], v4, off
.LBB839_9:
	s_or_b32 exec_lo, exec_lo, s3
	v_cmp_ne_u32_e32 vcc_lo, 1, v10
	s_and_b32 s0, vcc_lo, s0
	s_and_b32 exec_lo, exec_lo, s0
	s_cbranch_execz .LBB839_11
; %bb.10:
	s_waitcnt lgkmcnt(0)
	v_add_f32_e32 v2, v2, v3
	s_lshl_b64 s[2:3], s[10:11], 1
	v_fma_f32 v2, -v14, v2, v13
	v_bfe_u32 v3, v2, 16, 1
	v_cmp_o_f32_e32 vcc_lo, v2, v2
	v_add3_u32 v2, v2, v3, 0x7fff
	v_mov_b32_e32 v3, 0x7fc0
	v_cndmask_b32_sdwa v2, v3, v2, vcc_lo dst_sel:DWORD dst_unused:UNUSED_PAD src0_sel:DWORD src1_sel:WORD_1
	v_add_co_u32 v0, vcc_lo, v0, s2
	v_add_co_ci_u32_e64 v1, null, s3, v1, vcc_lo
	v_cndmask_b32_e64 v2, v2, 0, s1
	global_store_short v[0:1], v2, off
.LBB839_11:
	s_endpgm
	.section	.rodata,"a",@progbits
	.p2align	6, 0x0
	.amdhsa_kernel _ZN12_GLOBAL__N_121softmax_warp_backwardIN3c108BFloat16ES2_fLi2ELb0ELb1ELi32EEEvPT0_PKT_S7_iiiPKb
		.amdhsa_group_segment_fixed_size 0
		.amdhsa_private_segment_fixed_size 0
		.amdhsa_kernarg_size 304
		.amdhsa_user_sgpr_count 6
		.amdhsa_user_sgpr_private_segment_buffer 1
		.amdhsa_user_sgpr_dispatch_ptr 0
		.amdhsa_user_sgpr_queue_ptr 0
		.amdhsa_user_sgpr_kernarg_segment_ptr 1
		.amdhsa_user_sgpr_dispatch_id 0
		.amdhsa_user_sgpr_flat_scratch_init 0
		.amdhsa_user_sgpr_private_segment_size 0
		.amdhsa_wavefront_size32 1
		.amdhsa_uses_dynamic_stack 0
		.amdhsa_system_sgpr_private_segment_wavefront_offset 0
		.amdhsa_system_sgpr_workgroup_id_x 1
		.amdhsa_system_sgpr_workgroup_id_y 0
		.amdhsa_system_sgpr_workgroup_id_z 0
		.amdhsa_system_sgpr_workgroup_info 0
		.amdhsa_system_vgpr_workitem_id 1
		.amdhsa_next_free_vgpr 15
		.amdhsa_next_free_sgpr 16
		.amdhsa_reserve_vcc 1
		.amdhsa_reserve_flat_scratch 0
		.amdhsa_float_round_mode_32 0
		.amdhsa_float_round_mode_16_64 0
		.amdhsa_float_denorm_mode_32 3
		.amdhsa_float_denorm_mode_16_64 3
		.amdhsa_dx10_clamp 1
		.amdhsa_ieee_mode 1
		.amdhsa_fp16_overflow 0
		.amdhsa_workgroup_processor_mode 1
		.amdhsa_memory_ordered 1
		.amdhsa_forward_progress 1
		.amdhsa_shared_vgpr_count 0
		.amdhsa_exception_fp_ieee_invalid_op 0
		.amdhsa_exception_fp_denorm_src 0
		.amdhsa_exception_fp_ieee_div_zero 0
		.amdhsa_exception_fp_ieee_overflow 0
		.amdhsa_exception_fp_ieee_underflow 0
		.amdhsa_exception_fp_ieee_inexact 0
		.amdhsa_exception_int_div_zero 0
	.end_amdhsa_kernel
	.section	.text._ZN12_GLOBAL__N_121softmax_warp_backwardIN3c108BFloat16ES2_fLi2ELb0ELb1ELi32EEEvPT0_PKT_S7_iiiPKb,"axG",@progbits,_ZN12_GLOBAL__N_121softmax_warp_backwardIN3c108BFloat16ES2_fLi2ELb0ELb1ELi32EEEvPT0_PKT_S7_iiiPKb,comdat
.Lfunc_end839:
	.size	_ZN12_GLOBAL__N_121softmax_warp_backwardIN3c108BFloat16ES2_fLi2ELb0ELb1ELi32EEEvPT0_PKT_S7_iiiPKb, .Lfunc_end839-_ZN12_GLOBAL__N_121softmax_warp_backwardIN3c108BFloat16ES2_fLi2ELb0ELb1ELi32EEEvPT0_PKT_S7_iiiPKb
                                        ; -- End function
	.set _ZN12_GLOBAL__N_121softmax_warp_backwardIN3c108BFloat16ES2_fLi2ELb0ELb1ELi32EEEvPT0_PKT_S7_iiiPKb.num_vgpr, 15
	.set _ZN12_GLOBAL__N_121softmax_warp_backwardIN3c108BFloat16ES2_fLi2ELb0ELb1ELi32EEEvPT0_PKT_S7_iiiPKb.num_agpr, 0
	.set _ZN12_GLOBAL__N_121softmax_warp_backwardIN3c108BFloat16ES2_fLi2ELb0ELb1ELi32EEEvPT0_PKT_S7_iiiPKb.numbered_sgpr, 16
	.set _ZN12_GLOBAL__N_121softmax_warp_backwardIN3c108BFloat16ES2_fLi2ELb0ELb1ELi32EEEvPT0_PKT_S7_iiiPKb.num_named_barrier, 0
	.set _ZN12_GLOBAL__N_121softmax_warp_backwardIN3c108BFloat16ES2_fLi2ELb0ELb1ELi32EEEvPT0_PKT_S7_iiiPKb.private_seg_size, 0
	.set _ZN12_GLOBAL__N_121softmax_warp_backwardIN3c108BFloat16ES2_fLi2ELb0ELb1ELi32EEEvPT0_PKT_S7_iiiPKb.uses_vcc, 1
	.set _ZN12_GLOBAL__N_121softmax_warp_backwardIN3c108BFloat16ES2_fLi2ELb0ELb1ELi32EEEvPT0_PKT_S7_iiiPKb.uses_flat_scratch, 0
	.set _ZN12_GLOBAL__N_121softmax_warp_backwardIN3c108BFloat16ES2_fLi2ELb0ELb1ELi32EEEvPT0_PKT_S7_iiiPKb.has_dyn_sized_stack, 0
	.set _ZN12_GLOBAL__N_121softmax_warp_backwardIN3c108BFloat16ES2_fLi2ELb0ELb1ELi32EEEvPT0_PKT_S7_iiiPKb.has_recursion, 0
	.set _ZN12_GLOBAL__N_121softmax_warp_backwardIN3c108BFloat16ES2_fLi2ELb0ELb1ELi32EEEvPT0_PKT_S7_iiiPKb.has_indirect_call, 0
	.section	.AMDGPU.csdata,"",@progbits
; Kernel info:
; codeLenInByte = 788
; TotalNumSgprs: 18
; NumVgprs: 15
; ScratchSize: 0
; MemoryBound: 0
; FloatMode: 240
; IeeeMode: 1
; LDSByteSize: 0 bytes/workgroup (compile time only)
; SGPRBlocks: 0
; VGPRBlocks: 1
; NumSGPRsForWavesPerEU: 18
; NumVGPRsForWavesPerEU: 15
; Occupancy: 16
; WaveLimiterHint : 0
; COMPUTE_PGM_RSRC2:SCRATCH_EN: 0
; COMPUTE_PGM_RSRC2:USER_SGPR: 6
; COMPUTE_PGM_RSRC2:TRAP_HANDLER: 0
; COMPUTE_PGM_RSRC2:TGID_X_EN: 1
; COMPUTE_PGM_RSRC2:TGID_Y_EN: 0
; COMPUTE_PGM_RSRC2:TGID_Z_EN: 0
; COMPUTE_PGM_RSRC2:TIDIG_COMP_CNT: 1
	.section	.text._ZN12_GLOBAL__N_121softmax_warp_backwardIN3c108BFloat16ES2_fLi3ELb0ELb1ELi64EEEvPT0_PKT_S7_iiiPKb,"axG",@progbits,_ZN12_GLOBAL__N_121softmax_warp_backwardIN3c108BFloat16ES2_fLi3ELb0ELb1ELi64EEEvPT0_PKT_S7_iiiPKb,comdat
	.globl	_ZN12_GLOBAL__N_121softmax_warp_backwardIN3c108BFloat16ES2_fLi3ELb0ELb1ELi64EEEvPT0_PKT_S7_iiiPKb ; -- Begin function _ZN12_GLOBAL__N_121softmax_warp_backwardIN3c108BFloat16ES2_fLi3ELb0ELb1ELi64EEEvPT0_PKT_S7_iiiPKb
	.p2align	8
	.type	_ZN12_GLOBAL__N_121softmax_warp_backwardIN3c108BFloat16ES2_fLi3ELb0ELb1ELi64EEEvPT0_PKT_S7_iiiPKb,@function
_ZN12_GLOBAL__N_121softmax_warp_backwardIN3c108BFloat16ES2_fLi3ELb0ELb1ELi64EEEvPT0_PKT_S7_iiiPKb: ; @_ZN12_GLOBAL__N_121softmax_warp_backwardIN3c108BFloat16ES2_fLi3ELb0ELb1ELi64EEEvPT0_PKT_S7_iiiPKb
; %bb.0:
	s_clause 0x1
	s_load_dword s0, s[4:5], 0x3c
	s_load_dwordx4 s[8:11], s[4:5], 0x18
	v_and_b32_e32 v4, 7, v0
	s_clause 0x1
	s_load_dwordx4 s[12:15], s[4:5], 0x0
	s_load_dwordx2 s[2:3], s[4:5], 0x10
	v_mov_b32_e32 v11, 0
	v_mov_b32_e32 v12, 0
	s_waitcnt lgkmcnt(0)
	s_mov_b32 s11, 0
	s_lshr_b32 s0, s0, 16
	s_and_b32 s0, s0, 0xffff
	s_mul_i32 s6, s6, s0
	v_cmp_gt_i32_e64 s0, s10, v4
	v_add_lshl_u32 v0, s6, v1, 1
	v_mad_u64_u32 v[2:3], null, v0, s9, v[4:5]
	v_sub_nc_u32_e32 v10, s8, v0
	v_cmp_lt_i32_e32 vcc_lo, 0, v10
	v_ashrrev_i32_e32 v3, 31, v2
	v_lshlrev_b64 v[0:1], 1, v[2:3]
	v_add_co_u32 v8, s1, s14, v0
	v_add_co_ci_u32_e64 v9, null, s15, v1, s1
	v_add_co_u32 v6, s1, s2, v0
	v_add_co_ci_u32_e64 v7, null, s3, v1, s1
	s_and_b32 s2, s0, vcc_lo
	s_and_saveexec_b32 s1, s2
	s_cbranch_execz .LBB840_2
; %bb.1:
	global_load_ushort v4, v[8:9], off
	global_load_ushort v5, v[6:7], off
	s_waitcnt vmcnt(1)
	v_lshlrev_b32_e32 v12, 16, v4
	s_waitcnt vmcnt(0)
	v_lshlrev_b32_e32 v11, 16, v5
.LBB840_2:
	s_or_b32 exec_lo, exec_lo, s1
	v_cmp_gt_i32_e64 s1, 2, v10
	v_mov_b32_e32 v4, s10
	v_mov_b32_e32 v5, s11
	s_xor_b32 s2, s0, -1
	s_or_b32 s1, s2, s1
	s_and_saveexec_b32 s2, s1
	s_xor_b32 s1, exec_lo, s2
                                        ; implicit-def: $vgpr14
                                        ; implicit-def: $vgpr13
; %bb.3:
	v_mov_b32_e32 v13, 0
	s_ashr_i32 s3, s10, 31
	s_mov_b32 s2, s10
	v_mov_b32_e32 v5, s3
	v_mov_b32_e32 v4, s2
	;; [unrolled: 1-line block ×3, first 2 shown]
                                        ; implicit-def: $vgpr6
                                        ; implicit-def: $vgpr8
; %bb.4:
	s_andn2_saveexec_b32 s2, s1
	s_cbranch_execz .LBB840_6
; %bb.5:
	s_lshl_b64 s[6:7], s[10:11], 1
	v_add_co_u32 v8, s1, v8, s6
	v_add_co_ci_u32_e64 v9, null, s7, v9, s1
	v_add_co_u32 v6, s1, v6, s6
	v_add_co_ci_u32_e64 v7, null, s7, v7, s1
	global_load_ushort v8, v[8:9], off
	global_load_ushort v6, v[6:7], off
	s_waitcnt vmcnt(1)
	v_lshlrev_b32_e32 v13, 16, v8
	s_waitcnt vmcnt(0)
	v_lshlrev_b32_e32 v14, 16, v6
.LBB840_6:
	s_or_b32 exec_lo, exec_lo, s2
	s_load_dwordx2 s[2:3], s[4:5], 0x28
	v_add_f32_e32 v7, 0, v12
	v_add_f32_e32 v8, 0, v13
	s_waitcnt lgkmcnt(0)
	v_add_co_u32 v2, s1, s2, v2
	v_add_co_ci_u32_e64 v3, null, s3, v3, s1
	v_add_co_u32 v4, s1, v2, v4
	v_add_co_ci_u32_e64 v5, null, v3, v5, s1
	s_clause 0x1
	global_load_ubyte v2, v[2:3], off
	global_load_ubyte v3, v[4:5], off
	v_mbcnt_lo_u32_b32 v4, -1, 0
	v_and_b32_e32 v5, 24, v4
	v_xor_b32_e32 v6, 4, v4
	v_add_nc_u32_e32 v5, 8, v5
	v_cmp_lt_i32_e64 s1, v6, v5
	v_cndmask_b32_e64 v6, v4, v6, s1
	v_lshlrev_b32_e32 v6, 2, v6
	s_waitcnt vmcnt(1)
	v_and_b32_e32 v2, 1, v2
	s_waitcnt vmcnt(0)
	v_and_b32_e32 v3, 1, v3
	v_cmp_eq_u32_e64 s2, 1, v2
	v_cmp_eq_u32_e64 s1, 1, v3
	v_cndmask_b32_e64 v2, v7, 0, s2
	v_cndmask_b32_e64 v3, v8, 0, s1
	v_xor_b32_e32 v8, 2, v4
	ds_bpermute_b32 v7, v6, v2
	ds_bpermute_b32 v6, v6, v3
	v_cmp_lt_i32_e64 s3, v8, v5
	v_cndmask_b32_e64 v8, v4, v8, s3
	s_waitcnt lgkmcnt(1)
	v_add_f32_e32 v2, v2, v7
	v_lshlrev_b32_e32 v7, 2, v8
	s_waitcnt lgkmcnt(0)
	v_add_f32_e32 v3, v3, v6
	v_xor_b32_e32 v8, 1, v4
	ds_bpermute_b32 v6, v7, v2
	ds_bpermute_b32 v7, v7, v3
	v_cmp_lt_i32_e64 s3, v8, v5
	v_cndmask_b32_e64 v5, v4, v8, s3
	s_waitcnt lgkmcnt(1)
	v_add_f32_e32 v4, v2, v6
	v_lshlrev_b32_e32 v6, 2, v5
	s_waitcnt lgkmcnt(0)
	v_add_f32_e32 v2, v3, v7
	ds_bpermute_b32 v5, v6, v4
	ds_bpermute_b32 v3, v6, v2
	s_and_saveexec_b32 s3, vcc_lo
	s_cbranch_execz .LBB840_11
; %bb.7:
	v_add_co_u32 v0, vcc_lo, s12, v0
	v_add_co_ci_u32_e64 v1, null, s13, v1, vcc_lo
	s_and_saveexec_b32 s3, s0
	s_cbranch_execz .LBB840_9
; %bb.8:
	s_waitcnt lgkmcnt(1)
	v_add_f32_e32 v4, v4, v5
	v_fma_f32 v4, -v11, v4, v12
	v_bfe_u32 v5, v4, 16, 1
	v_cmp_o_f32_e32 vcc_lo, v4, v4
	v_add3_u32 v4, v4, v5, 0x7fff
	v_mov_b32_e32 v5, 0x7fc0
	v_cndmask_b32_sdwa v4, v5, v4, vcc_lo dst_sel:DWORD dst_unused:UNUSED_PAD src0_sel:DWORD src1_sel:WORD_1
	v_cndmask_b32_e64 v4, v4, 0, s2
	global_store_short v[0:1], v4, off
.LBB840_9:
	s_or_b32 exec_lo, exec_lo, s3
	v_cmp_ne_u32_e32 vcc_lo, 1, v10
	s_and_b32 s0, vcc_lo, s0
	s_and_b32 exec_lo, exec_lo, s0
	s_cbranch_execz .LBB840_11
; %bb.10:
	s_waitcnt lgkmcnt(0)
	v_add_f32_e32 v2, v2, v3
	s_lshl_b64 s[2:3], s[10:11], 1
	v_fma_f32 v2, -v14, v2, v13
	v_bfe_u32 v3, v2, 16, 1
	v_cmp_o_f32_e32 vcc_lo, v2, v2
	v_add3_u32 v2, v2, v3, 0x7fff
	v_mov_b32_e32 v3, 0x7fc0
	v_cndmask_b32_sdwa v2, v3, v2, vcc_lo dst_sel:DWORD dst_unused:UNUSED_PAD src0_sel:DWORD src1_sel:WORD_1
	v_add_co_u32 v0, vcc_lo, v0, s2
	v_add_co_ci_u32_e64 v1, null, s3, v1, vcc_lo
	v_cndmask_b32_e64 v2, v2, 0, s1
	global_store_short v[0:1], v2, off
.LBB840_11:
	s_endpgm
	.section	.rodata,"a",@progbits
	.p2align	6, 0x0
	.amdhsa_kernel _ZN12_GLOBAL__N_121softmax_warp_backwardIN3c108BFloat16ES2_fLi3ELb0ELb1ELi64EEEvPT0_PKT_S7_iiiPKb
		.amdhsa_group_segment_fixed_size 0
		.amdhsa_private_segment_fixed_size 0
		.amdhsa_kernarg_size 304
		.amdhsa_user_sgpr_count 6
		.amdhsa_user_sgpr_private_segment_buffer 1
		.amdhsa_user_sgpr_dispatch_ptr 0
		.amdhsa_user_sgpr_queue_ptr 0
		.amdhsa_user_sgpr_kernarg_segment_ptr 1
		.amdhsa_user_sgpr_dispatch_id 0
		.amdhsa_user_sgpr_flat_scratch_init 0
		.amdhsa_user_sgpr_private_segment_size 0
		.amdhsa_wavefront_size32 1
		.amdhsa_uses_dynamic_stack 0
		.amdhsa_system_sgpr_private_segment_wavefront_offset 0
		.amdhsa_system_sgpr_workgroup_id_x 1
		.amdhsa_system_sgpr_workgroup_id_y 0
		.amdhsa_system_sgpr_workgroup_id_z 0
		.amdhsa_system_sgpr_workgroup_info 0
		.amdhsa_system_vgpr_workitem_id 1
		.amdhsa_next_free_vgpr 15
		.amdhsa_next_free_sgpr 16
		.amdhsa_reserve_vcc 1
		.amdhsa_reserve_flat_scratch 0
		.amdhsa_float_round_mode_32 0
		.amdhsa_float_round_mode_16_64 0
		.amdhsa_float_denorm_mode_32 3
		.amdhsa_float_denorm_mode_16_64 3
		.amdhsa_dx10_clamp 1
		.amdhsa_ieee_mode 1
		.amdhsa_fp16_overflow 0
		.amdhsa_workgroup_processor_mode 1
		.amdhsa_memory_ordered 1
		.amdhsa_forward_progress 1
		.amdhsa_shared_vgpr_count 0
		.amdhsa_exception_fp_ieee_invalid_op 0
		.amdhsa_exception_fp_denorm_src 0
		.amdhsa_exception_fp_ieee_div_zero 0
		.amdhsa_exception_fp_ieee_overflow 0
		.amdhsa_exception_fp_ieee_underflow 0
		.amdhsa_exception_fp_ieee_inexact 0
		.amdhsa_exception_int_div_zero 0
	.end_amdhsa_kernel
	.section	.text._ZN12_GLOBAL__N_121softmax_warp_backwardIN3c108BFloat16ES2_fLi3ELb0ELb1ELi64EEEvPT0_PKT_S7_iiiPKb,"axG",@progbits,_ZN12_GLOBAL__N_121softmax_warp_backwardIN3c108BFloat16ES2_fLi3ELb0ELb1ELi64EEEvPT0_PKT_S7_iiiPKb,comdat
.Lfunc_end840:
	.size	_ZN12_GLOBAL__N_121softmax_warp_backwardIN3c108BFloat16ES2_fLi3ELb0ELb1ELi64EEEvPT0_PKT_S7_iiiPKb, .Lfunc_end840-_ZN12_GLOBAL__N_121softmax_warp_backwardIN3c108BFloat16ES2_fLi3ELb0ELb1ELi64EEEvPT0_PKT_S7_iiiPKb
                                        ; -- End function
	.set _ZN12_GLOBAL__N_121softmax_warp_backwardIN3c108BFloat16ES2_fLi3ELb0ELb1ELi64EEEvPT0_PKT_S7_iiiPKb.num_vgpr, 15
	.set _ZN12_GLOBAL__N_121softmax_warp_backwardIN3c108BFloat16ES2_fLi3ELb0ELb1ELi64EEEvPT0_PKT_S7_iiiPKb.num_agpr, 0
	.set _ZN12_GLOBAL__N_121softmax_warp_backwardIN3c108BFloat16ES2_fLi3ELb0ELb1ELi64EEEvPT0_PKT_S7_iiiPKb.numbered_sgpr, 16
	.set _ZN12_GLOBAL__N_121softmax_warp_backwardIN3c108BFloat16ES2_fLi3ELb0ELb1ELi64EEEvPT0_PKT_S7_iiiPKb.num_named_barrier, 0
	.set _ZN12_GLOBAL__N_121softmax_warp_backwardIN3c108BFloat16ES2_fLi3ELb0ELb1ELi64EEEvPT0_PKT_S7_iiiPKb.private_seg_size, 0
	.set _ZN12_GLOBAL__N_121softmax_warp_backwardIN3c108BFloat16ES2_fLi3ELb0ELb1ELi64EEEvPT0_PKT_S7_iiiPKb.uses_vcc, 1
	.set _ZN12_GLOBAL__N_121softmax_warp_backwardIN3c108BFloat16ES2_fLi3ELb0ELb1ELi64EEEvPT0_PKT_S7_iiiPKb.uses_flat_scratch, 0
	.set _ZN12_GLOBAL__N_121softmax_warp_backwardIN3c108BFloat16ES2_fLi3ELb0ELb1ELi64EEEvPT0_PKT_S7_iiiPKb.has_dyn_sized_stack, 0
	.set _ZN12_GLOBAL__N_121softmax_warp_backwardIN3c108BFloat16ES2_fLi3ELb0ELb1ELi64EEEvPT0_PKT_S7_iiiPKb.has_recursion, 0
	.set _ZN12_GLOBAL__N_121softmax_warp_backwardIN3c108BFloat16ES2_fLi3ELb0ELb1ELi64EEEvPT0_PKT_S7_iiiPKb.has_indirect_call, 0
	.section	.AMDGPU.csdata,"",@progbits
; Kernel info:
; codeLenInByte = 844
; TotalNumSgprs: 18
; NumVgprs: 15
; ScratchSize: 0
; MemoryBound: 0
; FloatMode: 240
; IeeeMode: 1
; LDSByteSize: 0 bytes/workgroup (compile time only)
; SGPRBlocks: 0
; VGPRBlocks: 1
; NumSGPRsForWavesPerEU: 18
; NumVGPRsForWavesPerEU: 15
; Occupancy: 16
; WaveLimiterHint : 0
; COMPUTE_PGM_RSRC2:SCRATCH_EN: 0
; COMPUTE_PGM_RSRC2:USER_SGPR: 6
; COMPUTE_PGM_RSRC2:TRAP_HANDLER: 0
; COMPUTE_PGM_RSRC2:TGID_X_EN: 1
; COMPUTE_PGM_RSRC2:TGID_Y_EN: 0
; COMPUTE_PGM_RSRC2:TGID_Z_EN: 0
; COMPUTE_PGM_RSRC2:TIDIG_COMP_CNT: 1
	.section	.text._ZN12_GLOBAL__N_121softmax_warp_backwardIN3c108BFloat16ES2_fLi3ELb0ELb1ELi32EEEvPT0_PKT_S7_iiiPKb,"axG",@progbits,_ZN12_GLOBAL__N_121softmax_warp_backwardIN3c108BFloat16ES2_fLi3ELb0ELb1ELi32EEEvPT0_PKT_S7_iiiPKb,comdat
	.globl	_ZN12_GLOBAL__N_121softmax_warp_backwardIN3c108BFloat16ES2_fLi3ELb0ELb1ELi32EEEvPT0_PKT_S7_iiiPKb ; -- Begin function _ZN12_GLOBAL__N_121softmax_warp_backwardIN3c108BFloat16ES2_fLi3ELb0ELb1ELi32EEEvPT0_PKT_S7_iiiPKb
	.p2align	8
	.type	_ZN12_GLOBAL__N_121softmax_warp_backwardIN3c108BFloat16ES2_fLi3ELb0ELb1ELi32EEEvPT0_PKT_S7_iiiPKb,@function
_ZN12_GLOBAL__N_121softmax_warp_backwardIN3c108BFloat16ES2_fLi3ELb0ELb1ELi32EEEvPT0_PKT_S7_iiiPKb: ; @_ZN12_GLOBAL__N_121softmax_warp_backwardIN3c108BFloat16ES2_fLi3ELb0ELb1ELi32EEEvPT0_PKT_S7_iiiPKb
; %bb.0:
	s_clause 0x1
	s_load_dword s0, s[4:5], 0x3c
	s_load_dwordx4 s[8:11], s[4:5], 0x18
	v_and_b32_e32 v4, 7, v0
	s_clause 0x1
	s_load_dwordx4 s[12:15], s[4:5], 0x0
	s_load_dwordx2 s[2:3], s[4:5], 0x10
	v_mov_b32_e32 v11, 0
	v_mov_b32_e32 v12, 0
	s_waitcnt lgkmcnt(0)
	s_mov_b32 s11, 0
	s_lshr_b32 s0, s0, 16
	s_and_b32 s0, s0, 0xffff
	s_mul_i32 s6, s6, s0
	v_cmp_gt_i32_e64 s0, s10, v4
	v_add_lshl_u32 v0, s6, v1, 1
	v_mad_u64_u32 v[2:3], null, v0, s9, v[4:5]
	v_sub_nc_u32_e32 v10, s8, v0
	v_cmp_lt_i32_e32 vcc_lo, 0, v10
	v_ashrrev_i32_e32 v3, 31, v2
	v_lshlrev_b64 v[0:1], 1, v[2:3]
	v_add_co_u32 v8, s1, s14, v0
	v_add_co_ci_u32_e64 v9, null, s15, v1, s1
	v_add_co_u32 v6, s1, s2, v0
	v_add_co_ci_u32_e64 v7, null, s3, v1, s1
	s_and_b32 s2, s0, vcc_lo
	s_and_saveexec_b32 s1, s2
	s_cbranch_execz .LBB841_2
; %bb.1:
	global_load_ushort v4, v[8:9], off
	global_load_ushort v5, v[6:7], off
	s_waitcnt vmcnt(1)
	v_lshlrev_b32_e32 v12, 16, v4
	s_waitcnt vmcnt(0)
	v_lshlrev_b32_e32 v11, 16, v5
.LBB841_2:
	s_or_b32 exec_lo, exec_lo, s1
	v_cmp_gt_i32_e64 s1, 2, v10
	v_mov_b32_e32 v4, s10
	v_mov_b32_e32 v5, s11
	s_xor_b32 s2, s0, -1
	s_or_b32 s1, s2, s1
	s_and_saveexec_b32 s2, s1
	s_xor_b32 s1, exec_lo, s2
                                        ; implicit-def: $vgpr14
                                        ; implicit-def: $vgpr13
; %bb.3:
	v_mov_b32_e32 v13, 0
	s_ashr_i32 s3, s10, 31
	s_mov_b32 s2, s10
	v_mov_b32_e32 v5, s3
	v_mov_b32_e32 v4, s2
	;; [unrolled: 1-line block ×3, first 2 shown]
                                        ; implicit-def: $vgpr6
                                        ; implicit-def: $vgpr8
; %bb.4:
	s_andn2_saveexec_b32 s2, s1
	s_cbranch_execz .LBB841_6
; %bb.5:
	s_lshl_b64 s[6:7], s[10:11], 1
	v_add_co_u32 v8, s1, v8, s6
	v_add_co_ci_u32_e64 v9, null, s7, v9, s1
	v_add_co_u32 v6, s1, v6, s6
	v_add_co_ci_u32_e64 v7, null, s7, v7, s1
	global_load_ushort v8, v[8:9], off
	global_load_ushort v6, v[6:7], off
	s_waitcnt vmcnt(1)
	v_lshlrev_b32_e32 v13, 16, v8
	s_waitcnt vmcnt(0)
	v_lshlrev_b32_e32 v14, 16, v6
.LBB841_6:
	s_or_b32 exec_lo, exec_lo, s2
	s_load_dwordx2 s[2:3], s[4:5], 0x28
	v_add_f32_e32 v7, 0, v12
	v_add_f32_e32 v8, 0, v13
	s_waitcnt lgkmcnt(0)
	v_add_co_u32 v2, s1, s2, v2
	v_add_co_ci_u32_e64 v3, null, s3, v3, s1
	v_add_co_u32 v4, s1, v2, v4
	v_add_co_ci_u32_e64 v5, null, v3, v5, s1
	s_clause 0x1
	global_load_ubyte v2, v[2:3], off
	global_load_ubyte v3, v[4:5], off
	v_mbcnt_lo_u32_b32 v4, -1, 0
	v_and_b32_e32 v5, 24, v4
	v_xor_b32_e32 v6, 4, v4
	v_add_nc_u32_e32 v5, 8, v5
	v_cmp_lt_i32_e64 s1, v6, v5
	v_cndmask_b32_e64 v6, v4, v6, s1
	v_lshlrev_b32_e32 v6, 2, v6
	s_waitcnt vmcnt(1)
	v_and_b32_e32 v2, 1, v2
	s_waitcnt vmcnt(0)
	v_and_b32_e32 v3, 1, v3
	v_cmp_eq_u32_e64 s2, 1, v2
	v_cmp_eq_u32_e64 s1, 1, v3
	v_cndmask_b32_e64 v2, v7, 0, s2
	v_cndmask_b32_e64 v3, v8, 0, s1
	v_xor_b32_e32 v8, 2, v4
	ds_bpermute_b32 v7, v6, v2
	ds_bpermute_b32 v6, v6, v3
	v_cmp_lt_i32_e64 s3, v8, v5
	v_cndmask_b32_e64 v8, v4, v8, s3
	s_waitcnt lgkmcnt(1)
	v_add_f32_e32 v2, v2, v7
	v_lshlrev_b32_e32 v7, 2, v8
	s_waitcnt lgkmcnt(0)
	v_add_f32_e32 v3, v3, v6
	v_xor_b32_e32 v8, 1, v4
	ds_bpermute_b32 v6, v7, v2
	ds_bpermute_b32 v7, v7, v3
	v_cmp_lt_i32_e64 s3, v8, v5
	v_cndmask_b32_e64 v5, v4, v8, s3
	s_waitcnt lgkmcnt(1)
	v_add_f32_e32 v4, v2, v6
	v_lshlrev_b32_e32 v6, 2, v5
	s_waitcnt lgkmcnt(0)
	v_add_f32_e32 v2, v3, v7
	ds_bpermute_b32 v5, v6, v4
	ds_bpermute_b32 v3, v6, v2
	s_and_saveexec_b32 s3, vcc_lo
	s_cbranch_execz .LBB841_11
; %bb.7:
	v_add_co_u32 v0, vcc_lo, s12, v0
	v_add_co_ci_u32_e64 v1, null, s13, v1, vcc_lo
	s_and_saveexec_b32 s3, s0
	s_cbranch_execz .LBB841_9
; %bb.8:
	s_waitcnt lgkmcnt(1)
	v_add_f32_e32 v4, v4, v5
	v_fma_f32 v4, -v11, v4, v12
	v_bfe_u32 v5, v4, 16, 1
	v_cmp_o_f32_e32 vcc_lo, v4, v4
	v_add3_u32 v4, v4, v5, 0x7fff
	v_mov_b32_e32 v5, 0x7fc0
	v_cndmask_b32_sdwa v4, v5, v4, vcc_lo dst_sel:DWORD dst_unused:UNUSED_PAD src0_sel:DWORD src1_sel:WORD_1
	v_cndmask_b32_e64 v4, v4, 0, s2
	global_store_short v[0:1], v4, off
.LBB841_9:
	s_or_b32 exec_lo, exec_lo, s3
	v_cmp_ne_u32_e32 vcc_lo, 1, v10
	s_and_b32 s0, vcc_lo, s0
	s_and_b32 exec_lo, exec_lo, s0
	s_cbranch_execz .LBB841_11
; %bb.10:
	s_waitcnt lgkmcnt(0)
	v_add_f32_e32 v2, v2, v3
	s_lshl_b64 s[2:3], s[10:11], 1
	v_fma_f32 v2, -v14, v2, v13
	v_bfe_u32 v3, v2, 16, 1
	v_cmp_o_f32_e32 vcc_lo, v2, v2
	v_add3_u32 v2, v2, v3, 0x7fff
	v_mov_b32_e32 v3, 0x7fc0
	v_cndmask_b32_sdwa v2, v3, v2, vcc_lo dst_sel:DWORD dst_unused:UNUSED_PAD src0_sel:DWORD src1_sel:WORD_1
	v_add_co_u32 v0, vcc_lo, v0, s2
	v_add_co_ci_u32_e64 v1, null, s3, v1, vcc_lo
	v_cndmask_b32_e64 v2, v2, 0, s1
	global_store_short v[0:1], v2, off
.LBB841_11:
	s_endpgm
	.section	.rodata,"a",@progbits
	.p2align	6, 0x0
	.amdhsa_kernel _ZN12_GLOBAL__N_121softmax_warp_backwardIN3c108BFloat16ES2_fLi3ELb0ELb1ELi32EEEvPT0_PKT_S7_iiiPKb
		.amdhsa_group_segment_fixed_size 0
		.amdhsa_private_segment_fixed_size 0
		.amdhsa_kernarg_size 304
		.amdhsa_user_sgpr_count 6
		.amdhsa_user_sgpr_private_segment_buffer 1
		.amdhsa_user_sgpr_dispatch_ptr 0
		.amdhsa_user_sgpr_queue_ptr 0
		.amdhsa_user_sgpr_kernarg_segment_ptr 1
		.amdhsa_user_sgpr_dispatch_id 0
		.amdhsa_user_sgpr_flat_scratch_init 0
		.amdhsa_user_sgpr_private_segment_size 0
		.amdhsa_wavefront_size32 1
		.amdhsa_uses_dynamic_stack 0
		.amdhsa_system_sgpr_private_segment_wavefront_offset 0
		.amdhsa_system_sgpr_workgroup_id_x 1
		.amdhsa_system_sgpr_workgroup_id_y 0
		.amdhsa_system_sgpr_workgroup_id_z 0
		.amdhsa_system_sgpr_workgroup_info 0
		.amdhsa_system_vgpr_workitem_id 1
		.amdhsa_next_free_vgpr 15
		.amdhsa_next_free_sgpr 16
		.amdhsa_reserve_vcc 1
		.amdhsa_reserve_flat_scratch 0
		.amdhsa_float_round_mode_32 0
		.amdhsa_float_round_mode_16_64 0
		.amdhsa_float_denorm_mode_32 3
		.amdhsa_float_denorm_mode_16_64 3
		.amdhsa_dx10_clamp 1
		.amdhsa_ieee_mode 1
		.amdhsa_fp16_overflow 0
		.amdhsa_workgroup_processor_mode 1
		.amdhsa_memory_ordered 1
		.amdhsa_forward_progress 1
		.amdhsa_shared_vgpr_count 0
		.amdhsa_exception_fp_ieee_invalid_op 0
		.amdhsa_exception_fp_denorm_src 0
		.amdhsa_exception_fp_ieee_div_zero 0
		.amdhsa_exception_fp_ieee_overflow 0
		.amdhsa_exception_fp_ieee_underflow 0
		.amdhsa_exception_fp_ieee_inexact 0
		.amdhsa_exception_int_div_zero 0
	.end_amdhsa_kernel
	.section	.text._ZN12_GLOBAL__N_121softmax_warp_backwardIN3c108BFloat16ES2_fLi3ELb0ELb1ELi32EEEvPT0_PKT_S7_iiiPKb,"axG",@progbits,_ZN12_GLOBAL__N_121softmax_warp_backwardIN3c108BFloat16ES2_fLi3ELb0ELb1ELi32EEEvPT0_PKT_S7_iiiPKb,comdat
.Lfunc_end841:
	.size	_ZN12_GLOBAL__N_121softmax_warp_backwardIN3c108BFloat16ES2_fLi3ELb0ELb1ELi32EEEvPT0_PKT_S7_iiiPKb, .Lfunc_end841-_ZN12_GLOBAL__N_121softmax_warp_backwardIN3c108BFloat16ES2_fLi3ELb0ELb1ELi32EEEvPT0_PKT_S7_iiiPKb
                                        ; -- End function
	.set _ZN12_GLOBAL__N_121softmax_warp_backwardIN3c108BFloat16ES2_fLi3ELb0ELb1ELi32EEEvPT0_PKT_S7_iiiPKb.num_vgpr, 15
	.set _ZN12_GLOBAL__N_121softmax_warp_backwardIN3c108BFloat16ES2_fLi3ELb0ELb1ELi32EEEvPT0_PKT_S7_iiiPKb.num_agpr, 0
	.set _ZN12_GLOBAL__N_121softmax_warp_backwardIN3c108BFloat16ES2_fLi3ELb0ELb1ELi32EEEvPT0_PKT_S7_iiiPKb.numbered_sgpr, 16
	.set _ZN12_GLOBAL__N_121softmax_warp_backwardIN3c108BFloat16ES2_fLi3ELb0ELb1ELi32EEEvPT0_PKT_S7_iiiPKb.num_named_barrier, 0
	.set _ZN12_GLOBAL__N_121softmax_warp_backwardIN3c108BFloat16ES2_fLi3ELb0ELb1ELi32EEEvPT0_PKT_S7_iiiPKb.private_seg_size, 0
	.set _ZN12_GLOBAL__N_121softmax_warp_backwardIN3c108BFloat16ES2_fLi3ELb0ELb1ELi32EEEvPT0_PKT_S7_iiiPKb.uses_vcc, 1
	.set _ZN12_GLOBAL__N_121softmax_warp_backwardIN3c108BFloat16ES2_fLi3ELb0ELb1ELi32EEEvPT0_PKT_S7_iiiPKb.uses_flat_scratch, 0
	.set _ZN12_GLOBAL__N_121softmax_warp_backwardIN3c108BFloat16ES2_fLi3ELb0ELb1ELi32EEEvPT0_PKT_S7_iiiPKb.has_dyn_sized_stack, 0
	.set _ZN12_GLOBAL__N_121softmax_warp_backwardIN3c108BFloat16ES2_fLi3ELb0ELb1ELi32EEEvPT0_PKT_S7_iiiPKb.has_recursion, 0
	.set _ZN12_GLOBAL__N_121softmax_warp_backwardIN3c108BFloat16ES2_fLi3ELb0ELb1ELi32EEEvPT0_PKT_S7_iiiPKb.has_indirect_call, 0
	.section	.AMDGPU.csdata,"",@progbits
; Kernel info:
; codeLenInByte = 844
; TotalNumSgprs: 18
; NumVgprs: 15
; ScratchSize: 0
; MemoryBound: 0
; FloatMode: 240
; IeeeMode: 1
; LDSByteSize: 0 bytes/workgroup (compile time only)
; SGPRBlocks: 0
; VGPRBlocks: 1
; NumSGPRsForWavesPerEU: 18
; NumVGPRsForWavesPerEU: 15
; Occupancy: 16
; WaveLimiterHint : 0
; COMPUTE_PGM_RSRC2:SCRATCH_EN: 0
; COMPUTE_PGM_RSRC2:USER_SGPR: 6
; COMPUTE_PGM_RSRC2:TRAP_HANDLER: 0
; COMPUTE_PGM_RSRC2:TGID_X_EN: 1
; COMPUTE_PGM_RSRC2:TGID_Y_EN: 0
; COMPUTE_PGM_RSRC2:TGID_Z_EN: 0
; COMPUTE_PGM_RSRC2:TIDIG_COMP_CNT: 1
	.section	.text._ZN12_GLOBAL__N_121softmax_warp_backwardIN3c108BFloat16ES2_fLi4ELb0ELb1ELi64EEEvPT0_PKT_S7_iiiPKb,"axG",@progbits,_ZN12_GLOBAL__N_121softmax_warp_backwardIN3c108BFloat16ES2_fLi4ELb0ELb1ELi64EEEvPT0_PKT_S7_iiiPKb,comdat
	.globl	_ZN12_GLOBAL__N_121softmax_warp_backwardIN3c108BFloat16ES2_fLi4ELb0ELb1ELi64EEEvPT0_PKT_S7_iiiPKb ; -- Begin function _ZN12_GLOBAL__N_121softmax_warp_backwardIN3c108BFloat16ES2_fLi4ELb0ELb1ELi64EEEvPT0_PKT_S7_iiiPKb
	.p2align	8
	.type	_ZN12_GLOBAL__N_121softmax_warp_backwardIN3c108BFloat16ES2_fLi4ELb0ELb1ELi64EEEvPT0_PKT_S7_iiiPKb,@function
_ZN12_GLOBAL__N_121softmax_warp_backwardIN3c108BFloat16ES2_fLi4ELb0ELb1ELi64EEEvPT0_PKT_S7_iiiPKb: ; @_ZN12_GLOBAL__N_121softmax_warp_backwardIN3c108BFloat16ES2_fLi4ELb0ELb1ELi64EEEvPT0_PKT_S7_iiiPKb
; %bb.0:
	s_clause 0x1
	s_load_dword s0, s[4:5], 0x3c
	s_load_dwordx4 s[8:11], s[4:5], 0x18
	v_and_b32_e32 v4, 15, v0
	s_clause 0x1
	s_load_dwordx4 s[12:15], s[4:5], 0x0
	s_load_dwordx2 s[2:3], s[4:5], 0x10
	v_mov_b32_e32 v11, 0
	v_mov_b32_e32 v12, 0
	s_waitcnt lgkmcnt(0)
	s_mov_b32 s11, 0
	s_lshr_b32 s0, s0, 16
	s_and_b32 s0, s0, 0xffff
	s_mul_i32 s6, s6, s0
	v_cmp_gt_i32_e64 s0, s10, v4
	v_add_lshl_u32 v0, s6, v1, 1
	v_mad_u64_u32 v[2:3], null, v0, s9, v[4:5]
	v_sub_nc_u32_e32 v10, s8, v0
	v_cmp_lt_i32_e32 vcc_lo, 0, v10
	v_ashrrev_i32_e32 v3, 31, v2
	v_lshlrev_b64 v[0:1], 1, v[2:3]
	v_add_co_u32 v8, s1, s14, v0
	v_add_co_ci_u32_e64 v9, null, s15, v1, s1
	v_add_co_u32 v6, s1, s2, v0
	v_add_co_ci_u32_e64 v7, null, s3, v1, s1
	s_and_b32 s2, s0, vcc_lo
	s_and_saveexec_b32 s1, s2
	s_cbranch_execz .LBB842_2
; %bb.1:
	global_load_ushort v4, v[8:9], off
	global_load_ushort v5, v[6:7], off
	s_waitcnt vmcnt(1)
	v_lshlrev_b32_e32 v12, 16, v4
	s_waitcnt vmcnt(0)
	v_lshlrev_b32_e32 v11, 16, v5
.LBB842_2:
	s_or_b32 exec_lo, exec_lo, s1
	v_cmp_gt_i32_e64 s1, 2, v10
	v_mov_b32_e32 v4, s10
	v_mov_b32_e32 v5, s11
	s_xor_b32 s2, s0, -1
	s_or_b32 s1, s2, s1
	s_and_saveexec_b32 s2, s1
	s_xor_b32 s1, exec_lo, s2
                                        ; implicit-def: $vgpr14
                                        ; implicit-def: $vgpr13
; %bb.3:
	v_mov_b32_e32 v13, 0
	s_ashr_i32 s3, s10, 31
	s_mov_b32 s2, s10
	v_mov_b32_e32 v5, s3
	v_mov_b32_e32 v4, s2
	;; [unrolled: 1-line block ×3, first 2 shown]
                                        ; implicit-def: $vgpr6
                                        ; implicit-def: $vgpr8
; %bb.4:
	s_andn2_saveexec_b32 s2, s1
	s_cbranch_execz .LBB842_6
; %bb.5:
	s_lshl_b64 s[6:7], s[10:11], 1
	v_add_co_u32 v8, s1, v8, s6
	v_add_co_ci_u32_e64 v9, null, s7, v9, s1
	v_add_co_u32 v6, s1, v6, s6
	v_add_co_ci_u32_e64 v7, null, s7, v7, s1
	global_load_ushort v8, v[8:9], off
	global_load_ushort v6, v[6:7], off
	s_waitcnt vmcnt(1)
	v_lshlrev_b32_e32 v13, 16, v8
	s_waitcnt vmcnt(0)
	v_lshlrev_b32_e32 v14, 16, v6
.LBB842_6:
	s_or_b32 exec_lo, exec_lo, s2
	s_load_dwordx2 s[2:3], s[4:5], 0x28
	v_add_f32_e32 v7, 0, v12
	v_add_f32_e32 v8, 0, v13
	s_waitcnt lgkmcnt(0)
	v_add_co_u32 v2, s1, s2, v2
	v_add_co_ci_u32_e64 v3, null, s3, v3, s1
	v_add_co_u32 v4, s1, v2, v4
	v_add_co_ci_u32_e64 v5, null, v3, v5, s1
	s_clause 0x1
	global_load_ubyte v2, v[2:3], off
	global_load_ubyte v3, v[4:5], off
	v_mbcnt_lo_u32_b32 v4, -1, 0
	v_and_b32_e32 v5, 16, v4
	v_xor_b32_e32 v6, 8, v4
	v_add_nc_u32_e32 v5, 16, v5
	v_cmp_lt_i32_e64 s1, v6, v5
	v_cndmask_b32_e64 v6, v4, v6, s1
	v_lshlrev_b32_e32 v6, 2, v6
	s_waitcnt vmcnt(1)
	v_and_b32_e32 v2, 1, v2
	s_waitcnt vmcnt(0)
	v_and_b32_e32 v3, 1, v3
	v_cmp_eq_u32_e64 s2, 1, v2
	v_cmp_eq_u32_e64 s1, 1, v3
	v_cndmask_b32_e64 v2, v7, 0, s2
	v_cndmask_b32_e64 v3, v8, 0, s1
	v_xor_b32_e32 v8, 4, v4
	ds_bpermute_b32 v7, v6, v2
	ds_bpermute_b32 v6, v6, v3
	v_cmp_lt_i32_e64 s3, v8, v5
	v_cndmask_b32_e64 v8, v4, v8, s3
	s_waitcnt lgkmcnt(1)
	v_add_f32_e32 v2, v2, v7
	v_lshlrev_b32_e32 v7, 2, v8
	s_waitcnt lgkmcnt(0)
	v_add_f32_e32 v3, v3, v6
	v_xor_b32_e32 v8, 2, v4
	ds_bpermute_b32 v6, v7, v2
	ds_bpermute_b32 v7, v7, v3
	v_cmp_lt_i32_e64 s3, v8, v5
	v_cndmask_b32_e64 v8, v4, v8, s3
	s_waitcnt lgkmcnt(1)
	v_add_f32_e32 v2, v2, v6
	v_lshlrev_b32_e32 v6, 2, v8
	s_waitcnt lgkmcnt(0)
	v_add_f32_e32 v3, v3, v7
	;; [unrolled: 10-line block ×3, first 2 shown]
	ds_bpermute_b32 v5, v7, v4
	ds_bpermute_b32 v3, v7, v2
	s_and_saveexec_b32 s3, vcc_lo
	s_cbranch_execz .LBB842_11
; %bb.7:
	v_add_co_u32 v0, vcc_lo, s12, v0
	v_add_co_ci_u32_e64 v1, null, s13, v1, vcc_lo
	s_and_saveexec_b32 s3, s0
	s_cbranch_execz .LBB842_9
; %bb.8:
	s_waitcnt lgkmcnt(1)
	v_add_f32_e32 v4, v4, v5
	v_fma_f32 v4, -v11, v4, v12
	v_bfe_u32 v5, v4, 16, 1
	v_cmp_o_f32_e32 vcc_lo, v4, v4
	v_add3_u32 v4, v4, v5, 0x7fff
	v_mov_b32_e32 v5, 0x7fc0
	v_cndmask_b32_sdwa v4, v5, v4, vcc_lo dst_sel:DWORD dst_unused:UNUSED_PAD src0_sel:DWORD src1_sel:WORD_1
	v_cndmask_b32_e64 v4, v4, 0, s2
	global_store_short v[0:1], v4, off
.LBB842_9:
	s_or_b32 exec_lo, exec_lo, s3
	v_cmp_ne_u32_e32 vcc_lo, 1, v10
	s_and_b32 s0, vcc_lo, s0
	s_and_b32 exec_lo, exec_lo, s0
	s_cbranch_execz .LBB842_11
; %bb.10:
	s_waitcnt lgkmcnt(0)
	v_add_f32_e32 v2, v2, v3
	s_lshl_b64 s[2:3], s[10:11], 1
	v_fma_f32 v2, -v14, v2, v13
	v_bfe_u32 v3, v2, 16, 1
	v_cmp_o_f32_e32 vcc_lo, v2, v2
	v_add3_u32 v2, v2, v3, 0x7fff
	v_mov_b32_e32 v3, 0x7fc0
	v_cndmask_b32_sdwa v2, v3, v2, vcc_lo dst_sel:DWORD dst_unused:UNUSED_PAD src0_sel:DWORD src1_sel:WORD_1
	v_add_co_u32 v0, vcc_lo, v0, s2
	v_add_co_ci_u32_e64 v1, null, s3, v1, vcc_lo
	v_cndmask_b32_e64 v2, v2, 0, s1
	global_store_short v[0:1], v2, off
.LBB842_11:
	s_endpgm
	.section	.rodata,"a",@progbits
	.p2align	6, 0x0
	.amdhsa_kernel _ZN12_GLOBAL__N_121softmax_warp_backwardIN3c108BFloat16ES2_fLi4ELb0ELb1ELi64EEEvPT0_PKT_S7_iiiPKb
		.amdhsa_group_segment_fixed_size 0
		.amdhsa_private_segment_fixed_size 0
		.amdhsa_kernarg_size 304
		.amdhsa_user_sgpr_count 6
		.amdhsa_user_sgpr_private_segment_buffer 1
		.amdhsa_user_sgpr_dispatch_ptr 0
		.amdhsa_user_sgpr_queue_ptr 0
		.amdhsa_user_sgpr_kernarg_segment_ptr 1
		.amdhsa_user_sgpr_dispatch_id 0
		.amdhsa_user_sgpr_flat_scratch_init 0
		.amdhsa_user_sgpr_private_segment_size 0
		.amdhsa_wavefront_size32 1
		.amdhsa_uses_dynamic_stack 0
		.amdhsa_system_sgpr_private_segment_wavefront_offset 0
		.amdhsa_system_sgpr_workgroup_id_x 1
		.amdhsa_system_sgpr_workgroup_id_y 0
		.amdhsa_system_sgpr_workgroup_id_z 0
		.amdhsa_system_sgpr_workgroup_info 0
		.amdhsa_system_vgpr_workitem_id 1
		.amdhsa_next_free_vgpr 15
		.amdhsa_next_free_sgpr 16
		.amdhsa_reserve_vcc 1
		.amdhsa_reserve_flat_scratch 0
		.amdhsa_float_round_mode_32 0
		.amdhsa_float_round_mode_16_64 0
		.amdhsa_float_denorm_mode_32 3
		.amdhsa_float_denorm_mode_16_64 3
		.amdhsa_dx10_clamp 1
		.amdhsa_ieee_mode 1
		.amdhsa_fp16_overflow 0
		.amdhsa_workgroup_processor_mode 1
		.amdhsa_memory_ordered 1
		.amdhsa_forward_progress 1
		.amdhsa_shared_vgpr_count 0
		.amdhsa_exception_fp_ieee_invalid_op 0
		.amdhsa_exception_fp_denorm_src 0
		.amdhsa_exception_fp_ieee_div_zero 0
		.amdhsa_exception_fp_ieee_overflow 0
		.amdhsa_exception_fp_ieee_underflow 0
		.amdhsa_exception_fp_ieee_inexact 0
		.amdhsa_exception_int_div_zero 0
	.end_amdhsa_kernel
	.section	.text._ZN12_GLOBAL__N_121softmax_warp_backwardIN3c108BFloat16ES2_fLi4ELb0ELb1ELi64EEEvPT0_PKT_S7_iiiPKb,"axG",@progbits,_ZN12_GLOBAL__N_121softmax_warp_backwardIN3c108BFloat16ES2_fLi4ELb0ELb1ELi64EEEvPT0_PKT_S7_iiiPKb,comdat
.Lfunc_end842:
	.size	_ZN12_GLOBAL__N_121softmax_warp_backwardIN3c108BFloat16ES2_fLi4ELb0ELb1ELi64EEEvPT0_PKT_S7_iiiPKb, .Lfunc_end842-_ZN12_GLOBAL__N_121softmax_warp_backwardIN3c108BFloat16ES2_fLi4ELb0ELb1ELi64EEEvPT0_PKT_S7_iiiPKb
                                        ; -- End function
	.set _ZN12_GLOBAL__N_121softmax_warp_backwardIN3c108BFloat16ES2_fLi4ELb0ELb1ELi64EEEvPT0_PKT_S7_iiiPKb.num_vgpr, 15
	.set _ZN12_GLOBAL__N_121softmax_warp_backwardIN3c108BFloat16ES2_fLi4ELb0ELb1ELi64EEEvPT0_PKT_S7_iiiPKb.num_agpr, 0
	.set _ZN12_GLOBAL__N_121softmax_warp_backwardIN3c108BFloat16ES2_fLi4ELb0ELb1ELi64EEEvPT0_PKT_S7_iiiPKb.numbered_sgpr, 16
	.set _ZN12_GLOBAL__N_121softmax_warp_backwardIN3c108BFloat16ES2_fLi4ELb0ELb1ELi64EEEvPT0_PKT_S7_iiiPKb.num_named_barrier, 0
	.set _ZN12_GLOBAL__N_121softmax_warp_backwardIN3c108BFloat16ES2_fLi4ELb0ELb1ELi64EEEvPT0_PKT_S7_iiiPKb.private_seg_size, 0
	.set _ZN12_GLOBAL__N_121softmax_warp_backwardIN3c108BFloat16ES2_fLi4ELb0ELb1ELi64EEEvPT0_PKT_S7_iiiPKb.uses_vcc, 1
	.set _ZN12_GLOBAL__N_121softmax_warp_backwardIN3c108BFloat16ES2_fLi4ELb0ELb1ELi64EEEvPT0_PKT_S7_iiiPKb.uses_flat_scratch, 0
	.set _ZN12_GLOBAL__N_121softmax_warp_backwardIN3c108BFloat16ES2_fLi4ELb0ELb1ELi64EEEvPT0_PKT_S7_iiiPKb.has_dyn_sized_stack, 0
	.set _ZN12_GLOBAL__N_121softmax_warp_backwardIN3c108BFloat16ES2_fLi4ELb0ELb1ELi64EEEvPT0_PKT_S7_iiiPKb.has_recursion, 0
	.set _ZN12_GLOBAL__N_121softmax_warp_backwardIN3c108BFloat16ES2_fLi4ELb0ELb1ELi64EEEvPT0_PKT_S7_iiiPKb.has_indirect_call, 0
	.section	.AMDGPU.csdata,"",@progbits
; Kernel info:
; codeLenInByte = 900
; TotalNumSgprs: 18
; NumVgprs: 15
; ScratchSize: 0
; MemoryBound: 0
; FloatMode: 240
; IeeeMode: 1
; LDSByteSize: 0 bytes/workgroup (compile time only)
; SGPRBlocks: 0
; VGPRBlocks: 1
; NumSGPRsForWavesPerEU: 18
; NumVGPRsForWavesPerEU: 15
; Occupancy: 16
; WaveLimiterHint : 0
; COMPUTE_PGM_RSRC2:SCRATCH_EN: 0
; COMPUTE_PGM_RSRC2:USER_SGPR: 6
; COMPUTE_PGM_RSRC2:TRAP_HANDLER: 0
; COMPUTE_PGM_RSRC2:TGID_X_EN: 1
; COMPUTE_PGM_RSRC2:TGID_Y_EN: 0
; COMPUTE_PGM_RSRC2:TGID_Z_EN: 0
; COMPUTE_PGM_RSRC2:TIDIG_COMP_CNT: 1
	.section	.text._ZN12_GLOBAL__N_121softmax_warp_backwardIN3c108BFloat16ES2_fLi4ELb0ELb1ELi32EEEvPT0_PKT_S7_iiiPKb,"axG",@progbits,_ZN12_GLOBAL__N_121softmax_warp_backwardIN3c108BFloat16ES2_fLi4ELb0ELb1ELi32EEEvPT0_PKT_S7_iiiPKb,comdat
	.globl	_ZN12_GLOBAL__N_121softmax_warp_backwardIN3c108BFloat16ES2_fLi4ELb0ELb1ELi32EEEvPT0_PKT_S7_iiiPKb ; -- Begin function _ZN12_GLOBAL__N_121softmax_warp_backwardIN3c108BFloat16ES2_fLi4ELb0ELb1ELi32EEEvPT0_PKT_S7_iiiPKb
	.p2align	8
	.type	_ZN12_GLOBAL__N_121softmax_warp_backwardIN3c108BFloat16ES2_fLi4ELb0ELb1ELi32EEEvPT0_PKT_S7_iiiPKb,@function
_ZN12_GLOBAL__N_121softmax_warp_backwardIN3c108BFloat16ES2_fLi4ELb0ELb1ELi32EEEvPT0_PKT_S7_iiiPKb: ; @_ZN12_GLOBAL__N_121softmax_warp_backwardIN3c108BFloat16ES2_fLi4ELb0ELb1ELi32EEEvPT0_PKT_S7_iiiPKb
; %bb.0:
	s_clause 0x1
	s_load_dword s0, s[4:5], 0x3c
	s_load_dwordx4 s[8:11], s[4:5], 0x18
	v_and_b32_e32 v4, 15, v0
	s_clause 0x1
	s_load_dwordx4 s[12:15], s[4:5], 0x0
	s_load_dwordx2 s[2:3], s[4:5], 0x10
	v_mov_b32_e32 v11, 0
	v_mov_b32_e32 v12, 0
	s_waitcnt lgkmcnt(0)
	s_mov_b32 s11, 0
	s_lshr_b32 s0, s0, 16
	s_and_b32 s0, s0, 0xffff
	s_mul_i32 s6, s6, s0
	v_cmp_gt_i32_e64 s0, s10, v4
	v_add_lshl_u32 v0, s6, v1, 1
	v_mad_u64_u32 v[2:3], null, v0, s9, v[4:5]
	v_sub_nc_u32_e32 v10, s8, v0
	v_cmp_lt_i32_e32 vcc_lo, 0, v10
	v_ashrrev_i32_e32 v3, 31, v2
	v_lshlrev_b64 v[0:1], 1, v[2:3]
	v_add_co_u32 v8, s1, s14, v0
	v_add_co_ci_u32_e64 v9, null, s15, v1, s1
	v_add_co_u32 v6, s1, s2, v0
	v_add_co_ci_u32_e64 v7, null, s3, v1, s1
	s_and_b32 s2, s0, vcc_lo
	s_and_saveexec_b32 s1, s2
	s_cbranch_execz .LBB843_2
; %bb.1:
	global_load_ushort v4, v[8:9], off
	global_load_ushort v5, v[6:7], off
	s_waitcnt vmcnt(1)
	v_lshlrev_b32_e32 v12, 16, v4
	s_waitcnt vmcnt(0)
	v_lshlrev_b32_e32 v11, 16, v5
.LBB843_2:
	s_or_b32 exec_lo, exec_lo, s1
	v_cmp_gt_i32_e64 s1, 2, v10
	v_mov_b32_e32 v4, s10
	v_mov_b32_e32 v5, s11
	s_xor_b32 s2, s0, -1
	s_or_b32 s1, s2, s1
	s_and_saveexec_b32 s2, s1
	s_xor_b32 s1, exec_lo, s2
                                        ; implicit-def: $vgpr14
                                        ; implicit-def: $vgpr13
; %bb.3:
	v_mov_b32_e32 v13, 0
	s_ashr_i32 s3, s10, 31
	s_mov_b32 s2, s10
	v_mov_b32_e32 v5, s3
	v_mov_b32_e32 v4, s2
	;; [unrolled: 1-line block ×3, first 2 shown]
                                        ; implicit-def: $vgpr6
                                        ; implicit-def: $vgpr8
; %bb.4:
	s_andn2_saveexec_b32 s2, s1
	s_cbranch_execz .LBB843_6
; %bb.5:
	s_lshl_b64 s[6:7], s[10:11], 1
	v_add_co_u32 v8, s1, v8, s6
	v_add_co_ci_u32_e64 v9, null, s7, v9, s1
	v_add_co_u32 v6, s1, v6, s6
	v_add_co_ci_u32_e64 v7, null, s7, v7, s1
	global_load_ushort v8, v[8:9], off
	global_load_ushort v6, v[6:7], off
	s_waitcnt vmcnt(1)
	v_lshlrev_b32_e32 v13, 16, v8
	s_waitcnt vmcnt(0)
	v_lshlrev_b32_e32 v14, 16, v6
.LBB843_6:
	s_or_b32 exec_lo, exec_lo, s2
	s_load_dwordx2 s[2:3], s[4:5], 0x28
	v_add_f32_e32 v7, 0, v12
	v_add_f32_e32 v8, 0, v13
	s_waitcnt lgkmcnt(0)
	v_add_co_u32 v2, s1, s2, v2
	v_add_co_ci_u32_e64 v3, null, s3, v3, s1
	v_add_co_u32 v4, s1, v2, v4
	v_add_co_ci_u32_e64 v5, null, v3, v5, s1
	s_clause 0x1
	global_load_ubyte v2, v[2:3], off
	global_load_ubyte v3, v[4:5], off
	v_mbcnt_lo_u32_b32 v4, -1, 0
	v_and_b32_e32 v5, 16, v4
	v_xor_b32_e32 v6, 8, v4
	v_add_nc_u32_e32 v5, 16, v5
	v_cmp_lt_i32_e64 s1, v6, v5
	v_cndmask_b32_e64 v6, v4, v6, s1
	v_lshlrev_b32_e32 v6, 2, v6
	s_waitcnt vmcnt(1)
	v_and_b32_e32 v2, 1, v2
	s_waitcnt vmcnt(0)
	v_and_b32_e32 v3, 1, v3
	v_cmp_eq_u32_e64 s2, 1, v2
	v_cmp_eq_u32_e64 s1, 1, v3
	v_cndmask_b32_e64 v2, v7, 0, s2
	v_cndmask_b32_e64 v3, v8, 0, s1
	v_xor_b32_e32 v8, 4, v4
	ds_bpermute_b32 v7, v6, v2
	ds_bpermute_b32 v6, v6, v3
	v_cmp_lt_i32_e64 s3, v8, v5
	v_cndmask_b32_e64 v8, v4, v8, s3
	s_waitcnt lgkmcnt(1)
	v_add_f32_e32 v2, v2, v7
	v_lshlrev_b32_e32 v7, 2, v8
	s_waitcnt lgkmcnt(0)
	v_add_f32_e32 v3, v3, v6
	v_xor_b32_e32 v8, 2, v4
	ds_bpermute_b32 v6, v7, v2
	ds_bpermute_b32 v7, v7, v3
	v_cmp_lt_i32_e64 s3, v8, v5
	v_cndmask_b32_e64 v8, v4, v8, s3
	s_waitcnt lgkmcnt(1)
	v_add_f32_e32 v2, v2, v6
	v_lshlrev_b32_e32 v6, 2, v8
	s_waitcnt lgkmcnt(0)
	v_add_f32_e32 v3, v3, v7
	;; [unrolled: 10-line block ×3, first 2 shown]
	ds_bpermute_b32 v5, v7, v4
	ds_bpermute_b32 v3, v7, v2
	s_and_saveexec_b32 s3, vcc_lo
	s_cbranch_execz .LBB843_11
; %bb.7:
	v_add_co_u32 v0, vcc_lo, s12, v0
	v_add_co_ci_u32_e64 v1, null, s13, v1, vcc_lo
	s_and_saveexec_b32 s3, s0
	s_cbranch_execz .LBB843_9
; %bb.8:
	s_waitcnt lgkmcnt(1)
	v_add_f32_e32 v4, v4, v5
	v_fma_f32 v4, -v11, v4, v12
	v_bfe_u32 v5, v4, 16, 1
	v_cmp_o_f32_e32 vcc_lo, v4, v4
	v_add3_u32 v4, v4, v5, 0x7fff
	v_mov_b32_e32 v5, 0x7fc0
	v_cndmask_b32_sdwa v4, v5, v4, vcc_lo dst_sel:DWORD dst_unused:UNUSED_PAD src0_sel:DWORD src1_sel:WORD_1
	v_cndmask_b32_e64 v4, v4, 0, s2
	global_store_short v[0:1], v4, off
.LBB843_9:
	s_or_b32 exec_lo, exec_lo, s3
	v_cmp_ne_u32_e32 vcc_lo, 1, v10
	s_and_b32 s0, vcc_lo, s0
	s_and_b32 exec_lo, exec_lo, s0
	s_cbranch_execz .LBB843_11
; %bb.10:
	s_waitcnt lgkmcnt(0)
	v_add_f32_e32 v2, v2, v3
	s_lshl_b64 s[2:3], s[10:11], 1
	v_fma_f32 v2, -v14, v2, v13
	v_bfe_u32 v3, v2, 16, 1
	v_cmp_o_f32_e32 vcc_lo, v2, v2
	v_add3_u32 v2, v2, v3, 0x7fff
	v_mov_b32_e32 v3, 0x7fc0
	v_cndmask_b32_sdwa v2, v3, v2, vcc_lo dst_sel:DWORD dst_unused:UNUSED_PAD src0_sel:DWORD src1_sel:WORD_1
	v_add_co_u32 v0, vcc_lo, v0, s2
	v_add_co_ci_u32_e64 v1, null, s3, v1, vcc_lo
	v_cndmask_b32_e64 v2, v2, 0, s1
	global_store_short v[0:1], v2, off
.LBB843_11:
	s_endpgm
	.section	.rodata,"a",@progbits
	.p2align	6, 0x0
	.amdhsa_kernel _ZN12_GLOBAL__N_121softmax_warp_backwardIN3c108BFloat16ES2_fLi4ELb0ELb1ELi32EEEvPT0_PKT_S7_iiiPKb
		.amdhsa_group_segment_fixed_size 0
		.amdhsa_private_segment_fixed_size 0
		.amdhsa_kernarg_size 304
		.amdhsa_user_sgpr_count 6
		.amdhsa_user_sgpr_private_segment_buffer 1
		.amdhsa_user_sgpr_dispatch_ptr 0
		.amdhsa_user_sgpr_queue_ptr 0
		.amdhsa_user_sgpr_kernarg_segment_ptr 1
		.amdhsa_user_sgpr_dispatch_id 0
		.amdhsa_user_sgpr_flat_scratch_init 0
		.amdhsa_user_sgpr_private_segment_size 0
		.amdhsa_wavefront_size32 1
		.amdhsa_uses_dynamic_stack 0
		.amdhsa_system_sgpr_private_segment_wavefront_offset 0
		.amdhsa_system_sgpr_workgroup_id_x 1
		.amdhsa_system_sgpr_workgroup_id_y 0
		.amdhsa_system_sgpr_workgroup_id_z 0
		.amdhsa_system_sgpr_workgroup_info 0
		.amdhsa_system_vgpr_workitem_id 1
		.amdhsa_next_free_vgpr 15
		.amdhsa_next_free_sgpr 16
		.amdhsa_reserve_vcc 1
		.amdhsa_reserve_flat_scratch 0
		.amdhsa_float_round_mode_32 0
		.amdhsa_float_round_mode_16_64 0
		.amdhsa_float_denorm_mode_32 3
		.amdhsa_float_denorm_mode_16_64 3
		.amdhsa_dx10_clamp 1
		.amdhsa_ieee_mode 1
		.amdhsa_fp16_overflow 0
		.amdhsa_workgroup_processor_mode 1
		.amdhsa_memory_ordered 1
		.amdhsa_forward_progress 1
		.amdhsa_shared_vgpr_count 0
		.amdhsa_exception_fp_ieee_invalid_op 0
		.amdhsa_exception_fp_denorm_src 0
		.amdhsa_exception_fp_ieee_div_zero 0
		.amdhsa_exception_fp_ieee_overflow 0
		.amdhsa_exception_fp_ieee_underflow 0
		.amdhsa_exception_fp_ieee_inexact 0
		.amdhsa_exception_int_div_zero 0
	.end_amdhsa_kernel
	.section	.text._ZN12_GLOBAL__N_121softmax_warp_backwardIN3c108BFloat16ES2_fLi4ELb0ELb1ELi32EEEvPT0_PKT_S7_iiiPKb,"axG",@progbits,_ZN12_GLOBAL__N_121softmax_warp_backwardIN3c108BFloat16ES2_fLi4ELb0ELb1ELi32EEEvPT0_PKT_S7_iiiPKb,comdat
.Lfunc_end843:
	.size	_ZN12_GLOBAL__N_121softmax_warp_backwardIN3c108BFloat16ES2_fLi4ELb0ELb1ELi32EEEvPT0_PKT_S7_iiiPKb, .Lfunc_end843-_ZN12_GLOBAL__N_121softmax_warp_backwardIN3c108BFloat16ES2_fLi4ELb0ELb1ELi32EEEvPT0_PKT_S7_iiiPKb
                                        ; -- End function
	.set _ZN12_GLOBAL__N_121softmax_warp_backwardIN3c108BFloat16ES2_fLi4ELb0ELb1ELi32EEEvPT0_PKT_S7_iiiPKb.num_vgpr, 15
	.set _ZN12_GLOBAL__N_121softmax_warp_backwardIN3c108BFloat16ES2_fLi4ELb0ELb1ELi32EEEvPT0_PKT_S7_iiiPKb.num_agpr, 0
	.set _ZN12_GLOBAL__N_121softmax_warp_backwardIN3c108BFloat16ES2_fLi4ELb0ELb1ELi32EEEvPT0_PKT_S7_iiiPKb.numbered_sgpr, 16
	.set _ZN12_GLOBAL__N_121softmax_warp_backwardIN3c108BFloat16ES2_fLi4ELb0ELb1ELi32EEEvPT0_PKT_S7_iiiPKb.num_named_barrier, 0
	.set _ZN12_GLOBAL__N_121softmax_warp_backwardIN3c108BFloat16ES2_fLi4ELb0ELb1ELi32EEEvPT0_PKT_S7_iiiPKb.private_seg_size, 0
	.set _ZN12_GLOBAL__N_121softmax_warp_backwardIN3c108BFloat16ES2_fLi4ELb0ELb1ELi32EEEvPT0_PKT_S7_iiiPKb.uses_vcc, 1
	.set _ZN12_GLOBAL__N_121softmax_warp_backwardIN3c108BFloat16ES2_fLi4ELb0ELb1ELi32EEEvPT0_PKT_S7_iiiPKb.uses_flat_scratch, 0
	.set _ZN12_GLOBAL__N_121softmax_warp_backwardIN3c108BFloat16ES2_fLi4ELb0ELb1ELi32EEEvPT0_PKT_S7_iiiPKb.has_dyn_sized_stack, 0
	.set _ZN12_GLOBAL__N_121softmax_warp_backwardIN3c108BFloat16ES2_fLi4ELb0ELb1ELi32EEEvPT0_PKT_S7_iiiPKb.has_recursion, 0
	.set _ZN12_GLOBAL__N_121softmax_warp_backwardIN3c108BFloat16ES2_fLi4ELb0ELb1ELi32EEEvPT0_PKT_S7_iiiPKb.has_indirect_call, 0
	.section	.AMDGPU.csdata,"",@progbits
; Kernel info:
; codeLenInByte = 900
; TotalNumSgprs: 18
; NumVgprs: 15
; ScratchSize: 0
; MemoryBound: 0
; FloatMode: 240
; IeeeMode: 1
; LDSByteSize: 0 bytes/workgroup (compile time only)
; SGPRBlocks: 0
; VGPRBlocks: 1
; NumSGPRsForWavesPerEU: 18
; NumVGPRsForWavesPerEU: 15
; Occupancy: 16
; WaveLimiterHint : 0
; COMPUTE_PGM_RSRC2:SCRATCH_EN: 0
; COMPUTE_PGM_RSRC2:USER_SGPR: 6
; COMPUTE_PGM_RSRC2:TRAP_HANDLER: 0
; COMPUTE_PGM_RSRC2:TGID_X_EN: 1
; COMPUTE_PGM_RSRC2:TGID_Y_EN: 0
; COMPUTE_PGM_RSRC2:TGID_Z_EN: 0
; COMPUTE_PGM_RSRC2:TIDIG_COMP_CNT: 1
	.section	.text._ZN12_GLOBAL__N_121softmax_warp_backwardIN3c108BFloat16ES2_fLi5ELb0ELb1ELi64EEEvPT0_PKT_S7_iiiPKb,"axG",@progbits,_ZN12_GLOBAL__N_121softmax_warp_backwardIN3c108BFloat16ES2_fLi5ELb0ELb1ELi64EEEvPT0_PKT_S7_iiiPKb,comdat
	.globl	_ZN12_GLOBAL__N_121softmax_warp_backwardIN3c108BFloat16ES2_fLi5ELb0ELb1ELi64EEEvPT0_PKT_S7_iiiPKb ; -- Begin function _ZN12_GLOBAL__N_121softmax_warp_backwardIN3c108BFloat16ES2_fLi5ELb0ELb1ELi64EEEvPT0_PKT_S7_iiiPKb
	.p2align	8
	.type	_ZN12_GLOBAL__N_121softmax_warp_backwardIN3c108BFloat16ES2_fLi5ELb0ELb1ELi64EEEvPT0_PKT_S7_iiiPKb,@function
_ZN12_GLOBAL__N_121softmax_warp_backwardIN3c108BFloat16ES2_fLi5ELb0ELb1ELi64EEEvPT0_PKT_S7_iiiPKb: ; @_ZN12_GLOBAL__N_121softmax_warp_backwardIN3c108BFloat16ES2_fLi5ELb0ELb1ELi64EEEvPT0_PKT_S7_iiiPKb
; %bb.0:
	s_clause 0x1
	s_load_dword s0, s[4:5], 0x3c
	s_load_dwordx4 s[8:11], s[4:5], 0x18
	v_and_b32_e32 v4, 31, v0
	s_clause 0x1
	s_load_dwordx4 s[12:15], s[4:5], 0x0
	s_load_dwordx2 s[2:3], s[4:5], 0x10
	v_mov_b32_e32 v11, 0
	v_mov_b32_e32 v12, 0
	s_waitcnt lgkmcnt(0)
	s_mov_b32 s11, 0
	s_lshr_b32 s0, s0, 16
	s_and_b32 s0, s0, 0xffff
	s_mul_i32 s6, s6, s0
	v_cmp_gt_i32_e64 s0, s10, v4
	v_add_lshl_u32 v0, s6, v1, 1
	v_mad_u64_u32 v[2:3], null, v0, s9, v[4:5]
	v_sub_nc_u32_e32 v10, s8, v0
	v_cmp_lt_i32_e32 vcc_lo, 0, v10
	v_ashrrev_i32_e32 v3, 31, v2
	v_lshlrev_b64 v[0:1], 1, v[2:3]
	v_add_co_u32 v8, s1, s14, v0
	v_add_co_ci_u32_e64 v9, null, s15, v1, s1
	v_add_co_u32 v6, s1, s2, v0
	v_add_co_ci_u32_e64 v7, null, s3, v1, s1
	s_and_b32 s2, s0, vcc_lo
	s_and_saveexec_b32 s1, s2
	s_cbranch_execz .LBB844_2
; %bb.1:
	global_load_ushort v4, v[8:9], off
	global_load_ushort v5, v[6:7], off
	s_waitcnt vmcnt(1)
	v_lshlrev_b32_e32 v12, 16, v4
	s_waitcnt vmcnt(0)
	v_lshlrev_b32_e32 v11, 16, v5
.LBB844_2:
	s_or_b32 exec_lo, exec_lo, s1
	v_cmp_gt_i32_e64 s1, 2, v10
	v_mov_b32_e32 v4, s10
	v_mov_b32_e32 v5, s11
	s_xor_b32 s2, s0, -1
	s_or_b32 s1, s2, s1
	s_and_saveexec_b32 s2, s1
	s_xor_b32 s1, exec_lo, s2
                                        ; implicit-def: $vgpr14
                                        ; implicit-def: $vgpr13
; %bb.3:
	v_mov_b32_e32 v13, 0
	s_ashr_i32 s3, s10, 31
	s_mov_b32 s2, s10
	v_mov_b32_e32 v5, s3
	v_mov_b32_e32 v4, s2
	;; [unrolled: 1-line block ×3, first 2 shown]
                                        ; implicit-def: $vgpr6
                                        ; implicit-def: $vgpr8
; %bb.4:
	s_andn2_saveexec_b32 s2, s1
	s_cbranch_execz .LBB844_6
; %bb.5:
	s_lshl_b64 s[6:7], s[10:11], 1
	v_add_co_u32 v8, s1, v8, s6
	v_add_co_ci_u32_e64 v9, null, s7, v9, s1
	v_add_co_u32 v6, s1, v6, s6
	v_add_co_ci_u32_e64 v7, null, s7, v7, s1
	global_load_ushort v8, v[8:9], off
	global_load_ushort v6, v[6:7], off
	s_waitcnt vmcnt(1)
	v_lshlrev_b32_e32 v13, 16, v8
	s_waitcnt vmcnt(0)
	v_lshlrev_b32_e32 v14, 16, v6
.LBB844_6:
	s_or_b32 exec_lo, exec_lo, s2
	s_load_dwordx2 s[2:3], s[4:5], 0x28
	v_add_f32_e32 v6, 0, v12
	v_add_f32_e32 v7, 0, v13
	s_waitcnt lgkmcnt(0)
	v_add_co_u32 v2, s1, s2, v2
	v_add_co_ci_u32_e64 v3, null, s3, v3, s1
	v_add_co_u32 v4, s1, v2, v4
	v_add_co_ci_u32_e64 v5, null, v3, v5, s1
	s_clause 0x1
	global_load_ubyte v2, v[2:3], off
	global_load_ubyte v3, v[4:5], off
	v_mbcnt_lo_u32_b32 v4, -1, 0
	v_xor_b32_e32 v5, 16, v4
	v_cmp_gt_i32_e64 s1, 32, v5
	v_cndmask_b32_e64 v5, v4, v5, s1
	v_lshlrev_b32_e32 v5, 2, v5
	s_waitcnt vmcnt(1)
	v_and_b32_e32 v2, 1, v2
	s_waitcnt vmcnt(0)
	v_and_b32_e32 v3, 1, v3
	v_cmp_eq_u32_e64 s2, 1, v2
	v_cmp_eq_u32_e64 s1, 1, v3
	v_cndmask_b32_e64 v2, v6, 0, s2
	v_cndmask_b32_e64 v3, v7, 0, s1
	v_xor_b32_e32 v7, 8, v4
	ds_bpermute_b32 v6, v5, v2
	ds_bpermute_b32 v5, v5, v3
	v_cmp_gt_i32_e64 s3, 32, v7
	v_cndmask_b32_e64 v7, v4, v7, s3
	s_waitcnt lgkmcnt(1)
	v_add_f32_e32 v2, v2, v6
	v_lshlrev_b32_e32 v6, 2, v7
	s_waitcnt lgkmcnt(0)
	v_add_f32_e32 v3, v3, v5
	v_xor_b32_e32 v7, 4, v4
	ds_bpermute_b32 v5, v6, v2
	ds_bpermute_b32 v6, v6, v3
	v_cmp_gt_i32_e64 s3, 32, v7
	v_cndmask_b32_e64 v7, v4, v7, s3
	s_waitcnt lgkmcnt(1)
	v_add_f32_e32 v2, v2, v5
	v_lshlrev_b32_e32 v5, 2, v7
	s_waitcnt lgkmcnt(0)
	v_add_f32_e32 v3, v3, v6
	;; [unrolled: 10-line block ×3, first 2 shown]
	v_xor_b32_e32 v7, 1, v4
	ds_bpermute_b32 v5, v6, v2
	ds_bpermute_b32 v6, v6, v3
	v_cmp_gt_i32_e64 s3, 32, v7
	v_cndmask_b32_e64 v7, v4, v7, s3
	v_lshlrev_b32_e32 v7, 2, v7
	s_waitcnt lgkmcnt(1)
	v_add_f32_e32 v4, v2, v5
	s_waitcnt lgkmcnt(0)
	v_add_f32_e32 v2, v3, v6
	ds_bpermute_b32 v5, v7, v4
	ds_bpermute_b32 v3, v7, v2
	s_and_saveexec_b32 s3, vcc_lo
	s_cbranch_execz .LBB844_11
; %bb.7:
	v_add_co_u32 v0, vcc_lo, s12, v0
	v_add_co_ci_u32_e64 v1, null, s13, v1, vcc_lo
	s_and_saveexec_b32 s3, s0
	s_cbranch_execz .LBB844_9
; %bb.8:
	s_waitcnt lgkmcnt(1)
	v_add_f32_e32 v4, v4, v5
	v_fma_f32 v4, -v11, v4, v12
	v_bfe_u32 v5, v4, 16, 1
	v_cmp_o_f32_e32 vcc_lo, v4, v4
	v_add3_u32 v4, v4, v5, 0x7fff
	v_mov_b32_e32 v5, 0x7fc0
	v_cndmask_b32_sdwa v4, v5, v4, vcc_lo dst_sel:DWORD dst_unused:UNUSED_PAD src0_sel:DWORD src1_sel:WORD_1
	v_cndmask_b32_e64 v4, v4, 0, s2
	global_store_short v[0:1], v4, off
.LBB844_9:
	s_or_b32 exec_lo, exec_lo, s3
	v_cmp_ne_u32_e32 vcc_lo, 1, v10
	s_and_b32 s0, vcc_lo, s0
	s_and_b32 exec_lo, exec_lo, s0
	s_cbranch_execz .LBB844_11
; %bb.10:
	s_waitcnt lgkmcnt(0)
	v_add_f32_e32 v2, v2, v3
	s_lshl_b64 s[2:3], s[10:11], 1
	v_fma_f32 v2, -v14, v2, v13
	v_bfe_u32 v3, v2, 16, 1
	v_cmp_o_f32_e32 vcc_lo, v2, v2
	v_add3_u32 v2, v2, v3, 0x7fff
	v_mov_b32_e32 v3, 0x7fc0
	v_cndmask_b32_sdwa v2, v3, v2, vcc_lo dst_sel:DWORD dst_unused:UNUSED_PAD src0_sel:DWORD src1_sel:WORD_1
	v_add_co_u32 v0, vcc_lo, v0, s2
	v_add_co_ci_u32_e64 v1, null, s3, v1, vcc_lo
	v_cndmask_b32_e64 v2, v2, 0, s1
	global_store_short v[0:1], v2, off
.LBB844_11:
	s_endpgm
	.section	.rodata,"a",@progbits
	.p2align	6, 0x0
	.amdhsa_kernel _ZN12_GLOBAL__N_121softmax_warp_backwardIN3c108BFloat16ES2_fLi5ELb0ELb1ELi64EEEvPT0_PKT_S7_iiiPKb
		.amdhsa_group_segment_fixed_size 0
		.amdhsa_private_segment_fixed_size 0
		.amdhsa_kernarg_size 304
		.amdhsa_user_sgpr_count 6
		.amdhsa_user_sgpr_private_segment_buffer 1
		.amdhsa_user_sgpr_dispatch_ptr 0
		.amdhsa_user_sgpr_queue_ptr 0
		.amdhsa_user_sgpr_kernarg_segment_ptr 1
		.amdhsa_user_sgpr_dispatch_id 0
		.amdhsa_user_sgpr_flat_scratch_init 0
		.amdhsa_user_sgpr_private_segment_size 0
		.amdhsa_wavefront_size32 1
		.amdhsa_uses_dynamic_stack 0
		.amdhsa_system_sgpr_private_segment_wavefront_offset 0
		.amdhsa_system_sgpr_workgroup_id_x 1
		.amdhsa_system_sgpr_workgroup_id_y 0
		.amdhsa_system_sgpr_workgroup_id_z 0
		.amdhsa_system_sgpr_workgroup_info 0
		.amdhsa_system_vgpr_workitem_id 1
		.amdhsa_next_free_vgpr 15
		.amdhsa_next_free_sgpr 16
		.amdhsa_reserve_vcc 1
		.amdhsa_reserve_flat_scratch 0
		.amdhsa_float_round_mode_32 0
		.amdhsa_float_round_mode_16_64 0
		.amdhsa_float_denorm_mode_32 3
		.amdhsa_float_denorm_mode_16_64 3
		.amdhsa_dx10_clamp 1
		.amdhsa_ieee_mode 1
		.amdhsa_fp16_overflow 0
		.amdhsa_workgroup_processor_mode 1
		.amdhsa_memory_ordered 1
		.amdhsa_forward_progress 1
		.amdhsa_shared_vgpr_count 0
		.amdhsa_exception_fp_ieee_invalid_op 0
		.amdhsa_exception_fp_denorm_src 0
		.amdhsa_exception_fp_ieee_div_zero 0
		.amdhsa_exception_fp_ieee_overflow 0
		.amdhsa_exception_fp_ieee_underflow 0
		.amdhsa_exception_fp_ieee_inexact 0
		.amdhsa_exception_int_div_zero 0
	.end_amdhsa_kernel
	.section	.text._ZN12_GLOBAL__N_121softmax_warp_backwardIN3c108BFloat16ES2_fLi5ELb0ELb1ELi64EEEvPT0_PKT_S7_iiiPKb,"axG",@progbits,_ZN12_GLOBAL__N_121softmax_warp_backwardIN3c108BFloat16ES2_fLi5ELb0ELb1ELi64EEEvPT0_PKT_S7_iiiPKb,comdat
.Lfunc_end844:
	.size	_ZN12_GLOBAL__N_121softmax_warp_backwardIN3c108BFloat16ES2_fLi5ELb0ELb1ELi64EEEvPT0_PKT_S7_iiiPKb, .Lfunc_end844-_ZN12_GLOBAL__N_121softmax_warp_backwardIN3c108BFloat16ES2_fLi5ELb0ELb1ELi64EEEvPT0_PKT_S7_iiiPKb
                                        ; -- End function
	.set _ZN12_GLOBAL__N_121softmax_warp_backwardIN3c108BFloat16ES2_fLi5ELb0ELb1ELi64EEEvPT0_PKT_S7_iiiPKb.num_vgpr, 15
	.set _ZN12_GLOBAL__N_121softmax_warp_backwardIN3c108BFloat16ES2_fLi5ELb0ELb1ELi64EEEvPT0_PKT_S7_iiiPKb.num_agpr, 0
	.set _ZN12_GLOBAL__N_121softmax_warp_backwardIN3c108BFloat16ES2_fLi5ELb0ELb1ELi64EEEvPT0_PKT_S7_iiiPKb.numbered_sgpr, 16
	.set _ZN12_GLOBAL__N_121softmax_warp_backwardIN3c108BFloat16ES2_fLi5ELb0ELb1ELi64EEEvPT0_PKT_S7_iiiPKb.num_named_barrier, 0
	.set _ZN12_GLOBAL__N_121softmax_warp_backwardIN3c108BFloat16ES2_fLi5ELb0ELb1ELi64EEEvPT0_PKT_S7_iiiPKb.private_seg_size, 0
	.set _ZN12_GLOBAL__N_121softmax_warp_backwardIN3c108BFloat16ES2_fLi5ELb0ELb1ELi64EEEvPT0_PKT_S7_iiiPKb.uses_vcc, 1
	.set _ZN12_GLOBAL__N_121softmax_warp_backwardIN3c108BFloat16ES2_fLi5ELb0ELb1ELi64EEEvPT0_PKT_S7_iiiPKb.uses_flat_scratch, 0
	.set _ZN12_GLOBAL__N_121softmax_warp_backwardIN3c108BFloat16ES2_fLi5ELb0ELb1ELi64EEEvPT0_PKT_S7_iiiPKb.has_dyn_sized_stack, 0
	.set _ZN12_GLOBAL__N_121softmax_warp_backwardIN3c108BFloat16ES2_fLi5ELb0ELb1ELi64EEEvPT0_PKT_S7_iiiPKb.has_recursion, 0
	.set _ZN12_GLOBAL__N_121softmax_warp_backwardIN3c108BFloat16ES2_fLi5ELb0ELb1ELi64EEEvPT0_PKT_S7_iiiPKb.has_indirect_call, 0
	.section	.AMDGPU.csdata,"",@progbits
; Kernel info:
; codeLenInByte = 948
; TotalNumSgprs: 18
; NumVgprs: 15
; ScratchSize: 0
; MemoryBound: 0
; FloatMode: 240
; IeeeMode: 1
; LDSByteSize: 0 bytes/workgroup (compile time only)
; SGPRBlocks: 0
; VGPRBlocks: 1
; NumSGPRsForWavesPerEU: 18
; NumVGPRsForWavesPerEU: 15
; Occupancy: 16
; WaveLimiterHint : 0
; COMPUTE_PGM_RSRC2:SCRATCH_EN: 0
; COMPUTE_PGM_RSRC2:USER_SGPR: 6
; COMPUTE_PGM_RSRC2:TRAP_HANDLER: 0
; COMPUTE_PGM_RSRC2:TGID_X_EN: 1
; COMPUTE_PGM_RSRC2:TGID_Y_EN: 0
; COMPUTE_PGM_RSRC2:TGID_Z_EN: 0
; COMPUTE_PGM_RSRC2:TIDIG_COMP_CNT: 1
	.section	.text._ZN12_GLOBAL__N_121softmax_warp_backwardIN3c108BFloat16ES2_fLi5ELb0ELb1ELi32EEEvPT0_PKT_S7_iiiPKb,"axG",@progbits,_ZN12_GLOBAL__N_121softmax_warp_backwardIN3c108BFloat16ES2_fLi5ELb0ELb1ELi32EEEvPT0_PKT_S7_iiiPKb,comdat
	.globl	_ZN12_GLOBAL__N_121softmax_warp_backwardIN3c108BFloat16ES2_fLi5ELb0ELb1ELi32EEEvPT0_PKT_S7_iiiPKb ; -- Begin function _ZN12_GLOBAL__N_121softmax_warp_backwardIN3c108BFloat16ES2_fLi5ELb0ELb1ELi32EEEvPT0_PKT_S7_iiiPKb
	.p2align	8
	.type	_ZN12_GLOBAL__N_121softmax_warp_backwardIN3c108BFloat16ES2_fLi5ELb0ELb1ELi32EEEvPT0_PKT_S7_iiiPKb,@function
_ZN12_GLOBAL__N_121softmax_warp_backwardIN3c108BFloat16ES2_fLi5ELb0ELb1ELi32EEEvPT0_PKT_S7_iiiPKb: ; @_ZN12_GLOBAL__N_121softmax_warp_backwardIN3c108BFloat16ES2_fLi5ELb0ELb1ELi32EEEvPT0_PKT_S7_iiiPKb
; %bb.0:
	s_clause 0x1
	s_load_dword s0, s[4:5], 0x3c
	s_load_dwordx4 s[8:11], s[4:5], 0x18
	v_and_b32_e32 v4, 31, v0
	s_clause 0x1
	s_load_dwordx4 s[12:15], s[4:5], 0x0
	s_load_dwordx2 s[2:3], s[4:5], 0x10
	v_mov_b32_e32 v11, 0
	v_mov_b32_e32 v12, 0
	s_waitcnt lgkmcnt(0)
	s_mov_b32 s11, 0
	s_lshr_b32 s0, s0, 16
	s_and_b32 s0, s0, 0xffff
	s_mul_i32 s6, s6, s0
	v_cmp_gt_i32_e64 s0, s10, v4
	v_add_lshl_u32 v0, s6, v1, 1
	v_mad_u64_u32 v[2:3], null, v0, s9, v[4:5]
	v_sub_nc_u32_e32 v10, s8, v0
	v_cmp_lt_i32_e32 vcc_lo, 0, v10
	v_ashrrev_i32_e32 v3, 31, v2
	v_lshlrev_b64 v[0:1], 1, v[2:3]
	v_add_co_u32 v8, s1, s14, v0
	v_add_co_ci_u32_e64 v9, null, s15, v1, s1
	v_add_co_u32 v6, s1, s2, v0
	v_add_co_ci_u32_e64 v7, null, s3, v1, s1
	s_and_b32 s2, s0, vcc_lo
	s_and_saveexec_b32 s1, s2
	s_cbranch_execz .LBB845_2
; %bb.1:
	global_load_ushort v4, v[8:9], off
	global_load_ushort v5, v[6:7], off
	s_waitcnt vmcnt(1)
	v_lshlrev_b32_e32 v12, 16, v4
	s_waitcnt vmcnt(0)
	v_lshlrev_b32_e32 v11, 16, v5
.LBB845_2:
	s_or_b32 exec_lo, exec_lo, s1
	v_cmp_gt_i32_e64 s1, 2, v10
	v_mov_b32_e32 v4, s10
	v_mov_b32_e32 v5, s11
	s_xor_b32 s2, s0, -1
	s_or_b32 s1, s2, s1
	s_and_saveexec_b32 s2, s1
	s_xor_b32 s1, exec_lo, s2
                                        ; implicit-def: $vgpr14
                                        ; implicit-def: $vgpr13
; %bb.3:
	v_mov_b32_e32 v13, 0
	s_ashr_i32 s3, s10, 31
	s_mov_b32 s2, s10
	v_mov_b32_e32 v5, s3
	v_mov_b32_e32 v4, s2
	;; [unrolled: 1-line block ×3, first 2 shown]
                                        ; implicit-def: $vgpr6
                                        ; implicit-def: $vgpr8
; %bb.4:
	s_andn2_saveexec_b32 s2, s1
	s_cbranch_execz .LBB845_6
; %bb.5:
	s_lshl_b64 s[6:7], s[10:11], 1
	v_add_co_u32 v8, s1, v8, s6
	v_add_co_ci_u32_e64 v9, null, s7, v9, s1
	v_add_co_u32 v6, s1, v6, s6
	v_add_co_ci_u32_e64 v7, null, s7, v7, s1
	global_load_ushort v8, v[8:9], off
	global_load_ushort v6, v[6:7], off
	s_waitcnt vmcnt(1)
	v_lshlrev_b32_e32 v13, 16, v8
	s_waitcnt vmcnt(0)
	v_lshlrev_b32_e32 v14, 16, v6
.LBB845_6:
	s_or_b32 exec_lo, exec_lo, s2
	s_load_dwordx2 s[2:3], s[4:5], 0x28
	v_add_f32_e32 v6, 0, v12
	v_add_f32_e32 v7, 0, v13
	s_waitcnt lgkmcnt(0)
	v_add_co_u32 v2, s1, s2, v2
	v_add_co_ci_u32_e64 v3, null, s3, v3, s1
	v_add_co_u32 v4, s1, v2, v4
	v_add_co_ci_u32_e64 v5, null, v3, v5, s1
	s_clause 0x1
	global_load_ubyte v2, v[2:3], off
	global_load_ubyte v3, v[4:5], off
	v_mbcnt_lo_u32_b32 v4, -1, 0
	v_xor_b32_e32 v5, 16, v4
	v_cmp_gt_i32_e64 s1, 32, v5
	v_cndmask_b32_e64 v5, v4, v5, s1
	v_lshlrev_b32_e32 v5, 2, v5
	s_waitcnt vmcnt(1)
	v_and_b32_e32 v2, 1, v2
	s_waitcnt vmcnt(0)
	v_and_b32_e32 v3, 1, v3
	v_cmp_eq_u32_e64 s2, 1, v2
	v_cmp_eq_u32_e64 s1, 1, v3
	v_cndmask_b32_e64 v2, v6, 0, s2
	v_cndmask_b32_e64 v3, v7, 0, s1
	v_xor_b32_e32 v7, 8, v4
	ds_bpermute_b32 v6, v5, v2
	ds_bpermute_b32 v5, v5, v3
	v_cmp_gt_i32_e64 s3, 32, v7
	v_cndmask_b32_e64 v7, v4, v7, s3
	s_waitcnt lgkmcnt(1)
	v_add_f32_e32 v2, v2, v6
	v_lshlrev_b32_e32 v6, 2, v7
	s_waitcnt lgkmcnt(0)
	v_add_f32_e32 v3, v3, v5
	v_xor_b32_e32 v7, 4, v4
	ds_bpermute_b32 v5, v6, v2
	ds_bpermute_b32 v6, v6, v3
	v_cmp_gt_i32_e64 s3, 32, v7
	v_cndmask_b32_e64 v7, v4, v7, s3
	s_waitcnt lgkmcnt(1)
	v_add_f32_e32 v2, v2, v5
	v_lshlrev_b32_e32 v5, 2, v7
	s_waitcnt lgkmcnt(0)
	v_add_f32_e32 v3, v3, v6
	;; [unrolled: 10-line block ×3, first 2 shown]
	v_xor_b32_e32 v7, 1, v4
	ds_bpermute_b32 v5, v6, v2
	ds_bpermute_b32 v6, v6, v3
	v_cmp_gt_i32_e64 s3, 32, v7
	v_cndmask_b32_e64 v7, v4, v7, s3
	v_lshlrev_b32_e32 v7, 2, v7
	s_waitcnt lgkmcnt(1)
	v_add_f32_e32 v4, v2, v5
	s_waitcnt lgkmcnt(0)
	v_add_f32_e32 v2, v3, v6
	ds_bpermute_b32 v5, v7, v4
	ds_bpermute_b32 v3, v7, v2
	s_and_saveexec_b32 s3, vcc_lo
	s_cbranch_execz .LBB845_11
; %bb.7:
	v_add_co_u32 v0, vcc_lo, s12, v0
	v_add_co_ci_u32_e64 v1, null, s13, v1, vcc_lo
	s_and_saveexec_b32 s3, s0
	s_cbranch_execz .LBB845_9
; %bb.8:
	s_waitcnt lgkmcnt(1)
	v_add_f32_e32 v4, v4, v5
	v_fma_f32 v4, -v11, v4, v12
	v_bfe_u32 v5, v4, 16, 1
	v_cmp_o_f32_e32 vcc_lo, v4, v4
	v_add3_u32 v4, v4, v5, 0x7fff
	v_mov_b32_e32 v5, 0x7fc0
	v_cndmask_b32_sdwa v4, v5, v4, vcc_lo dst_sel:DWORD dst_unused:UNUSED_PAD src0_sel:DWORD src1_sel:WORD_1
	v_cndmask_b32_e64 v4, v4, 0, s2
	global_store_short v[0:1], v4, off
.LBB845_9:
	s_or_b32 exec_lo, exec_lo, s3
	v_cmp_ne_u32_e32 vcc_lo, 1, v10
	s_and_b32 s0, vcc_lo, s0
	s_and_b32 exec_lo, exec_lo, s0
	s_cbranch_execz .LBB845_11
; %bb.10:
	s_waitcnt lgkmcnt(0)
	v_add_f32_e32 v2, v2, v3
	s_lshl_b64 s[2:3], s[10:11], 1
	v_fma_f32 v2, -v14, v2, v13
	v_bfe_u32 v3, v2, 16, 1
	v_cmp_o_f32_e32 vcc_lo, v2, v2
	v_add3_u32 v2, v2, v3, 0x7fff
	v_mov_b32_e32 v3, 0x7fc0
	v_cndmask_b32_sdwa v2, v3, v2, vcc_lo dst_sel:DWORD dst_unused:UNUSED_PAD src0_sel:DWORD src1_sel:WORD_1
	v_add_co_u32 v0, vcc_lo, v0, s2
	v_add_co_ci_u32_e64 v1, null, s3, v1, vcc_lo
	v_cndmask_b32_e64 v2, v2, 0, s1
	global_store_short v[0:1], v2, off
.LBB845_11:
	s_endpgm
	.section	.rodata,"a",@progbits
	.p2align	6, 0x0
	.amdhsa_kernel _ZN12_GLOBAL__N_121softmax_warp_backwardIN3c108BFloat16ES2_fLi5ELb0ELb1ELi32EEEvPT0_PKT_S7_iiiPKb
		.amdhsa_group_segment_fixed_size 0
		.amdhsa_private_segment_fixed_size 0
		.amdhsa_kernarg_size 304
		.amdhsa_user_sgpr_count 6
		.amdhsa_user_sgpr_private_segment_buffer 1
		.amdhsa_user_sgpr_dispatch_ptr 0
		.amdhsa_user_sgpr_queue_ptr 0
		.amdhsa_user_sgpr_kernarg_segment_ptr 1
		.amdhsa_user_sgpr_dispatch_id 0
		.amdhsa_user_sgpr_flat_scratch_init 0
		.amdhsa_user_sgpr_private_segment_size 0
		.amdhsa_wavefront_size32 1
		.amdhsa_uses_dynamic_stack 0
		.amdhsa_system_sgpr_private_segment_wavefront_offset 0
		.amdhsa_system_sgpr_workgroup_id_x 1
		.amdhsa_system_sgpr_workgroup_id_y 0
		.amdhsa_system_sgpr_workgroup_id_z 0
		.amdhsa_system_sgpr_workgroup_info 0
		.amdhsa_system_vgpr_workitem_id 1
		.amdhsa_next_free_vgpr 15
		.amdhsa_next_free_sgpr 16
		.amdhsa_reserve_vcc 1
		.amdhsa_reserve_flat_scratch 0
		.amdhsa_float_round_mode_32 0
		.amdhsa_float_round_mode_16_64 0
		.amdhsa_float_denorm_mode_32 3
		.amdhsa_float_denorm_mode_16_64 3
		.amdhsa_dx10_clamp 1
		.amdhsa_ieee_mode 1
		.amdhsa_fp16_overflow 0
		.amdhsa_workgroup_processor_mode 1
		.amdhsa_memory_ordered 1
		.amdhsa_forward_progress 1
		.amdhsa_shared_vgpr_count 0
		.amdhsa_exception_fp_ieee_invalid_op 0
		.amdhsa_exception_fp_denorm_src 0
		.amdhsa_exception_fp_ieee_div_zero 0
		.amdhsa_exception_fp_ieee_overflow 0
		.amdhsa_exception_fp_ieee_underflow 0
		.amdhsa_exception_fp_ieee_inexact 0
		.amdhsa_exception_int_div_zero 0
	.end_amdhsa_kernel
	.section	.text._ZN12_GLOBAL__N_121softmax_warp_backwardIN3c108BFloat16ES2_fLi5ELb0ELb1ELi32EEEvPT0_PKT_S7_iiiPKb,"axG",@progbits,_ZN12_GLOBAL__N_121softmax_warp_backwardIN3c108BFloat16ES2_fLi5ELb0ELb1ELi32EEEvPT0_PKT_S7_iiiPKb,comdat
.Lfunc_end845:
	.size	_ZN12_GLOBAL__N_121softmax_warp_backwardIN3c108BFloat16ES2_fLi5ELb0ELb1ELi32EEEvPT0_PKT_S7_iiiPKb, .Lfunc_end845-_ZN12_GLOBAL__N_121softmax_warp_backwardIN3c108BFloat16ES2_fLi5ELb0ELb1ELi32EEEvPT0_PKT_S7_iiiPKb
                                        ; -- End function
	.set _ZN12_GLOBAL__N_121softmax_warp_backwardIN3c108BFloat16ES2_fLi5ELb0ELb1ELi32EEEvPT0_PKT_S7_iiiPKb.num_vgpr, 15
	.set _ZN12_GLOBAL__N_121softmax_warp_backwardIN3c108BFloat16ES2_fLi5ELb0ELb1ELi32EEEvPT0_PKT_S7_iiiPKb.num_agpr, 0
	.set _ZN12_GLOBAL__N_121softmax_warp_backwardIN3c108BFloat16ES2_fLi5ELb0ELb1ELi32EEEvPT0_PKT_S7_iiiPKb.numbered_sgpr, 16
	.set _ZN12_GLOBAL__N_121softmax_warp_backwardIN3c108BFloat16ES2_fLi5ELb0ELb1ELi32EEEvPT0_PKT_S7_iiiPKb.num_named_barrier, 0
	.set _ZN12_GLOBAL__N_121softmax_warp_backwardIN3c108BFloat16ES2_fLi5ELb0ELb1ELi32EEEvPT0_PKT_S7_iiiPKb.private_seg_size, 0
	.set _ZN12_GLOBAL__N_121softmax_warp_backwardIN3c108BFloat16ES2_fLi5ELb0ELb1ELi32EEEvPT0_PKT_S7_iiiPKb.uses_vcc, 1
	.set _ZN12_GLOBAL__N_121softmax_warp_backwardIN3c108BFloat16ES2_fLi5ELb0ELb1ELi32EEEvPT0_PKT_S7_iiiPKb.uses_flat_scratch, 0
	.set _ZN12_GLOBAL__N_121softmax_warp_backwardIN3c108BFloat16ES2_fLi5ELb0ELb1ELi32EEEvPT0_PKT_S7_iiiPKb.has_dyn_sized_stack, 0
	.set _ZN12_GLOBAL__N_121softmax_warp_backwardIN3c108BFloat16ES2_fLi5ELb0ELb1ELi32EEEvPT0_PKT_S7_iiiPKb.has_recursion, 0
	.set _ZN12_GLOBAL__N_121softmax_warp_backwardIN3c108BFloat16ES2_fLi5ELb0ELb1ELi32EEEvPT0_PKT_S7_iiiPKb.has_indirect_call, 0
	.section	.AMDGPU.csdata,"",@progbits
; Kernel info:
; codeLenInByte = 948
; TotalNumSgprs: 18
; NumVgprs: 15
; ScratchSize: 0
; MemoryBound: 0
; FloatMode: 240
; IeeeMode: 1
; LDSByteSize: 0 bytes/workgroup (compile time only)
; SGPRBlocks: 0
; VGPRBlocks: 1
; NumSGPRsForWavesPerEU: 18
; NumVGPRsForWavesPerEU: 15
; Occupancy: 16
; WaveLimiterHint : 0
; COMPUTE_PGM_RSRC2:SCRATCH_EN: 0
; COMPUTE_PGM_RSRC2:USER_SGPR: 6
; COMPUTE_PGM_RSRC2:TRAP_HANDLER: 0
; COMPUTE_PGM_RSRC2:TGID_X_EN: 1
; COMPUTE_PGM_RSRC2:TGID_Y_EN: 0
; COMPUTE_PGM_RSRC2:TGID_Z_EN: 0
; COMPUTE_PGM_RSRC2:TIDIG_COMP_CNT: 1
	.section	.text._ZN12_GLOBAL__N_121softmax_warp_backwardIN3c108BFloat16ES2_fLi6ELb0ELb1ELi64EEEvPT0_PKT_S7_iiiPKb,"axG",@progbits,_ZN12_GLOBAL__N_121softmax_warp_backwardIN3c108BFloat16ES2_fLi6ELb0ELb1ELi64EEEvPT0_PKT_S7_iiiPKb,comdat
	.globl	_ZN12_GLOBAL__N_121softmax_warp_backwardIN3c108BFloat16ES2_fLi6ELb0ELb1ELi64EEEvPT0_PKT_S7_iiiPKb ; -- Begin function _ZN12_GLOBAL__N_121softmax_warp_backwardIN3c108BFloat16ES2_fLi6ELb0ELb1ELi64EEEvPT0_PKT_S7_iiiPKb
	.p2align	8
	.type	_ZN12_GLOBAL__N_121softmax_warp_backwardIN3c108BFloat16ES2_fLi6ELb0ELb1ELi64EEEvPT0_PKT_S7_iiiPKb,@function
_ZN12_GLOBAL__N_121softmax_warp_backwardIN3c108BFloat16ES2_fLi6ELb0ELb1ELi64EEEvPT0_PKT_S7_iiiPKb: ; @_ZN12_GLOBAL__N_121softmax_warp_backwardIN3c108BFloat16ES2_fLi6ELb0ELb1ELi64EEEvPT0_PKT_S7_iiiPKb
; %bb.0:
	s_clause 0x1
	s_load_dword s0, s[4:5], 0x3c
	s_load_dwordx4 s[8:11], s[4:5], 0x18
	v_and_b32_e32 v4, 63, v0
	s_clause 0x1
	s_load_dwordx4 s[12:15], s[4:5], 0x0
	s_load_dwordx2 s[2:3], s[4:5], 0x10
	v_mov_b32_e32 v11, 0
	v_mov_b32_e32 v12, 0
	s_waitcnt lgkmcnt(0)
	s_mov_b32 s11, 0
	s_lshr_b32 s0, s0, 16
	s_and_b32 s0, s0, 0xffff
	s_mul_i32 s6, s6, s0
	v_cmp_gt_i32_e64 s0, s10, v4
	v_add_lshl_u32 v0, s6, v1, 1
	v_mad_u64_u32 v[2:3], null, v0, s9, v[4:5]
	v_sub_nc_u32_e32 v10, s8, v0
	v_cmp_lt_i32_e32 vcc_lo, 0, v10
	v_ashrrev_i32_e32 v3, 31, v2
	v_lshlrev_b64 v[0:1], 1, v[2:3]
	v_add_co_u32 v8, s1, s14, v0
	v_add_co_ci_u32_e64 v9, null, s15, v1, s1
	v_add_co_u32 v6, s1, s2, v0
	v_add_co_ci_u32_e64 v7, null, s3, v1, s1
	s_and_b32 s2, s0, vcc_lo
	s_and_saveexec_b32 s1, s2
	s_cbranch_execz .LBB846_2
; %bb.1:
	global_load_ushort v4, v[8:9], off
	global_load_ushort v5, v[6:7], off
	s_waitcnt vmcnt(1)
	v_lshlrev_b32_e32 v12, 16, v4
	s_waitcnt vmcnt(0)
	v_lshlrev_b32_e32 v11, 16, v5
.LBB846_2:
	s_or_b32 exec_lo, exec_lo, s1
	v_cmp_gt_i32_e64 s1, 2, v10
	v_mov_b32_e32 v4, s10
	v_mov_b32_e32 v5, s11
	s_xor_b32 s2, s0, -1
	s_or_b32 s1, s2, s1
	s_and_saveexec_b32 s2, s1
	s_xor_b32 s1, exec_lo, s2
                                        ; implicit-def: $vgpr14
                                        ; implicit-def: $vgpr13
; %bb.3:
	v_mov_b32_e32 v13, 0
	s_ashr_i32 s3, s10, 31
	s_mov_b32 s2, s10
	v_mov_b32_e32 v5, s3
	v_mov_b32_e32 v4, s2
	;; [unrolled: 1-line block ×3, first 2 shown]
                                        ; implicit-def: $vgpr6
                                        ; implicit-def: $vgpr8
; %bb.4:
	s_andn2_saveexec_b32 s2, s1
	s_cbranch_execz .LBB846_6
; %bb.5:
	s_lshl_b64 s[6:7], s[10:11], 1
	v_add_co_u32 v8, s1, v8, s6
	v_add_co_ci_u32_e64 v9, null, s7, v9, s1
	v_add_co_u32 v6, s1, v6, s6
	v_add_co_ci_u32_e64 v7, null, s7, v7, s1
	global_load_ushort v8, v[8:9], off
	global_load_ushort v6, v[6:7], off
	s_waitcnt vmcnt(1)
	v_lshlrev_b32_e32 v13, 16, v8
	s_waitcnt vmcnt(0)
	v_lshlrev_b32_e32 v14, 16, v6
.LBB846_6:
	s_or_b32 exec_lo, exec_lo, s2
	s_load_dwordx2 s[2:3], s[4:5], 0x28
	v_add_f32_e32 v6, 0, v12
	v_add_f32_e32 v7, 0, v13
	s_waitcnt lgkmcnt(0)
	v_add_co_u32 v2, s1, s2, v2
	v_add_co_ci_u32_e64 v3, null, s3, v3, s1
	v_add_co_u32 v4, s1, v2, v4
	v_add_co_ci_u32_e64 v5, null, v3, v5, s1
	s_clause 0x1
	global_load_ubyte v2, v[2:3], off
	global_load_ubyte v3, v[4:5], off
	v_mbcnt_lo_u32_b32 v4, -1, 0
	v_or_b32_e32 v5, 32, v4
	v_cmp_gt_i32_e64 s1, 64, v5
	v_cndmask_b32_e64 v5, v4, v5, s1
	v_lshlrev_b32_e32 v5, 2, v5
	s_waitcnt vmcnt(1)
	v_and_b32_e32 v2, 1, v2
	s_waitcnt vmcnt(0)
	v_and_b32_e32 v3, 1, v3
	v_cmp_eq_u32_e64 s2, 1, v2
	v_cmp_eq_u32_e64 s1, 1, v3
	v_cndmask_b32_e64 v2, v6, 0, s2
	v_cndmask_b32_e64 v3, v7, 0, s1
	v_xor_b32_e32 v7, 16, v4
	ds_bpermute_b32 v6, v5, v2
	ds_bpermute_b32 v5, v5, v3
	v_cmp_gt_i32_e64 s3, 64, v7
	v_cndmask_b32_e64 v7, v4, v7, s3
	v_lshlrev_b32_e32 v7, 2, v7
	s_waitcnt lgkmcnt(1)
	v_add_f32_e32 v2, v2, v6
	s_waitcnt lgkmcnt(0)
	v_add_f32_e32 v3, v3, v5
	ds_bpermute_b32 v5, v7, v2
	ds_bpermute_b32 v6, v7, v3
	v_xor_b32_e32 v7, 8, v4
	v_cmp_gt_i32_e64 s3, 64, v7
	v_cndmask_b32_e64 v7, v4, v7, s3
	s_waitcnt lgkmcnt(1)
	v_add_f32_e32 v2, v2, v5
	v_lshlrev_b32_e32 v5, 2, v7
	s_waitcnt lgkmcnt(0)
	v_add_f32_e32 v3, v3, v6
	v_xor_b32_e32 v7, 4, v4
	ds_bpermute_b32 v6, v5, v2
	ds_bpermute_b32 v5, v5, v3
	v_cmp_gt_i32_e64 s3, 64, v7
	v_cndmask_b32_e64 v7, v4, v7, s3
	s_waitcnt lgkmcnt(1)
	v_add_f32_e32 v2, v2, v6
	v_lshlrev_b32_e32 v6, 2, v7
	s_waitcnt lgkmcnt(0)
	v_add_f32_e32 v3, v3, v5
	v_xor_b32_e32 v7, 2, v4
	ds_bpermute_b32 v5, v6, v2
	ds_bpermute_b32 v6, v6, v3
	;; [unrolled: 10-line block ×3, first 2 shown]
	v_cmp_gt_i32_e64 s3, 64, v7
	v_cndmask_b32_e64 v7, v4, v7, s3
	s_waitcnt lgkmcnt(1)
	v_add_f32_e32 v4, v2, v6
	v_lshlrev_b32_e32 v6, 2, v7
	s_waitcnt lgkmcnt(0)
	v_add_f32_e32 v2, v3, v5
	ds_bpermute_b32 v5, v6, v4
	ds_bpermute_b32 v3, v6, v2
	s_and_saveexec_b32 s3, vcc_lo
	s_cbranch_execz .LBB846_11
; %bb.7:
	v_add_co_u32 v0, vcc_lo, s12, v0
	v_add_co_ci_u32_e64 v1, null, s13, v1, vcc_lo
	s_and_saveexec_b32 s3, s0
	s_cbranch_execz .LBB846_9
; %bb.8:
	s_waitcnt lgkmcnt(1)
	v_add_f32_e32 v4, v4, v5
	v_fma_f32 v4, -v11, v4, v12
	v_bfe_u32 v5, v4, 16, 1
	v_cmp_o_f32_e32 vcc_lo, v4, v4
	v_add3_u32 v4, v4, v5, 0x7fff
	v_mov_b32_e32 v5, 0x7fc0
	v_cndmask_b32_sdwa v4, v5, v4, vcc_lo dst_sel:DWORD dst_unused:UNUSED_PAD src0_sel:DWORD src1_sel:WORD_1
	v_cndmask_b32_e64 v4, v4, 0, s2
	global_store_short v[0:1], v4, off
.LBB846_9:
	s_or_b32 exec_lo, exec_lo, s3
	v_cmp_ne_u32_e32 vcc_lo, 1, v10
	s_and_b32 s0, vcc_lo, s0
	s_and_b32 exec_lo, exec_lo, s0
	s_cbranch_execz .LBB846_11
; %bb.10:
	s_waitcnt lgkmcnt(0)
	v_add_f32_e32 v2, v2, v3
	s_lshl_b64 s[2:3], s[10:11], 1
	v_fma_f32 v2, -v14, v2, v13
	v_bfe_u32 v3, v2, 16, 1
	v_cmp_o_f32_e32 vcc_lo, v2, v2
	v_add3_u32 v2, v2, v3, 0x7fff
	v_mov_b32_e32 v3, 0x7fc0
	v_cndmask_b32_sdwa v2, v3, v2, vcc_lo dst_sel:DWORD dst_unused:UNUSED_PAD src0_sel:DWORD src1_sel:WORD_1
	v_add_co_u32 v0, vcc_lo, v0, s2
	v_add_co_ci_u32_e64 v1, null, s3, v1, vcc_lo
	v_cndmask_b32_e64 v2, v2, 0, s1
	global_store_short v[0:1], v2, off
.LBB846_11:
	s_endpgm
	.section	.rodata,"a",@progbits
	.p2align	6, 0x0
	.amdhsa_kernel _ZN12_GLOBAL__N_121softmax_warp_backwardIN3c108BFloat16ES2_fLi6ELb0ELb1ELi64EEEvPT0_PKT_S7_iiiPKb
		.amdhsa_group_segment_fixed_size 0
		.amdhsa_private_segment_fixed_size 0
		.amdhsa_kernarg_size 304
		.amdhsa_user_sgpr_count 6
		.amdhsa_user_sgpr_private_segment_buffer 1
		.amdhsa_user_sgpr_dispatch_ptr 0
		.amdhsa_user_sgpr_queue_ptr 0
		.amdhsa_user_sgpr_kernarg_segment_ptr 1
		.amdhsa_user_sgpr_dispatch_id 0
		.amdhsa_user_sgpr_flat_scratch_init 0
		.amdhsa_user_sgpr_private_segment_size 0
		.amdhsa_wavefront_size32 1
		.amdhsa_uses_dynamic_stack 0
		.amdhsa_system_sgpr_private_segment_wavefront_offset 0
		.amdhsa_system_sgpr_workgroup_id_x 1
		.amdhsa_system_sgpr_workgroup_id_y 0
		.amdhsa_system_sgpr_workgroup_id_z 0
		.amdhsa_system_sgpr_workgroup_info 0
		.amdhsa_system_vgpr_workitem_id 1
		.amdhsa_next_free_vgpr 15
		.amdhsa_next_free_sgpr 16
		.amdhsa_reserve_vcc 1
		.amdhsa_reserve_flat_scratch 0
		.amdhsa_float_round_mode_32 0
		.amdhsa_float_round_mode_16_64 0
		.amdhsa_float_denorm_mode_32 3
		.amdhsa_float_denorm_mode_16_64 3
		.amdhsa_dx10_clamp 1
		.amdhsa_ieee_mode 1
		.amdhsa_fp16_overflow 0
		.amdhsa_workgroup_processor_mode 1
		.amdhsa_memory_ordered 1
		.amdhsa_forward_progress 1
		.amdhsa_shared_vgpr_count 0
		.amdhsa_exception_fp_ieee_invalid_op 0
		.amdhsa_exception_fp_denorm_src 0
		.amdhsa_exception_fp_ieee_div_zero 0
		.amdhsa_exception_fp_ieee_overflow 0
		.amdhsa_exception_fp_ieee_underflow 0
		.amdhsa_exception_fp_ieee_inexact 0
		.amdhsa_exception_int_div_zero 0
	.end_amdhsa_kernel
	.section	.text._ZN12_GLOBAL__N_121softmax_warp_backwardIN3c108BFloat16ES2_fLi6ELb0ELb1ELi64EEEvPT0_PKT_S7_iiiPKb,"axG",@progbits,_ZN12_GLOBAL__N_121softmax_warp_backwardIN3c108BFloat16ES2_fLi6ELb0ELb1ELi64EEEvPT0_PKT_S7_iiiPKb,comdat
.Lfunc_end846:
	.size	_ZN12_GLOBAL__N_121softmax_warp_backwardIN3c108BFloat16ES2_fLi6ELb0ELb1ELi64EEEvPT0_PKT_S7_iiiPKb, .Lfunc_end846-_ZN12_GLOBAL__N_121softmax_warp_backwardIN3c108BFloat16ES2_fLi6ELb0ELb1ELi64EEEvPT0_PKT_S7_iiiPKb
                                        ; -- End function
	.set _ZN12_GLOBAL__N_121softmax_warp_backwardIN3c108BFloat16ES2_fLi6ELb0ELb1ELi64EEEvPT0_PKT_S7_iiiPKb.num_vgpr, 15
	.set _ZN12_GLOBAL__N_121softmax_warp_backwardIN3c108BFloat16ES2_fLi6ELb0ELb1ELi64EEEvPT0_PKT_S7_iiiPKb.num_agpr, 0
	.set _ZN12_GLOBAL__N_121softmax_warp_backwardIN3c108BFloat16ES2_fLi6ELb0ELb1ELi64EEEvPT0_PKT_S7_iiiPKb.numbered_sgpr, 16
	.set _ZN12_GLOBAL__N_121softmax_warp_backwardIN3c108BFloat16ES2_fLi6ELb0ELb1ELi64EEEvPT0_PKT_S7_iiiPKb.num_named_barrier, 0
	.set _ZN12_GLOBAL__N_121softmax_warp_backwardIN3c108BFloat16ES2_fLi6ELb0ELb1ELi64EEEvPT0_PKT_S7_iiiPKb.private_seg_size, 0
	.set _ZN12_GLOBAL__N_121softmax_warp_backwardIN3c108BFloat16ES2_fLi6ELb0ELb1ELi64EEEvPT0_PKT_S7_iiiPKb.uses_vcc, 1
	.set _ZN12_GLOBAL__N_121softmax_warp_backwardIN3c108BFloat16ES2_fLi6ELb0ELb1ELi64EEEvPT0_PKT_S7_iiiPKb.uses_flat_scratch, 0
	.set _ZN12_GLOBAL__N_121softmax_warp_backwardIN3c108BFloat16ES2_fLi6ELb0ELb1ELi64EEEvPT0_PKT_S7_iiiPKb.has_dyn_sized_stack, 0
	.set _ZN12_GLOBAL__N_121softmax_warp_backwardIN3c108BFloat16ES2_fLi6ELb0ELb1ELi64EEEvPT0_PKT_S7_iiiPKb.has_recursion, 0
	.set _ZN12_GLOBAL__N_121softmax_warp_backwardIN3c108BFloat16ES2_fLi6ELb0ELb1ELi64EEEvPT0_PKT_S7_iiiPKb.has_indirect_call, 0
	.section	.AMDGPU.csdata,"",@progbits
; Kernel info:
; codeLenInByte = 1004
; TotalNumSgprs: 18
; NumVgprs: 15
; ScratchSize: 0
; MemoryBound: 0
; FloatMode: 240
; IeeeMode: 1
; LDSByteSize: 0 bytes/workgroup (compile time only)
; SGPRBlocks: 0
; VGPRBlocks: 1
; NumSGPRsForWavesPerEU: 18
; NumVGPRsForWavesPerEU: 15
; Occupancy: 16
; WaveLimiterHint : 0
; COMPUTE_PGM_RSRC2:SCRATCH_EN: 0
; COMPUTE_PGM_RSRC2:USER_SGPR: 6
; COMPUTE_PGM_RSRC2:TRAP_HANDLER: 0
; COMPUTE_PGM_RSRC2:TGID_X_EN: 1
; COMPUTE_PGM_RSRC2:TGID_Y_EN: 0
; COMPUTE_PGM_RSRC2:TGID_Z_EN: 0
; COMPUTE_PGM_RSRC2:TIDIG_COMP_CNT: 1
	.section	.text._ZN12_GLOBAL__N_121softmax_warp_backwardIN3c108BFloat16ES2_fLi6ELb0ELb1ELi32EEEvPT0_PKT_S7_iiiPKb,"axG",@progbits,_ZN12_GLOBAL__N_121softmax_warp_backwardIN3c108BFloat16ES2_fLi6ELb0ELb1ELi32EEEvPT0_PKT_S7_iiiPKb,comdat
	.globl	_ZN12_GLOBAL__N_121softmax_warp_backwardIN3c108BFloat16ES2_fLi6ELb0ELb1ELi32EEEvPT0_PKT_S7_iiiPKb ; -- Begin function _ZN12_GLOBAL__N_121softmax_warp_backwardIN3c108BFloat16ES2_fLi6ELb0ELb1ELi32EEEvPT0_PKT_S7_iiiPKb
	.p2align	8
	.type	_ZN12_GLOBAL__N_121softmax_warp_backwardIN3c108BFloat16ES2_fLi6ELb0ELb1ELi32EEEvPT0_PKT_S7_iiiPKb,@function
_ZN12_GLOBAL__N_121softmax_warp_backwardIN3c108BFloat16ES2_fLi6ELb0ELb1ELi32EEEvPT0_PKT_S7_iiiPKb: ; @_ZN12_GLOBAL__N_121softmax_warp_backwardIN3c108BFloat16ES2_fLi6ELb0ELb1ELi32EEEvPT0_PKT_S7_iiiPKb
; %bb.0:
	s_clause 0x1
	s_load_dword s0, s[4:5], 0x3c
	s_load_dwordx4 s[8:11], s[4:5], 0x18
	v_and_b32_e32 v8, 31, v0
	s_clause 0x1
	s_load_dwordx4 s[12:15], s[4:5], 0x0
	s_load_dwordx2 s[2:3], s[4:5], 0x10
	v_mov_b32_e32 v10, 0
	v_mov_b32_e32 v15, 0
	;; [unrolled: 1-line block ×3, first 2 shown]
	s_waitcnt lgkmcnt(0)
	s_lshr_b32 s0, s0, 16
	v_cmp_gt_i32_e64 s1, s10, v8
	s_and_b32 s0, s0, 0xffff
	s_mul_i32 s6, s6, s0
	v_add_lshl_u32 v0, s6, v1, 1
	v_mad_u64_u32 v[2:3], null, v0, s9, v[8:9]
	v_sub_nc_u32_e32 v9, s8, v0
	v_cmp_lt_i32_e32 vcc_lo, 0, v9
	v_ashrrev_i32_e32 v3, 31, v2
	v_lshlrev_b64 v[0:1], 1, v[2:3]
	v_add_co_u32 v6, s0, s14, v0
	v_add_co_ci_u32_e64 v7, null, s15, v1, s0
	v_add_co_u32 v4, s0, s2, v0
	v_add_co_ci_u32_e64 v5, null, s3, v1, s0
	s_and_b32 s2, vcc_lo, s1
	s_and_saveexec_b32 s0, s2
	s_cbranch_execz .LBB847_2
; %bb.1:
	global_load_ushort v11, v[6:7], off
	global_load_ushort v12, v[4:5], off
	s_waitcnt vmcnt(1)
	v_lshlrev_b32_e32 v15, 16, v11
	s_waitcnt vmcnt(0)
	v_lshlrev_b32_e32 v16, 16, v12
.LBB847_2:
	s_or_b32 exec_lo, exec_lo, s0
	v_or_b32_e32 v8, 32, v8
	v_mov_b32_e32 v14, 0
	v_cmp_gt_i32_e64 s0, s10, v8
	s_and_b32 s3, vcc_lo, s0
	s_and_saveexec_b32 s2, s3
	s_cbranch_execz .LBB847_4
; %bb.3:
	global_load_ushort v8, v[6:7], off offset:64
	global_load_ushort v11, v[4:5], off offset:64
	s_waitcnt vmcnt(1)
	v_lshlrev_b32_e32 v10, 16, v8
	s_waitcnt vmcnt(0)
	v_lshlrev_b32_e32 v14, 16, v11
.LBB847_4:
	s_or_b32 exec_lo, exec_lo, s2
	v_cmp_lt_i32_e64 s2, 1, v9
	v_mov_b32_e32 v8, 0
	v_mov_b32_e32 v12, 0
	;; [unrolled: 1-line block ×3, first 2 shown]
	s_and_b32 s3, s2, s1
	s_and_saveexec_b32 s6, s3
	s_cbranch_execz .LBB847_6
; %bb.5:
	s_mov_b32 s11, 0
	s_lshl_b64 s[8:9], s[10:11], 1
	v_add_co_u32 v11, s3, v6, s8
	v_add_co_ci_u32_e64 v12, null, s9, v7, s3
	v_add_co_u32 v17, s3, v4, s8
	v_add_co_ci_u32_e64 v18, null, s9, v5, s3
	global_load_ushort v11, v[11:12], off
	global_load_ushort v13, v[17:18], off
	s_waitcnt vmcnt(1)
	v_lshlrev_b32_e32 v12, 16, v11
	s_waitcnt vmcnt(0)
	v_lshlrev_b32_e32 v13, 16, v13
.LBB847_6:
	s_or_b32 exec_lo, exec_lo, s6
	v_mov_b32_e32 v11, 0
	s_and_b32 s2, s2, s0
	s_and_saveexec_b32 s3, s2
	s_cbranch_execz .LBB847_8
; %bb.7:
	s_mov_b32 s11, 0
	s_lshl_b64 s[6:7], s[10:11], 1
	v_add_co_u32 v6, s2, v6, s6
	v_add_co_ci_u32_e64 v7, null, s7, v7, s2
	v_add_co_u32 v4, s2, v4, s6
	v_add_co_ci_u32_e64 v5, null, s7, v5, s2
	global_load_ushort v6, v[6:7], off offset:64
	global_load_ushort v4, v[4:5], off offset:64
	s_waitcnt vmcnt(1)
	v_lshlrev_b32_e32 v8, 16, v6
	s_waitcnt vmcnt(0)
	v_lshlrev_b32_e32 v11, 16, v4
.LBB847_8:
	s_or_b32 exec_lo, exec_lo, s3
	s_load_dwordx2 s[2:3], s[4:5], 0x28
	v_add_f32_e32 v18, 0, v12
	s_waitcnt lgkmcnt(0)
	v_add_co_u32 v2, s2, s2, v2
	v_add_co_ci_u32_e64 v3, null, s3, v3, s2
	s_ashr_i32 s3, s10, 31
	v_add_co_u32 v4, s2, v2, s10
	v_add_co_ci_u32_e64 v5, null, s3, v3, s2
	s_clause 0x3
	global_load_ubyte v6, v[2:3], off
	global_load_ubyte v7, v[4:5], off
	global_load_ubyte v2, v[2:3], off offset:32
	global_load_ubyte v3, v[4:5], off offset:32
	v_mbcnt_lo_u32_b32 v4, -1, 0
	v_xor_b32_e32 v17, 16, v4
	v_cmp_gt_i32_e64 s2, 32, v17
	s_waitcnt vmcnt(3)
	v_and_b32_e32 v5, 1, v6
	v_add_f32_e32 v6, 0, v15
	s_waitcnt vmcnt(2)
	v_and_b32_e32 v7, 1, v7
	s_waitcnt vmcnt(1)
	v_and_b32_e32 v2, 1, v2
	;; [unrolled: 2-line block ×3, first 2 shown]
	v_cmp_eq_u32_e64 s5, 1, v5
	v_cmp_eq_u32_e64 s3, 1, v2
	;; [unrolled: 1-line block ×3, first 2 shown]
	v_cndmask_b32_e64 v5, v6, 0, s5
	v_cndmask_b32_e64 v6, v4, v17, s2
	v_cmp_eq_u32_e64 s2, 1, v7
	v_add_f32_e32 v17, v5, v10
	v_lshlrev_b32_e32 v6, 2, v6
	v_cndmask_b32_e64 v7, v18, 0, s2
	v_cndmask_b32_e64 v2, v17, v5, s3
	v_add_f32_e32 v18, v7, v8
	ds_bpermute_b32 v5, v6, v2
	v_cndmask_b32_e64 v3, v18, v7, s4
	v_xor_b32_e32 v7, 8, v4
	ds_bpermute_b32 v6, v6, v3
	v_cmp_gt_i32_e64 s6, 32, v7
	v_cndmask_b32_e64 v7, v4, v7, s6
	s_waitcnt lgkmcnt(1)
	v_add_f32_e32 v2, v2, v5
	v_lshlrev_b32_e32 v5, 2, v7
	v_xor_b32_e32 v7, 4, v4
	s_waitcnt lgkmcnt(0)
	v_add_f32_e32 v3, v3, v6
	ds_bpermute_b32 v6, v5, v2
	v_cmp_gt_i32_e64 s6, 32, v7
	ds_bpermute_b32 v5, v5, v3
	v_cndmask_b32_e64 v7, v4, v7, s6
	s_waitcnt lgkmcnt(1)
	v_add_f32_e32 v2, v2, v6
	v_lshlrev_b32_e32 v6, 2, v7
	v_xor_b32_e32 v7, 2, v4
	s_waitcnt lgkmcnt(0)
	v_add_f32_e32 v3, v3, v5
	ds_bpermute_b32 v5, v6, v2
	v_cmp_gt_i32_e64 s6, 32, v7
	ds_bpermute_b32 v6, v6, v3
	v_cndmask_b32_e64 v7, v4, v7, s6
	s_waitcnt lgkmcnt(1)
	v_add_f32_e32 v2, v2, v5
	v_lshlrev_b32_e32 v5, 2, v7
	v_xor_b32_e32 v7, 1, v4
	s_waitcnt lgkmcnt(0)
	v_add_f32_e32 v3, v3, v6
	ds_bpermute_b32 v6, v5, v2
	v_cmp_gt_i32_e64 s6, 32, v7
	ds_bpermute_b32 v5, v5, v3
	v_cndmask_b32_e64 v7, v4, v7, s6
	s_waitcnt lgkmcnt(1)
	v_add_f32_e32 v4, v2, v6
	v_lshlrev_b32_e32 v6, 2, v7
	s_waitcnt lgkmcnt(0)
	v_add_f32_e32 v2, v3, v5
	ds_bpermute_b32 v5, v6, v4
	ds_bpermute_b32 v3, v6, v2
	s_and_saveexec_b32 s6, vcc_lo
	s_cbranch_execz .LBB847_26
; %bb.9:
	v_add_co_u32 v0, vcc_lo, s12, v0
	s_waitcnt lgkmcnt(1)
	v_add_f32_e32 v4, v4, v5
	v_add_co_ci_u32_e64 v1, null, s13, v1, vcc_lo
	s_and_saveexec_b32 s6, s1
	s_cbranch_execz .LBB847_13
; %bb.10:
	v_mov_b32_e32 v5, 0
	s_xor_b32 s7, s5, -1
	s_and_saveexec_b32 s5, s7
; %bb.11:
	v_fma_f32 v5, -v4, v16, v15
	v_bfe_u32 v6, v5, 16, 1
	v_cmp_o_f32_e32 vcc_lo, v5, v5
	v_add3_u32 v5, v5, v6, 0x7fff
	v_mov_b32_e32 v6, 0x7fc0
	v_cndmask_b32_sdwa v5, v6, v5, vcc_lo dst_sel:DWORD dst_unused:UNUSED_PAD src0_sel:DWORD src1_sel:WORD_1
; %bb.12:
	s_or_b32 exec_lo, exec_lo, s5
	global_store_short v[0:1], v5, off
.LBB847_13:
	s_or_b32 exec_lo, exec_lo, s6
	s_xor_b32 s6, s3, -1
	s_xor_b32 s3, s2, -1
	;; [unrolled: 1-line block ×3, first 2 shown]
	s_and_saveexec_b32 s4, s0
	s_cbranch_execz .LBB847_17
; %bb.14:
	v_mov_b32_e32 v5, 0
	s_and_saveexec_b32 s5, s6
; %bb.15:
	v_fma_f32 v4, -v4, v14, v10
	v_bfe_u32 v5, v4, 16, 1
	v_cmp_o_f32_e32 vcc_lo, v4, v4
	v_add3_u32 v4, v4, v5, 0x7fff
	v_mov_b32_e32 v5, 0x7fc0
	v_cndmask_b32_sdwa v5, v5, v4, vcc_lo dst_sel:DWORD dst_unused:UNUSED_PAD src0_sel:DWORD src1_sel:WORD_1
; %bb.16:
	s_or_b32 exec_lo, exec_lo, s5
	global_store_short v[0:1], v5, off offset:64
.LBB847_17:
	s_or_b32 exec_lo, exec_lo, s4
	v_cmp_ne_u32_e32 vcc_lo, 1, v9
	s_and_b32 exec_lo, exec_lo, vcc_lo
	s_cbranch_execz .LBB847_26
; %bb.18:
	s_waitcnt lgkmcnt(0)
	v_add_f32_e32 v2, v2, v3
	s_and_saveexec_b32 s4, s1
	s_cbranch_execz .LBB847_22
; %bb.19:
	v_mov_b32_e32 v3, 0
	s_and_saveexec_b32 s1, s3
; %bb.20:
	v_fma_f32 v3, -v2, v13, v12
	v_bfe_u32 v4, v3, 16, 1
	v_cmp_o_f32_e32 vcc_lo, v3, v3
	v_add3_u32 v3, v3, v4, 0x7fff
	v_mov_b32_e32 v4, 0x7fc0
	v_cndmask_b32_sdwa v3, v4, v3, vcc_lo dst_sel:DWORD dst_unused:UNUSED_PAD src0_sel:DWORD src1_sel:WORD_1
; %bb.21:
	s_or_b32 exec_lo, exec_lo, s1
	s_mov_b32 s11, 0
	s_lshl_b64 s[6:7], s[10:11], 1
	v_add_co_u32 v4, vcc_lo, v0, s6
	v_add_co_ci_u32_e64 v5, null, s7, v1, vcc_lo
	global_store_short v[4:5], v3, off
.LBB847_22:
	s_or_b32 exec_lo, exec_lo, s4
	s_and_b32 exec_lo, exec_lo, s0
	s_cbranch_execz .LBB847_26
; %bb.23:
	v_mov_b32_e32 v3, 0
	s_and_saveexec_b32 s0, s2
; %bb.24:
	v_fma_f32 v2, -v2, v11, v8
	v_bfe_u32 v3, v2, 16, 1
	v_cmp_o_f32_e32 vcc_lo, v2, v2
	v_add3_u32 v2, v2, v3, 0x7fff
	v_mov_b32_e32 v3, 0x7fc0
	v_cndmask_b32_sdwa v3, v3, v2, vcc_lo dst_sel:DWORD dst_unused:UNUSED_PAD src0_sel:DWORD src1_sel:WORD_1
; %bb.25:
	s_or_b32 exec_lo, exec_lo, s0
	s_add_i32 s0, s10, 32
	s_mov_b32 s1, 0
	s_lshl_b64 s[0:1], s[0:1], 1
	v_add_co_u32 v0, vcc_lo, v0, s0
	v_add_co_ci_u32_e64 v1, null, s1, v1, vcc_lo
	global_store_short v[0:1], v3, off
.LBB847_26:
	s_endpgm
	.section	.rodata,"a",@progbits
	.p2align	6, 0x0
	.amdhsa_kernel _ZN12_GLOBAL__N_121softmax_warp_backwardIN3c108BFloat16ES2_fLi6ELb0ELb1ELi32EEEvPT0_PKT_S7_iiiPKb
		.amdhsa_group_segment_fixed_size 0
		.amdhsa_private_segment_fixed_size 0
		.amdhsa_kernarg_size 304
		.amdhsa_user_sgpr_count 6
		.amdhsa_user_sgpr_private_segment_buffer 1
		.amdhsa_user_sgpr_dispatch_ptr 0
		.amdhsa_user_sgpr_queue_ptr 0
		.amdhsa_user_sgpr_kernarg_segment_ptr 1
		.amdhsa_user_sgpr_dispatch_id 0
		.amdhsa_user_sgpr_flat_scratch_init 0
		.amdhsa_user_sgpr_private_segment_size 0
		.amdhsa_wavefront_size32 1
		.amdhsa_uses_dynamic_stack 0
		.amdhsa_system_sgpr_private_segment_wavefront_offset 0
		.amdhsa_system_sgpr_workgroup_id_x 1
		.amdhsa_system_sgpr_workgroup_id_y 0
		.amdhsa_system_sgpr_workgroup_id_z 0
		.amdhsa_system_sgpr_workgroup_info 0
		.amdhsa_system_vgpr_workitem_id 1
		.amdhsa_next_free_vgpr 19
		.amdhsa_next_free_sgpr 16
		.amdhsa_reserve_vcc 1
		.amdhsa_reserve_flat_scratch 0
		.amdhsa_float_round_mode_32 0
		.amdhsa_float_round_mode_16_64 0
		.amdhsa_float_denorm_mode_32 3
		.amdhsa_float_denorm_mode_16_64 3
		.amdhsa_dx10_clamp 1
		.amdhsa_ieee_mode 1
		.amdhsa_fp16_overflow 0
		.amdhsa_workgroup_processor_mode 1
		.amdhsa_memory_ordered 1
		.amdhsa_forward_progress 1
		.amdhsa_shared_vgpr_count 0
		.amdhsa_exception_fp_ieee_invalid_op 0
		.amdhsa_exception_fp_denorm_src 0
		.amdhsa_exception_fp_ieee_div_zero 0
		.amdhsa_exception_fp_ieee_overflow 0
		.amdhsa_exception_fp_ieee_underflow 0
		.amdhsa_exception_fp_ieee_inexact 0
		.amdhsa_exception_int_div_zero 0
	.end_amdhsa_kernel
	.section	.text._ZN12_GLOBAL__N_121softmax_warp_backwardIN3c108BFloat16ES2_fLi6ELb0ELb1ELi32EEEvPT0_PKT_S7_iiiPKb,"axG",@progbits,_ZN12_GLOBAL__N_121softmax_warp_backwardIN3c108BFloat16ES2_fLi6ELb0ELb1ELi32EEEvPT0_PKT_S7_iiiPKb,comdat
.Lfunc_end847:
	.size	_ZN12_GLOBAL__N_121softmax_warp_backwardIN3c108BFloat16ES2_fLi6ELb0ELb1ELi32EEEvPT0_PKT_S7_iiiPKb, .Lfunc_end847-_ZN12_GLOBAL__N_121softmax_warp_backwardIN3c108BFloat16ES2_fLi6ELb0ELb1ELi32EEEvPT0_PKT_S7_iiiPKb
                                        ; -- End function
	.set _ZN12_GLOBAL__N_121softmax_warp_backwardIN3c108BFloat16ES2_fLi6ELb0ELb1ELi32EEEvPT0_PKT_S7_iiiPKb.num_vgpr, 19
	.set _ZN12_GLOBAL__N_121softmax_warp_backwardIN3c108BFloat16ES2_fLi6ELb0ELb1ELi32EEEvPT0_PKT_S7_iiiPKb.num_agpr, 0
	.set _ZN12_GLOBAL__N_121softmax_warp_backwardIN3c108BFloat16ES2_fLi6ELb0ELb1ELi32EEEvPT0_PKT_S7_iiiPKb.numbered_sgpr, 16
	.set _ZN12_GLOBAL__N_121softmax_warp_backwardIN3c108BFloat16ES2_fLi6ELb0ELb1ELi32EEEvPT0_PKT_S7_iiiPKb.num_named_barrier, 0
	.set _ZN12_GLOBAL__N_121softmax_warp_backwardIN3c108BFloat16ES2_fLi6ELb0ELb1ELi32EEEvPT0_PKT_S7_iiiPKb.private_seg_size, 0
	.set _ZN12_GLOBAL__N_121softmax_warp_backwardIN3c108BFloat16ES2_fLi6ELb0ELb1ELi32EEEvPT0_PKT_S7_iiiPKb.uses_vcc, 1
	.set _ZN12_GLOBAL__N_121softmax_warp_backwardIN3c108BFloat16ES2_fLi6ELb0ELb1ELi32EEEvPT0_PKT_S7_iiiPKb.uses_flat_scratch, 0
	.set _ZN12_GLOBAL__N_121softmax_warp_backwardIN3c108BFloat16ES2_fLi6ELb0ELb1ELi32EEEvPT0_PKT_S7_iiiPKb.has_dyn_sized_stack, 0
	.set _ZN12_GLOBAL__N_121softmax_warp_backwardIN3c108BFloat16ES2_fLi6ELb0ELb1ELi32EEEvPT0_PKT_S7_iiiPKb.has_recursion, 0
	.set _ZN12_GLOBAL__N_121softmax_warp_backwardIN3c108BFloat16ES2_fLi6ELb0ELb1ELi32EEEvPT0_PKT_S7_iiiPKb.has_indirect_call, 0
	.section	.AMDGPU.csdata,"",@progbits
; Kernel info:
; codeLenInByte = 1372
; TotalNumSgprs: 18
; NumVgprs: 19
; ScratchSize: 0
; MemoryBound: 0
; FloatMode: 240
; IeeeMode: 1
; LDSByteSize: 0 bytes/workgroup (compile time only)
; SGPRBlocks: 0
; VGPRBlocks: 2
; NumSGPRsForWavesPerEU: 18
; NumVGPRsForWavesPerEU: 19
; Occupancy: 16
; WaveLimiterHint : 0
; COMPUTE_PGM_RSRC2:SCRATCH_EN: 0
; COMPUTE_PGM_RSRC2:USER_SGPR: 6
; COMPUTE_PGM_RSRC2:TRAP_HANDLER: 0
; COMPUTE_PGM_RSRC2:TGID_X_EN: 1
; COMPUTE_PGM_RSRC2:TGID_Y_EN: 0
; COMPUTE_PGM_RSRC2:TGID_Z_EN: 0
; COMPUTE_PGM_RSRC2:TIDIG_COMP_CNT: 1
	.section	.text._ZN12_GLOBAL__N_121softmax_warp_backwardIN3c108BFloat16ES2_fLi7ELb0ELb1ELi64EEEvPT0_PKT_S7_iiiPKb,"axG",@progbits,_ZN12_GLOBAL__N_121softmax_warp_backwardIN3c108BFloat16ES2_fLi7ELb0ELb1ELi64EEEvPT0_PKT_S7_iiiPKb,comdat
	.globl	_ZN12_GLOBAL__N_121softmax_warp_backwardIN3c108BFloat16ES2_fLi7ELb0ELb1ELi64EEEvPT0_PKT_S7_iiiPKb ; -- Begin function _ZN12_GLOBAL__N_121softmax_warp_backwardIN3c108BFloat16ES2_fLi7ELb0ELb1ELi64EEEvPT0_PKT_S7_iiiPKb
	.p2align	8
	.type	_ZN12_GLOBAL__N_121softmax_warp_backwardIN3c108BFloat16ES2_fLi7ELb0ELb1ELi64EEEvPT0_PKT_S7_iiiPKb,@function
_ZN12_GLOBAL__N_121softmax_warp_backwardIN3c108BFloat16ES2_fLi7ELb0ELb1ELi64EEEvPT0_PKT_S7_iiiPKb: ; @_ZN12_GLOBAL__N_121softmax_warp_backwardIN3c108BFloat16ES2_fLi7ELb0ELb1ELi64EEEvPT0_PKT_S7_iiiPKb
; %bb.0:
	s_clause 0x1
	s_load_dword s0, s[4:5], 0x3c
	s_load_dwordx4 s[8:11], s[4:5], 0x18
	v_and_b32_e32 v8, 63, v0
	s_clause 0x1
	s_load_dwordx4 s[12:15], s[4:5], 0x0
	s_load_dwordx2 s[2:3], s[4:5], 0x10
	v_mov_b32_e32 v10, 0
	v_mov_b32_e32 v15, 0
	v_mov_b32_e32 v16, 0
	s_waitcnt lgkmcnt(0)
	s_lshr_b32 s0, s0, 16
	v_cmp_gt_i32_e64 s1, s10, v8
	s_and_b32 s0, s0, 0xffff
	s_mul_i32 s6, s6, s0
	v_add_lshl_u32 v0, s6, v1, 1
	v_mad_u64_u32 v[2:3], null, v0, s9, v[8:9]
	v_sub_nc_u32_e32 v9, s8, v0
	v_cmp_lt_i32_e32 vcc_lo, 0, v9
	v_ashrrev_i32_e32 v3, 31, v2
	v_lshlrev_b64 v[0:1], 1, v[2:3]
	v_add_co_u32 v6, s0, s14, v0
	v_add_co_ci_u32_e64 v7, null, s15, v1, s0
	v_add_co_u32 v4, s0, s2, v0
	v_add_co_ci_u32_e64 v5, null, s3, v1, s0
	s_and_b32 s2, vcc_lo, s1
	s_and_saveexec_b32 s0, s2
	s_cbranch_execz .LBB848_2
; %bb.1:
	global_load_ushort v11, v[6:7], off
	global_load_ushort v12, v[4:5], off
	s_waitcnt vmcnt(1)
	v_lshlrev_b32_e32 v15, 16, v11
	s_waitcnt vmcnt(0)
	v_lshlrev_b32_e32 v16, 16, v12
.LBB848_2:
	s_or_b32 exec_lo, exec_lo, s0
	v_or_b32_e32 v8, 64, v8
	v_mov_b32_e32 v14, 0
	v_cmp_gt_i32_e64 s0, s10, v8
	s_and_b32 s3, vcc_lo, s0
	s_and_saveexec_b32 s2, s3
	s_cbranch_execz .LBB848_4
; %bb.3:
	global_load_ushort v8, v[6:7], off offset:128
	global_load_ushort v11, v[4:5], off offset:128
	s_waitcnt vmcnt(1)
	v_lshlrev_b32_e32 v10, 16, v8
	s_waitcnt vmcnt(0)
	v_lshlrev_b32_e32 v14, 16, v11
.LBB848_4:
	s_or_b32 exec_lo, exec_lo, s2
	v_cmp_lt_i32_e64 s2, 1, v9
	v_mov_b32_e32 v8, 0
	v_mov_b32_e32 v12, 0
	;; [unrolled: 1-line block ×3, first 2 shown]
	s_and_b32 s3, s2, s1
	s_and_saveexec_b32 s6, s3
	s_cbranch_execz .LBB848_6
; %bb.5:
	s_mov_b32 s11, 0
	s_lshl_b64 s[8:9], s[10:11], 1
	v_add_co_u32 v11, s3, v6, s8
	v_add_co_ci_u32_e64 v12, null, s9, v7, s3
	v_add_co_u32 v17, s3, v4, s8
	v_add_co_ci_u32_e64 v18, null, s9, v5, s3
	global_load_ushort v11, v[11:12], off
	global_load_ushort v13, v[17:18], off
	s_waitcnt vmcnt(1)
	v_lshlrev_b32_e32 v12, 16, v11
	s_waitcnt vmcnt(0)
	v_lshlrev_b32_e32 v13, 16, v13
.LBB848_6:
	s_or_b32 exec_lo, exec_lo, s6
	v_mov_b32_e32 v11, 0
	s_and_b32 s2, s2, s0
	s_and_saveexec_b32 s3, s2
	s_cbranch_execz .LBB848_8
; %bb.7:
	s_mov_b32 s11, 0
	s_lshl_b64 s[6:7], s[10:11], 1
	v_add_co_u32 v6, s2, v6, s6
	v_add_co_ci_u32_e64 v7, null, s7, v7, s2
	v_add_co_u32 v4, s2, v4, s6
	v_add_co_ci_u32_e64 v5, null, s7, v5, s2
	global_load_ushort v6, v[6:7], off offset:128
	global_load_ushort v4, v[4:5], off offset:128
	s_waitcnt vmcnt(1)
	v_lshlrev_b32_e32 v8, 16, v6
	s_waitcnt vmcnt(0)
	v_lshlrev_b32_e32 v11, 16, v4
.LBB848_8:
	s_or_b32 exec_lo, exec_lo, s3
	s_load_dwordx2 s[2:3], s[4:5], 0x28
	v_add_f32_e32 v18, 0, v12
	s_waitcnt lgkmcnt(0)
	v_add_co_u32 v2, s2, s2, v2
	v_add_co_ci_u32_e64 v3, null, s3, v3, s2
	s_ashr_i32 s3, s10, 31
	v_add_co_u32 v4, s2, v2, s10
	v_add_co_ci_u32_e64 v5, null, s3, v3, s2
	s_clause 0x3
	global_load_ubyte v6, v[2:3], off
	global_load_ubyte v7, v[4:5], off
	global_load_ubyte v2, v[2:3], off offset:64
	global_load_ubyte v3, v[4:5], off offset:64
	v_mbcnt_lo_u32_b32 v4, -1, 0
	v_or_b32_e32 v17, 32, v4
	v_cmp_gt_i32_e64 s2, 64, v17
	s_waitcnt vmcnt(3)
	v_and_b32_e32 v5, 1, v6
	v_add_f32_e32 v6, 0, v15
	s_waitcnt vmcnt(2)
	v_and_b32_e32 v7, 1, v7
	s_waitcnt vmcnt(1)
	v_and_b32_e32 v2, 1, v2
	;; [unrolled: 2-line block ×3, first 2 shown]
	v_cmp_eq_u32_e64 s5, 1, v5
	v_cmp_eq_u32_e64 s3, 1, v2
	;; [unrolled: 1-line block ×3, first 2 shown]
	v_cndmask_b32_e64 v5, v6, 0, s5
	v_cndmask_b32_e64 v6, v4, v17, s2
	v_cmp_eq_u32_e64 s2, 1, v7
	v_add_f32_e32 v17, v5, v10
	v_lshlrev_b32_e32 v6, 2, v6
	v_cndmask_b32_e64 v7, v18, 0, s2
	v_cndmask_b32_e64 v2, v17, v5, s3
	v_add_f32_e32 v18, v7, v8
	ds_bpermute_b32 v5, v6, v2
	v_cndmask_b32_e64 v3, v18, v7, s4
	v_xor_b32_e32 v7, 16, v4
	ds_bpermute_b32 v6, v6, v3
	v_cmp_gt_i32_e64 s6, 64, v7
	v_cndmask_b32_e64 v7, v4, v7, s6
	v_lshlrev_b32_e32 v7, 2, v7
	s_waitcnt lgkmcnt(1)
	v_add_f32_e32 v2, v2, v5
	ds_bpermute_b32 v5, v7, v2
	s_waitcnt lgkmcnt(1)
	v_add_f32_e32 v3, v3, v6
	ds_bpermute_b32 v6, v7, v3
	v_xor_b32_e32 v7, 8, v4
	v_cmp_gt_i32_e64 s6, 64, v7
	v_cndmask_b32_e64 v7, v4, v7, s6
	s_waitcnt lgkmcnt(1)
	v_add_f32_e32 v2, v2, v5
	v_lshlrev_b32_e32 v5, 2, v7
	v_xor_b32_e32 v7, 4, v4
	s_waitcnt lgkmcnt(0)
	v_add_f32_e32 v3, v3, v6
	ds_bpermute_b32 v6, v5, v2
	v_cmp_gt_i32_e64 s6, 64, v7
	ds_bpermute_b32 v5, v5, v3
	v_cndmask_b32_e64 v7, v4, v7, s6
	s_waitcnt lgkmcnt(1)
	v_add_f32_e32 v2, v2, v6
	v_lshlrev_b32_e32 v6, 2, v7
	v_xor_b32_e32 v7, 2, v4
	s_waitcnt lgkmcnt(0)
	v_add_f32_e32 v3, v3, v5
	ds_bpermute_b32 v5, v6, v2
	v_cmp_gt_i32_e64 s6, 64, v7
	ds_bpermute_b32 v6, v6, v3
	;; [unrolled: 10-line block ×3, first 2 shown]
	v_cndmask_b32_e64 v7, v4, v7, s6
	s_waitcnt lgkmcnt(1)
	v_add_f32_e32 v4, v2, v6
	v_lshlrev_b32_e32 v6, 2, v7
	s_waitcnt lgkmcnt(0)
	v_add_f32_e32 v2, v3, v5
	ds_bpermute_b32 v5, v6, v4
	ds_bpermute_b32 v3, v6, v2
	s_and_saveexec_b32 s6, vcc_lo
	s_cbranch_execz .LBB848_26
; %bb.9:
	v_add_co_u32 v0, vcc_lo, s12, v0
	s_waitcnt lgkmcnt(1)
	v_add_f32_e32 v4, v4, v5
	v_add_co_ci_u32_e64 v1, null, s13, v1, vcc_lo
	s_and_saveexec_b32 s6, s1
	s_cbranch_execz .LBB848_13
; %bb.10:
	v_mov_b32_e32 v5, 0
	s_xor_b32 s7, s5, -1
	s_and_saveexec_b32 s5, s7
; %bb.11:
	v_fma_f32 v5, -v4, v16, v15
	v_bfe_u32 v6, v5, 16, 1
	v_cmp_o_f32_e32 vcc_lo, v5, v5
	v_add3_u32 v5, v5, v6, 0x7fff
	v_mov_b32_e32 v6, 0x7fc0
	v_cndmask_b32_sdwa v5, v6, v5, vcc_lo dst_sel:DWORD dst_unused:UNUSED_PAD src0_sel:DWORD src1_sel:WORD_1
; %bb.12:
	s_or_b32 exec_lo, exec_lo, s5
	global_store_short v[0:1], v5, off
.LBB848_13:
	s_or_b32 exec_lo, exec_lo, s6
	s_xor_b32 s6, s3, -1
	s_xor_b32 s3, s2, -1
	;; [unrolled: 1-line block ×3, first 2 shown]
	s_and_saveexec_b32 s4, s0
	s_cbranch_execz .LBB848_17
; %bb.14:
	v_mov_b32_e32 v5, 0
	s_and_saveexec_b32 s5, s6
; %bb.15:
	v_fma_f32 v4, -v4, v14, v10
	v_bfe_u32 v5, v4, 16, 1
	v_cmp_o_f32_e32 vcc_lo, v4, v4
	v_add3_u32 v4, v4, v5, 0x7fff
	v_mov_b32_e32 v5, 0x7fc0
	v_cndmask_b32_sdwa v5, v5, v4, vcc_lo dst_sel:DWORD dst_unused:UNUSED_PAD src0_sel:DWORD src1_sel:WORD_1
; %bb.16:
	s_or_b32 exec_lo, exec_lo, s5
	global_store_short v[0:1], v5, off offset:128
.LBB848_17:
	s_or_b32 exec_lo, exec_lo, s4
	v_cmp_ne_u32_e32 vcc_lo, 1, v9
	s_and_b32 exec_lo, exec_lo, vcc_lo
	s_cbranch_execz .LBB848_26
; %bb.18:
	s_waitcnt lgkmcnt(0)
	v_add_f32_e32 v2, v2, v3
	s_and_saveexec_b32 s4, s1
	s_cbranch_execz .LBB848_22
; %bb.19:
	v_mov_b32_e32 v3, 0
	s_and_saveexec_b32 s1, s3
; %bb.20:
	v_fma_f32 v3, -v2, v13, v12
	v_bfe_u32 v4, v3, 16, 1
	v_cmp_o_f32_e32 vcc_lo, v3, v3
	v_add3_u32 v3, v3, v4, 0x7fff
	v_mov_b32_e32 v4, 0x7fc0
	v_cndmask_b32_sdwa v3, v4, v3, vcc_lo dst_sel:DWORD dst_unused:UNUSED_PAD src0_sel:DWORD src1_sel:WORD_1
; %bb.21:
	s_or_b32 exec_lo, exec_lo, s1
	s_mov_b32 s11, 0
	s_lshl_b64 s[6:7], s[10:11], 1
	v_add_co_u32 v4, vcc_lo, v0, s6
	v_add_co_ci_u32_e64 v5, null, s7, v1, vcc_lo
	global_store_short v[4:5], v3, off
.LBB848_22:
	s_or_b32 exec_lo, exec_lo, s4
	s_and_b32 exec_lo, exec_lo, s0
	s_cbranch_execz .LBB848_26
; %bb.23:
	v_mov_b32_e32 v3, 0
	s_and_saveexec_b32 s0, s2
; %bb.24:
	v_fma_f32 v2, -v2, v11, v8
	v_bfe_u32 v3, v2, 16, 1
	v_cmp_o_f32_e32 vcc_lo, v2, v2
	v_add3_u32 v2, v2, v3, 0x7fff
	v_mov_b32_e32 v3, 0x7fc0
	v_cndmask_b32_sdwa v3, v3, v2, vcc_lo dst_sel:DWORD dst_unused:UNUSED_PAD src0_sel:DWORD src1_sel:WORD_1
; %bb.25:
	s_or_b32 exec_lo, exec_lo, s0
	s_add_i32 s0, s10, 64
	s_mov_b32 s1, 0
	s_lshl_b64 s[0:1], s[0:1], 1
	v_add_co_u32 v0, vcc_lo, v0, s0
	v_add_co_ci_u32_e64 v1, null, s1, v1, vcc_lo
	global_store_short v[0:1], v3, off
.LBB848_26:
	s_endpgm
	.section	.rodata,"a",@progbits
	.p2align	6, 0x0
	.amdhsa_kernel _ZN12_GLOBAL__N_121softmax_warp_backwardIN3c108BFloat16ES2_fLi7ELb0ELb1ELi64EEEvPT0_PKT_S7_iiiPKb
		.amdhsa_group_segment_fixed_size 0
		.amdhsa_private_segment_fixed_size 0
		.amdhsa_kernarg_size 304
		.amdhsa_user_sgpr_count 6
		.amdhsa_user_sgpr_private_segment_buffer 1
		.amdhsa_user_sgpr_dispatch_ptr 0
		.amdhsa_user_sgpr_queue_ptr 0
		.amdhsa_user_sgpr_kernarg_segment_ptr 1
		.amdhsa_user_sgpr_dispatch_id 0
		.amdhsa_user_sgpr_flat_scratch_init 0
		.amdhsa_user_sgpr_private_segment_size 0
		.amdhsa_wavefront_size32 1
		.amdhsa_uses_dynamic_stack 0
		.amdhsa_system_sgpr_private_segment_wavefront_offset 0
		.amdhsa_system_sgpr_workgroup_id_x 1
		.amdhsa_system_sgpr_workgroup_id_y 0
		.amdhsa_system_sgpr_workgroup_id_z 0
		.amdhsa_system_sgpr_workgroup_info 0
		.amdhsa_system_vgpr_workitem_id 1
		.amdhsa_next_free_vgpr 19
		.amdhsa_next_free_sgpr 16
		.amdhsa_reserve_vcc 1
		.amdhsa_reserve_flat_scratch 0
		.amdhsa_float_round_mode_32 0
		.amdhsa_float_round_mode_16_64 0
		.amdhsa_float_denorm_mode_32 3
		.amdhsa_float_denorm_mode_16_64 3
		.amdhsa_dx10_clamp 1
		.amdhsa_ieee_mode 1
		.amdhsa_fp16_overflow 0
		.amdhsa_workgroup_processor_mode 1
		.amdhsa_memory_ordered 1
		.amdhsa_forward_progress 1
		.amdhsa_shared_vgpr_count 0
		.amdhsa_exception_fp_ieee_invalid_op 0
		.amdhsa_exception_fp_denorm_src 0
		.amdhsa_exception_fp_ieee_div_zero 0
		.amdhsa_exception_fp_ieee_overflow 0
		.amdhsa_exception_fp_ieee_underflow 0
		.amdhsa_exception_fp_ieee_inexact 0
		.amdhsa_exception_int_div_zero 0
	.end_amdhsa_kernel
	.section	.text._ZN12_GLOBAL__N_121softmax_warp_backwardIN3c108BFloat16ES2_fLi7ELb0ELb1ELi64EEEvPT0_PKT_S7_iiiPKb,"axG",@progbits,_ZN12_GLOBAL__N_121softmax_warp_backwardIN3c108BFloat16ES2_fLi7ELb0ELb1ELi64EEEvPT0_PKT_S7_iiiPKb,comdat
.Lfunc_end848:
	.size	_ZN12_GLOBAL__N_121softmax_warp_backwardIN3c108BFloat16ES2_fLi7ELb0ELb1ELi64EEEvPT0_PKT_S7_iiiPKb, .Lfunc_end848-_ZN12_GLOBAL__N_121softmax_warp_backwardIN3c108BFloat16ES2_fLi7ELb0ELb1ELi64EEEvPT0_PKT_S7_iiiPKb
                                        ; -- End function
	.set _ZN12_GLOBAL__N_121softmax_warp_backwardIN3c108BFloat16ES2_fLi7ELb0ELb1ELi64EEEvPT0_PKT_S7_iiiPKb.num_vgpr, 19
	.set _ZN12_GLOBAL__N_121softmax_warp_backwardIN3c108BFloat16ES2_fLi7ELb0ELb1ELi64EEEvPT0_PKT_S7_iiiPKb.num_agpr, 0
	.set _ZN12_GLOBAL__N_121softmax_warp_backwardIN3c108BFloat16ES2_fLi7ELb0ELb1ELi64EEEvPT0_PKT_S7_iiiPKb.numbered_sgpr, 16
	.set _ZN12_GLOBAL__N_121softmax_warp_backwardIN3c108BFloat16ES2_fLi7ELb0ELb1ELi64EEEvPT0_PKT_S7_iiiPKb.num_named_barrier, 0
	.set _ZN12_GLOBAL__N_121softmax_warp_backwardIN3c108BFloat16ES2_fLi7ELb0ELb1ELi64EEEvPT0_PKT_S7_iiiPKb.private_seg_size, 0
	.set _ZN12_GLOBAL__N_121softmax_warp_backwardIN3c108BFloat16ES2_fLi7ELb0ELb1ELi64EEEvPT0_PKT_S7_iiiPKb.uses_vcc, 1
	.set _ZN12_GLOBAL__N_121softmax_warp_backwardIN3c108BFloat16ES2_fLi7ELb0ELb1ELi64EEEvPT0_PKT_S7_iiiPKb.uses_flat_scratch, 0
	.set _ZN12_GLOBAL__N_121softmax_warp_backwardIN3c108BFloat16ES2_fLi7ELb0ELb1ELi64EEEvPT0_PKT_S7_iiiPKb.has_dyn_sized_stack, 0
	.set _ZN12_GLOBAL__N_121softmax_warp_backwardIN3c108BFloat16ES2_fLi7ELb0ELb1ELi64EEEvPT0_PKT_S7_iiiPKb.has_recursion, 0
	.set _ZN12_GLOBAL__N_121softmax_warp_backwardIN3c108BFloat16ES2_fLi7ELb0ELb1ELi64EEEvPT0_PKT_S7_iiiPKb.has_indirect_call, 0
	.section	.AMDGPU.csdata,"",@progbits
; Kernel info:
; codeLenInByte = 1428
; TotalNumSgprs: 18
; NumVgprs: 19
; ScratchSize: 0
; MemoryBound: 0
; FloatMode: 240
; IeeeMode: 1
; LDSByteSize: 0 bytes/workgroup (compile time only)
; SGPRBlocks: 0
; VGPRBlocks: 2
; NumSGPRsForWavesPerEU: 18
; NumVGPRsForWavesPerEU: 19
; Occupancy: 16
; WaveLimiterHint : 0
; COMPUTE_PGM_RSRC2:SCRATCH_EN: 0
; COMPUTE_PGM_RSRC2:USER_SGPR: 6
; COMPUTE_PGM_RSRC2:TRAP_HANDLER: 0
; COMPUTE_PGM_RSRC2:TGID_X_EN: 1
; COMPUTE_PGM_RSRC2:TGID_Y_EN: 0
; COMPUTE_PGM_RSRC2:TGID_Z_EN: 0
; COMPUTE_PGM_RSRC2:TIDIG_COMP_CNT: 1
	.section	.text._ZN12_GLOBAL__N_121softmax_warp_backwardIN3c108BFloat16ES2_fLi7ELb0ELb1ELi32EEEvPT0_PKT_S7_iiiPKb,"axG",@progbits,_ZN12_GLOBAL__N_121softmax_warp_backwardIN3c108BFloat16ES2_fLi7ELb0ELb1ELi32EEEvPT0_PKT_S7_iiiPKb,comdat
	.globl	_ZN12_GLOBAL__N_121softmax_warp_backwardIN3c108BFloat16ES2_fLi7ELb0ELb1ELi32EEEvPT0_PKT_S7_iiiPKb ; -- Begin function _ZN12_GLOBAL__N_121softmax_warp_backwardIN3c108BFloat16ES2_fLi7ELb0ELb1ELi32EEEvPT0_PKT_S7_iiiPKb
	.p2align	8
	.type	_ZN12_GLOBAL__N_121softmax_warp_backwardIN3c108BFloat16ES2_fLi7ELb0ELb1ELi32EEEvPT0_PKT_S7_iiiPKb,@function
_ZN12_GLOBAL__N_121softmax_warp_backwardIN3c108BFloat16ES2_fLi7ELb0ELb1ELi32EEEvPT0_PKT_S7_iiiPKb: ; @_ZN12_GLOBAL__N_121softmax_warp_backwardIN3c108BFloat16ES2_fLi7ELb0ELb1ELi32EEEvPT0_PKT_S7_iiiPKb
; %bb.0:
	s_clause 0x1
	s_load_dword s0, s[4:5], 0x3c
	s_load_dwordx4 s[12:15], s[4:5], 0x18
	v_and_b32_e32 v8, 31, v0
	s_load_dwordx4 s[16:19], s[4:5], 0x0
	v_mov_b32_e32 v15, 0
	v_mov_b32_e32 v23, 0
	;; [unrolled: 1-line block ×3, first 2 shown]
	s_waitcnt lgkmcnt(0)
	s_lshr_b32 s0, s0, 16
	v_cmp_gt_i32_e64 s3, s14, v8
	s_and_b32 s0, s0, 0xffff
	s_mul_i32 s6, s6, s0
	v_add_lshl_u32 v0, s6, v1, 1
	s_load_dwordx2 s[6:7], s[4:5], 0x10
	v_mad_u64_u32 v[2:3], null, v0, s13, v[8:9]
	v_sub_nc_u32_e32 v9, s12, v0
	v_cmp_lt_i32_e32 vcc_lo, 0, v9
	v_ashrrev_i32_e32 v3, 31, v2
	s_and_b32 s1, vcc_lo, s3
	v_lshlrev_b64 v[0:1], 1, v[2:3]
	v_add_co_u32 v6, s0, s18, v0
	v_add_co_ci_u32_e64 v7, null, s19, v1, s0
	s_waitcnt lgkmcnt(0)
	v_add_co_u32 v4, s0, s6, v0
	v_add_co_ci_u32_e64 v5, null, s7, v1, s0
	s_and_saveexec_b32 s0, s1
	s_cbranch_execz .LBB849_2
; %bb.1:
	global_load_ushort v10, v[6:7], off
	global_load_ushort v11, v[4:5], off
	s_waitcnt vmcnt(1)
	v_lshlrev_b32_e32 v23, 16, v10
	s_waitcnt vmcnt(0)
	v_lshlrev_b32_e32 v24, 16, v11
.LBB849_2:
	s_or_b32 exec_lo, exec_lo, s0
	v_or_b32_e32 v10, 32, v8
	v_mov_b32_e32 v22, 0
	v_cmp_gt_i32_e64 s2, s14, v10
	s_and_b32 s1, vcc_lo, s2
	s_and_saveexec_b32 s0, s1
	s_cbranch_execz .LBB849_4
; %bb.3:
	global_load_ushort v10, v[6:7], off offset:64
	global_load_ushort v11, v[4:5], off offset:64
	s_waitcnt vmcnt(1)
	v_lshlrev_b32_e32 v15, 16, v10
	s_waitcnt vmcnt(0)
	v_lshlrev_b32_e32 v22, 16, v11
.LBB849_4:
	s_or_b32 exec_lo, exec_lo, s0
	v_or_b32_e32 v10, 64, v8
	v_mov_b32_e32 v11, 0
	v_mov_b32_e32 v20, 0
	;; [unrolled: 1-line block ×3, first 2 shown]
	v_cmp_gt_i32_e64 s1, s14, v10
	s_and_b32 s6, vcc_lo, s1
	s_and_saveexec_b32 s0, s6
	s_cbranch_execz .LBB849_6
; %bb.5:
	global_load_ushort v10, v[6:7], off offset:128
	global_load_ushort v12, v[4:5], off offset:128
	s_waitcnt vmcnt(1)
	v_lshlrev_b32_e32 v20, 16, v10
	s_waitcnt vmcnt(0)
	v_lshlrev_b32_e32 v21, 16, v12
.LBB849_6:
	s_or_b32 exec_lo, exec_lo, s0
	v_or_b32_e32 v8, 0x60, v8
	v_mov_b32_e32 v19, 0
	v_cmp_gt_i32_e64 s0, s14, v8
	s_and_b32 s7, vcc_lo, s0
	s_and_saveexec_b32 s6, s7
	s_cbranch_execz .LBB849_8
; %bb.7:
	global_load_ushort v8, v[6:7], off offset:192
	global_load_ushort v10, v[4:5], off offset:192
	s_waitcnt vmcnt(1)
	v_lshlrev_b32_e32 v11, 16, v8
	s_waitcnt vmcnt(0)
	v_lshlrev_b32_e32 v19, 16, v10
.LBB849_8:
	s_or_b32 exec_lo, exec_lo, s6
	v_cmp_lt_i32_e64 s6, 1, v9
	v_mov_b32_e32 v10, 0
	v_mov_b32_e32 v17, 0
	;; [unrolled: 1-line block ×3, first 2 shown]
	s_and_b32 s7, s6, s3
	s_and_saveexec_b32 s8, s7
	s_cbranch_execz .LBB849_10
; %bb.9:
	s_mov_b32 s15, 0
	s_lshl_b64 s[10:11], s[14:15], 1
	v_add_co_u32 v12, s7, v6, s10
	v_add_co_ci_u32_e64 v13, null, s11, v7, s7
	v_add_co_u32 v16, s7, v4, s10
	v_add_co_ci_u32_e64 v17, null, s11, v5, s7
	global_load_ushort v8, v[12:13], off
	global_load_ushort v12, v[16:17], off
	s_waitcnt vmcnt(1)
	v_lshlrev_b32_e32 v17, 16, v8
	s_waitcnt vmcnt(0)
	v_lshlrev_b32_e32 v18, 16, v12
.LBB849_10:
	s_or_b32 exec_lo, exec_lo, s8
	v_mov_b32_e32 v16, 0
	s_and_b32 s7, s6, s2
	s_and_saveexec_b32 s8, s7
	s_cbranch_execz .LBB849_12
; %bb.11:
	s_mov_b32 s15, 0
	s_lshl_b64 s[10:11], s[14:15], 1
	v_add_co_u32 v12, s7, v6, s10
	v_add_co_ci_u32_e64 v13, null, s11, v7, s7
	v_add_co_u32 v25, s7, v4, s10
	v_add_co_ci_u32_e64 v26, null, s11, v5, s7
	global_load_ushort v8, v[12:13], off offset:64
	global_load_ushort v12, v[25:26], off offset:64
	s_waitcnt vmcnt(1)
	v_lshlrev_b32_e32 v10, 16, v8
	s_waitcnt vmcnt(0)
	v_lshlrev_b32_e32 v16, 16, v12
.LBB849_12:
	s_or_b32 exec_lo, exec_lo, s8
	v_mov_b32_e32 v8, 0
	v_mov_b32_e32 v13, 0
	v_mov_b32_e32 v14, 0
	s_and_b32 s7, s6, s1
	s_and_saveexec_b32 s8, s7
	s_cbranch_execz .LBB849_14
; %bb.13:
	s_mov_b32 s15, 0
	s_lshl_b64 s[10:11], s[14:15], 1
	v_add_co_u32 v12, s7, v6, s10
	v_add_co_ci_u32_e64 v13, null, s11, v7, s7
	v_add_co_u32 v25, s7, v4, s10
	v_add_co_ci_u32_e64 v26, null, s11, v5, s7
	global_load_ushort v12, v[12:13], off offset:128
	global_load_ushort v14, v[25:26], off offset:128
	s_waitcnt vmcnt(1)
	v_lshlrev_b32_e32 v13, 16, v12
	s_waitcnt vmcnt(0)
	v_lshlrev_b32_e32 v14, 16, v14
.LBB849_14:
	s_or_b32 exec_lo, exec_lo, s8
	v_mov_b32_e32 v12, 0
	s_and_b32 s6, s6, s0
	s_and_saveexec_b32 s7, s6
	s_cbranch_execz .LBB849_16
; %bb.15:
	s_mov_b32 s15, 0
	s_lshl_b64 s[8:9], s[14:15], 1
	v_add_co_u32 v6, s6, v6, s8
	v_add_co_ci_u32_e64 v7, null, s9, v7, s6
	v_add_co_u32 v4, s6, v4, s8
	v_add_co_ci_u32_e64 v5, null, s9, v5, s6
	global_load_ushort v6, v[6:7], off offset:192
	global_load_ushort v4, v[4:5], off offset:192
	s_waitcnt vmcnt(1)
	v_lshlrev_b32_e32 v8, 16, v6
	s_waitcnt vmcnt(0)
	v_lshlrev_b32_e32 v12, 16, v4
.LBB849_16:
	s_or_b32 exec_lo, exec_lo, s7
	s_load_dwordx2 s[4:5], s[4:5], 0x28
	s_ashr_i32 s15, s14, 31
	s_waitcnt lgkmcnt(0)
	v_add_co_u32 v2, s4, s4, v2
	v_add_co_ci_u32_e64 v3, null, s5, v3, s4
	v_add_co_u32 v4, s4, v2, s14
	v_add_co_ci_u32_e64 v5, null, s15, v3, s4
	s_clause 0x7
	global_load_ubyte v6, v[2:3], off
	global_load_ubyte v7, v[4:5], off
	global_load_ubyte v25, v[2:3], off offset:32
	global_load_ubyte v26, v[4:5], off offset:32
	;; [unrolled: 1-line block ×6, first 2 shown]
	v_add_f32_e32 v5, 0, v23
	s_waitcnt vmcnt(7)
	v_and_b32_e32 v4, 1, v6
	s_waitcnt vmcnt(6)
	v_and_b32_e32 v6, 1, v7
	v_add_f32_e32 v7, 0, v17
	v_cmp_eq_u32_e64 s9, 1, v4
	v_cmp_eq_u32_e64 s4, 1, v6
	s_waitcnt vmcnt(5)
	v_and_b32_e32 v6, 1, v25
	s_waitcnt vmcnt(4)
	v_and_b32_e32 v25, 1, v26
	;; [unrolled: 2-line block ×3, first 2 shown]
	v_cndmask_b32_e64 v4, v5, 0, s9
	v_cndmask_b32_e64 v5, v7, 0, s4
	v_cmp_eq_u32_e64 s5, 1, v6
	v_mbcnt_lo_u32_b32 v6, -1, 0
	v_cmp_eq_u32_e64 s6, 1, v25
	v_add_f32_e32 v7, v4, v15
	v_add_f32_e32 v26, v5, v10
	s_waitcnt vmcnt(0)
	v_and_b32_e32 v3, 1, v3
	v_cmp_eq_u32_e64 s11, 1, v2
	v_cndmask_b32_e64 v4, v7, v4, s5
	v_cndmask_b32_e64 v5, v26, v5, s6
	v_xor_b32_e32 v26, 16, v6
	v_and_b32_e32 v7, 1, v27
	v_and_b32_e32 v27, 1, v28
	v_add_f32_e32 v25, v4, v20
	v_add_f32_e32 v28, v5, v13
	v_cmp_gt_i32_e64 s8, 32, v26
	v_cmp_eq_u32_e64 s7, 1, v7
	v_cmp_eq_u32_e64 s10, 1, v3
	v_cndmask_b32_e64 v7, v6, v26, s8
	v_cmp_eq_u32_e64 s8, 1, v27
	v_cndmask_b32_e64 v4, v25, v4, s7
	v_lshlrev_b32_e32 v7, 2, v7
	v_cndmask_b32_e64 v5, v28, v5, s8
	v_add_f32_e32 v25, v4, v11
	v_add_f32_e32 v26, v5, v8
	v_cndmask_b32_e64 v2, v25, v4, s11
	v_cndmask_b32_e64 v3, v26, v5, s10
	ds_bpermute_b32 v4, v7, v2
	ds_bpermute_b32 v5, v7, v3
	v_xor_b32_e32 v7, 8, v6
	v_cmp_gt_i32_e64 s12, 32, v7
	v_cndmask_b32_e64 v7, v6, v7, s12
	s_waitcnt lgkmcnt(1)
	v_add_f32_e32 v2, v2, v4
	v_lshlrev_b32_e32 v4, 2, v7
	v_xor_b32_e32 v7, 4, v6
	s_waitcnt lgkmcnt(0)
	v_add_f32_e32 v3, v3, v5
	ds_bpermute_b32 v5, v4, v2
	v_cmp_gt_i32_e64 s12, 32, v7
	ds_bpermute_b32 v4, v4, v3
	v_cndmask_b32_e64 v7, v6, v7, s12
	s_waitcnt lgkmcnt(1)
	v_add_f32_e32 v2, v2, v5
	v_lshlrev_b32_e32 v5, 2, v7
	v_xor_b32_e32 v7, 2, v6
	s_waitcnt lgkmcnt(0)
	v_add_f32_e32 v3, v3, v4
	ds_bpermute_b32 v4, v5, v2
	v_cmp_gt_i32_e64 s12, 32, v7
	ds_bpermute_b32 v5, v5, v3
	v_cndmask_b32_e64 v7, v6, v7, s12
	s_waitcnt lgkmcnt(1)
	v_add_f32_e32 v2, v2, v4
	v_lshlrev_b32_e32 v4, 2, v7
	s_waitcnt lgkmcnt(0)
	v_add_f32_e32 v3, v3, v5
	ds_bpermute_b32 v5, v4, v2
	ds_bpermute_b32 v7, v4, v3
	v_xor_b32_e32 v4, 1, v6
	v_cmp_gt_i32_e64 s12, 32, v4
	v_cndmask_b32_e64 v6, v6, v4, s12
	v_lshlrev_b32_e32 v6, 2, v6
	s_waitcnt lgkmcnt(1)
	v_add_f32_e32 v4, v2, v5
	s_waitcnt lgkmcnt(0)
	v_add_f32_e32 v2, v3, v7
	ds_bpermute_b32 v5, v6, v4
	ds_bpermute_b32 v3, v6, v2
	s_and_saveexec_b32 s12, vcc_lo
	s_cbranch_execz .LBB849_25
; %bb.17:
	v_add_co_u32 v0, vcc_lo, s16, v0
	s_waitcnt lgkmcnt(1)
	v_add_f32_e32 v4, v4, v5
	v_add_co_ci_u32_e64 v1, null, s17, v1, vcc_lo
	s_and_saveexec_b32 s12, s3
	s_cbranch_execz .LBB849_21
; %bb.18:
	v_mov_b32_e32 v5, 0
	s_xor_b32 s13, s9, -1
	s_and_saveexec_b32 s9, s13
; %bb.19:
	v_fma_f32 v5, -v4, v24, v23
	v_bfe_u32 v6, v5, 16, 1
	v_cmp_o_f32_e32 vcc_lo, v5, v5
	v_add3_u32 v5, v5, v6, 0x7fff
	v_mov_b32_e32 v6, 0x7fc0
	v_cndmask_b32_sdwa v5, v6, v5, vcc_lo dst_sel:DWORD dst_unused:UNUSED_PAD src0_sel:DWORD src1_sel:WORD_1
; %bb.20:
	s_or_b32 exec_lo, exec_lo, s9
	global_store_short v[0:1], v5, off
.LBB849_21:
	s_or_b32 exec_lo, exec_lo, s12
	s_xor_b32 s13, s5, -1
	s_xor_b32 s12, s7, -1
	;; [unrolled: 1-line block ×7, first 2 shown]
	s_and_saveexec_b32 s8, s2
	s_cbranch_execnz .LBB849_26
; %bb.22:
	s_or_b32 exec_lo, exec_lo, s8
	s_and_saveexec_b32 s8, s1
	s_cbranch_execnz .LBB849_29
.LBB849_23:
	s_or_b32 exec_lo, exec_lo, s8
	s_and_saveexec_b32 s8, s0
	s_cbranch_execnz .LBB849_32
.LBB849_24:
	s_or_b32 exec_lo, exec_lo, s8
	v_cmp_ne_u32_e32 vcc_lo, 1, v9
	s_and_b32 exec_lo, exec_lo, vcc_lo
	s_cbranch_execnz .LBB849_35
.LBB849_25:
	s_endpgm
.LBB849_26:
	v_mov_b32_e32 v5, 0
	s_and_saveexec_b32 s10, s13
; %bb.27:
	v_fma_f32 v5, -v4, v22, v15
	v_bfe_u32 v6, v5, 16, 1
	v_cmp_o_f32_e32 vcc_lo, v5, v5
	v_add3_u32 v5, v5, v6, 0x7fff
	v_mov_b32_e32 v6, 0x7fc0
	v_cndmask_b32_sdwa v5, v6, v5, vcc_lo dst_sel:DWORD dst_unused:UNUSED_PAD src0_sel:DWORD src1_sel:WORD_1
; %bb.28:
	s_or_b32 exec_lo, exec_lo, s10
	global_store_short v[0:1], v5, off offset:64
	s_or_b32 exec_lo, exec_lo, s8
	s_and_saveexec_b32 s8, s1
	s_cbranch_execz .LBB849_23
.LBB849_29:
	v_mov_b32_e32 v5, 0
	s_and_saveexec_b32 s10, s12
; %bb.30:
	v_fma_f32 v5, -v4, v21, v20
	v_bfe_u32 v6, v5, 16, 1
	v_cmp_o_f32_e32 vcc_lo, v5, v5
	v_add3_u32 v5, v5, v6, 0x7fff
	v_mov_b32_e32 v6, 0x7fc0
	v_cndmask_b32_sdwa v5, v6, v5, vcc_lo dst_sel:DWORD dst_unused:UNUSED_PAD src0_sel:DWORD src1_sel:WORD_1
; %bb.31:
	s_or_b32 exec_lo, exec_lo, s10
	global_store_short v[0:1], v5, off offset:128
	s_or_b32 exec_lo, exec_lo, s8
	s_and_saveexec_b32 s8, s0
	s_cbranch_execz .LBB849_24
.LBB849_32:
	v_mov_b32_e32 v5, 0
	s_and_saveexec_b32 s10, s9
; %bb.33:
	v_fma_f32 v4, -v4, v19, v11
	v_bfe_u32 v5, v4, 16, 1
	v_cmp_o_f32_e32 vcc_lo, v4, v4
	v_add3_u32 v4, v4, v5, 0x7fff
	v_mov_b32_e32 v5, 0x7fc0
	v_cndmask_b32_sdwa v5, v5, v4, vcc_lo dst_sel:DWORD dst_unused:UNUSED_PAD src0_sel:DWORD src1_sel:WORD_1
; %bb.34:
	s_or_b32 exec_lo, exec_lo, s10
	global_store_short v[0:1], v5, off offset:192
	s_or_b32 exec_lo, exec_lo, s8
	v_cmp_ne_u32_e32 vcc_lo, 1, v9
	s_and_b32 exec_lo, exec_lo, vcc_lo
	s_cbranch_execz .LBB849_25
.LBB849_35:
	s_waitcnt lgkmcnt(0)
	v_add_f32_e32 v2, v2, v3
	s_and_saveexec_b32 s8, s3
	s_cbranch_execnz .LBB849_39
; %bb.36:
	s_or_b32 exec_lo, exec_lo, s8
	s_and_saveexec_b32 s3, s2
	s_cbranch_execnz .LBB849_42
.LBB849_37:
	s_or_b32 exec_lo, exec_lo, s3
	s_and_saveexec_b32 s2, s1
	s_cbranch_execnz .LBB849_45
.LBB849_38:
	s_or_b32 exec_lo, exec_lo, s2
	s_and_b32 exec_lo, exec_lo, s0
	s_cbranch_execz .LBB849_25
	s_branch .LBB849_48
.LBB849_39:
	v_mov_b32_e32 v3, 0
	s_and_saveexec_b32 s3, s7
; %bb.40:
	v_fma_f32 v3, -v2, v18, v17
	v_bfe_u32 v4, v3, 16, 1
	v_cmp_o_f32_e32 vcc_lo, v3, v3
	v_add3_u32 v3, v3, v4, 0x7fff
	v_mov_b32_e32 v4, 0x7fc0
	v_cndmask_b32_sdwa v3, v4, v3, vcc_lo dst_sel:DWORD dst_unused:UNUSED_PAD src0_sel:DWORD src1_sel:WORD_1
; %bb.41:
	s_or_b32 exec_lo, exec_lo, s3
	s_lshl_b64 s[10:11], s[14:15], 1
	v_add_co_u32 v4, vcc_lo, v0, s10
	v_add_co_ci_u32_e64 v5, null, s11, v1, vcc_lo
	global_store_short v[4:5], v3, off
	s_or_b32 exec_lo, exec_lo, s8
	s_and_saveexec_b32 s3, s2
	s_cbranch_execz .LBB849_37
.LBB849_42:
	v_mov_b32_e32 v3, 0
	s_and_saveexec_b32 s2, s6
; %bb.43:
	v_fma_f32 v3, -v2, v16, v10
	v_bfe_u32 v4, v3, 16, 1
	v_cmp_o_f32_e32 vcc_lo, v3, v3
	v_add3_u32 v3, v3, v4, 0x7fff
	v_mov_b32_e32 v4, 0x7fc0
	v_cndmask_b32_sdwa v3, v4, v3, vcc_lo dst_sel:DWORD dst_unused:UNUSED_PAD src0_sel:DWORD src1_sel:WORD_1
; %bb.44:
	s_or_b32 exec_lo, exec_lo, s2
	s_lshl_b64 s[6:7], s[14:15], 1
	v_add_co_u32 v4, vcc_lo, v0, s6
	v_add_co_ci_u32_e64 v5, null, s7, v1, vcc_lo
	global_store_short v[4:5], v3, off offset:64
	s_or_b32 exec_lo, exec_lo, s3
	s_and_saveexec_b32 s2, s1
	s_cbranch_execz .LBB849_38
.LBB849_45:
	v_mov_b32_e32 v3, 0
	s_and_saveexec_b32 s1, s5
; %bb.46:
	v_fma_f32 v3, -v2, v14, v13
	v_bfe_u32 v4, v3, 16, 1
	v_cmp_o_f32_e32 vcc_lo, v3, v3
	v_add3_u32 v3, v3, v4, 0x7fff
	v_mov_b32_e32 v4, 0x7fc0
	v_cndmask_b32_sdwa v3, v4, v3, vcc_lo dst_sel:DWORD dst_unused:UNUSED_PAD src0_sel:DWORD src1_sel:WORD_1
; %bb.47:
	s_or_b32 exec_lo, exec_lo, s1
	s_lshl_b64 s[6:7], s[14:15], 1
	v_add_co_u32 v4, vcc_lo, v0, s6
	v_add_co_ci_u32_e64 v5, null, s7, v1, vcc_lo
	global_store_short v[4:5], v3, off offset:128
	s_or_b32 exec_lo, exec_lo, s2
	s_and_b32 exec_lo, exec_lo, s0
	s_cbranch_execz .LBB849_25
.LBB849_48:
	v_mov_b32_e32 v3, 0
	s_and_saveexec_b32 s0, s4
; %bb.49:
	v_fma_f32 v2, -v2, v12, v8
	v_bfe_u32 v3, v2, 16, 1
	v_cmp_o_f32_e32 vcc_lo, v2, v2
	v_add3_u32 v2, v2, v3, 0x7fff
	v_mov_b32_e32 v3, 0x7fc0
	v_cndmask_b32_sdwa v3, v3, v2, vcc_lo dst_sel:DWORD dst_unused:UNUSED_PAD src0_sel:DWORD src1_sel:WORD_1
; %bb.50:
	s_or_b32 exec_lo, exec_lo, s0
	s_lshl_b64 s[0:1], s[14:15], 1
	v_add_co_u32 v0, vcc_lo, v0, s0
	v_add_co_ci_u32_e64 v1, null, s1, v1, vcc_lo
	global_store_short v[0:1], v3, off offset:192
	s_endpgm
	.section	.rodata,"a",@progbits
	.p2align	6, 0x0
	.amdhsa_kernel _ZN12_GLOBAL__N_121softmax_warp_backwardIN3c108BFloat16ES2_fLi7ELb0ELb1ELi32EEEvPT0_PKT_S7_iiiPKb
		.amdhsa_group_segment_fixed_size 0
		.amdhsa_private_segment_fixed_size 0
		.amdhsa_kernarg_size 304
		.amdhsa_user_sgpr_count 6
		.amdhsa_user_sgpr_private_segment_buffer 1
		.amdhsa_user_sgpr_dispatch_ptr 0
		.amdhsa_user_sgpr_queue_ptr 0
		.amdhsa_user_sgpr_kernarg_segment_ptr 1
		.amdhsa_user_sgpr_dispatch_id 0
		.amdhsa_user_sgpr_flat_scratch_init 0
		.amdhsa_user_sgpr_private_segment_size 0
		.amdhsa_wavefront_size32 1
		.amdhsa_uses_dynamic_stack 0
		.amdhsa_system_sgpr_private_segment_wavefront_offset 0
		.amdhsa_system_sgpr_workgroup_id_x 1
		.amdhsa_system_sgpr_workgroup_id_y 0
		.amdhsa_system_sgpr_workgroup_id_z 0
		.amdhsa_system_sgpr_workgroup_info 0
		.amdhsa_system_vgpr_workitem_id 1
		.amdhsa_next_free_vgpr 29
		.amdhsa_next_free_sgpr 20
		.amdhsa_reserve_vcc 1
		.amdhsa_reserve_flat_scratch 0
		.amdhsa_float_round_mode_32 0
		.amdhsa_float_round_mode_16_64 0
		.amdhsa_float_denorm_mode_32 3
		.amdhsa_float_denorm_mode_16_64 3
		.amdhsa_dx10_clamp 1
		.amdhsa_ieee_mode 1
		.amdhsa_fp16_overflow 0
		.amdhsa_workgroup_processor_mode 1
		.amdhsa_memory_ordered 1
		.amdhsa_forward_progress 1
		.amdhsa_shared_vgpr_count 0
		.amdhsa_exception_fp_ieee_invalid_op 0
		.amdhsa_exception_fp_denorm_src 0
		.amdhsa_exception_fp_ieee_div_zero 0
		.amdhsa_exception_fp_ieee_overflow 0
		.amdhsa_exception_fp_ieee_underflow 0
		.amdhsa_exception_fp_ieee_inexact 0
		.amdhsa_exception_int_div_zero 0
	.end_amdhsa_kernel
	.section	.text._ZN12_GLOBAL__N_121softmax_warp_backwardIN3c108BFloat16ES2_fLi7ELb0ELb1ELi32EEEvPT0_PKT_S7_iiiPKb,"axG",@progbits,_ZN12_GLOBAL__N_121softmax_warp_backwardIN3c108BFloat16ES2_fLi7ELb0ELb1ELi32EEEvPT0_PKT_S7_iiiPKb,comdat
.Lfunc_end849:
	.size	_ZN12_GLOBAL__N_121softmax_warp_backwardIN3c108BFloat16ES2_fLi7ELb0ELb1ELi32EEEvPT0_PKT_S7_iiiPKb, .Lfunc_end849-_ZN12_GLOBAL__N_121softmax_warp_backwardIN3c108BFloat16ES2_fLi7ELb0ELb1ELi32EEEvPT0_PKT_S7_iiiPKb
                                        ; -- End function
	.set _ZN12_GLOBAL__N_121softmax_warp_backwardIN3c108BFloat16ES2_fLi7ELb0ELb1ELi32EEEvPT0_PKT_S7_iiiPKb.num_vgpr, 29
	.set _ZN12_GLOBAL__N_121softmax_warp_backwardIN3c108BFloat16ES2_fLi7ELb0ELb1ELi32EEEvPT0_PKT_S7_iiiPKb.num_agpr, 0
	.set _ZN12_GLOBAL__N_121softmax_warp_backwardIN3c108BFloat16ES2_fLi7ELb0ELb1ELi32EEEvPT0_PKT_S7_iiiPKb.numbered_sgpr, 20
	.set _ZN12_GLOBAL__N_121softmax_warp_backwardIN3c108BFloat16ES2_fLi7ELb0ELb1ELi32EEEvPT0_PKT_S7_iiiPKb.num_named_barrier, 0
	.set _ZN12_GLOBAL__N_121softmax_warp_backwardIN3c108BFloat16ES2_fLi7ELb0ELb1ELi32EEEvPT0_PKT_S7_iiiPKb.private_seg_size, 0
	.set _ZN12_GLOBAL__N_121softmax_warp_backwardIN3c108BFloat16ES2_fLi7ELb0ELb1ELi32EEEvPT0_PKT_S7_iiiPKb.uses_vcc, 1
	.set _ZN12_GLOBAL__N_121softmax_warp_backwardIN3c108BFloat16ES2_fLi7ELb0ELb1ELi32EEEvPT0_PKT_S7_iiiPKb.uses_flat_scratch, 0
	.set _ZN12_GLOBAL__N_121softmax_warp_backwardIN3c108BFloat16ES2_fLi7ELb0ELb1ELi32EEEvPT0_PKT_S7_iiiPKb.has_dyn_sized_stack, 0
	.set _ZN12_GLOBAL__N_121softmax_warp_backwardIN3c108BFloat16ES2_fLi7ELb0ELb1ELi32EEEvPT0_PKT_S7_iiiPKb.has_recursion, 0
	.set _ZN12_GLOBAL__N_121softmax_warp_backwardIN3c108BFloat16ES2_fLi7ELb0ELb1ELi32EEEvPT0_PKT_S7_iiiPKb.has_indirect_call, 0
	.section	.AMDGPU.csdata,"",@progbits
; Kernel info:
; codeLenInByte = 2288
; TotalNumSgprs: 22
; NumVgprs: 29
; ScratchSize: 0
; MemoryBound: 0
; FloatMode: 240
; IeeeMode: 1
; LDSByteSize: 0 bytes/workgroup (compile time only)
; SGPRBlocks: 0
; VGPRBlocks: 3
; NumSGPRsForWavesPerEU: 22
; NumVGPRsForWavesPerEU: 29
; Occupancy: 16
; WaveLimiterHint : 0
; COMPUTE_PGM_RSRC2:SCRATCH_EN: 0
; COMPUTE_PGM_RSRC2:USER_SGPR: 6
; COMPUTE_PGM_RSRC2:TRAP_HANDLER: 0
; COMPUTE_PGM_RSRC2:TGID_X_EN: 1
; COMPUTE_PGM_RSRC2:TGID_Y_EN: 0
; COMPUTE_PGM_RSRC2:TGID_Z_EN: 0
; COMPUTE_PGM_RSRC2:TIDIG_COMP_CNT: 1
	.section	.text._ZN12_GLOBAL__N_121softmax_warp_backwardIN3c108BFloat16ES2_fLi8ELb0ELb1ELi64EEEvPT0_PKT_S7_iiiPKb,"axG",@progbits,_ZN12_GLOBAL__N_121softmax_warp_backwardIN3c108BFloat16ES2_fLi8ELb0ELb1ELi64EEEvPT0_PKT_S7_iiiPKb,comdat
	.globl	_ZN12_GLOBAL__N_121softmax_warp_backwardIN3c108BFloat16ES2_fLi8ELb0ELb1ELi64EEEvPT0_PKT_S7_iiiPKb ; -- Begin function _ZN12_GLOBAL__N_121softmax_warp_backwardIN3c108BFloat16ES2_fLi8ELb0ELb1ELi64EEEvPT0_PKT_S7_iiiPKb
	.p2align	8
	.type	_ZN12_GLOBAL__N_121softmax_warp_backwardIN3c108BFloat16ES2_fLi8ELb0ELb1ELi64EEEvPT0_PKT_S7_iiiPKb,@function
_ZN12_GLOBAL__N_121softmax_warp_backwardIN3c108BFloat16ES2_fLi8ELb0ELb1ELi64EEEvPT0_PKT_S7_iiiPKb: ; @_ZN12_GLOBAL__N_121softmax_warp_backwardIN3c108BFloat16ES2_fLi8ELb0ELb1ELi64EEEvPT0_PKT_S7_iiiPKb
; %bb.0:
	s_clause 0x1
	s_load_dword s7, s[4:5], 0x3c
	s_load_dwordx4 s[0:3], s[4:5], 0x18
	v_and_b32_e32 v8, 63, v0
	s_load_dwordx4 s[8:11], s[4:5], 0x0
	v_mov_b32_e32 v11, 0
	v_mov_b32_e32 v13, 0
	s_waitcnt lgkmcnt(0)
	s_lshr_b32 s3, s7, 16
	v_cmp_gt_i32_e32 vcc_lo, s2, v8
	v_mad_u64_u32 v[1:2], null, s6, s3, v[1:2]
	s_load_dwordx2 s[6:7], s[4:5], 0x10
	v_mad_u64_u32 v[2:3], null, v1, s1, v[8:9]
	v_sub_nc_u32_e32 v14, s0, v1
	v_cmp_lt_i32_e64 s3, 0, v14
	v_ashrrev_i32_e32 v3, 31, v2
	s_and_b32 s1, s3, vcc_lo
	v_lshlrev_b64 v[0:1], 1, v[2:3]
	v_add_co_u32 v4, s0, s10, v0
	v_add_co_ci_u32_e64 v5, null, s11, v1, s0
	s_waitcnt lgkmcnt(0)
	v_add_co_u32 v6, s0, s6, v0
	v_add_co_ci_u32_e64 v7, null, s7, v1, s0
	s_and_saveexec_b32 s0, s1
	s_cbranch_execz .LBB850_2
; %bb.1:
	global_load_ushort v9, v[4:5], off
	global_load_ushort v10, v[6:7], off
	s_waitcnt vmcnt(1)
	v_lshlrev_b32_e32 v13, 16, v9
	s_waitcnt vmcnt(0)
	v_lshlrev_b32_e32 v11, 16, v10
.LBB850_2:
	s_or_b32 exec_lo, exec_lo, s0
	v_or_b32_e32 v9, 64, v8
	v_cmp_gt_i32_e64 s0, s2, v9
	s_and_b32 s1, s3, s0
	s_xor_b32 s1, s1, -1
	s_and_saveexec_b32 s6, s1
	s_xor_b32 s1, exec_lo, s6
                                        ; implicit-def: $vgpr10
                                        ; implicit-def: $vgpr12
                                        ; implicit-def: $vgpr9
; %bb.3:
	s_mov_b32 s6, 0
                                        ; implicit-def: $vgpr10
                                        ; implicit-def: $vgpr9
	v_mov_b32_e32 v12, s6
; %bb.4:
	s_or_saveexec_b32 s1, s1
	v_mov_b32_e32 v15, 0
	s_xor_b32 exec_lo, exec_lo, s1
	s_cbranch_execz .LBB850_6
; %bb.5:
	global_load_ushort v12, v[4:5], off offset:128
	global_load_ushort v15, v[6:7], off offset:128
	s_waitcnt vmcnt(1)
	v_lshlrev_b32_e32 v12, 16, v12
	s_waitcnt vmcnt(0)
	v_lshlrev_b32_e32 v15, 16, v15
.LBB850_6:
	s_or_b32 exec_lo, exec_lo, s1
	v_or_b32_e32 v16, 0x80, v8
	v_cmp_gt_i32_e64 s1, s2, v16
	s_and_b32 s6, s3, s1
	s_xor_b32 s6, s6, -1
	s_and_saveexec_b32 s7, s6
	s_xor_b32 s6, exec_lo, s7
; %bb.7:
	s_mov_b32 s7, 0
	v_mov_b32_e32 v10, s7
; %bb.8:
	s_or_saveexec_b32 s6, s6
	v_mov_b32_e32 v16, 0
	s_xor_b32 exec_lo, exec_lo, s6
	s_cbranch_execz .LBB850_10
; %bb.9:
	global_load_ushort v10, v[4:5], off offset:256
	global_load_ushort v16, v[6:7], off offset:256
	s_waitcnt vmcnt(1)
	v_lshlrev_b32_e32 v10, 16, v10
	s_waitcnt vmcnt(0)
	v_lshlrev_b32_e32 v16, 16, v16
.LBB850_10:
	s_or_b32 exec_lo, exec_lo, s6
	v_or_b32_e32 v8, 0xc0, v8
	v_cmp_gt_i32_e64 s2, s2, v8
	s_and_b32 s3, s3, s2
	s_xor_b32 s3, s3, -1
	s_and_saveexec_b32 s6, s3
	s_xor_b32 s3, exec_lo, s6
; %bb.11:
	s_mov_b32 s6, 0
                                        ; implicit-def: $vgpr4_vgpr5
                                        ; implicit-def: $vgpr6_vgpr7
	v_mov_b32_e32 v9, s6
; %bb.12:
	s_or_saveexec_b32 s3, s3
	v_mov_b32_e32 v8, 0
	s_xor_b32 exec_lo, exec_lo, s3
	s_cbranch_execz .LBB850_14
; %bb.13:
	global_load_ushort v4, v[4:5], off offset:384
	global_load_ushort v5, v[6:7], off offset:384
	s_waitcnt vmcnt(1)
	v_lshlrev_b32_e32 v9, 16, v4
	s_waitcnt vmcnt(0)
	v_lshlrev_b32_e32 v8, 16, v5
.LBB850_14:
	s_or_b32 exec_lo, exec_lo, s3
	s_load_dwordx2 s[4:5], s[4:5], 0x28
	s_mov_b32 s10, exec_lo
	s_waitcnt lgkmcnt(0)
	v_add_co_u32 v2, s3, s4, v2
	v_add_co_ci_u32_e64 v3, null, s5, v3, s3
	s_clause 0x3
	global_load_ubyte v4, v[2:3], off
	global_load_ubyte v5, v[2:3], off offset:64
	global_load_ubyte v6, v[2:3], off offset:128
	;; [unrolled: 1-line block ×3, first 2 shown]
	s_waitcnt vmcnt(3)
	v_and_b32_e32 v3, 1, v4
	v_add_f32_e32 v4, 0, v13
	s_waitcnt vmcnt(0)
	v_and_b32_e32 v2, 1, v2
	v_cmp_eq_u32_e64 s6, 1, v3
	v_cndmask_b32_e64 v3, v4, 0, s6
	v_and_b32_e32 v4, 1, v5
	v_add_f32_e32 v5, v3, v12
	v_cmp_eq_u32_e64 s3, 1, v4
	v_mbcnt_lo_u32_b32 v4, -1, 0
	v_cndmask_b32_e64 v3, v5, v3, s3
	v_and_b32_e32 v5, 1, v6
	v_or_b32_e32 v7, 32, v4
	v_add_f32_e32 v6, v3, v10
	v_cmp_eq_u32_e64 s4, 1, v5
	v_cmp_gt_i32_e64 s5, 64, v7
	v_cndmask_b32_e64 v3, v6, v3, s4
	v_cndmask_b32_e64 v5, v4, v7, s5
	v_cmp_eq_u32_e64 s5, 1, v2
	v_add_f32_e32 v6, v3, v9
	v_lshlrev_b32_e32 v5, 2, v5
	v_cndmask_b32_e64 v2, v6, v3, s5
	ds_bpermute_b32 v3, v5, v2
	v_xor_b32_e32 v5, 16, v4
	v_cmp_gt_i32_e64 s7, 64, v5
	v_cndmask_b32_e64 v5, v4, v5, s7
	v_lshlrev_b32_e32 v5, 2, v5
	s_waitcnt lgkmcnt(0)
	v_add_f32_e32 v2, v2, v3
	ds_bpermute_b32 v3, v5, v2
	v_xor_b32_e32 v5, 8, v4
	v_cmp_gt_i32_e64 s7, 64, v5
	v_cndmask_b32_e64 v5, v4, v5, s7
	v_lshlrev_b32_e32 v5, 2, v5
	s_waitcnt lgkmcnt(0)
	v_add_f32_e32 v2, v2, v3
	;; [unrolled: 7-line block ×4, first 2 shown]
	ds_bpermute_b32 v3, v5, v2
	v_xor_b32_e32 v5, 1, v4
	v_cmp_gt_i32_e64 s7, 64, v5
	v_cndmask_b32_e64 v4, v4, v5, s7
	s_waitcnt lgkmcnt(0)
	v_add_f32_e32 v2, v2, v3
	v_lshlrev_b32_e32 v3, 2, v4
	ds_bpermute_b32 v3, v3, v2
	v_cmpx_lt_i32_e32 0, v14
	s_cbranch_execz .LBB850_22
; %bb.15:
	v_add_co_u32 v0, s7, s8, v0
	s_waitcnt lgkmcnt(0)
	v_add_f32_e32 v2, v2, v3
	v_add_co_ci_u32_e64 v1, null, s9, v1, s7
	s_and_saveexec_b32 s7, vcc_lo
	s_cbranch_execz .LBB850_19
; %bb.16:
	v_mov_b32_e32 v3, 0
	s_xor_b32 s8, s6, -1
	s_and_saveexec_b32 s6, s8
; %bb.17:
	v_fma_f32 v3, -v2, v11, v13
	v_bfe_u32 v4, v3, 16, 1
	v_cmp_o_f32_e32 vcc_lo, v3, v3
	v_add3_u32 v3, v3, v4, 0x7fff
	v_mov_b32_e32 v4, 0x7fc0
	v_cndmask_b32_sdwa v3, v4, v3, vcc_lo dst_sel:DWORD dst_unused:UNUSED_PAD src0_sel:DWORD src1_sel:WORD_1
; %bb.18:
	s_or_b32 exec_lo, exec_lo, s6
	global_store_short v[0:1], v3, off
.LBB850_19:
	s_or_b32 exec_lo, exec_lo, s7
	s_xor_b32 s6, s3, -1
	s_xor_b32 s4, s4, -1
	;; [unrolled: 1-line block ×3, first 2 shown]
	s_and_saveexec_b32 s5, s0
	s_cbranch_execnz .LBB850_23
; %bb.20:
	s_or_b32 exec_lo, exec_lo, s5
	s_and_saveexec_b32 s0, s1
	s_cbranch_execnz .LBB850_26
.LBB850_21:
	s_or_b32 exec_lo, exec_lo, s0
	s_and_b32 exec_lo, exec_lo, s2
	s_cbranch_execnz .LBB850_29
.LBB850_22:
	s_endpgm
.LBB850_23:
	v_mov_b32_e32 v3, 0
	s_and_saveexec_b32 s0, s6
; %bb.24:
	v_fma_f32 v3, -v2, v15, v12
	v_bfe_u32 v4, v3, 16, 1
	v_cmp_o_f32_e32 vcc_lo, v3, v3
	v_add3_u32 v3, v3, v4, 0x7fff
	v_mov_b32_e32 v4, 0x7fc0
	v_cndmask_b32_sdwa v3, v4, v3, vcc_lo dst_sel:DWORD dst_unused:UNUSED_PAD src0_sel:DWORD src1_sel:WORD_1
; %bb.25:
	s_or_b32 exec_lo, exec_lo, s0
	global_store_short v[0:1], v3, off offset:128
	s_or_b32 exec_lo, exec_lo, s5
	s_and_saveexec_b32 s0, s1
	s_cbranch_execz .LBB850_21
.LBB850_26:
	v_mov_b32_e32 v3, 0
	s_and_saveexec_b32 s1, s4
; %bb.27:
	v_fma_f32 v3, -v2, v16, v10
	v_bfe_u32 v4, v3, 16, 1
	v_cmp_o_f32_e32 vcc_lo, v3, v3
	v_add3_u32 v3, v3, v4, 0x7fff
	v_mov_b32_e32 v4, 0x7fc0
	v_cndmask_b32_sdwa v3, v4, v3, vcc_lo dst_sel:DWORD dst_unused:UNUSED_PAD src0_sel:DWORD src1_sel:WORD_1
; %bb.28:
	s_or_b32 exec_lo, exec_lo, s1
	global_store_short v[0:1], v3, off offset:256
	s_or_b32 exec_lo, exec_lo, s0
	s_and_b32 exec_lo, exec_lo, s2
	s_cbranch_execz .LBB850_22
.LBB850_29:
	v_mov_b32_e32 v3, 0
	s_and_saveexec_b32 s0, s3
; %bb.30:
	v_fma_f32 v2, -v2, v8, v9
	v_bfe_u32 v3, v2, 16, 1
	v_cmp_o_f32_e32 vcc_lo, v2, v2
	v_add3_u32 v2, v2, v3, 0x7fff
	v_mov_b32_e32 v3, 0x7fc0
	v_cndmask_b32_sdwa v3, v3, v2, vcc_lo dst_sel:DWORD dst_unused:UNUSED_PAD src0_sel:DWORD src1_sel:WORD_1
; %bb.31:
	s_or_b32 exec_lo, exec_lo, s0
	global_store_short v[0:1], v3, off offset:384
	s_endpgm
	.section	.rodata,"a",@progbits
	.p2align	6, 0x0
	.amdhsa_kernel _ZN12_GLOBAL__N_121softmax_warp_backwardIN3c108BFloat16ES2_fLi8ELb0ELb1ELi64EEEvPT0_PKT_S7_iiiPKb
		.amdhsa_group_segment_fixed_size 0
		.amdhsa_private_segment_fixed_size 0
		.amdhsa_kernarg_size 304
		.amdhsa_user_sgpr_count 6
		.amdhsa_user_sgpr_private_segment_buffer 1
		.amdhsa_user_sgpr_dispatch_ptr 0
		.amdhsa_user_sgpr_queue_ptr 0
		.amdhsa_user_sgpr_kernarg_segment_ptr 1
		.amdhsa_user_sgpr_dispatch_id 0
		.amdhsa_user_sgpr_flat_scratch_init 0
		.amdhsa_user_sgpr_private_segment_size 0
		.amdhsa_wavefront_size32 1
		.amdhsa_uses_dynamic_stack 0
		.amdhsa_system_sgpr_private_segment_wavefront_offset 0
		.amdhsa_system_sgpr_workgroup_id_x 1
		.amdhsa_system_sgpr_workgroup_id_y 0
		.amdhsa_system_sgpr_workgroup_id_z 0
		.amdhsa_system_sgpr_workgroup_info 0
		.amdhsa_system_vgpr_workitem_id 1
		.amdhsa_next_free_vgpr 17
		.amdhsa_next_free_sgpr 12
		.amdhsa_reserve_vcc 1
		.amdhsa_reserve_flat_scratch 0
		.amdhsa_float_round_mode_32 0
		.amdhsa_float_round_mode_16_64 0
		.amdhsa_float_denorm_mode_32 3
		.amdhsa_float_denorm_mode_16_64 3
		.amdhsa_dx10_clamp 1
		.amdhsa_ieee_mode 1
		.amdhsa_fp16_overflow 0
		.amdhsa_workgroup_processor_mode 1
		.amdhsa_memory_ordered 1
		.amdhsa_forward_progress 1
		.amdhsa_shared_vgpr_count 0
		.amdhsa_exception_fp_ieee_invalid_op 0
		.amdhsa_exception_fp_denorm_src 0
		.amdhsa_exception_fp_ieee_div_zero 0
		.amdhsa_exception_fp_ieee_overflow 0
		.amdhsa_exception_fp_ieee_underflow 0
		.amdhsa_exception_fp_ieee_inexact 0
		.amdhsa_exception_int_div_zero 0
	.end_amdhsa_kernel
	.section	.text._ZN12_GLOBAL__N_121softmax_warp_backwardIN3c108BFloat16ES2_fLi8ELb0ELb1ELi64EEEvPT0_PKT_S7_iiiPKb,"axG",@progbits,_ZN12_GLOBAL__N_121softmax_warp_backwardIN3c108BFloat16ES2_fLi8ELb0ELb1ELi64EEEvPT0_PKT_S7_iiiPKb,comdat
.Lfunc_end850:
	.size	_ZN12_GLOBAL__N_121softmax_warp_backwardIN3c108BFloat16ES2_fLi8ELb0ELb1ELi64EEEvPT0_PKT_S7_iiiPKb, .Lfunc_end850-_ZN12_GLOBAL__N_121softmax_warp_backwardIN3c108BFloat16ES2_fLi8ELb0ELb1ELi64EEEvPT0_PKT_S7_iiiPKb
                                        ; -- End function
	.set _ZN12_GLOBAL__N_121softmax_warp_backwardIN3c108BFloat16ES2_fLi8ELb0ELb1ELi64EEEvPT0_PKT_S7_iiiPKb.num_vgpr, 17
	.set _ZN12_GLOBAL__N_121softmax_warp_backwardIN3c108BFloat16ES2_fLi8ELb0ELb1ELi64EEEvPT0_PKT_S7_iiiPKb.num_agpr, 0
	.set _ZN12_GLOBAL__N_121softmax_warp_backwardIN3c108BFloat16ES2_fLi8ELb0ELb1ELi64EEEvPT0_PKT_S7_iiiPKb.numbered_sgpr, 12
	.set _ZN12_GLOBAL__N_121softmax_warp_backwardIN3c108BFloat16ES2_fLi8ELb0ELb1ELi64EEEvPT0_PKT_S7_iiiPKb.num_named_barrier, 0
	.set _ZN12_GLOBAL__N_121softmax_warp_backwardIN3c108BFloat16ES2_fLi8ELb0ELb1ELi64EEEvPT0_PKT_S7_iiiPKb.private_seg_size, 0
	.set _ZN12_GLOBAL__N_121softmax_warp_backwardIN3c108BFloat16ES2_fLi8ELb0ELb1ELi64EEEvPT0_PKT_S7_iiiPKb.uses_vcc, 1
	.set _ZN12_GLOBAL__N_121softmax_warp_backwardIN3c108BFloat16ES2_fLi8ELb0ELb1ELi64EEEvPT0_PKT_S7_iiiPKb.uses_flat_scratch, 0
	.set _ZN12_GLOBAL__N_121softmax_warp_backwardIN3c108BFloat16ES2_fLi8ELb0ELb1ELi64EEEvPT0_PKT_S7_iiiPKb.has_dyn_sized_stack, 0
	.set _ZN12_GLOBAL__N_121softmax_warp_backwardIN3c108BFloat16ES2_fLi8ELb0ELb1ELi64EEEvPT0_PKT_S7_iiiPKb.has_recursion, 0
	.set _ZN12_GLOBAL__N_121softmax_warp_backwardIN3c108BFloat16ES2_fLi8ELb0ELb1ELi64EEEvPT0_PKT_S7_iiiPKb.has_indirect_call, 0
	.section	.AMDGPU.csdata,"",@progbits
; Kernel info:
; codeLenInByte = 1264
; TotalNumSgprs: 14
; NumVgprs: 17
; ScratchSize: 0
; MemoryBound: 0
; FloatMode: 240
; IeeeMode: 1
; LDSByteSize: 0 bytes/workgroup (compile time only)
; SGPRBlocks: 0
; VGPRBlocks: 2
; NumSGPRsForWavesPerEU: 14
; NumVGPRsForWavesPerEU: 17
; Occupancy: 16
; WaveLimiterHint : 0
; COMPUTE_PGM_RSRC2:SCRATCH_EN: 0
; COMPUTE_PGM_RSRC2:USER_SGPR: 6
; COMPUTE_PGM_RSRC2:TRAP_HANDLER: 0
; COMPUTE_PGM_RSRC2:TGID_X_EN: 1
; COMPUTE_PGM_RSRC2:TGID_Y_EN: 0
; COMPUTE_PGM_RSRC2:TGID_Z_EN: 0
; COMPUTE_PGM_RSRC2:TIDIG_COMP_CNT: 1
	.section	.text._ZN12_GLOBAL__N_121softmax_warp_backwardIN3c108BFloat16ES2_fLi8ELb0ELb1ELi32EEEvPT0_PKT_S7_iiiPKb,"axG",@progbits,_ZN12_GLOBAL__N_121softmax_warp_backwardIN3c108BFloat16ES2_fLi8ELb0ELb1ELi32EEEvPT0_PKT_S7_iiiPKb,comdat
	.globl	_ZN12_GLOBAL__N_121softmax_warp_backwardIN3c108BFloat16ES2_fLi8ELb0ELb1ELi32EEEvPT0_PKT_S7_iiiPKb ; -- Begin function _ZN12_GLOBAL__N_121softmax_warp_backwardIN3c108BFloat16ES2_fLi8ELb0ELb1ELi32EEEvPT0_PKT_S7_iiiPKb
	.p2align	8
	.type	_ZN12_GLOBAL__N_121softmax_warp_backwardIN3c108BFloat16ES2_fLi8ELb0ELb1ELi32EEEvPT0_PKT_S7_iiiPKb,@function
_ZN12_GLOBAL__N_121softmax_warp_backwardIN3c108BFloat16ES2_fLi8ELb0ELb1ELi32EEEvPT0_PKT_S7_iiiPKb: ; @_ZN12_GLOBAL__N_121softmax_warp_backwardIN3c108BFloat16ES2_fLi8ELb0ELb1ELi32EEEvPT0_PKT_S7_iiiPKb
; %bb.0:
	s_clause 0x1
	s_load_dword s0, s[4:5], 0x3c
	s_load_dwordx4 s[8:11], s[4:5], 0x18
	v_and_b32_e32 v8, 31, v0
	s_clause 0x1
	s_load_dwordx4 s[16:19], s[4:5], 0x0
	s_load_dwordx2 s[2:3], s[4:5], 0x10
	v_mov_b32_e32 v15, 0
	v_mov_b32_e32 v17, 0
	s_waitcnt lgkmcnt(0)
	s_lshr_b32 s0, s0, 16
	v_cmp_gt_i32_e32 vcc_lo, s10, v8
	v_mad_u64_u32 v[1:2], null, s6, s0, v[1:2]
	v_mad_u64_u32 v[2:3], null, v1, s9, v[8:9]
	v_sub_nc_u32_e32 v18, s8, v1
	v_cmp_lt_i32_e64 s9, 0, v18
	v_ashrrev_i32_e32 v3, 31, v2
	s_and_b32 s1, s9, vcc_lo
	v_lshlrev_b64 v[0:1], 1, v[2:3]
	v_add_co_u32 v4, s0, s18, v0
	v_add_co_ci_u32_e64 v5, null, s19, v1, s0
	v_add_co_u32 v6, s0, s2, v0
	v_add_co_ci_u32_e64 v7, null, s3, v1, s0
	s_and_saveexec_b32 s0, s1
	s_cbranch_execz .LBB851_2
; %bb.1:
	global_load_ushort v9, v[4:5], off
	global_load_ushort v10, v[6:7], off
	s_waitcnt vmcnt(1)
	v_lshlrev_b32_e32 v17, 16, v9
	s_waitcnt vmcnt(0)
	v_lshlrev_b32_e32 v15, 16, v10
.LBB851_2:
	s_or_b32 exec_lo, exec_lo, s0
	v_or_b32_e32 v9, 32, v8
	v_cmp_gt_i32_e64 s0, s10, v9
	s_and_b32 s1, s9, s0
	s_xor_b32 s1, s1, -1
	s_and_saveexec_b32 s2, s1
	s_xor_b32 s1, exec_lo, s2
                                        ; implicit-def: $vgpr10
                                        ; implicit-def: $vgpr11
                                        ; implicit-def: $vgpr12
                                        ; implicit-def: $vgpr13
                                        ; implicit-def: $vgpr14
                                        ; implicit-def: $vgpr16
                                        ; implicit-def: $vgpr9
; %bb.3:
	s_mov_b32 s2, 0
                                        ; implicit-def: $vgpr10
                                        ; implicit-def: $vgpr11
                                        ; implicit-def: $vgpr12
                                        ; implicit-def: $vgpr13
                                        ; implicit-def: $vgpr14
                                        ; implicit-def: $vgpr9
	v_mov_b32_e32 v16, s2
; %bb.4:
	s_or_saveexec_b32 s1, s1
	v_mov_b32_e32 v19, 0
	s_xor_b32 exec_lo, exec_lo, s1
	s_cbranch_execz .LBB851_6
; %bb.5:
	global_load_ushort v16, v[4:5], off offset:64
	global_load_ushort v19, v[6:7], off offset:64
	s_waitcnt vmcnt(1)
	v_lshlrev_b32_e32 v16, 16, v16
	s_waitcnt vmcnt(0)
	v_lshlrev_b32_e32 v19, 16, v19
.LBB851_6:
	s_or_b32 exec_lo, exec_lo, s1
	v_or_b32_e32 v20, 64, v8
	v_cmp_gt_i32_e64 s1, s10, v20
	s_and_b32 s2, s9, s1
	s_xor_b32 s2, s2, -1
	s_and_saveexec_b32 s3, s2
	s_xor_b32 s2, exec_lo, s3
; %bb.7:
	s_mov_b32 s3, 0
	v_mov_b32_e32 v14, s3
; %bb.8:
	s_or_saveexec_b32 s2, s2
	v_mov_b32_e32 v20, 0
	s_xor_b32 exec_lo, exec_lo, s2
	s_cbranch_execz .LBB851_10
; %bb.9:
	global_load_ushort v14, v[4:5], off offset:128
	global_load_ushort v20, v[6:7], off offset:128
	s_waitcnt vmcnt(1)
	v_lshlrev_b32_e32 v14, 16, v14
	s_waitcnt vmcnt(0)
	v_lshlrev_b32_e32 v20, 16, v20
.LBB851_10:
	s_or_b32 exec_lo, exec_lo, s2
	v_or_b32_e32 v21, 0x60, v8
	v_cmp_gt_i32_e64 s2, s10, v21
	s_and_b32 s3, s9, s2
	s_xor_b32 s3, s3, -1
	s_and_saveexec_b32 s6, s3
	s_xor_b32 s3, exec_lo, s6
; %bb.11:
	s_mov_b32 s6, 0
	;; [unrolled: 23-line block ×6, first 2 shown]
                                        ; implicit-def: $vgpr4_vgpr5
                                        ; implicit-def: $vgpr6_vgpr7
	v_mov_b32_e32 v9, s10
; %bb.28:
	s_or_saveexec_b32 s9, s9
	v_mov_b32_e32 v8, 0
	s_xor_b32 exec_lo, exec_lo, s9
	s_cbranch_execz .LBB851_30
; %bb.29:
	global_load_ushort v4, v[4:5], off offset:448
	global_load_ushort v5, v[6:7], off offset:448
	s_waitcnt vmcnt(1)
	v_lshlrev_b32_e32 v9, 16, v4
	s_waitcnt vmcnt(0)
	v_lshlrev_b32_e32 v8, 16, v5
.LBB851_30:
	s_or_b32 exec_lo, exec_lo, s9
	s_load_dwordx2 s[4:5], s[4:5], 0x28
	s_mov_b32 s18, exec_lo
	s_waitcnt lgkmcnt(0)
	v_add_co_u32 v2, s4, s4, v2
	v_add_co_ci_u32_e64 v3, null, s5, v3, s4
	s_clause 0x7
	global_load_ubyte v4, v[2:3], off
	global_load_ubyte v5, v[2:3], off offset:32
	global_load_ubyte v6, v[2:3], off offset:64
	;; [unrolled: 1-line block ×7, first 2 shown]
	s_waitcnt vmcnt(7)
	v_and_b32_e32 v3, 1, v4
	v_add_f32_e32 v4, 0, v17
	v_cmp_eq_u32_e64 s13, 1, v3
	s_waitcnt vmcnt(0)
	v_and_b32_e32 v2, 1, v2
	v_cndmask_b32_e64 v3, v4, 0, s13
	v_and_b32_e32 v4, 1, v5
	v_add_f32_e32 v5, v3, v16
	v_cmp_eq_u32_e64 s4, 1, v4
	v_and_b32_e32 v4, 1, v6
	v_cndmask_b32_e64 v3, v5, v3, s4
	v_cmp_eq_u32_e64 s5, 1, v4
	v_and_b32_e32 v4, 1, v7
	v_add_f32_e32 v5, v3, v14
	v_cmp_eq_u32_e64 s9, 1, v4
	v_and_b32_e32 v4, 1, v25
	v_cndmask_b32_e64 v3, v5, v3, s5
	v_cmp_eq_u32_e64 s10, 1, v4
	v_and_b32_e32 v4, 1, v26
	v_add_f32_e32 v5, v3, v13
	v_cmp_eq_u32_e64 s11, 1, v4
	v_cndmask_b32_e64 v3, v5, v3, s9
	v_mbcnt_lo_u32_b32 v4, -1, 0
	v_add_f32_e32 v5, v3, v12
	v_xor_b32_e32 v7, 16, v4
	v_cndmask_b32_e64 v3, v5, v3, s10
	v_cmp_gt_i32_e64 s14, 32, v7
	v_add_f32_e32 v5, v3, v11
	v_cndmask_b32_e64 v3, v5, v3, s11
	v_and_b32_e32 v5, 1, v27
	v_add_f32_e32 v6, v3, v10
	v_cmp_eq_u32_e64 s12, 1, v5
	v_cndmask_b32_e64 v5, v4, v7, s14
	v_cmp_eq_u32_e64 s14, 1, v2
	v_cndmask_b32_e64 v3, v6, v3, s12
	v_lshlrev_b32_e32 v5, 2, v5
	v_add_f32_e32 v6, v3, v9
	v_cndmask_b32_e64 v2, v6, v3, s14
	ds_bpermute_b32 v3, v5, v2
	v_xor_b32_e32 v5, 8, v4
	v_cmp_gt_i32_e64 s15, 32, v5
	v_cndmask_b32_e64 v5, v4, v5, s15
	v_lshlrev_b32_e32 v5, 2, v5
	s_waitcnt lgkmcnt(0)
	v_add_f32_e32 v2, v2, v3
	ds_bpermute_b32 v3, v5, v2
	v_xor_b32_e32 v5, 4, v4
	v_cmp_gt_i32_e64 s15, 32, v5
	v_cndmask_b32_e64 v5, v4, v5, s15
	v_lshlrev_b32_e32 v5, 2, v5
	s_waitcnt lgkmcnt(0)
	v_add_f32_e32 v2, v2, v3
	;; [unrolled: 7-line block ×3, first 2 shown]
	ds_bpermute_b32 v3, v5, v2
	v_xor_b32_e32 v5, 1, v4
	v_cmp_gt_i32_e64 s15, 32, v5
	v_cndmask_b32_e64 v4, v4, v5, s15
	s_waitcnt lgkmcnt(0)
	v_add_f32_e32 v2, v2, v3
	v_lshlrev_b32_e32 v3, 2, v4
	ds_bpermute_b32 v3, v3, v2
	v_cmpx_lt_i32_e32 0, v18
	s_cbranch_execz .LBB851_42
; %bb.31:
	v_add_co_u32 v0, s15, s16, v0
	s_waitcnt lgkmcnt(0)
	v_add_f32_e32 v2, v2, v3
	v_add_co_ci_u32_e64 v1, null, s17, v1, s15
	s_and_saveexec_b32 s15, vcc_lo
	s_cbranch_execz .LBB851_35
; %bb.32:
	v_mov_b32_e32 v3, 0
	s_xor_b32 s16, s13, -1
	s_and_saveexec_b32 s13, s16
; %bb.33:
	v_fma_f32 v3, -v2, v15, v17
	v_bfe_u32 v4, v3, 16, 1
	v_cmp_o_f32_e32 vcc_lo, v3, v3
	v_add3_u32 v3, v3, v4, 0x7fff
	v_mov_b32_e32 v4, 0x7fc0
	v_cndmask_b32_sdwa v3, v4, v3, vcc_lo dst_sel:DWORD dst_unused:UNUSED_PAD src0_sel:DWORD src1_sel:WORD_1
; %bb.34:
	s_or_b32 exec_lo, exec_lo, s13
	global_store_short v[0:1], v3, off
.LBB851_35:
	s_or_b32 exec_lo, exec_lo, s15
	s_xor_b32 s16, s4, -1
	s_xor_b32 s15, s5, -1
	;; [unrolled: 1-line block ×7, first 2 shown]
	s_and_saveexec_b32 s11, s0
	s_cbranch_execnz .LBB851_43
; %bb.36:
	s_or_b32 exec_lo, exec_lo, s11
	s_and_saveexec_b32 s0, s1
	s_cbranch_execnz .LBB851_46
.LBB851_37:
	s_or_b32 exec_lo, exec_lo, s0
	s_and_saveexec_b32 s0, s2
	s_cbranch_execnz .LBB851_49
.LBB851_38:
	s_or_b32 exec_lo, exec_lo, s0
	s_and_saveexec_b32 s0, s3
	s_cbranch_execnz .LBB851_52
.LBB851_39:
	s_or_b32 exec_lo, exec_lo, s0
	s_and_saveexec_b32 s0, s6
	s_cbranch_execnz .LBB851_55
.LBB851_40:
	s_or_b32 exec_lo, exec_lo, s0
	s_and_saveexec_b32 s0, s7
	s_cbranch_execnz .LBB851_58
.LBB851_41:
	s_or_b32 exec_lo, exec_lo, s0
	s_and_b32 exec_lo, exec_lo, s8
	s_cbranch_execnz .LBB851_61
.LBB851_42:
	s_endpgm
.LBB851_43:
	v_mov_b32_e32 v3, 0
	s_and_saveexec_b32 s0, s16
; %bb.44:
	v_fma_f32 v3, -v2, v19, v16
	v_bfe_u32 v4, v3, 16, 1
	v_cmp_o_f32_e32 vcc_lo, v3, v3
	v_add3_u32 v3, v3, v4, 0x7fff
	v_mov_b32_e32 v4, 0x7fc0
	v_cndmask_b32_sdwa v3, v4, v3, vcc_lo dst_sel:DWORD dst_unused:UNUSED_PAD src0_sel:DWORD src1_sel:WORD_1
; %bb.45:
	s_or_b32 exec_lo, exec_lo, s0
	global_store_short v[0:1], v3, off offset:64
	s_or_b32 exec_lo, exec_lo, s11
	s_and_saveexec_b32 s0, s1
	s_cbranch_execz .LBB851_37
.LBB851_46:
	v_mov_b32_e32 v3, 0
	s_and_saveexec_b32 s1, s15
; %bb.47:
	v_fma_f32 v3, -v2, v20, v14
	v_bfe_u32 v4, v3, 16, 1
	v_cmp_o_f32_e32 vcc_lo, v3, v3
	v_add3_u32 v3, v3, v4, 0x7fff
	v_mov_b32_e32 v4, 0x7fc0
	v_cndmask_b32_sdwa v3, v4, v3, vcc_lo dst_sel:DWORD dst_unused:UNUSED_PAD src0_sel:DWORD src1_sel:WORD_1
; %bb.48:
	s_or_b32 exec_lo, exec_lo, s1
	global_store_short v[0:1], v3, off offset:128
	s_or_b32 exec_lo, exec_lo, s0
	s_and_saveexec_b32 s0, s2
	s_cbranch_execz .LBB851_38
.LBB851_49:
	v_mov_b32_e32 v3, 0
	s_and_saveexec_b32 s1, s13
; %bb.50:
	v_fma_f32 v3, -v2, v21, v13
	v_bfe_u32 v4, v3, 16, 1
	v_cmp_o_f32_e32 vcc_lo, v3, v3
	v_add3_u32 v3, v3, v4, 0x7fff
	v_mov_b32_e32 v4, 0x7fc0
	v_cndmask_b32_sdwa v3, v4, v3, vcc_lo dst_sel:DWORD dst_unused:UNUSED_PAD src0_sel:DWORD src1_sel:WORD_1
; %bb.51:
	s_or_b32 exec_lo, exec_lo, s1
	global_store_short v[0:1], v3, off offset:192
	s_or_b32 exec_lo, exec_lo, s0
	s_and_saveexec_b32 s0, s3
	s_cbranch_execz .LBB851_39
.LBB851_52:
	v_mov_b32_e32 v3, 0
	s_and_saveexec_b32 s1, s10
; %bb.53:
	v_fma_f32 v3, -v2, v22, v12
	v_bfe_u32 v4, v3, 16, 1
	v_cmp_o_f32_e32 vcc_lo, v3, v3
	v_add3_u32 v3, v3, v4, 0x7fff
	v_mov_b32_e32 v4, 0x7fc0
	v_cndmask_b32_sdwa v3, v4, v3, vcc_lo dst_sel:DWORD dst_unused:UNUSED_PAD src0_sel:DWORD src1_sel:WORD_1
; %bb.54:
	s_or_b32 exec_lo, exec_lo, s1
	global_store_short v[0:1], v3, off offset:256
	s_or_b32 exec_lo, exec_lo, s0
	s_and_saveexec_b32 s0, s6
	s_cbranch_execz .LBB851_40
.LBB851_55:
	v_mov_b32_e32 v3, 0
	s_and_saveexec_b32 s1, s9
; %bb.56:
	v_fma_f32 v3, -v2, v23, v11
	v_bfe_u32 v4, v3, 16, 1
	v_cmp_o_f32_e32 vcc_lo, v3, v3
	v_add3_u32 v3, v3, v4, 0x7fff
	v_mov_b32_e32 v4, 0x7fc0
	v_cndmask_b32_sdwa v3, v4, v3, vcc_lo dst_sel:DWORD dst_unused:UNUSED_PAD src0_sel:DWORD src1_sel:WORD_1
; %bb.57:
	s_or_b32 exec_lo, exec_lo, s1
	global_store_short v[0:1], v3, off offset:320
	s_or_b32 exec_lo, exec_lo, s0
	s_and_saveexec_b32 s0, s7
	s_cbranch_execz .LBB851_41
.LBB851_58:
	v_mov_b32_e32 v3, 0
	s_and_saveexec_b32 s1, s5
; %bb.59:
	v_fma_f32 v3, -v2, v24, v10
	v_bfe_u32 v4, v3, 16, 1
	v_cmp_o_f32_e32 vcc_lo, v3, v3
	v_add3_u32 v3, v3, v4, 0x7fff
	v_mov_b32_e32 v4, 0x7fc0
	v_cndmask_b32_sdwa v3, v4, v3, vcc_lo dst_sel:DWORD dst_unused:UNUSED_PAD src0_sel:DWORD src1_sel:WORD_1
; %bb.60:
	s_or_b32 exec_lo, exec_lo, s1
	global_store_short v[0:1], v3, off offset:384
	s_or_b32 exec_lo, exec_lo, s0
	s_and_b32 exec_lo, exec_lo, s8
	s_cbranch_execz .LBB851_42
.LBB851_61:
	v_mov_b32_e32 v3, 0
	s_and_saveexec_b32 s0, s4
; %bb.62:
	v_fma_f32 v2, -v2, v8, v9
	v_bfe_u32 v3, v2, 16, 1
	v_cmp_o_f32_e32 vcc_lo, v2, v2
	v_add3_u32 v2, v2, v3, 0x7fff
	v_mov_b32_e32 v3, 0x7fc0
	v_cndmask_b32_sdwa v3, v3, v2, vcc_lo dst_sel:DWORD dst_unused:UNUSED_PAD src0_sel:DWORD src1_sel:WORD_1
; %bb.63:
	s_or_b32 exec_lo, exec_lo, s0
	global_store_short v[0:1], v3, off offset:448
	s_endpgm
	.section	.rodata,"a",@progbits
	.p2align	6, 0x0
	.amdhsa_kernel _ZN12_GLOBAL__N_121softmax_warp_backwardIN3c108BFloat16ES2_fLi8ELb0ELb1ELi32EEEvPT0_PKT_S7_iiiPKb
		.amdhsa_group_segment_fixed_size 0
		.amdhsa_private_segment_fixed_size 0
		.amdhsa_kernarg_size 304
		.amdhsa_user_sgpr_count 6
		.amdhsa_user_sgpr_private_segment_buffer 1
		.amdhsa_user_sgpr_dispatch_ptr 0
		.amdhsa_user_sgpr_queue_ptr 0
		.amdhsa_user_sgpr_kernarg_segment_ptr 1
		.amdhsa_user_sgpr_dispatch_id 0
		.amdhsa_user_sgpr_flat_scratch_init 0
		.amdhsa_user_sgpr_private_segment_size 0
		.amdhsa_wavefront_size32 1
		.amdhsa_uses_dynamic_stack 0
		.amdhsa_system_sgpr_private_segment_wavefront_offset 0
		.amdhsa_system_sgpr_workgroup_id_x 1
		.amdhsa_system_sgpr_workgroup_id_y 0
		.amdhsa_system_sgpr_workgroup_id_z 0
		.amdhsa_system_sgpr_workgroup_info 0
		.amdhsa_system_vgpr_workitem_id 1
		.amdhsa_next_free_vgpr 28
		.amdhsa_next_free_sgpr 20
		.amdhsa_reserve_vcc 1
		.amdhsa_reserve_flat_scratch 0
		.amdhsa_float_round_mode_32 0
		.amdhsa_float_round_mode_16_64 0
		.amdhsa_float_denorm_mode_32 3
		.amdhsa_float_denorm_mode_16_64 3
		.amdhsa_dx10_clamp 1
		.amdhsa_ieee_mode 1
		.amdhsa_fp16_overflow 0
		.amdhsa_workgroup_processor_mode 1
		.amdhsa_memory_ordered 1
		.amdhsa_forward_progress 1
		.amdhsa_shared_vgpr_count 0
		.amdhsa_exception_fp_ieee_invalid_op 0
		.amdhsa_exception_fp_denorm_src 0
		.amdhsa_exception_fp_ieee_div_zero 0
		.amdhsa_exception_fp_ieee_overflow 0
		.amdhsa_exception_fp_ieee_underflow 0
		.amdhsa_exception_fp_ieee_inexact 0
		.amdhsa_exception_int_div_zero 0
	.end_amdhsa_kernel
	.section	.text._ZN12_GLOBAL__N_121softmax_warp_backwardIN3c108BFloat16ES2_fLi8ELb0ELb1ELi32EEEvPT0_PKT_S7_iiiPKb,"axG",@progbits,_ZN12_GLOBAL__N_121softmax_warp_backwardIN3c108BFloat16ES2_fLi8ELb0ELb1ELi32EEEvPT0_PKT_S7_iiiPKb,comdat
.Lfunc_end851:
	.size	_ZN12_GLOBAL__N_121softmax_warp_backwardIN3c108BFloat16ES2_fLi8ELb0ELb1ELi32EEEvPT0_PKT_S7_iiiPKb, .Lfunc_end851-_ZN12_GLOBAL__N_121softmax_warp_backwardIN3c108BFloat16ES2_fLi8ELb0ELb1ELi32EEEvPT0_PKT_S7_iiiPKb
                                        ; -- End function
	.set _ZN12_GLOBAL__N_121softmax_warp_backwardIN3c108BFloat16ES2_fLi8ELb0ELb1ELi32EEEvPT0_PKT_S7_iiiPKb.num_vgpr, 28
	.set _ZN12_GLOBAL__N_121softmax_warp_backwardIN3c108BFloat16ES2_fLi8ELb0ELb1ELi32EEEvPT0_PKT_S7_iiiPKb.num_agpr, 0
	.set _ZN12_GLOBAL__N_121softmax_warp_backwardIN3c108BFloat16ES2_fLi8ELb0ELb1ELi32EEEvPT0_PKT_S7_iiiPKb.numbered_sgpr, 20
	.set _ZN12_GLOBAL__N_121softmax_warp_backwardIN3c108BFloat16ES2_fLi8ELb0ELb1ELi32EEEvPT0_PKT_S7_iiiPKb.num_named_barrier, 0
	.set _ZN12_GLOBAL__N_121softmax_warp_backwardIN3c108BFloat16ES2_fLi8ELb0ELb1ELi32EEEvPT0_PKT_S7_iiiPKb.private_seg_size, 0
	.set _ZN12_GLOBAL__N_121softmax_warp_backwardIN3c108BFloat16ES2_fLi8ELb0ELb1ELi32EEEvPT0_PKT_S7_iiiPKb.uses_vcc, 1
	.set _ZN12_GLOBAL__N_121softmax_warp_backwardIN3c108BFloat16ES2_fLi8ELb0ELb1ELi32EEEvPT0_PKT_S7_iiiPKb.uses_flat_scratch, 0
	.set _ZN12_GLOBAL__N_121softmax_warp_backwardIN3c108BFloat16ES2_fLi8ELb0ELb1ELi32EEEvPT0_PKT_S7_iiiPKb.has_dyn_sized_stack, 0
	.set _ZN12_GLOBAL__N_121softmax_warp_backwardIN3c108BFloat16ES2_fLi8ELb0ELb1ELi32EEEvPT0_PKT_S7_iiiPKb.has_recursion, 0
	.set _ZN12_GLOBAL__N_121softmax_warp_backwardIN3c108BFloat16ES2_fLi8ELb0ELb1ELi32EEEvPT0_PKT_S7_iiiPKb.has_indirect_call, 0
	.section	.AMDGPU.csdata,"",@progbits
; Kernel info:
; codeLenInByte = 2100
; TotalNumSgprs: 22
; NumVgprs: 28
; ScratchSize: 0
; MemoryBound: 0
; FloatMode: 240
; IeeeMode: 1
; LDSByteSize: 0 bytes/workgroup (compile time only)
; SGPRBlocks: 0
; VGPRBlocks: 3
; NumSGPRsForWavesPerEU: 22
; NumVGPRsForWavesPerEU: 28
; Occupancy: 16
; WaveLimiterHint : 0
; COMPUTE_PGM_RSRC2:SCRATCH_EN: 0
; COMPUTE_PGM_RSRC2:USER_SGPR: 6
; COMPUTE_PGM_RSRC2:TRAP_HANDLER: 0
; COMPUTE_PGM_RSRC2:TGID_X_EN: 1
; COMPUTE_PGM_RSRC2:TGID_Y_EN: 0
; COMPUTE_PGM_RSRC2:TGID_Z_EN: 0
; COMPUTE_PGM_RSRC2:TIDIG_COMP_CNT: 1
	.section	.text._ZN12_GLOBAL__N_121softmax_warp_backwardIN3c108BFloat16ES2_fLi9ELb0ELb1ELi64EEEvPT0_PKT_S7_iiiPKb,"axG",@progbits,_ZN12_GLOBAL__N_121softmax_warp_backwardIN3c108BFloat16ES2_fLi9ELb0ELb1ELi64EEEvPT0_PKT_S7_iiiPKb,comdat
	.globl	_ZN12_GLOBAL__N_121softmax_warp_backwardIN3c108BFloat16ES2_fLi9ELb0ELb1ELi64EEEvPT0_PKT_S7_iiiPKb ; -- Begin function _ZN12_GLOBAL__N_121softmax_warp_backwardIN3c108BFloat16ES2_fLi9ELb0ELb1ELi64EEEvPT0_PKT_S7_iiiPKb
	.p2align	8
	.type	_ZN12_GLOBAL__N_121softmax_warp_backwardIN3c108BFloat16ES2_fLi9ELb0ELb1ELi64EEEvPT0_PKT_S7_iiiPKb,@function
_ZN12_GLOBAL__N_121softmax_warp_backwardIN3c108BFloat16ES2_fLi9ELb0ELb1ELi64EEEvPT0_PKT_S7_iiiPKb: ; @_ZN12_GLOBAL__N_121softmax_warp_backwardIN3c108BFloat16ES2_fLi9ELb0ELb1ELi64EEEvPT0_PKT_S7_iiiPKb
; %bb.0:
	s_clause 0x1
	s_load_dword s0, s[4:5], 0x3c
	s_load_dwordx4 s[8:11], s[4:5], 0x18
	v_and_b32_e32 v8, 63, v0
	s_clause 0x1
	s_load_dwordx4 s[16:19], s[4:5], 0x0
	s_load_dwordx2 s[2:3], s[4:5], 0x10
	v_mov_b32_e32 v15, 0
	v_mov_b32_e32 v17, 0
	s_waitcnt lgkmcnt(0)
	s_lshr_b32 s0, s0, 16
	v_cmp_gt_i32_e32 vcc_lo, s10, v8
	v_mad_u64_u32 v[1:2], null, s6, s0, v[1:2]
	v_mad_u64_u32 v[2:3], null, v1, s9, v[8:9]
	v_sub_nc_u32_e32 v18, s8, v1
	v_cmp_lt_i32_e64 s9, 0, v18
	v_ashrrev_i32_e32 v3, 31, v2
	s_and_b32 s1, s9, vcc_lo
	v_lshlrev_b64 v[0:1], 1, v[2:3]
	v_add_co_u32 v4, s0, s18, v0
	v_add_co_ci_u32_e64 v5, null, s19, v1, s0
	v_add_co_u32 v6, s0, s2, v0
	v_add_co_ci_u32_e64 v7, null, s3, v1, s0
	s_and_saveexec_b32 s0, s1
	s_cbranch_execz .LBB852_2
; %bb.1:
	global_load_ushort v9, v[4:5], off
	global_load_ushort v10, v[6:7], off
	s_waitcnt vmcnt(1)
	v_lshlrev_b32_e32 v17, 16, v9
	s_waitcnt vmcnt(0)
	v_lshlrev_b32_e32 v15, 16, v10
.LBB852_2:
	s_or_b32 exec_lo, exec_lo, s0
	v_or_b32_e32 v9, 64, v8
	v_cmp_gt_i32_e64 s0, s10, v9
	s_and_b32 s1, s9, s0
	s_xor_b32 s1, s1, -1
	s_and_saveexec_b32 s2, s1
	s_xor_b32 s1, exec_lo, s2
                                        ; implicit-def: $vgpr10
                                        ; implicit-def: $vgpr11
                                        ; implicit-def: $vgpr12
                                        ; implicit-def: $vgpr13
                                        ; implicit-def: $vgpr14
                                        ; implicit-def: $vgpr16
                                        ; implicit-def: $vgpr9
; %bb.3:
	s_mov_b32 s2, 0
                                        ; implicit-def: $vgpr10
                                        ; implicit-def: $vgpr11
                                        ; implicit-def: $vgpr12
                                        ; implicit-def: $vgpr13
                                        ; implicit-def: $vgpr14
                                        ; implicit-def: $vgpr9
	v_mov_b32_e32 v16, s2
; %bb.4:
	s_or_saveexec_b32 s1, s1
	v_mov_b32_e32 v19, 0
	s_xor_b32 exec_lo, exec_lo, s1
	s_cbranch_execz .LBB852_6
; %bb.5:
	global_load_ushort v16, v[4:5], off offset:128
	global_load_ushort v19, v[6:7], off offset:128
	s_waitcnt vmcnt(1)
	v_lshlrev_b32_e32 v16, 16, v16
	s_waitcnt vmcnt(0)
	v_lshlrev_b32_e32 v19, 16, v19
.LBB852_6:
	s_or_b32 exec_lo, exec_lo, s1
	v_or_b32_e32 v20, 0x80, v8
	v_cmp_gt_i32_e64 s1, s10, v20
	s_and_b32 s2, s9, s1
	s_xor_b32 s2, s2, -1
	s_and_saveexec_b32 s3, s2
	s_xor_b32 s2, exec_lo, s3
; %bb.7:
	s_mov_b32 s3, 0
	v_mov_b32_e32 v14, s3
; %bb.8:
	s_or_saveexec_b32 s2, s2
	v_mov_b32_e32 v20, 0
	s_xor_b32 exec_lo, exec_lo, s2
	s_cbranch_execz .LBB852_10
; %bb.9:
	global_load_ushort v14, v[4:5], off offset:256
	global_load_ushort v20, v[6:7], off offset:256
	s_waitcnt vmcnt(1)
	v_lshlrev_b32_e32 v14, 16, v14
	s_waitcnt vmcnt(0)
	v_lshlrev_b32_e32 v20, 16, v20
.LBB852_10:
	s_or_b32 exec_lo, exec_lo, s2
	v_or_b32_e32 v21, 0xc0, v8
	v_cmp_gt_i32_e64 s2, s10, v21
	s_and_b32 s3, s9, s2
	s_xor_b32 s3, s3, -1
	s_and_saveexec_b32 s6, s3
	s_xor_b32 s3, exec_lo, s6
; %bb.11:
	s_mov_b32 s6, 0
	;; [unrolled: 23-line block ×6, first 2 shown]
                                        ; implicit-def: $vgpr4_vgpr5
                                        ; implicit-def: $vgpr6_vgpr7
	v_mov_b32_e32 v9, s10
; %bb.28:
	s_or_saveexec_b32 s9, s9
	v_mov_b32_e32 v8, 0
	s_xor_b32 exec_lo, exec_lo, s9
	s_cbranch_execz .LBB852_30
; %bb.29:
	global_load_ushort v4, v[4:5], off offset:896
	global_load_ushort v5, v[6:7], off offset:896
	s_waitcnt vmcnt(1)
	v_lshlrev_b32_e32 v9, 16, v4
	s_waitcnt vmcnt(0)
	v_lshlrev_b32_e32 v8, 16, v5
.LBB852_30:
	s_or_b32 exec_lo, exec_lo, s9
	s_load_dwordx2 s[4:5], s[4:5], 0x28
	s_mov_b32 s18, exec_lo
	s_waitcnt lgkmcnt(0)
	v_add_co_u32 v2, s4, s4, v2
	v_add_co_ci_u32_e64 v3, null, s5, v3, s4
	s_clause 0x7
	global_load_ubyte v4, v[2:3], off
	global_load_ubyte v5, v[2:3], off offset:64
	global_load_ubyte v6, v[2:3], off offset:128
	;; [unrolled: 1-line block ×7, first 2 shown]
	s_waitcnt vmcnt(7)
	v_and_b32_e32 v3, 1, v4
	v_add_f32_e32 v4, 0, v17
	v_cmp_eq_u32_e64 s13, 1, v3
	s_waitcnt vmcnt(0)
	v_and_b32_e32 v2, 1, v2
	v_cndmask_b32_e64 v3, v4, 0, s13
	v_and_b32_e32 v4, 1, v5
	v_add_f32_e32 v5, v3, v16
	v_cmp_eq_u32_e64 s4, 1, v4
	v_and_b32_e32 v4, 1, v6
	v_cndmask_b32_e64 v3, v5, v3, s4
	v_cmp_eq_u32_e64 s5, 1, v4
	v_and_b32_e32 v4, 1, v7
	v_add_f32_e32 v5, v3, v14
	v_cmp_eq_u32_e64 s9, 1, v4
	v_and_b32_e32 v4, 1, v25
	v_cndmask_b32_e64 v3, v5, v3, s5
	v_cmp_eq_u32_e64 s10, 1, v4
	v_and_b32_e32 v4, 1, v26
	v_add_f32_e32 v5, v3, v13
	v_cmp_eq_u32_e64 s11, 1, v4
	v_cndmask_b32_e64 v3, v5, v3, s9
	v_mbcnt_lo_u32_b32 v4, -1, 0
	v_add_f32_e32 v5, v3, v12
	v_or_b32_e32 v7, 32, v4
	v_cndmask_b32_e64 v3, v5, v3, s10
	v_cmp_gt_i32_e64 s14, 64, v7
	v_add_f32_e32 v5, v3, v11
	v_cndmask_b32_e64 v3, v5, v3, s11
	v_and_b32_e32 v5, 1, v27
	v_add_f32_e32 v6, v3, v10
	v_cmp_eq_u32_e64 s12, 1, v5
	v_cndmask_b32_e64 v5, v4, v7, s14
	v_cmp_eq_u32_e64 s14, 1, v2
	v_cndmask_b32_e64 v3, v6, v3, s12
	v_lshlrev_b32_e32 v5, 2, v5
	v_add_f32_e32 v6, v3, v9
	v_cndmask_b32_e64 v2, v6, v3, s14
	ds_bpermute_b32 v3, v5, v2
	v_xor_b32_e32 v5, 16, v4
	v_cmp_gt_i32_e64 s15, 64, v5
	v_cndmask_b32_e64 v5, v4, v5, s15
	v_lshlrev_b32_e32 v5, 2, v5
	s_waitcnt lgkmcnt(0)
	v_add_f32_e32 v2, v2, v3
	ds_bpermute_b32 v3, v5, v2
	v_xor_b32_e32 v5, 8, v4
	v_cmp_gt_i32_e64 s15, 64, v5
	v_cndmask_b32_e64 v5, v4, v5, s15
	v_lshlrev_b32_e32 v5, 2, v5
	s_waitcnt lgkmcnt(0)
	v_add_f32_e32 v2, v2, v3
	;; [unrolled: 7-line block ×4, first 2 shown]
	ds_bpermute_b32 v3, v5, v2
	v_xor_b32_e32 v5, 1, v4
	v_cmp_gt_i32_e64 s15, 64, v5
	v_cndmask_b32_e64 v4, v4, v5, s15
	s_waitcnt lgkmcnt(0)
	v_add_f32_e32 v2, v2, v3
	v_lshlrev_b32_e32 v3, 2, v4
	ds_bpermute_b32 v3, v3, v2
	v_cmpx_lt_i32_e32 0, v18
	s_cbranch_execz .LBB852_42
; %bb.31:
	v_add_co_u32 v0, s15, s16, v0
	s_waitcnt lgkmcnt(0)
	v_add_f32_e32 v2, v2, v3
	v_add_co_ci_u32_e64 v1, null, s17, v1, s15
	s_and_saveexec_b32 s15, vcc_lo
	s_cbranch_execz .LBB852_35
; %bb.32:
	v_mov_b32_e32 v3, 0
	s_xor_b32 s16, s13, -1
	s_and_saveexec_b32 s13, s16
; %bb.33:
	v_fma_f32 v3, -v2, v15, v17
	v_bfe_u32 v4, v3, 16, 1
	v_cmp_o_f32_e32 vcc_lo, v3, v3
	v_add3_u32 v3, v3, v4, 0x7fff
	v_mov_b32_e32 v4, 0x7fc0
	v_cndmask_b32_sdwa v3, v4, v3, vcc_lo dst_sel:DWORD dst_unused:UNUSED_PAD src0_sel:DWORD src1_sel:WORD_1
; %bb.34:
	s_or_b32 exec_lo, exec_lo, s13
	global_store_short v[0:1], v3, off
.LBB852_35:
	s_or_b32 exec_lo, exec_lo, s15
	s_xor_b32 s16, s4, -1
	s_xor_b32 s15, s5, -1
	;; [unrolled: 1-line block ×7, first 2 shown]
	s_and_saveexec_b32 s11, s0
	s_cbranch_execnz .LBB852_43
; %bb.36:
	s_or_b32 exec_lo, exec_lo, s11
	s_and_saveexec_b32 s0, s1
	s_cbranch_execnz .LBB852_46
.LBB852_37:
	s_or_b32 exec_lo, exec_lo, s0
	s_and_saveexec_b32 s0, s2
	s_cbranch_execnz .LBB852_49
.LBB852_38:
	s_or_b32 exec_lo, exec_lo, s0
	s_and_saveexec_b32 s0, s3
	s_cbranch_execnz .LBB852_52
.LBB852_39:
	s_or_b32 exec_lo, exec_lo, s0
	s_and_saveexec_b32 s0, s6
	s_cbranch_execnz .LBB852_55
.LBB852_40:
	s_or_b32 exec_lo, exec_lo, s0
	s_and_saveexec_b32 s0, s7
	s_cbranch_execnz .LBB852_58
.LBB852_41:
	s_or_b32 exec_lo, exec_lo, s0
	s_and_b32 exec_lo, exec_lo, s8
	s_cbranch_execnz .LBB852_61
.LBB852_42:
	s_endpgm
.LBB852_43:
	v_mov_b32_e32 v3, 0
	s_and_saveexec_b32 s0, s16
; %bb.44:
	v_fma_f32 v3, -v2, v19, v16
	v_bfe_u32 v4, v3, 16, 1
	v_cmp_o_f32_e32 vcc_lo, v3, v3
	v_add3_u32 v3, v3, v4, 0x7fff
	v_mov_b32_e32 v4, 0x7fc0
	v_cndmask_b32_sdwa v3, v4, v3, vcc_lo dst_sel:DWORD dst_unused:UNUSED_PAD src0_sel:DWORD src1_sel:WORD_1
; %bb.45:
	s_or_b32 exec_lo, exec_lo, s0
	global_store_short v[0:1], v3, off offset:128
	s_or_b32 exec_lo, exec_lo, s11
	s_and_saveexec_b32 s0, s1
	s_cbranch_execz .LBB852_37
.LBB852_46:
	v_mov_b32_e32 v3, 0
	s_and_saveexec_b32 s1, s15
; %bb.47:
	v_fma_f32 v3, -v2, v20, v14
	v_bfe_u32 v4, v3, 16, 1
	v_cmp_o_f32_e32 vcc_lo, v3, v3
	v_add3_u32 v3, v3, v4, 0x7fff
	v_mov_b32_e32 v4, 0x7fc0
	v_cndmask_b32_sdwa v3, v4, v3, vcc_lo dst_sel:DWORD dst_unused:UNUSED_PAD src0_sel:DWORD src1_sel:WORD_1
; %bb.48:
	s_or_b32 exec_lo, exec_lo, s1
	global_store_short v[0:1], v3, off offset:256
	s_or_b32 exec_lo, exec_lo, s0
	s_and_saveexec_b32 s0, s2
	s_cbranch_execz .LBB852_38
.LBB852_49:
	v_mov_b32_e32 v3, 0
	s_and_saveexec_b32 s1, s13
; %bb.50:
	v_fma_f32 v3, -v2, v21, v13
	v_bfe_u32 v4, v3, 16, 1
	v_cmp_o_f32_e32 vcc_lo, v3, v3
	v_add3_u32 v3, v3, v4, 0x7fff
	v_mov_b32_e32 v4, 0x7fc0
	v_cndmask_b32_sdwa v3, v4, v3, vcc_lo dst_sel:DWORD dst_unused:UNUSED_PAD src0_sel:DWORD src1_sel:WORD_1
; %bb.51:
	s_or_b32 exec_lo, exec_lo, s1
	global_store_short v[0:1], v3, off offset:384
	s_or_b32 exec_lo, exec_lo, s0
	s_and_saveexec_b32 s0, s3
	s_cbranch_execz .LBB852_39
.LBB852_52:
	v_mov_b32_e32 v3, 0
	s_and_saveexec_b32 s1, s10
; %bb.53:
	v_fma_f32 v3, -v2, v22, v12
	v_bfe_u32 v4, v3, 16, 1
	v_cmp_o_f32_e32 vcc_lo, v3, v3
	v_add3_u32 v3, v3, v4, 0x7fff
	v_mov_b32_e32 v4, 0x7fc0
	v_cndmask_b32_sdwa v3, v4, v3, vcc_lo dst_sel:DWORD dst_unused:UNUSED_PAD src0_sel:DWORD src1_sel:WORD_1
; %bb.54:
	s_or_b32 exec_lo, exec_lo, s1
	global_store_short v[0:1], v3, off offset:512
	s_or_b32 exec_lo, exec_lo, s0
	s_and_saveexec_b32 s0, s6
	s_cbranch_execz .LBB852_40
.LBB852_55:
	v_mov_b32_e32 v3, 0
	s_and_saveexec_b32 s1, s9
; %bb.56:
	v_fma_f32 v3, -v2, v23, v11
	v_bfe_u32 v4, v3, 16, 1
	v_cmp_o_f32_e32 vcc_lo, v3, v3
	v_add3_u32 v3, v3, v4, 0x7fff
	v_mov_b32_e32 v4, 0x7fc0
	v_cndmask_b32_sdwa v3, v4, v3, vcc_lo dst_sel:DWORD dst_unused:UNUSED_PAD src0_sel:DWORD src1_sel:WORD_1
; %bb.57:
	s_or_b32 exec_lo, exec_lo, s1
	global_store_short v[0:1], v3, off offset:640
	s_or_b32 exec_lo, exec_lo, s0
	s_and_saveexec_b32 s0, s7
	s_cbranch_execz .LBB852_41
.LBB852_58:
	v_mov_b32_e32 v3, 0
	s_and_saveexec_b32 s1, s5
; %bb.59:
	v_fma_f32 v3, -v2, v24, v10
	v_bfe_u32 v4, v3, 16, 1
	v_cmp_o_f32_e32 vcc_lo, v3, v3
	v_add3_u32 v3, v3, v4, 0x7fff
	v_mov_b32_e32 v4, 0x7fc0
	v_cndmask_b32_sdwa v3, v4, v3, vcc_lo dst_sel:DWORD dst_unused:UNUSED_PAD src0_sel:DWORD src1_sel:WORD_1
; %bb.60:
	s_or_b32 exec_lo, exec_lo, s1
	global_store_short v[0:1], v3, off offset:768
	s_or_b32 exec_lo, exec_lo, s0
	s_and_b32 exec_lo, exec_lo, s8
	s_cbranch_execz .LBB852_42
.LBB852_61:
	v_mov_b32_e32 v3, 0
	s_and_saveexec_b32 s0, s4
; %bb.62:
	v_fma_f32 v2, -v2, v8, v9
	v_bfe_u32 v3, v2, 16, 1
	v_cmp_o_f32_e32 vcc_lo, v2, v2
	v_add3_u32 v2, v2, v3, 0x7fff
	v_mov_b32_e32 v3, 0x7fc0
	v_cndmask_b32_sdwa v3, v3, v2, vcc_lo dst_sel:DWORD dst_unused:UNUSED_PAD src0_sel:DWORD src1_sel:WORD_1
; %bb.63:
	s_or_b32 exec_lo, exec_lo, s0
	global_store_short v[0:1], v3, off offset:896
	s_endpgm
	.section	.rodata,"a",@progbits
	.p2align	6, 0x0
	.amdhsa_kernel _ZN12_GLOBAL__N_121softmax_warp_backwardIN3c108BFloat16ES2_fLi9ELb0ELb1ELi64EEEvPT0_PKT_S7_iiiPKb
		.amdhsa_group_segment_fixed_size 0
		.amdhsa_private_segment_fixed_size 0
		.amdhsa_kernarg_size 304
		.amdhsa_user_sgpr_count 6
		.amdhsa_user_sgpr_private_segment_buffer 1
		.amdhsa_user_sgpr_dispatch_ptr 0
		.amdhsa_user_sgpr_queue_ptr 0
		.amdhsa_user_sgpr_kernarg_segment_ptr 1
		.amdhsa_user_sgpr_dispatch_id 0
		.amdhsa_user_sgpr_flat_scratch_init 0
		.amdhsa_user_sgpr_private_segment_size 0
		.amdhsa_wavefront_size32 1
		.amdhsa_uses_dynamic_stack 0
		.amdhsa_system_sgpr_private_segment_wavefront_offset 0
		.amdhsa_system_sgpr_workgroup_id_x 1
		.amdhsa_system_sgpr_workgroup_id_y 0
		.amdhsa_system_sgpr_workgroup_id_z 0
		.amdhsa_system_sgpr_workgroup_info 0
		.amdhsa_system_vgpr_workitem_id 1
		.amdhsa_next_free_vgpr 28
		.amdhsa_next_free_sgpr 20
		.amdhsa_reserve_vcc 1
		.amdhsa_reserve_flat_scratch 0
		.amdhsa_float_round_mode_32 0
		.amdhsa_float_round_mode_16_64 0
		.amdhsa_float_denorm_mode_32 3
		.amdhsa_float_denorm_mode_16_64 3
		.amdhsa_dx10_clamp 1
		.amdhsa_ieee_mode 1
		.amdhsa_fp16_overflow 0
		.amdhsa_workgroup_processor_mode 1
		.amdhsa_memory_ordered 1
		.amdhsa_forward_progress 1
		.amdhsa_shared_vgpr_count 0
		.amdhsa_exception_fp_ieee_invalid_op 0
		.amdhsa_exception_fp_denorm_src 0
		.amdhsa_exception_fp_ieee_div_zero 0
		.amdhsa_exception_fp_ieee_overflow 0
		.amdhsa_exception_fp_ieee_underflow 0
		.amdhsa_exception_fp_ieee_inexact 0
		.amdhsa_exception_int_div_zero 0
	.end_amdhsa_kernel
	.section	.text._ZN12_GLOBAL__N_121softmax_warp_backwardIN3c108BFloat16ES2_fLi9ELb0ELb1ELi64EEEvPT0_PKT_S7_iiiPKb,"axG",@progbits,_ZN12_GLOBAL__N_121softmax_warp_backwardIN3c108BFloat16ES2_fLi9ELb0ELb1ELi64EEEvPT0_PKT_S7_iiiPKb,comdat
.Lfunc_end852:
	.size	_ZN12_GLOBAL__N_121softmax_warp_backwardIN3c108BFloat16ES2_fLi9ELb0ELb1ELi64EEEvPT0_PKT_S7_iiiPKb, .Lfunc_end852-_ZN12_GLOBAL__N_121softmax_warp_backwardIN3c108BFloat16ES2_fLi9ELb0ELb1ELi64EEEvPT0_PKT_S7_iiiPKb
                                        ; -- End function
	.set _ZN12_GLOBAL__N_121softmax_warp_backwardIN3c108BFloat16ES2_fLi9ELb0ELb1ELi64EEEvPT0_PKT_S7_iiiPKb.num_vgpr, 28
	.set _ZN12_GLOBAL__N_121softmax_warp_backwardIN3c108BFloat16ES2_fLi9ELb0ELb1ELi64EEEvPT0_PKT_S7_iiiPKb.num_agpr, 0
	.set _ZN12_GLOBAL__N_121softmax_warp_backwardIN3c108BFloat16ES2_fLi9ELb0ELb1ELi64EEEvPT0_PKT_S7_iiiPKb.numbered_sgpr, 20
	.set _ZN12_GLOBAL__N_121softmax_warp_backwardIN3c108BFloat16ES2_fLi9ELb0ELb1ELi64EEEvPT0_PKT_S7_iiiPKb.num_named_barrier, 0
	.set _ZN12_GLOBAL__N_121softmax_warp_backwardIN3c108BFloat16ES2_fLi9ELb0ELb1ELi64EEEvPT0_PKT_S7_iiiPKb.private_seg_size, 0
	.set _ZN12_GLOBAL__N_121softmax_warp_backwardIN3c108BFloat16ES2_fLi9ELb0ELb1ELi64EEEvPT0_PKT_S7_iiiPKb.uses_vcc, 1
	.set _ZN12_GLOBAL__N_121softmax_warp_backwardIN3c108BFloat16ES2_fLi9ELb0ELb1ELi64EEEvPT0_PKT_S7_iiiPKb.uses_flat_scratch, 0
	.set _ZN12_GLOBAL__N_121softmax_warp_backwardIN3c108BFloat16ES2_fLi9ELb0ELb1ELi64EEEvPT0_PKT_S7_iiiPKb.has_dyn_sized_stack, 0
	.set _ZN12_GLOBAL__N_121softmax_warp_backwardIN3c108BFloat16ES2_fLi9ELb0ELb1ELi64EEEvPT0_PKT_S7_iiiPKb.has_recursion, 0
	.set _ZN12_GLOBAL__N_121softmax_warp_backwardIN3c108BFloat16ES2_fLi9ELb0ELb1ELi64EEEvPT0_PKT_S7_iiiPKb.has_indirect_call, 0
	.section	.AMDGPU.csdata,"",@progbits
; Kernel info:
; codeLenInByte = 2144
; TotalNumSgprs: 22
; NumVgprs: 28
; ScratchSize: 0
; MemoryBound: 0
; FloatMode: 240
; IeeeMode: 1
; LDSByteSize: 0 bytes/workgroup (compile time only)
; SGPRBlocks: 0
; VGPRBlocks: 3
; NumSGPRsForWavesPerEU: 22
; NumVGPRsForWavesPerEU: 28
; Occupancy: 16
; WaveLimiterHint : 0
; COMPUTE_PGM_RSRC2:SCRATCH_EN: 0
; COMPUTE_PGM_RSRC2:USER_SGPR: 6
; COMPUTE_PGM_RSRC2:TRAP_HANDLER: 0
; COMPUTE_PGM_RSRC2:TGID_X_EN: 1
; COMPUTE_PGM_RSRC2:TGID_Y_EN: 0
; COMPUTE_PGM_RSRC2:TGID_Z_EN: 0
; COMPUTE_PGM_RSRC2:TIDIG_COMP_CNT: 1
	.section	.text._ZN12_GLOBAL__N_121softmax_warp_backwardIN3c108BFloat16ES2_fLi9ELb0ELb1ELi32EEEvPT0_PKT_S7_iiiPKb,"axG",@progbits,_ZN12_GLOBAL__N_121softmax_warp_backwardIN3c108BFloat16ES2_fLi9ELb0ELb1ELi32EEEvPT0_PKT_S7_iiiPKb,comdat
	.globl	_ZN12_GLOBAL__N_121softmax_warp_backwardIN3c108BFloat16ES2_fLi9ELb0ELb1ELi32EEEvPT0_PKT_S7_iiiPKb ; -- Begin function _ZN12_GLOBAL__N_121softmax_warp_backwardIN3c108BFloat16ES2_fLi9ELb0ELb1ELi32EEEvPT0_PKT_S7_iiiPKb
	.p2align	8
	.type	_ZN12_GLOBAL__N_121softmax_warp_backwardIN3c108BFloat16ES2_fLi9ELb0ELb1ELi32EEEvPT0_PKT_S7_iiiPKb,@function
_ZN12_GLOBAL__N_121softmax_warp_backwardIN3c108BFloat16ES2_fLi9ELb0ELb1ELi32EEEvPT0_PKT_S7_iiiPKb: ; @_ZN12_GLOBAL__N_121softmax_warp_backwardIN3c108BFloat16ES2_fLi9ELb0ELb1ELi32EEEvPT0_PKT_S7_iiiPKb
; %bb.0:
	s_clause 0x1
	s_load_dword s0, s[4:5], 0x3c
	s_load_dwordx4 s[16:19], s[4:5], 0x18
	v_and_b32_e32 v8, 31, v0
	s_clause 0x1
	s_load_dwordx4 s[28:31], s[4:5], 0x0
	s_load_dwordx2 s[2:3], s[4:5], 0x10
	v_mov_b32_e32 v23, 0
	v_mov_b32_e32 v25, 0
	s_waitcnt lgkmcnt(0)
	s_lshr_b32 s0, s0, 16
	v_cmp_gt_i32_e32 vcc_lo, s18, v8
	v_mad_u64_u32 v[1:2], null, s6, s0, v[1:2]
	v_mad_u64_u32 v[2:3], null, v1, s17, v[8:9]
	v_sub_nc_u32_e32 v26, s16, v1
	v_cmp_lt_i32_e64 s17, 0, v26
	v_ashrrev_i32_e32 v3, 31, v2
	s_and_b32 s1, s17, vcc_lo
	v_lshlrev_b64 v[0:1], 1, v[2:3]
	v_add_co_u32 v4, s0, s30, v0
	v_add_co_ci_u32_e64 v5, null, s31, v1, s0
	v_add_co_u32 v6, s0, s2, v0
	v_add_co_ci_u32_e64 v7, null, s3, v1, s0
	s_and_saveexec_b32 s0, s1
	s_cbranch_execz .LBB853_2
; %bb.1:
	global_load_ushort v9, v[4:5], off
	global_load_ushort v10, v[6:7], off
	s_waitcnt vmcnt(1)
	v_lshlrev_b32_e32 v25, 16, v9
	s_waitcnt vmcnt(0)
	v_lshlrev_b32_e32 v23, 16, v10
.LBB853_2:
	s_or_b32 exec_lo, exec_lo, s0
	v_or_b32_e32 v9, 32, v8
	v_cmp_gt_i32_e64 s0, s18, v9
	s_and_b32 s1, s17, s0
	s_xor_b32 s1, s1, -1
	s_and_saveexec_b32 s2, s1
	s_xor_b32 s1, exec_lo, s2
                                        ; implicit-def: $vgpr10
                                        ; implicit-def: $vgpr11
                                        ; implicit-def: $vgpr12
                                        ; implicit-def: $vgpr13
                                        ; implicit-def: $vgpr14
                                        ; implicit-def: $vgpr15
                                        ; implicit-def: $vgpr16
                                        ; implicit-def: $vgpr17
                                        ; implicit-def: $vgpr18
                                        ; implicit-def: $vgpr19
                                        ; implicit-def: $vgpr20
                                        ; implicit-def: $vgpr21
                                        ; implicit-def: $vgpr22
                                        ; implicit-def: $vgpr24
                                        ; implicit-def: $vgpr9
; %bb.3:
	s_mov_b32 s2, 0
                                        ; implicit-def: $vgpr10
                                        ; implicit-def: $vgpr11
                                        ; implicit-def: $vgpr12
                                        ; implicit-def: $vgpr13
                                        ; implicit-def: $vgpr14
                                        ; implicit-def: $vgpr15
                                        ; implicit-def: $vgpr16
                                        ; implicit-def: $vgpr17
                                        ; implicit-def: $vgpr18
                                        ; implicit-def: $vgpr19
                                        ; implicit-def: $vgpr20
                                        ; implicit-def: $vgpr21
                                        ; implicit-def: $vgpr22
                                        ; implicit-def: $vgpr9
	v_mov_b32_e32 v24, s2
; %bb.4:
	s_or_saveexec_b32 s1, s1
	v_mov_b32_e32 v27, 0
	s_xor_b32 exec_lo, exec_lo, s1
	s_cbranch_execz .LBB853_6
; %bb.5:
	global_load_ushort v24, v[4:5], off offset:64
	global_load_ushort v27, v[6:7], off offset:64
	s_waitcnt vmcnt(1)
	v_lshlrev_b32_e32 v24, 16, v24
	s_waitcnt vmcnt(0)
	v_lshlrev_b32_e32 v27, 16, v27
.LBB853_6:
	s_or_b32 exec_lo, exec_lo, s1
	v_or_b32_e32 v28, 64, v8
	v_cmp_gt_i32_e64 s1, s18, v28
	s_and_b32 s2, s17, s1
	s_xor_b32 s2, s2, -1
	s_and_saveexec_b32 s3, s2
	s_xor_b32 s2, exec_lo, s3
; %bb.7:
	s_mov_b32 s3, 0
	v_mov_b32_e32 v22, s3
; %bb.8:
	s_or_saveexec_b32 s2, s2
	v_mov_b32_e32 v28, 0
	s_xor_b32 exec_lo, exec_lo, s2
	s_cbranch_execz .LBB853_10
; %bb.9:
	global_load_ushort v22, v[4:5], off offset:128
	global_load_ushort v28, v[6:7], off offset:128
	s_waitcnt vmcnt(1)
	v_lshlrev_b32_e32 v22, 16, v22
	s_waitcnt vmcnt(0)
	v_lshlrev_b32_e32 v28, 16, v28
.LBB853_10:
	s_or_b32 exec_lo, exec_lo, s2
	v_or_b32_e32 v29, 0x60, v8
	v_cmp_gt_i32_e64 s2, s18, v29
	s_and_b32 s3, s17, s2
	s_xor_b32 s3, s3, -1
	s_and_saveexec_b32 s6, s3
	s_xor_b32 s3, exec_lo, s6
; %bb.11:
	s_mov_b32 s6, 0
	v_mov_b32_e32 v21, s6
; %bb.12:
	s_or_saveexec_b32 s3, s3
	v_mov_b32_e32 v29, 0
	s_xor_b32 exec_lo, exec_lo, s3
	s_cbranch_execz .LBB853_14
; %bb.13:
	global_load_ushort v21, v[4:5], off offset:192
	global_load_ushort v29, v[6:7], off offset:192
	s_waitcnt vmcnt(1)
	v_lshlrev_b32_e32 v21, 16, v21
	s_waitcnt vmcnt(0)
	v_lshlrev_b32_e32 v29, 16, v29
.LBB853_14:
	s_or_b32 exec_lo, exec_lo, s3
	v_or_b32_e32 v30, 0x80, v8
	v_cmp_gt_i32_e64 s3, s18, v30
	s_and_b32 s6, s17, s3
	s_xor_b32 s6, s6, -1
	s_and_saveexec_b32 s7, s6
	s_xor_b32 s6, exec_lo, s7
; %bb.15:
	s_mov_b32 s7, 0
	v_mov_b32_e32 v20, s7
; %bb.16:
	s_or_saveexec_b32 s6, s6
	v_mov_b32_e32 v30, 0
	s_xor_b32 exec_lo, exec_lo, s6
	s_cbranch_execz .LBB853_18
; %bb.17:
	global_load_ushort v20, v[4:5], off offset:256
	global_load_ushort v30, v[6:7], off offset:256
	s_waitcnt vmcnt(1)
	v_lshlrev_b32_e32 v20, 16, v20
	s_waitcnt vmcnt(0)
	v_lshlrev_b32_e32 v30, 16, v30
.LBB853_18:
	s_or_b32 exec_lo, exec_lo, s6
	v_or_b32_e32 v31, 0xa0, v8
	v_cmp_gt_i32_e64 s6, s18, v31
	s_and_b32 s7, s17, s6
	s_xor_b32 s7, s7, -1
	s_and_saveexec_b32 s8, s7
	s_xor_b32 s7, exec_lo, s8
; %bb.19:
	s_mov_b32 s8, 0
	v_mov_b32_e32 v19, s8
; %bb.20:
	s_or_saveexec_b32 s7, s7
	v_mov_b32_e32 v31, 0
	s_xor_b32 exec_lo, exec_lo, s7
	s_cbranch_execz .LBB853_22
; %bb.21:
	global_load_ushort v19, v[4:5], off offset:320
	global_load_ushort v31, v[6:7], off offset:320
	s_waitcnt vmcnt(1)
	v_lshlrev_b32_e32 v19, 16, v19
	s_waitcnt vmcnt(0)
	v_lshlrev_b32_e32 v31, 16, v31
.LBB853_22:
	s_or_b32 exec_lo, exec_lo, s7
	v_or_b32_e32 v32, 0xc0, v8
	v_cmp_gt_i32_e64 s7, s18, v32
	s_and_b32 s8, s17, s7
	s_xor_b32 s8, s8, -1
	s_and_saveexec_b32 s9, s8
	s_xor_b32 s8, exec_lo, s9
; %bb.23:
	s_mov_b32 s9, 0
	v_mov_b32_e32 v18, s9
; %bb.24:
	s_or_saveexec_b32 s8, s8
	v_mov_b32_e32 v32, 0
	s_xor_b32 exec_lo, exec_lo, s8
	s_cbranch_execz .LBB853_26
; %bb.25:
	global_load_ushort v18, v[4:5], off offset:384
	global_load_ushort v32, v[6:7], off offset:384
	s_waitcnt vmcnt(1)
	v_lshlrev_b32_e32 v18, 16, v18
	s_waitcnt vmcnt(0)
	v_lshlrev_b32_e32 v32, 16, v32
.LBB853_26:
	s_or_b32 exec_lo, exec_lo, s8
	v_or_b32_e32 v33, 0xe0, v8
	v_cmp_gt_i32_e64 s8, s18, v33
	s_and_b32 s9, s17, s8
	s_xor_b32 s9, s9, -1
	s_and_saveexec_b32 s10, s9
	s_xor_b32 s9, exec_lo, s10
; %bb.27:
	s_mov_b32 s10, 0
	v_mov_b32_e32 v17, s10
; %bb.28:
	s_or_saveexec_b32 s9, s9
	v_mov_b32_e32 v33, 0
	s_xor_b32 exec_lo, exec_lo, s9
	s_cbranch_execz .LBB853_30
; %bb.29:
	global_load_ushort v17, v[4:5], off offset:448
	global_load_ushort v33, v[6:7], off offset:448
	s_waitcnt vmcnt(1)
	v_lshlrev_b32_e32 v17, 16, v17
	s_waitcnt vmcnt(0)
	v_lshlrev_b32_e32 v33, 16, v33
.LBB853_30:
	s_or_b32 exec_lo, exec_lo, s9
	v_or_b32_e32 v34, 0x100, v8
	v_cmp_gt_i32_e64 s9, s18, v34
	s_and_b32 s10, s17, s9
	s_xor_b32 s10, s10, -1
	s_and_saveexec_b32 s11, s10
	s_xor_b32 s10, exec_lo, s11
; %bb.31:
	s_mov_b32 s11, 0
	v_mov_b32_e32 v16, s11
; %bb.32:
	s_or_saveexec_b32 s10, s10
	v_mov_b32_e32 v34, 0
	s_xor_b32 exec_lo, exec_lo, s10
	s_cbranch_execz .LBB853_34
; %bb.33:
	global_load_ushort v16, v[4:5], off offset:512
	global_load_ushort v34, v[6:7], off offset:512
	s_waitcnt vmcnt(1)
	v_lshlrev_b32_e32 v16, 16, v16
	s_waitcnt vmcnt(0)
	v_lshlrev_b32_e32 v34, 16, v34
.LBB853_34:
	s_or_b32 exec_lo, exec_lo, s10
	v_or_b32_e32 v35, 0x120, v8
	v_cmp_gt_i32_e64 s10, s18, v35
	s_and_b32 s11, s17, s10
	s_xor_b32 s11, s11, -1
	s_and_saveexec_b32 s12, s11
	s_xor_b32 s11, exec_lo, s12
; %bb.35:
	s_mov_b32 s12, 0
	v_mov_b32_e32 v15, s12
; %bb.36:
	s_or_saveexec_b32 s11, s11
	v_mov_b32_e32 v35, 0
	s_xor_b32 exec_lo, exec_lo, s11
	s_cbranch_execz .LBB853_38
; %bb.37:
	global_load_ushort v15, v[4:5], off offset:576
	global_load_ushort v35, v[6:7], off offset:576
	s_waitcnt vmcnt(1)
	v_lshlrev_b32_e32 v15, 16, v15
	s_waitcnt vmcnt(0)
	v_lshlrev_b32_e32 v35, 16, v35
.LBB853_38:
	s_or_b32 exec_lo, exec_lo, s11
	v_or_b32_e32 v36, 0x140, v8
	v_cmp_gt_i32_e64 s11, s18, v36
	s_and_b32 s12, s17, s11
	s_xor_b32 s12, s12, -1
	s_and_saveexec_b32 s13, s12
	s_xor_b32 s12, exec_lo, s13
; %bb.39:
	s_mov_b32 s13, 0
	v_mov_b32_e32 v14, s13
; %bb.40:
	s_or_saveexec_b32 s12, s12
	v_mov_b32_e32 v36, 0
	s_xor_b32 exec_lo, exec_lo, s12
	s_cbranch_execz .LBB853_42
; %bb.41:
	global_load_ushort v14, v[4:5], off offset:640
	global_load_ushort v36, v[6:7], off offset:640
	s_waitcnt vmcnt(1)
	v_lshlrev_b32_e32 v14, 16, v14
	s_waitcnt vmcnt(0)
	v_lshlrev_b32_e32 v36, 16, v36
.LBB853_42:
	s_or_b32 exec_lo, exec_lo, s12
	v_or_b32_e32 v37, 0x160, v8
	v_cmp_gt_i32_e64 s12, s18, v37
	s_and_b32 s13, s17, s12
	s_xor_b32 s13, s13, -1
	s_and_saveexec_b32 s14, s13
	s_xor_b32 s13, exec_lo, s14
; %bb.43:
	s_mov_b32 s14, 0
	v_mov_b32_e32 v13, s14
; %bb.44:
	s_or_saveexec_b32 s13, s13
	v_mov_b32_e32 v37, 0
	s_xor_b32 exec_lo, exec_lo, s13
	s_cbranch_execz .LBB853_46
; %bb.45:
	global_load_ushort v13, v[4:5], off offset:704
	global_load_ushort v37, v[6:7], off offset:704
	s_waitcnt vmcnt(1)
	v_lshlrev_b32_e32 v13, 16, v13
	s_waitcnt vmcnt(0)
	v_lshlrev_b32_e32 v37, 16, v37
.LBB853_46:
	s_or_b32 exec_lo, exec_lo, s13
	v_or_b32_e32 v38, 0x180, v8
	v_cmp_gt_i32_e64 s13, s18, v38
	s_and_b32 s14, s17, s13
	s_xor_b32 s14, s14, -1
	s_and_saveexec_b32 s15, s14
	s_xor_b32 s14, exec_lo, s15
; %bb.47:
	s_mov_b32 s15, 0
	v_mov_b32_e32 v12, s15
; %bb.48:
	s_or_saveexec_b32 s14, s14
	v_mov_b32_e32 v38, 0
	s_xor_b32 exec_lo, exec_lo, s14
	s_cbranch_execz .LBB853_50
; %bb.49:
	global_load_ushort v12, v[4:5], off offset:768
	global_load_ushort v38, v[6:7], off offset:768
	s_waitcnt vmcnt(1)
	v_lshlrev_b32_e32 v12, 16, v12
	s_waitcnt vmcnt(0)
	v_lshlrev_b32_e32 v38, 16, v38
.LBB853_50:
	s_or_b32 exec_lo, exec_lo, s14
	v_or_b32_e32 v39, 0x1a0, v8
	v_cmp_gt_i32_e64 s14, s18, v39
	s_and_b32 s15, s17, s14
	s_xor_b32 s15, s15, -1
	s_and_saveexec_b32 s16, s15
	s_xor_b32 s15, exec_lo, s16
; %bb.51:
	s_mov_b32 s16, 0
	v_mov_b32_e32 v11, s16
; %bb.52:
	s_or_saveexec_b32 s15, s15
	v_mov_b32_e32 v39, 0
	s_xor_b32 exec_lo, exec_lo, s15
	s_cbranch_execz .LBB853_54
; %bb.53:
	global_load_ushort v11, v[4:5], off offset:832
	global_load_ushort v39, v[6:7], off offset:832
	s_waitcnt vmcnt(1)
	v_lshlrev_b32_e32 v11, 16, v11
	s_waitcnt vmcnt(0)
	v_lshlrev_b32_e32 v39, 16, v39
.LBB853_54:
	s_or_b32 exec_lo, exec_lo, s15
	v_or_b32_e32 v40, 0x1c0, v8
	v_cmp_gt_i32_e64 s15, s18, v40
	s_and_b32 s16, s17, s15
	s_xor_b32 s16, s16, -1
	s_and_saveexec_b32 s19, s16
	s_xor_b32 s16, exec_lo, s19
; %bb.55:
	s_mov_b32 s19, 0
	v_mov_b32_e32 v10, s19
; %bb.56:
	s_or_saveexec_b32 s16, s16
	v_mov_b32_e32 v40, 0
	s_xor_b32 exec_lo, exec_lo, s16
	s_cbranch_execz .LBB853_58
; %bb.57:
	global_load_ushort v10, v[4:5], off offset:896
	global_load_ushort v40, v[6:7], off offset:896
	s_waitcnt vmcnt(1)
	v_lshlrev_b32_e32 v10, 16, v10
	s_waitcnt vmcnt(0)
	v_lshlrev_b32_e32 v40, 16, v40
.LBB853_58:
	s_or_b32 exec_lo, exec_lo, s16
	v_or_b32_e32 v8, 0x1e0, v8
	v_cmp_gt_i32_e64 s16, s18, v8
	s_and_b32 s17, s17, s16
	s_xor_b32 s17, s17, -1
	s_and_saveexec_b32 s18, s17
	s_xor_b32 s17, exec_lo, s18
; %bb.59:
	s_mov_b32 s18, 0
                                        ; implicit-def: $vgpr4_vgpr5
                                        ; implicit-def: $vgpr6_vgpr7
	v_mov_b32_e32 v9, s18
; %bb.60:
	s_or_saveexec_b32 s17, s17
	v_mov_b32_e32 v8, 0
	s_xor_b32 exec_lo, exec_lo, s17
	s_cbranch_execz .LBB853_62
; %bb.61:
	global_load_ushort v4, v[4:5], off offset:960
	global_load_ushort v5, v[6:7], off offset:960
	s_waitcnt vmcnt(1)
	v_lshlrev_b32_e32 v9, 16, v4
	s_waitcnt vmcnt(0)
	v_lshlrev_b32_e32 v8, 16, v5
.LBB853_62:
	s_or_b32 exec_lo, exec_lo, s17
	s_load_dwordx2 s[4:5], s[4:5], 0x28
	v_add_f32_e32 v53, 0, v25
	s_mov_b32 s26, exec_lo
	s_waitcnt lgkmcnt(0)
	v_add_co_u32 v2, s4, s4, v2
	v_add_co_ci_u32_e64 v3, null, s5, v3, s4
	s_clause 0xf
	global_load_ubyte v4, v[2:3], off
	global_load_ubyte v5, v[2:3], off offset:32
	global_load_ubyte v6, v[2:3], off offset:64
	;; [unrolled: 1-line block ×15, first 2 shown]
	s_waitcnt vmcnt(15)
	v_and_b32_e32 v4, 1, v4
	s_waitcnt vmcnt(14)
	v_and_b32_e32 v5, 1, v5
	v_cmp_eq_u32_e64 s4, 1, v4
	v_cmp_eq_u32_e64 s5, 1, v5
	s_waitcnt vmcnt(13)
	v_and_b32_e32 v5, 1, v6
	v_cndmask_b32_e64 v4, v53, 0, s4
	v_add_f32_e32 v53, v4, v24
	v_cndmask_b32_e64 v4, v53, v4, s5
	v_cmp_eq_u32_e64 s5, 1, v5
	s_waitcnt vmcnt(12)
	v_and_b32_e32 v5, 1, v7
	v_add_f32_e32 v6, v4, v22
	v_cndmask_b32_e64 v4, v6, v4, s5
	v_cmp_eq_u32_e64 s5, 1, v5
	s_waitcnt vmcnt(11)
	v_and_b32_e32 v5, 1, v41
	;; [unrolled: 5-line block ×6, first 2 shown]
	v_add_f32_e32 v6, v4, v17
	v_cmp_eq_u32_e64 s17, 1, v5
	s_waitcnt vmcnt(6)
	v_and_b32_e32 v5, 1, v46
	v_cndmask_b32_e64 v4, v6, v4, s5
	v_cmp_eq_u32_e64 s18, 1, v5
	s_waitcnt vmcnt(5)
	v_and_b32_e32 v5, 1, v47
	v_add_f32_e32 v6, v4, v16
	v_cmp_eq_u32_e64 s19, 1, v5
	v_cndmask_b32_e64 v4, v6, v4, s17
	s_waitcnt vmcnt(4)
	v_and_b32_e32 v5, 1, v48
	v_add_f32_e32 v6, v4, v15
	v_cmp_eq_u32_e64 s20, 1, v5
	s_waitcnt vmcnt(3)
	v_and_b32_e32 v5, 1, v49
	v_cndmask_b32_e64 v4, v6, v4, s18
	v_cmp_eq_u32_e64 s21, 1, v5
	s_waitcnt vmcnt(2)
	v_and_b32_e32 v5, 1, v50
	v_add_f32_e32 v6, v4, v14
	v_cmp_eq_u32_e64 s22, 1, v5
	v_mbcnt_lo_u32_b32 v5, -1, 0
	v_cndmask_b32_e64 v4, v6, v4, s19
	v_xor_b32_e32 v41, 16, v5
	v_add_f32_e32 v6, v4, v13
	v_cmp_gt_i32_e64 s24, 32, v41
	v_cndmask_b32_e64 v4, v6, v4, s20
	v_add_f32_e32 v6, v4, v12
	v_cndmask_b32_e64 v4, v6, v4, s21
	v_add_f32_e32 v6, v4, v11
	v_cndmask_b32_e64 v4, v6, v4, s22
	s_waitcnt vmcnt(1)
	v_and_b32_e32 v6, 1, v51
	v_add_f32_e32 v7, v4, v10
	v_cmp_eq_u32_e64 s23, 1, v6
	v_cndmask_b32_e64 v6, v5, v41, s24
	v_cndmask_b32_e64 v4, v7, v4, s23
	s_waitcnt vmcnt(0)
	v_and_b32_e32 v7, 1, v52
	v_lshlrev_b32_e32 v6, 2, v6
	v_add_f32_e32 v41, v4, v9
	v_cmp_eq_u32_e64 s24, 1, v7
	v_xor_b32_e32 v7, 8, v5
	v_cndmask_b32_e64 v4, v41, v4, s24
	v_cmp_gt_i32_e64 s25, 32, v7
	ds_bpermute_b32 v6, v6, v4
	v_cndmask_b32_e64 v7, v5, v7, s25
	v_lshlrev_b32_e32 v7, 2, v7
	s_waitcnt lgkmcnt(0)
	v_add_f32_e32 v4, v4, v6
	ds_bpermute_b32 v6, v7, v4
	v_xor_b32_e32 v7, 4, v5
	v_cmp_gt_i32_e64 s25, 32, v7
	v_cndmask_b32_e64 v7, v5, v7, s25
	v_lshlrev_b32_e32 v7, 2, v7
	s_waitcnt lgkmcnt(0)
	v_add_f32_e32 v4, v4, v6
	ds_bpermute_b32 v6, v7, v4
	v_xor_b32_e32 v7, 2, v5
	v_cmp_gt_i32_e64 s25, 32, v7
	;; [unrolled: 7-line block ×3, first 2 shown]
	v_cndmask_b32_e64 v5, v5, v7, s25
	v_lshlrev_b32_e32 v5, 2, v5
	s_waitcnt lgkmcnt(0)
	v_add_f32_e32 v4, v4, v6
	ds_bpermute_b32 v5, v5, v4
	v_cmpx_lt_i32_e32 0, v26
	s_cbranch_execz .LBB853_82
; %bb.63:
	v_add_co_u32 v0, s25, s28, v0
	s_waitcnt lgkmcnt(0)
	v_add_f32_e32 v4, v4, v5
	v_add_co_ci_u32_e64 v1, null, s29, v1, s25
	s_and_saveexec_b32 s25, vcc_lo
	s_cbranch_execz .LBB853_67
; %bb.64:
	v_mov_b32_e32 v5, 0
	s_xor_b32 s26, s4, -1
	s_and_saveexec_b32 s4, s26
; %bb.65:
	v_fma_f32 v5, -v4, v23, v25
	v_bfe_u32 v6, v5, 16, 1
	v_cmp_o_f32_e32 vcc_lo, v5, v5
	v_add3_u32 v5, v5, v6, 0x7fff
	v_mov_b32_e32 v6, 0x7fc0
	v_cndmask_b32_sdwa v5, v6, v5, vcc_lo dst_sel:DWORD dst_unused:UNUSED_PAD src0_sel:DWORD src1_sel:WORD_1
; %bb.66:
	s_or_b32 exec_lo, exec_lo, s4
	global_store_short v[0:1], v5, off
.LBB853_67:
	s_or_b32 exec_lo, exec_lo, s25
	s_xor_b32 s28, s5, -1
	s_xor_b32 s27, s17, -1
	;; [unrolled: 1-line block ×9, first 2 shown]
	s_and_saveexec_b32 s20, s0
	s_cbranch_execnz .LBB853_83
; %bb.68:
	s_or_b32 exec_lo, exec_lo, s20
	s_and_saveexec_b32 s0, s1
	s_cbranch_execnz .LBB853_86
.LBB853_69:
	s_or_b32 exec_lo, exec_lo, s0
	s_and_saveexec_b32 s0, s2
	s_cbranch_execnz .LBB853_89
.LBB853_70:
	s_or_b32 exec_lo, exec_lo, s0
	s_and_saveexec_b32 s0, s3
	s_cbranch_execnz .LBB853_92
.LBB853_71:
	s_or_b32 exec_lo, exec_lo, s0
	s_and_saveexec_b32 s0, s6
	s_cbranch_execnz .LBB853_95
.LBB853_72:
	s_or_b32 exec_lo, exec_lo, s0
	s_and_saveexec_b32 s0, s7
	s_cbranch_execnz .LBB853_98
.LBB853_73:
	s_or_b32 exec_lo, exec_lo, s0
	s_and_saveexec_b32 s0, s8
	s_cbranch_execnz .LBB853_101
.LBB853_74:
	s_or_b32 exec_lo, exec_lo, s0
	s_and_saveexec_b32 s0, s9
	s_cbranch_execnz .LBB853_104
.LBB853_75:
	s_or_b32 exec_lo, exec_lo, s0
	s_and_saveexec_b32 s0, s10
	s_cbranch_execnz .LBB853_107
.LBB853_76:
	s_or_b32 exec_lo, exec_lo, s0
	s_and_saveexec_b32 s0, s11
	s_cbranch_execnz .LBB853_110
.LBB853_77:
	s_or_b32 exec_lo, exec_lo, s0
	s_and_saveexec_b32 s0, s12
	s_cbranch_execnz .LBB853_113
.LBB853_78:
	s_or_b32 exec_lo, exec_lo, s0
	s_and_saveexec_b32 s0, s13
	s_cbranch_execnz .LBB853_116
.LBB853_79:
	s_or_b32 exec_lo, exec_lo, s0
	s_and_saveexec_b32 s0, s14
	s_cbranch_execnz .LBB853_119
.LBB853_80:
	s_or_b32 exec_lo, exec_lo, s0
	s_and_saveexec_b32 s0, s15
	s_cbranch_execnz .LBB853_122
.LBB853_81:
	s_or_b32 exec_lo, exec_lo, s0
	s_and_b32 exec_lo, exec_lo, s16
	s_cbranch_execnz .LBB853_125
.LBB853_82:
	s_endpgm
.LBB853_83:
	global_load_ubyte v5, v[2:3], off offset:32
	s_waitcnt vmcnt(0)
	v_and_b32_e32 v5, 1, v5
	v_cmp_eq_u32_e32 vcc_lo, 1, v5
	v_mov_b32_e32 v5, 0
	s_xor_b32 s21, vcc_lo, -1
	s_and_saveexec_b32 s0, s21
; %bb.84:
	v_fma_f32 v5, -v4, v27, v24
	v_bfe_u32 v6, v5, 16, 1
	v_cmp_o_f32_e32 vcc_lo, v5, v5
	v_add3_u32 v5, v5, v6, 0x7fff
	v_mov_b32_e32 v6, 0x7fc0
	v_cndmask_b32_sdwa v5, v6, v5, vcc_lo dst_sel:DWORD dst_unused:UNUSED_PAD src0_sel:DWORD src1_sel:WORD_1
; %bb.85:
	s_or_b32 exec_lo, exec_lo, s0
	global_store_short v[0:1], v5, off offset:64
	s_or_b32 exec_lo, exec_lo, s20
	s_and_saveexec_b32 s0, s1
	s_cbranch_execz .LBB853_69
.LBB853_86:
	global_load_ubyte v5, v[2:3], off offset:64
	s_waitcnt vmcnt(0)
	v_and_b32_e32 v5, 1, v5
	v_cmp_eq_u32_e32 vcc_lo, 1, v5
	v_mov_b32_e32 v5, 0
	s_xor_b32 s20, vcc_lo, -1
	s_and_saveexec_b32 s1, s20
; %bb.87:
	v_fma_f32 v5, -v4, v28, v22
	v_bfe_u32 v6, v5, 16, 1
	v_cmp_o_f32_e32 vcc_lo, v5, v5
	v_add3_u32 v5, v5, v6, 0x7fff
	v_mov_b32_e32 v6, 0x7fc0
	v_cndmask_b32_sdwa v5, v6, v5, vcc_lo dst_sel:DWORD dst_unused:UNUSED_PAD src0_sel:DWORD src1_sel:WORD_1
; %bb.88:
	s_or_b32 exec_lo, exec_lo, s1
	global_store_short v[0:1], v5, off offset:128
	s_or_b32 exec_lo, exec_lo, s0
	s_and_saveexec_b32 s0, s2
	s_cbranch_execz .LBB853_70
.LBB853_89:
	global_load_ubyte v5, v[2:3], off offset:96
	s_waitcnt vmcnt(0)
	v_and_b32_e32 v5, 1, v5
	v_cmp_eq_u32_e32 vcc_lo, 1, v5
	v_mov_b32_e32 v5, 0
	s_xor_b32 s2, vcc_lo, -1
	s_and_saveexec_b32 s1, s2
; %bb.90:
	v_fma_f32 v5, -v4, v29, v21
	v_bfe_u32 v6, v5, 16, 1
	v_cmp_o_f32_e32 vcc_lo, v5, v5
	v_add3_u32 v5, v5, v6, 0x7fff
	v_mov_b32_e32 v6, 0x7fc0
	v_cndmask_b32_sdwa v5, v6, v5, vcc_lo dst_sel:DWORD dst_unused:UNUSED_PAD src0_sel:DWORD src1_sel:WORD_1
; %bb.91:
	s_or_b32 exec_lo, exec_lo, s1
	global_store_short v[0:1], v5, off offset:192
	s_or_b32 exec_lo, exec_lo, s0
	s_and_saveexec_b32 s0, s3
	s_cbranch_execz .LBB853_71
.LBB853_92:
	global_load_ubyte v5, v[2:3], off offset:128
	s_waitcnt vmcnt(0)
	v_and_b32_e32 v5, 1, v5
	v_cmp_eq_u32_e32 vcc_lo, 1, v5
	v_mov_b32_e32 v5, 0
	s_xor_b32 s2, vcc_lo, -1
	s_and_saveexec_b32 s1, s2
; %bb.93:
	v_fma_f32 v5, -v4, v30, v20
	v_bfe_u32 v6, v5, 16, 1
	v_cmp_o_f32_e32 vcc_lo, v5, v5
	v_add3_u32 v5, v5, v6, 0x7fff
	v_mov_b32_e32 v6, 0x7fc0
	v_cndmask_b32_sdwa v5, v6, v5, vcc_lo dst_sel:DWORD dst_unused:UNUSED_PAD src0_sel:DWORD src1_sel:WORD_1
; %bb.94:
	s_or_b32 exec_lo, exec_lo, s1
	global_store_short v[0:1], v5, off offset:256
	s_or_b32 exec_lo, exec_lo, s0
	s_and_saveexec_b32 s0, s6
	s_cbranch_execz .LBB853_72
.LBB853_95:
	global_load_ubyte v5, v[2:3], off offset:160
	s_waitcnt vmcnt(0)
	v_and_b32_e32 v5, 1, v5
	v_cmp_eq_u32_e32 vcc_lo, 1, v5
	v_mov_b32_e32 v5, 0
	s_xor_b32 s2, vcc_lo, -1
	s_and_saveexec_b32 s1, s2
; %bb.96:
	v_fma_f32 v5, -v4, v31, v19
	v_bfe_u32 v6, v5, 16, 1
	v_cmp_o_f32_e32 vcc_lo, v5, v5
	v_add3_u32 v5, v5, v6, 0x7fff
	v_mov_b32_e32 v6, 0x7fc0
	v_cndmask_b32_sdwa v5, v6, v5, vcc_lo dst_sel:DWORD dst_unused:UNUSED_PAD src0_sel:DWORD src1_sel:WORD_1
; %bb.97:
	s_or_b32 exec_lo, exec_lo, s1
	global_store_short v[0:1], v5, off offset:320
	s_or_b32 exec_lo, exec_lo, s0
	s_and_saveexec_b32 s0, s7
	s_cbranch_execz .LBB853_73
.LBB853_98:
	global_load_ubyte v2, v[2:3], off offset:192
	s_waitcnt vmcnt(0)
	v_and_b32_e32 v2, 1, v2
	v_cmp_eq_u32_e32 vcc_lo, 1, v2
	v_mov_b32_e32 v2, 0
	s_xor_b32 s2, vcc_lo, -1
	s_and_saveexec_b32 s1, s2
; %bb.99:
	v_fma_f32 v2, -v4, v32, v18
	v_bfe_u32 v3, v2, 16, 1
	v_cmp_o_f32_e32 vcc_lo, v2, v2
	v_add3_u32 v2, v2, v3, 0x7fff
	v_mov_b32_e32 v3, 0x7fc0
	v_cndmask_b32_sdwa v2, v3, v2, vcc_lo dst_sel:DWORD dst_unused:UNUSED_PAD src0_sel:DWORD src1_sel:WORD_1
; %bb.100:
	s_or_b32 exec_lo, exec_lo, s1
	global_store_short v[0:1], v2, off offset:384
	s_or_b32 exec_lo, exec_lo, s0
	s_and_saveexec_b32 s0, s8
	s_cbranch_execz .LBB853_74
.LBB853_101:
	v_mov_b32_e32 v2, 0
	s_and_saveexec_b32 s1, s28
; %bb.102:
	v_fma_f32 v2, -v4, v33, v17
	v_bfe_u32 v3, v2, 16, 1
	v_cmp_o_f32_e32 vcc_lo, v2, v2
	v_add3_u32 v2, v2, v3, 0x7fff
	v_mov_b32_e32 v3, 0x7fc0
	v_cndmask_b32_sdwa v2, v3, v2, vcc_lo dst_sel:DWORD dst_unused:UNUSED_PAD src0_sel:DWORD src1_sel:WORD_1
; %bb.103:
	s_or_b32 exec_lo, exec_lo, s1
	global_store_short v[0:1], v2, off offset:448
	s_or_b32 exec_lo, exec_lo, s0
	s_and_saveexec_b32 s0, s9
	s_cbranch_execz .LBB853_75
.LBB853_104:
	v_mov_b32_e32 v2, 0
	s_and_saveexec_b32 s1, s27
; %bb.105:
	v_fma_f32 v2, -v4, v34, v16
	v_bfe_u32 v3, v2, 16, 1
	v_cmp_o_f32_e32 vcc_lo, v2, v2
	v_add3_u32 v2, v2, v3, 0x7fff
	v_mov_b32_e32 v3, 0x7fc0
	v_cndmask_b32_sdwa v2, v3, v2, vcc_lo dst_sel:DWORD dst_unused:UNUSED_PAD src0_sel:DWORD src1_sel:WORD_1
; %bb.106:
	s_or_b32 exec_lo, exec_lo, s1
	global_store_short v[0:1], v2, off offset:512
	s_or_b32 exec_lo, exec_lo, s0
	s_and_saveexec_b32 s0, s10
	s_cbranch_execz .LBB853_76
.LBB853_107:
	v_mov_b32_e32 v2, 0
	s_and_saveexec_b32 s1, s26
; %bb.108:
	v_fma_f32 v2, -v4, v35, v15
	v_bfe_u32 v3, v2, 16, 1
	v_cmp_o_f32_e32 vcc_lo, v2, v2
	v_add3_u32 v2, v2, v3, 0x7fff
	v_mov_b32_e32 v3, 0x7fc0
	v_cndmask_b32_sdwa v2, v3, v2, vcc_lo dst_sel:DWORD dst_unused:UNUSED_PAD src0_sel:DWORD src1_sel:WORD_1
; %bb.109:
	s_or_b32 exec_lo, exec_lo, s1
	global_store_short v[0:1], v2, off offset:576
	s_or_b32 exec_lo, exec_lo, s0
	s_and_saveexec_b32 s0, s11
	s_cbranch_execz .LBB853_77
.LBB853_110:
	v_mov_b32_e32 v2, 0
	s_and_saveexec_b32 s1, s25
; %bb.111:
	v_fma_f32 v2, -v4, v36, v14
	v_bfe_u32 v3, v2, 16, 1
	v_cmp_o_f32_e32 vcc_lo, v2, v2
	v_add3_u32 v2, v2, v3, 0x7fff
	v_mov_b32_e32 v3, 0x7fc0
	v_cndmask_b32_sdwa v2, v3, v2, vcc_lo dst_sel:DWORD dst_unused:UNUSED_PAD src0_sel:DWORD src1_sel:WORD_1
; %bb.112:
	s_or_b32 exec_lo, exec_lo, s1
	global_store_short v[0:1], v2, off offset:640
	s_or_b32 exec_lo, exec_lo, s0
	s_and_saveexec_b32 s0, s12
	s_cbranch_execz .LBB853_78
.LBB853_113:
	v_mov_b32_e32 v2, 0
	s_and_saveexec_b32 s1, s19
; %bb.114:
	v_fma_f32 v2, -v4, v37, v13
	v_bfe_u32 v3, v2, 16, 1
	v_cmp_o_f32_e32 vcc_lo, v2, v2
	v_add3_u32 v2, v2, v3, 0x7fff
	v_mov_b32_e32 v3, 0x7fc0
	v_cndmask_b32_sdwa v2, v3, v2, vcc_lo dst_sel:DWORD dst_unused:UNUSED_PAD src0_sel:DWORD src1_sel:WORD_1
; %bb.115:
	s_or_b32 exec_lo, exec_lo, s1
	global_store_short v[0:1], v2, off offset:704
	s_or_b32 exec_lo, exec_lo, s0
	s_and_saveexec_b32 s0, s13
	s_cbranch_execz .LBB853_79
.LBB853_116:
	v_mov_b32_e32 v2, 0
	s_and_saveexec_b32 s1, s18
; %bb.117:
	v_fma_f32 v2, -v4, v38, v12
	v_bfe_u32 v3, v2, 16, 1
	v_cmp_o_f32_e32 vcc_lo, v2, v2
	v_add3_u32 v2, v2, v3, 0x7fff
	v_mov_b32_e32 v3, 0x7fc0
	v_cndmask_b32_sdwa v2, v3, v2, vcc_lo dst_sel:DWORD dst_unused:UNUSED_PAD src0_sel:DWORD src1_sel:WORD_1
; %bb.118:
	s_or_b32 exec_lo, exec_lo, s1
	global_store_short v[0:1], v2, off offset:768
	s_or_b32 exec_lo, exec_lo, s0
	s_and_saveexec_b32 s0, s14
	s_cbranch_execz .LBB853_80
.LBB853_119:
	v_mov_b32_e32 v2, 0
	s_and_saveexec_b32 s1, s17
; %bb.120:
	v_fma_f32 v2, -v4, v39, v11
	v_bfe_u32 v3, v2, 16, 1
	v_cmp_o_f32_e32 vcc_lo, v2, v2
	v_add3_u32 v2, v2, v3, 0x7fff
	v_mov_b32_e32 v3, 0x7fc0
	v_cndmask_b32_sdwa v2, v3, v2, vcc_lo dst_sel:DWORD dst_unused:UNUSED_PAD src0_sel:DWORD src1_sel:WORD_1
; %bb.121:
	s_or_b32 exec_lo, exec_lo, s1
	global_store_short v[0:1], v2, off offset:832
	s_or_b32 exec_lo, exec_lo, s0
	s_and_saveexec_b32 s0, s15
	s_cbranch_execz .LBB853_81
.LBB853_122:
	v_mov_b32_e32 v2, 0
	s_and_saveexec_b32 s1, s5
; %bb.123:
	v_fma_f32 v2, -v4, v40, v10
	v_bfe_u32 v3, v2, 16, 1
	v_cmp_o_f32_e32 vcc_lo, v2, v2
	v_add3_u32 v2, v2, v3, 0x7fff
	v_mov_b32_e32 v3, 0x7fc0
	v_cndmask_b32_sdwa v2, v3, v2, vcc_lo dst_sel:DWORD dst_unused:UNUSED_PAD src0_sel:DWORD src1_sel:WORD_1
; %bb.124:
	s_or_b32 exec_lo, exec_lo, s1
	global_store_short v[0:1], v2, off offset:896
	s_or_b32 exec_lo, exec_lo, s0
	s_and_b32 exec_lo, exec_lo, s16
	s_cbranch_execz .LBB853_82
.LBB853_125:
	v_mov_b32_e32 v2, 0
	s_and_saveexec_b32 s0, s4
; %bb.126:
	v_fma_f32 v2, -v4, v8, v9
	v_bfe_u32 v3, v2, 16, 1
	v_cmp_o_f32_e32 vcc_lo, v2, v2
	v_add3_u32 v2, v2, v3, 0x7fff
	v_mov_b32_e32 v3, 0x7fc0
	v_cndmask_b32_sdwa v2, v3, v2, vcc_lo dst_sel:DWORD dst_unused:UNUSED_PAD src0_sel:DWORD src1_sel:WORD_1
; %bb.127:
	s_or_b32 exec_lo, exec_lo, s0
	global_store_short v[0:1], v2, off offset:960
	s_endpgm
	.section	.rodata,"a",@progbits
	.p2align	6, 0x0
	.amdhsa_kernel _ZN12_GLOBAL__N_121softmax_warp_backwardIN3c108BFloat16ES2_fLi9ELb0ELb1ELi32EEEvPT0_PKT_S7_iiiPKb
		.amdhsa_group_segment_fixed_size 0
		.amdhsa_private_segment_fixed_size 0
		.amdhsa_kernarg_size 304
		.amdhsa_user_sgpr_count 6
		.amdhsa_user_sgpr_private_segment_buffer 1
		.amdhsa_user_sgpr_dispatch_ptr 0
		.amdhsa_user_sgpr_queue_ptr 0
		.amdhsa_user_sgpr_kernarg_segment_ptr 1
		.amdhsa_user_sgpr_dispatch_id 0
		.amdhsa_user_sgpr_flat_scratch_init 0
		.amdhsa_user_sgpr_private_segment_size 0
		.amdhsa_wavefront_size32 1
		.amdhsa_uses_dynamic_stack 0
		.amdhsa_system_sgpr_private_segment_wavefront_offset 0
		.amdhsa_system_sgpr_workgroup_id_x 1
		.amdhsa_system_sgpr_workgroup_id_y 0
		.amdhsa_system_sgpr_workgroup_id_z 0
		.amdhsa_system_sgpr_workgroup_info 0
		.amdhsa_system_vgpr_workitem_id 1
		.amdhsa_next_free_vgpr 54
		.amdhsa_next_free_sgpr 32
		.amdhsa_reserve_vcc 1
		.amdhsa_reserve_flat_scratch 0
		.amdhsa_float_round_mode_32 0
		.amdhsa_float_round_mode_16_64 0
		.amdhsa_float_denorm_mode_32 3
		.amdhsa_float_denorm_mode_16_64 3
		.amdhsa_dx10_clamp 1
		.amdhsa_ieee_mode 1
		.amdhsa_fp16_overflow 0
		.amdhsa_workgroup_processor_mode 1
		.amdhsa_memory_ordered 1
		.amdhsa_forward_progress 1
		.amdhsa_shared_vgpr_count 0
		.amdhsa_exception_fp_ieee_invalid_op 0
		.amdhsa_exception_fp_denorm_src 0
		.amdhsa_exception_fp_ieee_div_zero 0
		.amdhsa_exception_fp_ieee_overflow 0
		.amdhsa_exception_fp_ieee_underflow 0
		.amdhsa_exception_fp_ieee_inexact 0
		.amdhsa_exception_int_div_zero 0
	.end_amdhsa_kernel
	.section	.text._ZN12_GLOBAL__N_121softmax_warp_backwardIN3c108BFloat16ES2_fLi9ELb0ELb1ELi32EEEvPT0_PKT_S7_iiiPKb,"axG",@progbits,_ZN12_GLOBAL__N_121softmax_warp_backwardIN3c108BFloat16ES2_fLi9ELb0ELb1ELi32EEEvPT0_PKT_S7_iiiPKb,comdat
.Lfunc_end853:
	.size	_ZN12_GLOBAL__N_121softmax_warp_backwardIN3c108BFloat16ES2_fLi9ELb0ELb1ELi32EEEvPT0_PKT_S7_iiiPKb, .Lfunc_end853-_ZN12_GLOBAL__N_121softmax_warp_backwardIN3c108BFloat16ES2_fLi9ELb0ELb1ELi32EEEvPT0_PKT_S7_iiiPKb
                                        ; -- End function
	.set _ZN12_GLOBAL__N_121softmax_warp_backwardIN3c108BFloat16ES2_fLi9ELb0ELb1ELi32EEEvPT0_PKT_S7_iiiPKb.num_vgpr, 54
	.set _ZN12_GLOBAL__N_121softmax_warp_backwardIN3c108BFloat16ES2_fLi9ELb0ELb1ELi32EEEvPT0_PKT_S7_iiiPKb.num_agpr, 0
	.set _ZN12_GLOBAL__N_121softmax_warp_backwardIN3c108BFloat16ES2_fLi9ELb0ELb1ELi32EEEvPT0_PKT_S7_iiiPKb.numbered_sgpr, 32
	.set _ZN12_GLOBAL__N_121softmax_warp_backwardIN3c108BFloat16ES2_fLi9ELb0ELb1ELi32EEEvPT0_PKT_S7_iiiPKb.num_named_barrier, 0
	.set _ZN12_GLOBAL__N_121softmax_warp_backwardIN3c108BFloat16ES2_fLi9ELb0ELb1ELi32EEEvPT0_PKT_S7_iiiPKb.private_seg_size, 0
	.set _ZN12_GLOBAL__N_121softmax_warp_backwardIN3c108BFloat16ES2_fLi9ELb0ELb1ELi32EEEvPT0_PKT_S7_iiiPKb.uses_vcc, 1
	.set _ZN12_GLOBAL__N_121softmax_warp_backwardIN3c108BFloat16ES2_fLi9ELb0ELb1ELi32EEEvPT0_PKT_S7_iiiPKb.uses_flat_scratch, 0
	.set _ZN12_GLOBAL__N_121softmax_warp_backwardIN3c108BFloat16ES2_fLi9ELb0ELb1ELi32EEEvPT0_PKT_S7_iiiPKb.has_dyn_sized_stack, 0
	.set _ZN12_GLOBAL__N_121softmax_warp_backwardIN3c108BFloat16ES2_fLi9ELb0ELb1ELi32EEEvPT0_PKT_S7_iiiPKb.has_recursion, 0
	.set _ZN12_GLOBAL__N_121softmax_warp_backwardIN3c108BFloat16ES2_fLi9ELb0ELb1ELi32EEEvPT0_PKT_S7_iiiPKb.has_indirect_call, 0
	.section	.AMDGPU.csdata,"",@progbits
; Kernel info:
; codeLenInByte = 4036
; TotalNumSgprs: 34
; NumVgprs: 54
; ScratchSize: 0
; MemoryBound: 0
; FloatMode: 240
; IeeeMode: 1
; LDSByteSize: 0 bytes/workgroup (compile time only)
; SGPRBlocks: 0
; VGPRBlocks: 6
; NumSGPRsForWavesPerEU: 34
; NumVGPRsForWavesPerEU: 54
; Occupancy: 16
; WaveLimiterHint : 0
; COMPUTE_PGM_RSRC2:SCRATCH_EN: 0
; COMPUTE_PGM_RSRC2:USER_SGPR: 6
; COMPUTE_PGM_RSRC2:TRAP_HANDLER: 0
; COMPUTE_PGM_RSRC2:TGID_X_EN: 1
; COMPUTE_PGM_RSRC2:TGID_Y_EN: 0
; COMPUTE_PGM_RSRC2:TGID_Z_EN: 0
; COMPUTE_PGM_RSRC2:TIDIG_COMP_CNT: 1
	.section	.text._ZN12_GLOBAL__N_121softmax_warp_backwardIN3c108BFloat16ES2_fLi10ELb0ELb1ELi64EEEvPT0_PKT_S7_iiiPKb,"axG",@progbits,_ZN12_GLOBAL__N_121softmax_warp_backwardIN3c108BFloat16ES2_fLi10ELb0ELb1ELi64EEEvPT0_PKT_S7_iiiPKb,comdat
	.globl	_ZN12_GLOBAL__N_121softmax_warp_backwardIN3c108BFloat16ES2_fLi10ELb0ELb1ELi64EEEvPT0_PKT_S7_iiiPKb ; -- Begin function _ZN12_GLOBAL__N_121softmax_warp_backwardIN3c108BFloat16ES2_fLi10ELb0ELb1ELi64EEEvPT0_PKT_S7_iiiPKb
	.p2align	8
	.type	_ZN12_GLOBAL__N_121softmax_warp_backwardIN3c108BFloat16ES2_fLi10ELb0ELb1ELi64EEEvPT0_PKT_S7_iiiPKb,@function
_ZN12_GLOBAL__N_121softmax_warp_backwardIN3c108BFloat16ES2_fLi10ELb0ELb1ELi64EEEvPT0_PKT_S7_iiiPKb: ; @_ZN12_GLOBAL__N_121softmax_warp_backwardIN3c108BFloat16ES2_fLi10ELb0ELb1ELi64EEEvPT0_PKT_S7_iiiPKb
; %bb.0:
	s_clause 0x1
	s_load_dword s0, s[4:5], 0x3c
	s_load_dwordx4 s[16:19], s[4:5], 0x18
	v_and_b32_e32 v9, 63, v0
	s_clause 0x1
	s_load_dwordx4 s[24:27], s[4:5], 0x0
	s_load_dwordx2 s[2:3], s[4:5], 0x10
	v_mov_b32_e32 v24, 0
	v_mov_b32_e32 v25, 0
	s_waitcnt lgkmcnt(0)
	s_lshr_b32 s0, s0, 16
	v_cmp_gt_i32_e32 vcc_lo, s18, v9
	v_mad_u64_u32 v[1:2], null, s6, s0, v[1:2]
	v_mad_u64_u32 v[3:4], null, v1, s17, v[9:10]
	v_sub_nc_u32_e32 v26, s16, v1
	v_cmp_lt_i32_e64 s17, 0, v26
	v_ashrrev_i32_e32 v4, 31, v3
	s_and_b32 s1, s17, vcc_lo
	v_lshlrev_b64 v[1:2], 1, v[3:4]
	v_add_co_u32 v5, s0, s26, v1
	v_add_co_ci_u32_e64 v6, null, s27, v2, s0
	v_add_co_u32 v7, s0, s2, v1
	v_add_co_ci_u32_e64 v8, null, s3, v2, s0
	s_and_saveexec_b32 s0, s1
	s_cbranch_execz .LBB854_2
; %bb.1:
	global_load_ushort v10, v[5:6], off
	global_load_ushort v11, v[7:8], off
	s_waitcnt vmcnt(1)
	v_lshlrev_b32_e32 v25, 16, v10
	s_waitcnt vmcnt(0)
	v_lshlrev_b32_e32 v24, 16, v11
.LBB854_2:
	s_or_b32 exec_lo, exec_lo, s0
	v_or_b32_e32 v10, 64, v9
	v_cmp_gt_i32_e64 s0, s18, v10
	s_and_b32 s1, s17, s0
	s_xor_b32 s1, s1, -1
	s_and_saveexec_b32 s2, s1
	s_xor_b32 s1, exec_lo, s2
                                        ; implicit-def: $vgpr11
                                        ; implicit-def: $vgpr12
                                        ; implicit-def: $vgpr13
                                        ; implicit-def: $vgpr14
                                        ; implicit-def: $vgpr15
                                        ; implicit-def: $vgpr16
                                        ; implicit-def: $vgpr17
                                        ; implicit-def: $vgpr18
                                        ; implicit-def: $vgpr19
                                        ; implicit-def: $vgpr20
                                        ; implicit-def: $vgpr21
                                        ; implicit-def: $vgpr22
                                        ; implicit-def: $vgpr23
                                        ; implicit-def: $vgpr27
                                        ; implicit-def: $vgpr10
; %bb.3:
	s_mov_b32 s2, 0
                                        ; implicit-def: $vgpr11
                                        ; implicit-def: $vgpr12
                                        ; implicit-def: $vgpr13
                                        ; implicit-def: $vgpr14
                                        ; implicit-def: $vgpr15
                                        ; implicit-def: $vgpr16
                                        ; implicit-def: $vgpr17
                                        ; implicit-def: $vgpr18
                                        ; implicit-def: $vgpr19
                                        ; implicit-def: $vgpr20
                                        ; implicit-def: $vgpr21
                                        ; implicit-def: $vgpr22
                                        ; implicit-def: $vgpr23
                                        ; implicit-def: $vgpr10
	v_mov_b32_e32 v27, s2
; %bb.4:
	s_or_saveexec_b32 s1, s1
	v_mov_b32_e32 v28, 0
	s_xor_b32 exec_lo, exec_lo, s1
	s_cbranch_execz .LBB854_6
; %bb.5:
	global_load_ushort v27, v[5:6], off offset:128
	global_load_ushort v28, v[7:8], off offset:128
	s_waitcnt vmcnt(1)
	v_lshlrev_b32_e32 v27, 16, v27
	s_waitcnt vmcnt(0)
	v_lshlrev_b32_e32 v28, 16, v28
.LBB854_6:
	s_or_b32 exec_lo, exec_lo, s1
	v_or_b32_e32 v29, 0x80, v9
	v_cmp_gt_i32_e64 s1, s18, v29
	s_and_b32 s2, s17, s1
	s_xor_b32 s2, s2, -1
	s_and_saveexec_b32 s3, s2
	s_xor_b32 s2, exec_lo, s3
; %bb.7:
	s_mov_b32 s3, 0
	v_mov_b32_e32 v23, s3
; %bb.8:
	s_or_saveexec_b32 s2, s2
	v_mov_b32_e32 v29, 0
	s_xor_b32 exec_lo, exec_lo, s2
	s_cbranch_execz .LBB854_10
; %bb.9:
	global_load_ushort v23, v[5:6], off offset:256
	global_load_ushort v29, v[7:8], off offset:256
	s_waitcnt vmcnt(1)
	v_lshlrev_b32_e32 v23, 16, v23
	s_waitcnt vmcnt(0)
	v_lshlrev_b32_e32 v29, 16, v29
.LBB854_10:
	s_or_b32 exec_lo, exec_lo, s2
	v_or_b32_e32 v30, 0xc0, v9
	v_cmp_gt_i32_e64 s2, s18, v30
	s_and_b32 s3, s17, s2
	s_xor_b32 s3, s3, -1
	s_and_saveexec_b32 s6, s3
	s_xor_b32 s3, exec_lo, s6
; %bb.11:
	s_mov_b32 s6, 0
	;; [unrolled: 23-line block ×14, first 2 shown]
                                        ; implicit-def: $vgpr5_vgpr6
                                        ; implicit-def: $vgpr7_vgpr8
	v_mov_b32_e32 v10, s18
; %bb.60:
	s_or_saveexec_b32 s17, s17
	v_mov_b32_e32 v41, 0
	s_xor_b32 exec_lo, exec_lo, s17
	s_cbranch_execz .LBB854_62
; %bb.61:
	global_load_ushort v0, v[5:6], off offset:1920
	global_load_ushort v5, v[7:8], off offset:1920
	s_waitcnt vmcnt(1)
	v_lshlrev_b32_e32 v10, 16, v0
	s_waitcnt vmcnt(0)
	v_lshlrev_b32_e32 v41, 16, v5
.LBB854_62:
	s_or_b32 exec_lo, exec_lo, s17
	s_load_dwordx2 s[4:5], s[4:5], 0x28
	v_add_f32_e32 v53, 0, v25
	s_mov_b32 s26, exec_lo
	s_waitcnt lgkmcnt(0)
	v_add_co_u32 v3, s4, s4, v3
	v_add_co_ci_u32_e64 v4, null, s5, v4, s4
	s_clause 0xf
	global_load_ubyte v0, v[3:4], off
	global_load_ubyte v5, v[3:4], off offset:64
	global_load_ubyte v6, v[3:4], off offset:128
	;; [unrolled: 1-line block ×15, first 2 shown]
	s_waitcnt vmcnt(15)
	v_and_b32_e32 v0, 1, v0
	s_waitcnt vmcnt(14)
	v_and_b32_e32 v5, 1, v5
	v_cmp_eq_u32_e64 s4, 1, v0
	v_cmp_eq_u32_e64 s5, 1, v5
	s_waitcnt vmcnt(13)
	v_and_b32_e32 v5, 1, v6
	v_cndmask_b32_e64 v0, v53, 0, s4
	v_add_f32_e32 v53, v0, v27
	v_cndmask_b32_e64 v0, v53, v0, s5
	v_cmp_eq_u32_e64 s5, 1, v5
	s_waitcnt vmcnt(12)
	v_and_b32_e32 v5, 1, v7
	v_add_f32_e32 v6, v0, v23
	v_cndmask_b32_e64 v0, v6, v0, s5
	v_cmp_eq_u32_e64 s5, 1, v5
	s_waitcnt vmcnt(11)
	v_and_b32_e32 v5, 1, v8
	;; [unrolled: 5-line block ×8, first 2 shown]
	v_add_f32_e32 v6, v0, v16
	v_cmp_eq_u32_e64 s17, 1, v5
	s_waitcnt vmcnt(4)
	v_and_b32_e32 v5, 1, v48
	v_cndmask_b32_e64 v0, v6, v0, s5
	v_cmp_eq_u32_e64 s18, 1, v5
	s_waitcnt vmcnt(3)
	v_and_b32_e32 v5, 1, v49
	v_add_f32_e32 v6, v0, v15
	v_cmp_eq_u32_e64 s19, 1, v5
	v_cndmask_b32_e64 v0, v6, v0, s17
	s_waitcnt vmcnt(2)
	v_and_b32_e32 v5, 1, v50
	v_add_f32_e32 v6, v0, v14
	v_cmp_eq_u32_e64 s20, 1, v5
	v_mbcnt_lo_u32_b32 v5, -1, 0
	v_cndmask_b32_e64 v0, v6, v0, s18
	v_or_b32_e32 v8, 32, v5
	v_add_f32_e32 v6, v0, v13
	v_cmp_gt_i32_e64 s22, 64, v8
	v_cndmask_b32_e64 v0, v6, v0, s19
	v_add_f32_e32 v6, v0, v12
	v_cndmask_b32_e64 v0, v6, v0, s20
	s_waitcnt vmcnt(1)
	v_and_b32_e32 v6, 1, v51
	v_add_f32_e32 v7, v0, v11
	v_cmp_eq_u32_e64 s21, 1, v6
	v_cndmask_b32_e64 v6, v5, v8, s22
	v_cndmask_b32_e64 v0, v7, v0, s21
	s_waitcnt vmcnt(0)
	v_and_b32_e32 v7, 1, v52
	v_lshlrev_b32_e32 v6, 2, v6
	v_add_f32_e32 v8, v0, v10
	v_cmp_eq_u32_e64 s22, 1, v7
	v_xor_b32_e32 v7, 16, v5
	v_cndmask_b32_e64 v0, v8, v0, s22
	v_cmp_gt_i32_e64 s23, 64, v7
	ds_bpermute_b32 v6, v6, v0
	v_cndmask_b32_e64 v7, v5, v7, s23
	v_lshlrev_b32_e32 v7, 2, v7
	s_waitcnt lgkmcnt(0)
	v_add_f32_e32 v0, v0, v6
	ds_bpermute_b32 v6, v7, v0
	v_xor_b32_e32 v7, 8, v5
	v_cmp_gt_i32_e64 s23, 64, v7
	v_cndmask_b32_e64 v7, v5, v7, s23
	v_lshlrev_b32_e32 v7, 2, v7
	s_waitcnt lgkmcnt(0)
	v_add_f32_e32 v0, v0, v6
	ds_bpermute_b32 v6, v7, v0
	v_xor_b32_e32 v7, 4, v5
	v_cmp_gt_i32_e64 s23, 64, v7
	;; [unrolled: 7-line block ×4, first 2 shown]
	v_cndmask_b32_e64 v5, v5, v7, s23
	v_lshlrev_b32_e32 v5, 2, v5
	s_waitcnt lgkmcnt(0)
	v_add_f32_e32 v0, v0, v6
	ds_bpermute_b32 v5, v5, v0
	v_cmpx_lt_i32_e32 0, v26
	s_cbranch_execz .LBB854_82
; %bb.63:
	s_waitcnt lgkmcnt(0)
	v_add_f32_e32 v5, v0, v5
	v_add_co_u32 v0, s23, s24, v1
	v_add_co_ci_u32_e64 v1, null, s25, v2, s23
	s_and_saveexec_b32 s23, vcc_lo
	s_cbranch_execz .LBB854_67
; %bb.64:
	v_mov_b32_e32 v2, 0
	s_xor_b32 s24, s4, -1
	s_and_saveexec_b32 s4, s24
; %bb.65:
	v_fma_f32 v2, -v5, v24, v25
	v_bfe_u32 v6, v2, 16, 1
	v_cmp_o_f32_e32 vcc_lo, v2, v2
	v_add3_u32 v2, v2, v6, 0x7fff
	v_mov_b32_e32 v6, 0x7fc0
	v_cndmask_b32_sdwa v2, v6, v2, vcc_lo dst_sel:DWORD dst_unused:UNUSED_PAD src0_sel:DWORD src1_sel:WORD_1
; %bb.66:
	s_or_b32 exec_lo, exec_lo, s4
	global_store_short v[0:1], v2, off
.LBB854_67:
	s_or_b32 exec_lo, exec_lo, s23
	s_xor_b32 s25, s5, -1
	s_xor_b32 s24, s17, -1
	;; [unrolled: 1-line block ×7, first 2 shown]
	s_and_saveexec_b32 s19, s0
	s_cbranch_execnz .LBB854_83
; %bb.68:
	s_or_b32 exec_lo, exec_lo, s19
	s_and_saveexec_b32 s0, s1
	s_cbranch_execnz .LBB854_86
.LBB854_69:
	s_or_b32 exec_lo, exec_lo, s0
	s_and_saveexec_b32 s0, s2
	s_cbranch_execnz .LBB854_89
.LBB854_70:
	s_or_b32 exec_lo, exec_lo, s0
	s_and_saveexec_b32 s0, s3
	s_cbranch_execnz .LBB854_92
.LBB854_71:
	s_or_b32 exec_lo, exec_lo, s0
	s_and_saveexec_b32 s0, s6
	s_cbranch_execnz .LBB854_95
.LBB854_72:
	s_or_b32 exec_lo, exec_lo, s0
	s_and_saveexec_b32 s0, s7
	s_cbranch_execnz .LBB854_98
.LBB854_73:
	s_or_b32 exec_lo, exec_lo, s0
	s_and_saveexec_b32 s0, s8
	s_cbranch_execnz .LBB854_101
.LBB854_74:
	s_or_b32 exec_lo, exec_lo, s0
	s_and_saveexec_b32 s0, s9
	s_cbranch_execnz .LBB854_104
.LBB854_75:
	s_or_b32 exec_lo, exec_lo, s0
	s_and_saveexec_b32 s0, s10
	s_cbranch_execnz .LBB854_107
.LBB854_76:
	s_or_b32 exec_lo, exec_lo, s0
	s_and_saveexec_b32 s0, s11
	s_cbranch_execnz .LBB854_110
.LBB854_77:
	s_or_b32 exec_lo, exec_lo, s0
	s_and_saveexec_b32 s0, s12
	s_cbranch_execnz .LBB854_113
.LBB854_78:
	s_or_b32 exec_lo, exec_lo, s0
	s_and_saveexec_b32 s0, s13
	s_cbranch_execnz .LBB854_116
.LBB854_79:
	s_or_b32 exec_lo, exec_lo, s0
	s_and_saveexec_b32 s0, s14
	s_cbranch_execnz .LBB854_119
.LBB854_80:
	s_or_b32 exec_lo, exec_lo, s0
	s_and_saveexec_b32 s0, s15
	s_cbranch_execnz .LBB854_122
.LBB854_81:
	s_or_b32 exec_lo, exec_lo, s0
	s_and_b32 exec_lo, exec_lo, s16
	s_cbranch_execnz .LBB854_125
.LBB854_82:
	s_endpgm
.LBB854_83:
	global_load_ubyte v2, v[3:4], off offset:64
	s_waitcnt vmcnt(0)
	v_and_b32_e32 v2, 1, v2
	v_cmp_eq_u32_e32 vcc_lo, 1, v2
	v_mov_b32_e32 v2, 0
	s_xor_b32 s20, vcc_lo, -1
	s_and_saveexec_b32 s0, s20
; %bb.84:
	v_fma_f32 v2, -v5, v28, v27
	v_bfe_u32 v6, v2, 16, 1
	v_cmp_o_f32_e32 vcc_lo, v2, v2
	v_add3_u32 v2, v2, v6, 0x7fff
	v_mov_b32_e32 v6, 0x7fc0
	v_cndmask_b32_sdwa v2, v6, v2, vcc_lo dst_sel:DWORD dst_unused:UNUSED_PAD src0_sel:DWORD src1_sel:WORD_1
; %bb.85:
	s_or_b32 exec_lo, exec_lo, s0
	global_store_short v[0:1], v2, off offset:128
	s_or_b32 exec_lo, exec_lo, s19
	s_and_saveexec_b32 s0, s1
	s_cbranch_execz .LBB854_69
.LBB854_86:
	global_load_ubyte v2, v[3:4], off offset:128
	s_waitcnt vmcnt(0)
	v_and_b32_e32 v2, 1, v2
	v_cmp_eq_u32_e32 vcc_lo, 1, v2
	v_mov_b32_e32 v2, 0
	s_xor_b32 s19, vcc_lo, -1
	s_and_saveexec_b32 s1, s19
; %bb.87:
	v_fma_f32 v2, -v5, v29, v23
	v_bfe_u32 v6, v2, 16, 1
	v_cmp_o_f32_e32 vcc_lo, v2, v2
	v_add3_u32 v2, v2, v6, 0x7fff
	v_mov_b32_e32 v6, 0x7fc0
	v_cndmask_b32_sdwa v2, v6, v2, vcc_lo dst_sel:DWORD dst_unused:UNUSED_PAD src0_sel:DWORD src1_sel:WORD_1
; %bb.88:
	s_or_b32 exec_lo, exec_lo, s1
	global_store_short v[0:1], v2, off offset:256
	s_or_b32 exec_lo, exec_lo, s0
	s_and_saveexec_b32 s0, s2
	s_cbranch_execz .LBB854_70
.LBB854_89:
	global_load_ubyte v2, v[3:4], off offset:192
	s_waitcnt vmcnt(0)
	v_and_b32_e32 v2, 1, v2
	v_cmp_eq_u32_e32 vcc_lo, 1, v2
	v_mov_b32_e32 v2, 0
	s_xor_b32 s2, vcc_lo, -1
	s_and_saveexec_b32 s1, s2
; %bb.90:
	v_fma_f32 v2, -v5, v30, v22
	v_bfe_u32 v6, v2, 16, 1
	v_cmp_o_f32_e32 vcc_lo, v2, v2
	v_add3_u32 v2, v2, v6, 0x7fff
	v_mov_b32_e32 v6, 0x7fc0
	v_cndmask_b32_sdwa v2, v6, v2, vcc_lo dst_sel:DWORD dst_unused:UNUSED_PAD src0_sel:DWORD src1_sel:WORD_1
; %bb.91:
	s_or_b32 exec_lo, exec_lo, s1
	global_store_short v[0:1], v2, off offset:384
	s_or_b32 exec_lo, exec_lo, s0
	s_and_saveexec_b32 s0, s3
	s_cbranch_execz .LBB854_71
.LBB854_92:
	global_load_ubyte v2, v[3:4], off offset:256
	s_waitcnt vmcnt(0)
	v_and_b32_e32 v2, 1, v2
	v_cmp_eq_u32_e32 vcc_lo, 1, v2
	v_mov_b32_e32 v2, 0
	s_xor_b32 s2, vcc_lo, -1
	s_and_saveexec_b32 s1, s2
; %bb.93:
	v_fma_f32 v2, -v5, v31, v21
	v_bfe_u32 v6, v2, 16, 1
	v_cmp_o_f32_e32 vcc_lo, v2, v2
	v_add3_u32 v2, v2, v6, 0x7fff
	v_mov_b32_e32 v6, 0x7fc0
	v_cndmask_b32_sdwa v2, v6, v2, vcc_lo dst_sel:DWORD dst_unused:UNUSED_PAD src0_sel:DWORD src1_sel:WORD_1
; %bb.94:
	s_or_b32 exec_lo, exec_lo, s1
	global_store_short v[0:1], v2, off offset:512
	s_or_b32 exec_lo, exec_lo, s0
	s_and_saveexec_b32 s0, s6
	s_cbranch_execz .LBB854_72
.LBB854_95:
	global_load_ubyte v2, v[3:4], off offset:320
	s_waitcnt vmcnt(0)
	v_and_b32_e32 v2, 1, v2
	v_cmp_eq_u32_e32 vcc_lo, 1, v2
	v_mov_b32_e32 v2, 0
	s_xor_b32 s2, vcc_lo, -1
	s_and_saveexec_b32 s1, s2
; %bb.96:
	v_fma_f32 v2, -v5, v32, v20
	v_bfe_u32 v6, v2, 16, 1
	v_cmp_o_f32_e32 vcc_lo, v2, v2
	v_add3_u32 v2, v2, v6, 0x7fff
	v_mov_b32_e32 v6, 0x7fc0
	v_cndmask_b32_sdwa v2, v6, v2, vcc_lo dst_sel:DWORD dst_unused:UNUSED_PAD src0_sel:DWORD src1_sel:WORD_1
; %bb.97:
	s_or_b32 exec_lo, exec_lo, s1
	global_store_short v[0:1], v2, off offset:640
	s_or_b32 exec_lo, exec_lo, s0
	s_and_saveexec_b32 s0, s7
	s_cbranch_execz .LBB854_73
.LBB854_98:
	global_load_ubyte v2, v[3:4], off offset:384
	s_waitcnt vmcnt(0)
	v_and_b32_e32 v2, 1, v2
	v_cmp_eq_u32_e32 vcc_lo, 1, v2
	v_mov_b32_e32 v2, 0
	s_xor_b32 s2, vcc_lo, -1
	s_and_saveexec_b32 s1, s2
; %bb.99:
	v_fma_f32 v2, -v5, v33, v19
	v_bfe_u32 v6, v2, 16, 1
	v_cmp_o_f32_e32 vcc_lo, v2, v2
	v_add3_u32 v2, v2, v6, 0x7fff
	v_mov_b32_e32 v6, 0x7fc0
	v_cndmask_b32_sdwa v2, v6, v2, vcc_lo dst_sel:DWORD dst_unused:UNUSED_PAD src0_sel:DWORD src1_sel:WORD_1
; %bb.100:
	s_or_b32 exec_lo, exec_lo, s1
	global_store_short v[0:1], v2, off offset:768
	s_or_b32 exec_lo, exec_lo, s0
	s_and_saveexec_b32 s0, s8
	s_cbranch_execz .LBB854_74
.LBB854_101:
	global_load_ubyte v2, v[3:4], off offset:448
	s_waitcnt vmcnt(0)
	v_and_b32_e32 v2, 1, v2
	v_cmp_eq_u32_e32 vcc_lo, 1, v2
	v_mov_b32_e32 v2, 0
	s_xor_b32 s2, vcc_lo, -1
	s_and_saveexec_b32 s1, s2
; %bb.102:
	v_fma_f32 v2, -v5, v34, v18
	v_bfe_u32 v6, v2, 16, 1
	v_cmp_o_f32_e32 vcc_lo, v2, v2
	v_add3_u32 v2, v2, v6, 0x7fff
	v_mov_b32_e32 v6, 0x7fc0
	v_cndmask_b32_sdwa v2, v6, v2, vcc_lo dst_sel:DWORD dst_unused:UNUSED_PAD src0_sel:DWORD src1_sel:WORD_1
; %bb.103:
	s_or_b32 exec_lo, exec_lo, s1
	global_store_short v[0:1], v2, off offset:896
	s_or_b32 exec_lo, exec_lo, s0
	s_and_saveexec_b32 s0, s9
	s_cbranch_execz .LBB854_75
.LBB854_104:
	global_load_ubyte v2, v[3:4], off offset:512
	s_waitcnt vmcnt(0)
	v_and_b32_e32 v2, 1, v2
	v_cmp_eq_u32_e32 vcc_lo, 1, v2
	v_mov_b32_e32 v2, 0
	s_xor_b32 s2, vcc_lo, -1
	s_and_saveexec_b32 s1, s2
; %bb.105:
	v_fma_f32 v2, -v5, v35, v17
	v_bfe_u32 v3, v2, 16, 1
	v_cmp_o_f32_e32 vcc_lo, v2, v2
	v_add3_u32 v2, v2, v3, 0x7fff
	v_mov_b32_e32 v3, 0x7fc0
	v_cndmask_b32_sdwa v2, v3, v2, vcc_lo dst_sel:DWORD dst_unused:UNUSED_PAD src0_sel:DWORD src1_sel:WORD_1
; %bb.106:
	s_or_b32 exec_lo, exec_lo, s1
	global_store_short v[0:1], v2, off offset:1024
	s_or_b32 exec_lo, exec_lo, s0
	s_and_saveexec_b32 s0, s10
	s_cbranch_execz .LBB854_76
.LBB854_107:
	v_mov_b32_e32 v2, 0
	s_and_saveexec_b32 s1, s25
; %bb.108:
	v_fma_f32 v2, -v5, v36, v16
	v_bfe_u32 v3, v2, 16, 1
	v_cmp_o_f32_e32 vcc_lo, v2, v2
	v_add3_u32 v2, v2, v3, 0x7fff
	v_mov_b32_e32 v3, 0x7fc0
	v_cndmask_b32_sdwa v2, v3, v2, vcc_lo dst_sel:DWORD dst_unused:UNUSED_PAD src0_sel:DWORD src1_sel:WORD_1
; %bb.109:
	s_or_b32 exec_lo, exec_lo, s1
	global_store_short v[0:1], v2, off offset:1152
	s_or_b32 exec_lo, exec_lo, s0
	s_and_saveexec_b32 s0, s11
	s_cbranch_execz .LBB854_77
.LBB854_110:
	v_mov_b32_e32 v2, 0
	s_and_saveexec_b32 s1, s24
; %bb.111:
	v_fma_f32 v2, -v5, v37, v15
	v_bfe_u32 v3, v2, 16, 1
	v_cmp_o_f32_e32 vcc_lo, v2, v2
	v_add3_u32 v2, v2, v3, 0x7fff
	v_mov_b32_e32 v3, 0x7fc0
	v_cndmask_b32_sdwa v2, v3, v2, vcc_lo dst_sel:DWORD dst_unused:UNUSED_PAD src0_sel:DWORD src1_sel:WORD_1
; %bb.112:
	s_or_b32 exec_lo, exec_lo, s1
	global_store_short v[0:1], v2, off offset:1280
	s_or_b32 exec_lo, exec_lo, s0
	s_and_saveexec_b32 s0, s12
	s_cbranch_execz .LBB854_78
.LBB854_113:
	v_mov_b32_e32 v2, 0
	s_and_saveexec_b32 s1, s23
; %bb.114:
	v_fma_f32 v2, -v5, v38, v14
	v_bfe_u32 v3, v2, 16, 1
	v_cmp_o_f32_e32 vcc_lo, v2, v2
	v_add3_u32 v2, v2, v3, 0x7fff
	v_mov_b32_e32 v3, 0x7fc0
	v_cndmask_b32_sdwa v2, v3, v2, vcc_lo dst_sel:DWORD dst_unused:UNUSED_PAD src0_sel:DWORD src1_sel:WORD_1
; %bb.115:
	s_or_b32 exec_lo, exec_lo, s1
	global_store_short v[0:1], v2, off offset:1408
	s_or_b32 exec_lo, exec_lo, s0
	s_and_saveexec_b32 s0, s13
	s_cbranch_execz .LBB854_79
.LBB854_116:
	v_mov_b32_e32 v2, 0
	s_and_saveexec_b32 s1, s18
; %bb.117:
	v_fma_f32 v2, -v5, v39, v13
	v_bfe_u32 v3, v2, 16, 1
	v_cmp_o_f32_e32 vcc_lo, v2, v2
	v_add3_u32 v2, v2, v3, 0x7fff
	v_mov_b32_e32 v3, 0x7fc0
	v_cndmask_b32_sdwa v2, v3, v2, vcc_lo dst_sel:DWORD dst_unused:UNUSED_PAD src0_sel:DWORD src1_sel:WORD_1
; %bb.118:
	s_or_b32 exec_lo, exec_lo, s1
	global_store_short v[0:1], v2, off offset:1536
	s_or_b32 exec_lo, exec_lo, s0
	s_and_saveexec_b32 s0, s14
	s_cbranch_execz .LBB854_80
.LBB854_119:
	v_mov_b32_e32 v2, 0
	s_and_saveexec_b32 s1, s17
; %bb.120:
	v_fma_f32 v2, -v5, v40, v12
	v_bfe_u32 v3, v2, 16, 1
	v_cmp_o_f32_e32 vcc_lo, v2, v2
	v_add3_u32 v2, v2, v3, 0x7fff
	v_mov_b32_e32 v3, 0x7fc0
	v_cndmask_b32_sdwa v2, v3, v2, vcc_lo dst_sel:DWORD dst_unused:UNUSED_PAD src0_sel:DWORD src1_sel:WORD_1
; %bb.121:
	s_or_b32 exec_lo, exec_lo, s1
	global_store_short v[0:1], v2, off offset:1664
	s_or_b32 exec_lo, exec_lo, s0
	s_and_saveexec_b32 s0, s15
	s_cbranch_execz .LBB854_81
.LBB854_122:
	v_mov_b32_e32 v2, 0
	s_and_saveexec_b32 s1, s5
; %bb.123:
	v_fma_f32 v2, -v5, v9, v11
	v_bfe_u32 v3, v2, 16, 1
	v_cmp_o_f32_e32 vcc_lo, v2, v2
	v_add3_u32 v2, v2, v3, 0x7fff
	v_mov_b32_e32 v3, 0x7fc0
	v_cndmask_b32_sdwa v2, v3, v2, vcc_lo dst_sel:DWORD dst_unused:UNUSED_PAD src0_sel:DWORD src1_sel:WORD_1
; %bb.124:
	s_or_b32 exec_lo, exec_lo, s1
	global_store_short v[0:1], v2, off offset:1792
	s_or_b32 exec_lo, exec_lo, s0
	s_and_b32 exec_lo, exec_lo, s16
	s_cbranch_execz .LBB854_82
.LBB854_125:
	v_mov_b32_e32 v2, 0
	s_and_saveexec_b32 s0, s4
; %bb.126:
	v_fma_f32 v2, -v5, v41, v10
	v_bfe_u32 v3, v2, 16, 1
	v_cmp_o_f32_e32 vcc_lo, v2, v2
	v_add3_u32 v2, v2, v3, 0x7fff
	v_mov_b32_e32 v3, 0x7fc0
	v_cndmask_b32_sdwa v2, v3, v2, vcc_lo dst_sel:DWORD dst_unused:UNUSED_PAD src0_sel:DWORD src1_sel:WORD_1
; %bb.127:
	s_or_b32 exec_lo, exec_lo, s0
	global_store_short v[0:1], v2, off offset:1920
	s_endpgm
	.section	.rodata,"a",@progbits
	.p2align	6, 0x0
	.amdhsa_kernel _ZN12_GLOBAL__N_121softmax_warp_backwardIN3c108BFloat16ES2_fLi10ELb0ELb1ELi64EEEvPT0_PKT_S7_iiiPKb
		.amdhsa_group_segment_fixed_size 0
		.amdhsa_private_segment_fixed_size 0
		.amdhsa_kernarg_size 304
		.amdhsa_user_sgpr_count 6
		.amdhsa_user_sgpr_private_segment_buffer 1
		.amdhsa_user_sgpr_dispatch_ptr 0
		.amdhsa_user_sgpr_queue_ptr 0
		.amdhsa_user_sgpr_kernarg_segment_ptr 1
		.amdhsa_user_sgpr_dispatch_id 0
		.amdhsa_user_sgpr_flat_scratch_init 0
		.amdhsa_user_sgpr_private_segment_size 0
		.amdhsa_wavefront_size32 1
		.amdhsa_uses_dynamic_stack 0
		.amdhsa_system_sgpr_private_segment_wavefront_offset 0
		.amdhsa_system_sgpr_workgroup_id_x 1
		.amdhsa_system_sgpr_workgroup_id_y 0
		.amdhsa_system_sgpr_workgroup_id_z 0
		.amdhsa_system_sgpr_workgroup_info 0
		.amdhsa_system_vgpr_workitem_id 1
		.amdhsa_next_free_vgpr 54
		.amdhsa_next_free_sgpr 28
		.amdhsa_reserve_vcc 1
		.amdhsa_reserve_flat_scratch 0
		.amdhsa_float_round_mode_32 0
		.amdhsa_float_round_mode_16_64 0
		.amdhsa_float_denorm_mode_32 3
		.amdhsa_float_denorm_mode_16_64 3
		.amdhsa_dx10_clamp 1
		.amdhsa_ieee_mode 1
		.amdhsa_fp16_overflow 0
		.amdhsa_workgroup_processor_mode 1
		.amdhsa_memory_ordered 1
		.amdhsa_forward_progress 1
		.amdhsa_shared_vgpr_count 0
		.amdhsa_exception_fp_ieee_invalid_op 0
		.amdhsa_exception_fp_denorm_src 0
		.amdhsa_exception_fp_ieee_div_zero 0
		.amdhsa_exception_fp_ieee_overflow 0
		.amdhsa_exception_fp_ieee_underflow 0
		.amdhsa_exception_fp_ieee_inexact 0
		.amdhsa_exception_int_div_zero 0
	.end_amdhsa_kernel
	.section	.text._ZN12_GLOBAL__N_121softmax_warp_backwardIN3c108BFloat16ES2_fLi10ELb0ELb1ELi64EEEvPT0_PKT_S7_iiiPKb,"axG",@progbits,_ZN12_GLOBAL__N_121softmax_warp_backwardIN3c108BFloat16ES2_fLi10ELb0ELb1ELi64EEEvPT0_PKT_S7_iiiPKb,comdat
.Lfunc_end854:
	.size	_ZN12_GLOBAL__N_121softmax_warp_backwardIN3c108BFloat16ES2_fLi10ELb0ELb1ELi64EEEvPT0_PKT_S7_iiiPKb, .Lfunc_end854-_ZN12_GLOBAL__N_121softmax_warp_backwardIN3c108BFloat16ES2_fLi10ELb0ELb1ELi64EEEvPT0_PKT_S7_iiiPKb
                                        ; -- End function
	.set _ZN12_GLOBAL__N_121softmax_warp_backwardIN3c108BFloat16ES2_fLi10ELb0ELb1ELi64EEEvPT0_PKT_S7_iiiPKb.num_vgpr, 54
	.set _ZN12_GLOBAL__N_121softmax_warp_backwardIN3c108BFloat16ES2_fLi10ELb0ELb1ELi64EEEvPT0_PKT_S7_iiiPKb.num_agpr, 0
	.set _ZN12_GLOBAL__N_121softmax_warp_backwardIN3c108BFloat16ES2_fLi10ELb0ELb1ELi64EEEvPT0_PKT_S7_iiiPKb.numbered_sgpr, 28
	.set _ZN12_GLOBAL__N_121softmax_warp_backwardIN3c108BFloat16ES2_fLi10ELb0ELb1ELi64EEEvPT0_PKT_S7_iiiPKb.num_named_barrier, 0
	.set _ZN12_GLOBAL__N_121softmax_warp_backwardIN3c108BFloat16ES2_fLi10ELb0ELb1ELi64EEEvPT0_PKT_S7_iiiPKb.private_seg_size, 0
	.set _ZN12_GLOBAL__N_121softmax_warp_backwardIN3c108BFloat16ES2_fLi10ELb0ELb1ELi64EEEvPT0_PKT_S7_iiiPKb.uses_vcc, 1
	.set _ZN12_GLOBAL__N_121softmax_warp_backwardIN3c108BFloat16ES2_fLi10ELb0ELb1ELi64EEEvPT0_PKT_S7_iiiPKb.uses_flat_scratch, 0
	.set _ZN12_GLOBAL__N_121softmax_warp_backwardIN3c108BFloat16ES2_fLi10ELb0ELb1ELi64EEEvPT0_PKT_S7_iiiPKb.has_dyn_sized_stack, 0
	.set _ZN12_GLOBAL__N_121softmax_warp_backwardIN3c108BFloat16ES2_fLi10ELb0ELb1ELi64EEEvPT0_PKT_S7_iiiPKb.has_recursion, 0
	.set _ZN12_GLOBAL__N_121softmax_warp_backwardIN3c108BFloat16ES2_fLi10ELb0ELb1ELi64EEEvPT0_PKT_S7_iiiPKb.has_indirect_call, 0
	.section	.AMDGPU.csdata,"",@progbits
; Kernel info:
; codeLenInByte = 4120
; TotalNumSgprs: 30
; NumVgprs: 54
; ScratchSize: 0
; MemoryBound: 0
; FloatMode: 240
; IeeeMode: 1
; LDSByteSize: 0 bytes/workgroup (compile time only)
; SGPRBlocks: 0
; VGPRBlocks: 6
; NumSGPRsForWavesPerEU: 30
; NumVGPRsForWavesPerEU: 54
; Occupancy: 16
; WaveLimiterHint : 0
; COMPUTE_PGM_RSRC2:SCRATCH_EN: 0
; COMPUTE_PGM_RSRC2:USER_SGPR: 6
; COMPUTE_PGM_RSRC2:TRAP_HANDLER: 0
; COMPUTE_PGM_RSRC2:TGID_X_EN: 1
; COMPUTE_PGM_RSRC2:TGID_Y_EN: 0
; COMPUTE_PGM_RSRC2:TGID_Z_EN: 0
; COMPUTE_PGM_RSRC2:TIDIG_COMP_CNT: 1
	.section	.text._ZN12_GLOBAL__N_121softmax_warp_backwardIN3c108BFloat16ES2_fLi10ELb0ELb1ELi32EEEvPT0_PKT_S7_iiiPKb,"axG",@progbits,_ZN12_GLOBAL__N_121softmax_warp_backwardIN3c108BFloat16ES2_fLi10ELb0ELb1ELi32EEEvPT0_PKT_S7_iiiPKb,comdat
	.globl	_ZN12_GLOBAL__N_121softmax_warp_backwardIN3c108BFloat16ES2_fLi10ELb0ELb1ELi32EEEvPT0_PKT_S7_iiiPKb ; -- Begin function _ZN12_GLOBAL__N_121softmax_warp_backwardIN3c108BFloat16ES2_fLi10ELb0ELb1ELi32EEEvPT0_PKT_S7_iiiPKb
	.p2align	8
	.type	_ZN12_GLOBAL__N_121softmax_warp_backwardIN3c108BFloat16ES2_fLi10ELb0ELb1ELi32EEEvPT0_PKT_S7_iiiPKb,@function
_ZN12_GLOBAL__N_121softmax_warp_backwardIN3c108BFloat16ES2_fLi10ELb0ELb1ELi32EEEvPT0_PKT_S7_iiiPKb: ; @_ZN12_GLOBAL__N_121softmax_warp_backwardIN3c108BFloat16ES2_fLi10ELb0ELb1ELi32EEEvPT0_PKT_S7_iiiPKb
; %bb.0:
	s_clause 0x1
	s_load_dword s0, s[4:5], 0x3c
	s_load_dwordx4 s[36:39], s[4:5], 0x18
	v_and_b32_e32 v9, 31, v0
	s_clause 0x1
	s_load_dwordx4 s[44:47], s[4:5], 0x0
	s_load_dwordx2 s[2:3], s[4:5], 0x10
	v_mov_b32_e32 v39, 0
	v_mov_b32_e32 v40, 0
	s_waitcnt lgkmcnt(0)
	s_lshr_b32 s0, s0, 16
	v_cmp_gt_i32_e32 vcc_lo, s38, v9
	v_mad_u64_u32 v[1:2], null, s6, s0, v[1:2]
	v_mad_u64_u32 v[3:4], null, v1, s37, v[9:10]
	v_sub_nc_u32_e32 v41, s36, v1
	v_cmp_lt_i32_e64 s34, 0, v41
	v_ashrrev_i32_e32 v4, 31, v3
	s_and_b32 s1, s34, vcc_lo
	v_lshlrev_b64 v[1:2], 1, v[3:4]
	v_add_co_u32 v5, s0, s46, v1
	v_add_co_ci_u32_e64 v6, null, s47, v2, s0
	v_add_co_u32 v7, s0, s2, v1
	v_add_co_ci_u32_e64 v8, null, s3, v2, s0
	s_and_saveexec_b32 s0, s1
	s_cbranch_execz .LBB855_2
; %bb.1:
	global_load_ushort v10, v[5:6], off
	global_load_ushort v11, v[7:8], off
	s_waitcnt vmcnt(1)
	v_lshlrev_b32_e32 v40, 16, v10
	s_waitcnt vmcnt(0)
	v_lshlrev_b32_e32 v39, 16, v11
.LBB855_2:
	s_or_b32 exec_lo, exec_lo, s0
	v_or_b32_e32 v10, 32, v9
	v_cmp_gt_i32_e64 s0, s38, v10
	s_and_b32 s1, s34, s0
	s_xor_b32 s1, s1, -1
	s_mov_b32 s2, exec_lo
	s_and_b32 s3, s2, s1
                                        ; implicit-def: $vgpr10
                                        ; implicit-def: $vgpr12
                                        ; implicit-def: $vgpr13
                                        ; implicit-def: $vgpr14
                                        ; implicit-def: $vgpr15
                                        ; implicit-def: $vgpr16
                                        ; implicit-def: $vgpr17
                                        ; implicit-def: $vgpr18
                                        ; implicit-def: $vgpr19
                                        ; implicit-def: $vgpr20
                                        ; implicit-def: $vgpr21
                                        ; implicit-def: $vgpr22
                                        ; implicit-def: $vgpr23
                                        ; implicit-def: $vgpr24
                                        ; implicit-def: $vgpr25
                                        ; implicit-def: $vgpr26
                                        ; implicit-def: $vgpr27
                                        ; implicit-def: $vgpr28
                                        ; implicit-def: $vgpr29
                                        ; implicit-def: $vgpr30
                                        ; implicit-def: $vgpr31
                                        ; implicit-def: $vgpr32
                                        ; implicit-def: $vgpr33
                                        ; implicit-def: $vgpr34
                                        ; implicit-def: $vgpr35
                                        ; implicit-def: $vgpr36
                                        ; implicit-def: $vgpr37
                                        ; implicit-def: $vgpr38
                                        ; implicit-def: $vgpr42
                                        ; implicit-def: $vgpr43
                                        ; implicit-def: $vgpr11
	s_xor_b32 s1, s3, s2
	s_mov_b32 exec_lo, s3
; %bb.3:
	s_mov_b32 s2, 0
                                        ; implicit-def: $vgpr10
                                        ; implicit-def: $vgpr12
                                        ; implicit-def: $vgpr13
                                        ; implicit-def: $vgpr14
                                        ; implicit-def: $vgpr15
                                        ; implicit-def: $vgpr16
                                        ; implicit-def: $vgpr17
                                        ; implicit-def: $vgpr18
                                        ; implicit-def: $vgpr19
                                        ; implicit-def: $vgpr20
                                        ; implicit-def: $vgpr21
                                        ; implicit-def: $vgpr22
                                        ; implicit-def: $vgpr23
                                        ; implicit-def: $vgpr24
                                        ; implicit-def: $vgpr25
                                        ; implicit-def: $vgpr26
                                        ; implicit-def: $vgpr27
                                        ; implicit-def: $vgpr28
                                        ; implicit-def: $vgpr29
                                        ; implicit-def: $vgpr30
                                        ; implicit-def: $vgpr31
                                        ; implicit-def: $vgpr32
                                        ; implicit-def: $vgpr33
                                        ; implicit-def: $vgpr34
                                        ; implicit-def: $vgpr35
                                        ; implicit-def: $vgpr36
                                        ; implicit-def: $vgpr37
                                        ; implicit-def: $vgpr38
                                        ; implicit-def: $vgpr42
                                        ; implicit-def: $vgpr11
	v_mov_b32_e32 v43, s2
; %bb.4:
	s_or_saveexec_b32 s1, s1
	v_mov_b32_e32 v44, 0
	s_xor_b32 exec_lo, exec_lo, s1
	s_cbranch_execz .LBB855_6
; %bb.5:
	global_load_ushort v43, v[5:6], off offset:64
	global_load_ushort v44, v[7:8], off offset:64
	s_waitcnt vmcnt(1)
	v_lshlrev_b32_e32 v43, 16, v43
	s_waitcnt vmcnt(0)
	v_lshlrev_b32_e32 v44, 16, v44
.LBB855_6:
	s_or_b32 exec_lo, exec_lo, s1
	v_or_b32_e32 v45, 64, v9
	v_cmp_gt_i32_e64 s1, s38, v45
	s_and_b32 s2, s34, s1
	s_xor_b32 s2, s2, -1
	s_and_saveexec_b32 s3, s2
	s_xor_b32 s2, exec_lo, s3
; %bb.7:
	s_mov_b32 s3, 0
	v_mov_b32_e32 v42, s3
; %bb.8:
	s_or_saveexec_b32 s2, s2
	v_mov_b32_e32 v45, 0
	s_xor_b32 exec_lo, exec_lo, s2
	s_cbranch_execz .LBB855_10
; %bb.9:
	global_load_ushort v42, v[5:6], off offset:128
	global_load_ushort v45, v[7:8], off offset:128
	s_waitcnt vmcnt(1)
	v_lshlrev_b32_e32 v42, 16, v42
	s_waitcnt vmcnt(0)
	v_lshlrev_b32_e32 v45, 16, v45
.LBB855_10:
	s_or_b32 exec_lo, exec_lo, s2
	v_or_b32_e32 v46, 0x60, v9
	v_cmp_gt_i32_e64 s2, s38, v46
	s_and_b32 s3, s34, s2
	s_xor_b32 s3, s3, -1
	s_and_saveexec_b32 s6, s3
	s_xor_b32 s3, exec_lo, s6
; %bb.11:
	s_mov_b32 s6, 0
	;; [unrolled: 23-line block ×30, first 2 shown]
                                        ; implicit-def: $vgpr5_vgpr6
                                        ; implicit-def: $vgpr7_vgpr8
	v_mov_b32_e32 v11, s35
; %bb.124:
	s_or_saveexec_b32 s34, s34
	v_mov_b32_e32 v73, 0
	s_xor_b32 exec_lo, exec_lo, s34
	s_cbranch_execz .LBB855_126
; %bb.125:
	global_load_ushort v0, v[5:6], off offset:1984
	global_load_ushort v5, v[7:8], off offset:1984
	s_waitcnt vmcnt(1)
	v_lshlrev_b32_e32 v11, 16, v0
	s_waitcnt vmcnt(0)
	v_lshlrev_b32_e32 v73, 16, v5
.LBB855_126:
	s_or_b32 exec_lo, exec_lo, s34
	s_load_dwordx2 s[4:5], s[4:5], 0x28
	s_mov_b32 s43, exec_lo
	s_waitcnt lgkmcnt(0)
	v_add_co_u32 v3, s4, s4, v3
	v_add_co_ci_u32_e64 v4, null, s5, v4, s4
	s_clause 0x1
	global_load_ubyte v0, v[3:4], off
	global_load_ubyte v5, v[3:4], off offset:32
	s_waitcnt vmcnt(1)
	v_and_b32_e32 v0, 1, v0
	s_waitcnt vmcnt(0)
	v_and_b32_e32 v5, 1, v5
	v_cmp_eq_u32_e64 s4, 1, v0
	v_add_f32_e32 v0, 0, v40
	v_cmp_eq_u32_e64 s5, 1, v5
	v_cndmask_b32_e64 v0, v0, 0, s4
	v_add_f32_e32 v5, v0, v43
	v_cndmask_b32_e64 v0, v5, v0, s5
	global_load_ubyte v5, v[3:4], off offset:64
	s_waitcnt vmcnt(0)
	v_and_b32_e32 v5, 1, v5
	v_cmp_eq_u32_e64 s5, 1, v5
	v_add_f32_e32 v5, v0, v42
	v_cndmask_b32_e64 v0, v5, v0, s5
	global_load_ubyte v5, v[3:4], off offset:96
	s_waitcnt vmcnt(0)
	v_and_b32_e32 v5, 1, v5
	v_cmp_eq_u32_e64 s5, 1, v5
	;; [unrolled: 6-line block ×30, first 2 shown]
	v_add_f32_e32 v5, v0, v11
	v_cndmask_b32_e64 v0, v5, v0, s41
	v_mbcnt_lo_u32_b32 v5, -1, 0
	v_xor_b32_e32 v6, 16, v5
	v_cmp_gt_i32_e64 s42, 32, v6
	v_cndmask_b32_e64 v6, v5, v6, s42
	v_lshlrev_b32_e32 v6, 2, v6
	ds_bpermute_b32 v6, v6, v0
	s_waitcnt lgkmcnt(0)
	v_add_f32_e32 v0, v0, v6
	v_xor_b32_e32 v6, 8, v5
	v_cmp_gt_i32_e64 s42, 32, v6
	v_cndmask_b32_e64 v6, v5, v6, s42
	v_lshlrev_b32_e32 v6, 2, v6
	ds_bpermute_b32 v6, v6, v0
	s_waitcnt lgkmcnt(0)
	v_add_f32_e32 v0, v0, v6
	;; [unrolled: 7-line block ×4, first 2 shown]
	v_xor_b32_e32 v6, 1, v5
	v_cmp_gt_i32_e64 s42, 32, v6
	v_cndmask_b32_e64 v5, v5, v6, s42
	v_lshlrev_b32_e32 v5, 2, v5
	ds_bpermute_b32 v5, v5, v0
	v_cmpx_lt_i32_e32 0, v41
	s_cbranch_execz .LBB855_162
; %bb.127:
	s_waitcnt lgkmcnt(0)
	v_add_f32_e32 v5, v0, v5
	v_add_co_u32 v0, s42, s44, v1
	v_add_co_ci_u32_e64 v1, null, s45, v2, s42
	s_and_saveexec_b32 s42, vcc_lo
	s_cbranch_execz .LBB855_131
; %bb.128:
	v_mov_b32_e32 v2, 0
	s_xor_b32 s43, s4, -1
	s_and_saveexec_b32 s4, s43
; %bb.129:
	v_fma_f32 v2, -v5, v39, v40
	v_bfe_u32 v6, v2, 16, 1
	v_cmp_o_f32_e32 vcc_lo, v2, v2
	v_add3_u32 v2, v2, v6, 0x7fff
	v_mov_b32_e32 v6, 0x7fc0
	v_cndmask_b32_sdwa v2, v6, v2, vcc_lo dst_sel:DWORD dst_unused:UNUSED_PAD src0_sel:DWORD src1_sel:WORD_1
; %bb.130:
	s_or_b32 exec_lo, exec_lo, s4
	global_store_short v[0:1], v2, off
.LBB855_131:
	s_or_b32 exec_lo, exec_lo, s42
	s_xor_b32 s45, s5, -1
	s_xor_b32 s44, s34, -1
	;; [unrolled: 1-line block ×9, first 2 shown]
	s_and_saveexec_b32 s37, s0
	s_cbranch_execnz .LBB855_163
; %bb.132:
	s_or_b32 exec_lo, exec_lo, s37
	s_and_saveexec_b32 s0, s1
	s_cbranch_execnz .LBB855_166
.LBB855_133:
	s_or_b32 exec_lo, exec_lo, s0
	s_and_saveexec_b32 s0, s2
	s_cbranch_execnz .LBB855_169
.LBB855_134:
	s_or_b32 exec_lo, exec_lo, s0
	s_and_saveexec_b32 s0, s3
	s_cbranch_execnz .LBB855_172
.LBB855_135:
	s_or_b32 exec_lo, exec_lo, s0
	s_and_saveexec_b32 s0, s6
	s_cbranch_execnz .LBB855_175
.LBB855_136:
	s_or_b32 exec_lo, exec_lo, s0
	s_and_saveexec_b32 s0, s7
	s_cbranch_execnz .LBB855_178
.LBB855_137:
	s_or_b32 exec_lo, exec_lo, s0
	s_and_saveexec_b32 s0, s8
	s_cbranch_execnz .LBB855_181
.LBB855_138:
	s_or_b32 exec_lo, exec_lo, s0
	s_and_saveexec_b32 s0, s9
	s_cbranch_execnz .LBB855_184
.LBB855_139:
	s_or_b32 exec_lo, exec_lo, s0
	s_and_saveexec_b32 s0, s10
	s_cbranch_execnz .LBB855_187
.LBB855_140:
	s_or_b32 exec_lo, exec_lo, s0
	s_and_saveexec_b32 s0, s11
	s_cbranch_execnz .LBB855_190
.LBB855_141:
	s_or_b32 exec_lo, exec_lo, s0
	s_and_saveexec_b32 s0, s12
	s_cbranch_execnz .LBB855_193
.LBB855_142:
	s_or_b32 exec_lo, exec_lo, s0
	s_and_saveexec_b32 s0, s13
	s_cbranch_execnz .LBB855_196
.LBB855_143:
	s_or_b32 exec_lo, exec_lo, s0
	s_and_saveexec_b32 s0, s14
	s_cbranch_execnz .LBB855_199
.LBB855_144:
	s_or_b32 exec_lo, exec_lo, s0
	s_and_saveexec_b32 s0, s15
	s_cbranch_execnz .LBB855_202
.LBB855_145:
	s_or_b32 exec_lo, exec_lo, s0
	s_and_saveexec_b32 s0, s16
	s_cbranch_execnz .LBB855_205
.LBB855_146:
	s_or_b32 exec_lo, exec_lo, s0
	s_and_saveexec_b32 s0, s17
	s_cbranch_execnz .LBB855_208
.LBB855_147:
	s_or_b32 exec_lo, exec_lo, s0
	s_and_saveexec_b32 s0, s18
	s_cbranch_execnz .LBB855_211
.LBB855_148:
	s_or_b32 exec_lo, exec_lo, s0
	s_and_saveexec_b32 s0, s19
	s_cbranch_execnz .LBB855_214
.LBB855_149:
	s_or_b32 exec_lo, exec_lo, s0
	s_and_saveexec_b32 s0, s20
	s_cbranch_execnz .LBB855_217
.LBB855_150:
	s_or_b32 exec_lo, exec_lo, s0
	s_and_saveexec_b32 s0, s21
	s_cbranch_execnz .LBB855_220
.LBB855_151:
	s_or_b32 exec_lo, exec_lo, s0
	s_and_saveexec_b32 s0, s22
	s_cbranch_execnz .LBB855_223
.LBB855_152:
	s_or_b32 exec_lo, exec_lo, s0
	s_and_saveexec_b32 s0, s23
	s_cbranch_execnz .LBB855_226
.LBB855_153:
	s_or_b32 exec_lo, exec_lo, s0
	s_and_saveexec_b32 s0, s24
	s_cbranch_execnz .LBB855_229
.LBB855_154:
	s_or_b32 exec_lo, exec_lo, s0
	s_and_saveexec_b32 s0, s25
	s_cbranch_execnz .LBB855_232
.LBB855_155:
	s_or_b32 exec_lo, exec_lo, s0
	s_and_saveexec_b32 s0, s26
	s_cbranch_execnz .LBB855_235
.LBB855_156:
	s_or_b32 exec_lo, exec_lo, s0
	s_and_saveexec_b32 s0, s27
	s_cbranch_execnz .LBB855_238
.LBB855_157:
	s_or_b32 exec_lo, exec_lo, s0
	s_and_saveexec_b32 s0, s28
	s_cbranch_execnz .LBB855_241
.LBB855_158:
	s_or_b32 exec_lo, exec_lo, s0
	s_and_saveexec_b32 s0, s29
	s_cbranch_execnz .LBB855_244
.LBB855_159:
	s_or_b32 exec_lo, exec_lo, s0
	s_and_saveexec_b32 s0, s30
	s_cbranch_execnz .LBB855_247
.LBB855_160:
	s_or_b32 exec_lo, exec_lo, s0
	s_and_saveexec_b32 s0, s31
	s_cbranch_execnz .LBB855_250
.LBB855_161:
	s_or_b32 exec_lo, exec_lo, s0
	s_and_b32 exec_lo, exec_lo, s33
	s_cbranch_execnz .LBB855_253
.LBB855_162:
	s_endpgm
.LBB855_163:
	global_load_ubyte v2, v[3:4], off offset:32
	s_waitcnt vmcnt(0)
	v_and_b32_e32 v2, 1, v2
	v_cmp_eq_u32_e32 vcc_lo, 1, v2
	v_mov_b32_e32 v2, 0
	s_xor_b32 s38, vcc_lo, -1
	s_and_saveexec_b32 s0, s38
; %bb.164:
	v_fma_f32 v2, -v5, v44, v43
	v_bfe_u32 v6, v2, 16, 1
	v_cmp_o_f32_e32 vcc_lo, v2, v2
	v_add3_u32 v2, v2, v6, 0x7fff
	v_mov_b32_e32 v6, 0x7fc0
	v_cndmask_b32_sdwa v2, v6, v2, vcc_lo dst_sel:DWORD dst_unused:UNUSED_PAD src0_sel:DWORD src1_sel:WORD_1
; %bb.165:
	s_or_b32 exec_lo, exec_lo, s0
	global_store_short v[0:1], v2, off offset:64
	s_or_b32 exec_lo, exec_lo, s37
	s_and_saveexec_b32 s0, s1
	s_cbranch_execz .LBB855_133
.LBB855_166:
	global_load_ubyte v2, v[3:4], off offset:64
	s_waitcnt vmcnt(0)
	v_and_b32_e32 v2, 1, v2
	v_cmp_eq_u32_e32 vcc_lo, 1, v2
	v_mov_b32_e32 v2, 0
	s_xor_b32 s37, vcc_lo, -1
	s_and_saveexec_b32 s1, s37
; %bb.167:
	v_fma_f32 v2, -v5, v45, v42
	v_bfe_u32 v6, v2, 16, 1
	v_cmp_o_f32_e32 vcc_lo, v2, v2
	v_add3_u32 v2, v2, v6, 0x7fff
	v_mov_b32_e32 v6, 0x7fc0
	v_cndmask_b32_sdwa v2, v6, v2, vcc_lo dst_sel:DWORD dst_unused:UNUSED_PAD src0_sel:DWORD src1_sel:WORD_1
; %bb.168:
	s_or_b32 exec_lo, exec_lo, s1
	global_store_short v[0:1], v2, off offset:128
	s_or_b32 exec_lo, exec_lo, s0
	s_and_saveexec_b32 s0, s2
	s_cbranch_execz .LBB855_134
.LBB855_169:
	global_load_ubyte v2, v[3:4], off offset:96
	s_waitcnt vmcnt(0)
	v_and_b32_e32 v2, 1, v2
	v_cmp_eq_u32_e32 vcc_lo, 1, v2
	v_mov_b32_e32 v2, 0
	s_xor_b32 s2, vcc_lo, -1
	s_and_saveexec_b32 s1, s2
; %bb.170:
	v_fma_f32 v2, -v5, v46, v38
	v_bfe_u32 v6, v2, 16, 1
	v_cmp_o_f32_e32 vcc_lo, v2, v2
	v_add3_u32 v2, v2, v6, 0x7fff
	v_mov_b32_e32 v6, 0x7fc0
	v_cndmask_b32_sdwa v2, v6, v2, vcc_lo dst_sel:DWORD dst_unused:UNUSED_PAD src0_sel:DWORD src1_sel:WORD_1
; %bb.171:
	s_or_b32 exec_lo, exec_lo, s1
	global_store_short v[0:1], v2, off offset:192
	s_or_b32 exec_lo, exec_lo, s0
	s_and_saveexec_b32 s0, s3
	s_cbranch_execz .LBB855_135
.LBB855_172:
	global_load_ubyte v2, v[3:4], off offset:128
	s_waitcnt vmcnt(0)
	v_and_b32_e32 v2, 1, v2
	v_cmp_eq_u32_e32 vcc_lo, 1, v2
	v_mov_b32_e32 v2, 0
	s_xor_b32 s2, vcc_lo, -1
	s_and_saveexec_b32 s1, s2
; %bb.173:
	v_fma_f32 v2, -v5, v47, v37
	v_bfe_u32 v6, v2, 16, 1
	v_cmp_o_f32_e32 vcc_lo, v2, v2
	v_add3_u32 v2, v2, v6, 0x7fff
	v_mov_b32_e32 v6, 0x7fc0
	v_cndmask_b32_sdwa v2, v6, v2, vcc_lo dst_sel:DWORD dst_unused:UNUSED_PAD src0_sel:DWORD src1_sel:WORD_1
; %bb.174:
	s_or_b32 exec_lo, exec_lo, s1
	global_store_short v[0:1], v2, off offset:256
	s_or_b32 exec_lo, exec_lo, s0
	s_and_saveexec_b32 s0, s6
	s_cbranch_execz .LBB855_136
.LBB855_175:
	global_load_ubyte v2, v[3:4], off offset:160
	s_waitcnt vmcnt(0)
	v_and_b32_e32 v2, 1, v2
	v_cmp_eq_u32_e32 vcc_lo, 1, v2
	v_mov_b32_e32 v2, 0
	s_xor_b32 s2, vcc_lo, -1
	s_and_saveexec_b32 s1, s2
; %bb.176:
	v_fma_f32 v2, -v5, v48, v36
	v_bfe_u32 v6, v2, 16, 1
	v_cmp_o_f32_e32 vcc_lo, v2, v2
	v_add3_u32 v2, v2, v6, 0x7fff
	v_mov_b32_e32 v6, 0x7fc0
	v_cndmask_b32_sdwa v2, v6, v2, vcc_lo dst_sel:DWORD dst_unused:UNUSED_PAD src0_sel:DWORD src1_sel:WORD_1
; %bb.177:
	s_or_b32 exec_lo, exec_lo, s1
	global_store_short v[0:1], v2, off offset:320
	s_or_b32 exec_lo, exec_lo, s0
	s_and_saveexec_b32 s0, s7
	s_cbranch_execz .LBB855_137
.LBB855_178:
	global_load_ubyte v2, v[3:4], off offset:192
	s_waitcnt vmcnt(0)
	v_and_b32_e32 v2, 1, v2
	v_cmp_eq_u32_e32 vcc_lo, 1, v2
	v_mov_b32_e32 v2, 0
	s_xor_b32 s2, vcc_lo, -1
	s_and_saveexec_b32 s1, s2
; %bb.179:
	v_fma_f32 v2, -v5, v49, v35
	v_bfe_u32 v6, v2, 16, 1
	v_cmp_o_f32_e32 vcc_lo, v2, v2
	v_add3_u32 v2, v2, v6, 0x7fff
	v_mov_b32_e32 v6, 0x7fc0
	v_cndmask_b32_sdwa v2, v6, v2, vcc_lo dst_sel:DWORD dst_unused:UNUSED_PAD src0_sel:DWORD src1_sel:WORD_1
; %bb.180:
	s_or_b32 exec_lo, exec_lo, s1
	global_store_short v[0:1], v2, off offset:384
	s_or_b32 exec_lo, exec_lo, s0
	s_and_saveexec_b32 s0, s8
	s_cbranch_execz .LBB855_138
.LBB855_181:
	global_load_ubyte v2, v[3:4], off offset:224
	s_waitcnt vmcnt(0)
	v_and_b32_e32 v2, 1, v2
	v_cmp_eq_u32_e32 vcc_lo, 1, v2
	v_mov_b32_e32 v2, 0
	s_xor_b32 s2, vcc_lo, -1
	s_and_saveexec_b32 s1, s2
; %bb.182:
	v_fma_f32 v2, -v5, v50, v34
	v_bfe_u32 v6, v2, 16, 1
	v_cmp_o_f32_e32 vcc_lo, v2, v2
	v_add3_u32 v2, v2, v6, 0x7fff
	v_mov_b32_e32 v6, 0x7fc0
	v_cndmask_b32_sdwa v2, v6, v2, vcc_lo dst_sel:DWORD dst_unused:UNUSED_PAD src0_sel:DWORD src1_sel:WORD_1
; %bb.183:
	s_or_b32 exec_lo, exec_lo, s1
	global_store_short v[0:1], v2, off offset:448
	s_or_b32 exec_lo, exec_lo, s0
	s_and_saveexec_b32 s0, s9
	s_cbranch_execz .LBB855_139
.LBB855_184:
	global_load_ubyte v2, v[3:4], off offset:256
	s_waitcnt vmcnt(0)
	v_and_b32_e32 v2, 1, v2
	v_cmp_eq_u32_e32 vcc_lo, 1, v2
	v_mov_b32_e32 v2, 0
	s_xor_b32 s2, vcc_lo, -1
	s_and_saveexec_b32 s1, s2
; %bb.185:
	v_fma_f32 v2, -v5, v51, v33
	v_bfe_u32 v6, v2, 16, 1
	v_cmp_o_f32_e32 vcc_lo, v2, v2
	v_add3_u32 v2, v2, v6, 0x7fff
	v_mov_b32_e32 v6, 0x7fc0
	v_cndmask_b32_sdwa v2, v6, v2, vcc_lo dst_sel:DWORD dst_unused:UNUSED_PAD src0_sel:DWORD src1_sel:WORD_1
; %bb.186:
	s_or_b32 exec_lo, exec_lo, s1
	global_store_short v[0:1], v2, off offset:512
	s_or_b32 exec_lo, exec_lo, s0
	s_and_saveexec_b32 s0, s10
	s_cbranch_execz .LBB855_140
.LBB855_187:
	global_load_ubyte v2, v[3:4], off offset:288
	s_waitcnt vmcnt(0)
	v_and_b32_e32 v2, 1, v2
	v_cmp_eq_u32_e32 vcc_lo, 1, v2
	v_mov_b32_e32 v2, 0
	s_xor_b32 s2, vcc_lo, -1
	s_and_saveexec_b32 s1, s2
; %bb.188:
	v_fma_f32 v2, -v5, v52, v32
	v_bfe_u32 v6, v2, 16, 1
	v_cmp_o_f32_e32 vcc_lo, v2, v2
	v_add3_u32 v2, v2, v6, 0x7fff
	v_mov_b32_e32 v6, 0x7fc0
	v_cndmask_b32_sdwa v2, v6, v2, vcc_lo dst_sel:DWORD dst_unused:UNUSED_PAD src0_sel:DWORD src1_sel:WORD_1
; %bb.189:
	s_or_b32 exec_lo, exec_lo, s1
	global_store_short v[0:1], v2, off offset:576
	s_or_b32 exec_lo, exec_lo, s0
	s_and_saveexec_b32 s0, s11
	s_cbranch_execz .LBB855_141
.LBB855_190:
	global_load_ubyte v2, v[3:4], off offset:320
	s_waitcnt vmcnt(0)
	v_and_b32_e32 v2, 1, v2
	v_cmp_eq_u32_e32 vcc_lo, 1, v2
	v_mov_b32_e32 v2, 0
	s_xor_b32 s2, vcc_lo, -1
	s_and_saveexec_b32 s1, s2
; %bb.191:
	v_fma_f32 v2, -v5, v53, v31
	v_bfe_u32 v6, v2, 16, 1
	v_cmp_o_f32_e32 vcc_lo, v2, v2
	v_add3_u32 v2, v2, v6, 0x7fff
	v_mov_b32_e32 v6, 0x7fc0
	v_cndmask_b32_sdwa v2, v6, v2, vcc_lo dst_sel:DWORD dst_unused:UNUSED_PAD src0_sel:DWORD src1_sel:WORD_1
; %bb.192:
	s_or_b32 exec_lo, exec_lo, s1
	global_store_short v[0:1], v2, off offset:640
	s_or_b32 exec_lo, exec_lo, s0
	s_and_saveexec_b32 s0, s12
	s_cbranch_execz .LBB855_142
.LBB855_193:
	global_load_ubyte v2, v[3:4], off offset:352
	s_waitcnt vmcnt(0)
	v_and_b32_e32 v2, 1, v2
	v_cmp_eq_u32_e32 vcc_lo, 1, v2
	v_mov_b32_e32 v2, 0
	s_xor_b32 s2, vcc_lo, -1
	s_and_saveexec_b32 s1, s2
; %bb.194:
	v_fma_f32 v2, -v5, v54, v30
	v_bfe_u32 v6, v2, 16, 1
	v_cmp_o_f32_e32 vcc_lo, v2, v2
	v_add3_u32 v2, v2, v6, 0x7fff
	v_mov_b32_e32 v6, 0x7fc0
	v_cndmask_b32_sdwa v2, v6, v2, vcc_lo dst_sel:DWORD dst_unused:UNUSED_PAD src0_sel:DWORD src1_sel:WORD_1
; %bb.195:
	s_or_b32 exec_lo, exec_lo, s1
	global_store_short v[0:1], v2, off offset:704
	s_or_b32 exec_lo, exec_lo, s0
	s_and_saveexec_b32 s0, s13
	s_cbranch_execz .LBB855_143
.LBB855_196:
	global_load_ubyte v2, v[3:4], off offset:384
	s_waitcnt vmcnt(0)
	v_and_b32_e32 v2, 1, v2
	v_cmp_eq_u32_e32 vcc_lo, 1, v2
	v_mov_b32_e32 v2, 0
	s_xor_b32 s2, vcc_lo, -1
	s_and_saveexec_b32 s1, s2
; %bb.197:
	v_fma_f32 v2, -v5, v55, v29
	v_bfe_u32 v6, v2, 16, 1
	v_cmp_o_f32_e32 vcc_lo, v2, v2
	v_add3_u32 v2, v2, v6, 0x7fff
	v_mov_b32_e32 v6, 0x7fc0
	v_cndmask_b32_sdwa v2, v6, v2, vcc_lo dst_sel:DWORD dst_unused:UNUSED_PAD src0_sel:DWORD src1_sel:WORD_1
; %bb.198:
	s_or_b32 exec_lo, exec_lo, s1
	global_store_short v[0:1], v2, off offset:768
	s_or_b32 exec_lo, exec_lo, s0
	s_and_saveexec_b32 s0, s14
	s_cbranch_execz .LBB855_144
.LBB855_199:
	global_load_ubyte v2, v[3:4], off offset:416
	s_waitcnt vmcnt(0)
	v_and_b32_e32 v2, 1, v2
	v_cmp_eq_u32_e32 vcc_lo, 1, v2
	v_mov_b32_e32 v2, 0
	s_xor_b32 s2, vcc_lo, -1
	s_and_saveexec_b32 s1, s2
; %bb.200:
	v_fma_f32 v2, -v5, v56, v28
	v_bfe_u32 v6, v2, 16, 1
	v_cmp_o_f32_e32 vcc_lo, v2, v2
	v_add3_u32 v2, v2, v6, 0x7fff
	v_mov_b32_e32 v6, 0x7fc0
	v_cndmask_b32_sdwa v2, v6, v2, vcc_lo dst_sel:DWORD dst_unused:UNUSED_PAD src0_sel:DWORD src1_sel:WORD_1
; %bb.201:
	s_or_b32 exec_lo, exec_lo, s1
	global_store_short v[0:1], v2, off offset:832
	s_or_b32 exec_lo, exec_lo, s0
	s_and_saveexec_b32 s0, s15
	s_cbranch_execz .LBB855_145
.LBB855_202:
	global_load_ubyte v2, v[3:4], off offset:448
	s_waitcnt vmcnt(0)
	v_and_b32_e32 v2, 1, v2
	v_cmp_eq_u32_e32 vcc_lo, 1, v2
	v_mov_b32_e32 v2, 0
	s_xor_b32 s2, vcc_lo, -1
	s_and_saveexec_b32 s1, s2
; %bb.203:
	v_fma_f32 v2, -v5, v57, v27
	v_bfe_u32 v6, v2, 16, 1
	v_cmp_o_f32_e32 vcc_lo, v2, v2
	v_add3_u32 v2, v2, v6, 0x7fff
	v_mov_b32_e32 v6, 0x7fc0
	v_cndmask_b32_sdwa v2, v6, v2, vcc_lo dst_sel:DWORD dst_unused:UNUSED_PAD src0_sel:DWORD src1_sel:WORD_1
; %bb.204:
	s_or_b32 exec_lo, exec_lo, s1
	global_store_short v[0:1], v2, off offset:896
	s_or_b32 exec_lo, exec_lo, s0
	s_and_saveexec_b32 s0, s16
	s_cbranch_execz .LBB855_146
.LBB855_205:
	global_load_ubyte v2, v[3:4], off offset:480
	s_waitcnt vmcnt(0)
	v_and_b32_e32 v2, 1, v2
	v_cmp_eq_u32_e32 vcc_lo, 1, v2
	v_mov_b32_e32 v2, 0
	s_xor_b32 s2, vcc_lo, -1
	s_and_saveexec_b32 s1, s2
; %bb.206:
	v_fma_f32 v2, -v5, v58, v26
	v_bfe_u32 v6, v2, 16, 1
	v_cmp_o_f32_e32 vcc_lo, v2, v2
	v_add3_u32 v2, v2, v6, 0x7fff
	v_mov_b32_e32 v6, 0x7fc0
	v_cndmask_b32_sdwa v2, v6, v2, vcc_lo dst_sel:DWORD dst_unused:UNUSED_PAD src0_sel:DWORD src1_sel:WORD_1
; %bb.207:
	s_or_b32 exec_lo, exec_lo, s1
	global_store_short v[0:1], v2, off offset:960
	s_or_b32 exec_lo, exec_lo, s0
	s_and_saveexec_b32 s0, s17
	s_cbranch_execz .LBB855_147
.LBB855_208:
	global_load_ubyte v2, v[3:4], off offset:512
	s_waitcnt vmcnt(0)
	v_and_b32_e32 v2, 1, v2
	v_cmp_eq_u32_e32 vcc_lo, 1, v2
	v_mov_b32_e32 v2, 0
	s_xor_b32 s2, vcc_lo, -1
	s_and_saveexec_b32 s1, s2
; %bb.209:
	v_fma_f32 v2, -v5, v59, v25
	v_bfe_u32 v6, v2, 16, 1
	v_cmp_o_f32_e32 vcc_lo, v2, v2
	v_add3_u32 v2, v2, v6, 0x7fff
	v_mov_b32_e32 v6, 0x7fc0
	v_cndmask_b32_sdwa v2, v6, v2, vcc_lo dst_sel:DWORD dst_unused:UNUSED_PAD src0_sel:DWORD src1_sel:WORD_1
; %bb.210:
	s_or_b32 exec_lo, exec_lo, s1
	global_store_short v[0:1], v2, off offset:1024
	s_or_b32 exec_lo, exec_lo, s0
	s_and_saveexec_b32 s0, s18
	s_cbranch_execz .LBB855_148
.LBB855_211:
	global_load_ubyte v2, v[3:4], off offset:544
	s_waitcnt vmcnt(0)
	v_and_b32_e32 v2, 1, v2
	v_cmp_eq_u32_e32 vcc_lo, 1, v2
	v_mov_b32_e32 v2, 0
	s_xor_b32 s2, vcc_lo, -1
	s_and_saveexec_b32 s1, s2
; %bb.212:
	v_fma_f32 v2, -v5, v60, v24
	v_bfe_u32 v6, v2, 16, 1
	v_cmp_o_f32_e32 vcc_lo, v2, v2
	v_add3_u32 v2, v2, v6, 0x7fff
	v_mov_b32_e32 v6, 0x7fc0
	v_cndmask_b32_sdwa v2, v6, v2, vcc_lo dst_sel:DWORD dst_unused:UNUSED_PAD src0_sel:DWORD src1_sel:WORD_1
; %bb.213:
	s_or_b32 exec_lo, exec_lo, s1
	global_store_short v[0:1], v2, off offset:1088
	s_or_b32 exec_lo, exec_lo, s0
	s_and_saveexec_b32 s0, s19
	s_cbranch_execz .LBB855_149
.LBB855_214:
	global_load_ubyte v2, v[3:4], off offset:576
	s_waitcnt vmcnt(0)
	v_and_b32_e32 v2, 1, v2
	v_cmp_eq_u32_e32 vcc_lo, 1, v2
	v_mov_b32_e32 v2, 0
	s_xor_b32 s2, vcc_lo, -1
	s_and_saveexec_b32 s1, s2
; %bb.215:
	v_fma_f32 v2, -v5, v61, v23
	v_bfe_u32 v6, v2, 16, 1
	v_cmp_o_f32_e32 vcc_lo, v2, v2
	v_add3_u32 v2, v2, v6, 0x7fff
	v_mov_b32_e32 v6, 0x7fc0
	v_cndmask_b32_sdwa v2, v6, v2, vcc_lo dst_sel:DWORD dst_unused:UNUSED_PAD src0_sel:DWORD src1_sel:WORD_1
; %bb.216:
	s_or_b32 exec_lo, exec_lo, s1
	global_store_short v[0:1], v2, off offset:1152
	s_or_b32 exec_lo, exec_lo, s0
	s_and_saveexec_b32 s0, s20
	s_cbranch_execz .LBB855_150
.LBB855_217:
	global_load_ubyte v2, v[3:4], off offset:608
	s_waitcnt vmcnt(0)
	v_and_b32_e32 v2, 1, v2
	v_cmp_eq_u32_e32 vcc_lo, 1, v2
	v_mov_b32_e32 v2, 0
	s_xor_b32 s2, vcc_lo, -1
	s_and_saveexec_b32 s1, s2
; %bb.218:
	v_fma_f32 v2, -v5, v62, v22
	v_bfe_u32 v6, v2, 16, 1
	v_cmp_o_f32_e32 vcc_lo, v2, v2
	v_add3_u32 v2, v2, v6, 0x7fff
	v_mov_b32_e32 v6, 0x7fc0
	v_cndmask_b32_sdwa v2, v6, v2, vcc_lo dst_sel:DWORD dst_unused:UNUSED_PAD src0_sel:DWORD src1_sel:WORD_1
; %bb.219:
	s_or_b32 exec_lo, exec_lo, s1
	global_store_short v[0:1], v2, off offset:1216
	s_or_b32 exec_lo, exec_lo, s0
	s_and_saveexec_b32 s0, s21
	s_cbranch_execz .LBB855_151
.LBB855_220:
	global_load_ubyte v2, v[3:4], off offset:640
	s_waitcnt vmcnt(0)
	v_and_b32_e32 v2, 1, v2
	v_cmp_eq_u32_e32 vcc_lo, 1, v2
	v_mov_b32_e32 v2, 0
	s_xor_b32 s2, vcc_lo, -1
	s_and_saveexec_b32 s1, s2
; %bb.221:
	v_fma_f32 v2, -v5, v63, v21
	v_bfe_u32 v6, v2, 16, 1
	v_cmp_o_f32_e32 vcc_lo, v2, v2
	v_add3_u32 v2, v2, v6, 0x7fff
	v_mov_b32_e32 v6, 0x7fc0
	v_cndmask_b32_sdwa v2, v6, v2, vcc_lo dst_sel:DWORD dst_unused:UNUSED_PAD src0_sel:DWORD src1_sel:WORD_1
; %bb.222:
	s_or_b32 exec_lo, exec_lo, s1
	global_store_short v[0:1], v2, off offset:1280
	s_or_b32 exec_lo, exec_lo, s0
	s_and_saveexec_b32 s0, s22
	s_cbranch_execz .LBB855_152
.LBB855_223:
	global_load_ubyte v2, v[3:4], off offset:672
	s_waitcnt vmcnt(0)
	v_and_b32_e32 v2, 1, v2
	v_cmp_eq_u32_e32 vcc_lo, 1, v2
	v_mov_b32_e32 v2, 0
	s_xor_b32 s2, vcc_lo, -1
	s_and_saveexec_b32 s1, s2
; %bb.224:
	v_fma_f32 v2, -v5, v64, v20
	v_bfe_u32 v6, v2, 16, 1
	v_cmp_o_f32_e32 vcc_lo, v2, v2
	v_add3_u32 v2, v2, v6, 0x7fff
	v_mov_b32_e32 v6, 0x7fc0
	v_cndmask_b32_sdwa v2, v6, v2, vcc_lo dst_sel:DWORD dst_unused:UNUSED_PAD src0_sel:DWORD src1_sel:WORD_1
; %bb.225:
	s_or_b32 exec_lo, exec_lo, s1
	global_store_short v[0:1], v2, off offset:1344
	s_or_b32 exec_lo, exec_lo, s0
	s_and_saveexec_b32 s0, s23
	s_cbranch_execz .LBB855_153
.LBB855_226:
	global_load_ubyte v2, v[3:4], off offset:704
	s_waitcnt vmcnt(0)
	v_and_b32_e32 v2, 1, v2
	v_cmp_eq_u32_e32 vcc_lo, 1, v2
	v_mov_b32_e32 v2, 0
	s_xor_b32 s2, vcc_lo, -1
	s_and_saveexec_b32 s1, s2
; %bb.227:
	v_fma_f32 v2, -v5, v65, v19
	v_bfe_u32 v3, v2, 16, 1
	v_cmp_o_f32_e32 vcc_lo, v2, v2
	v_add3_u32 v2, v2, v3, 0x7fff
	v_mov_b32_e32 v3, 0x7fc0
	v_cndmask_b32_sdwa v2, v3, v2, vcc_lo dst_sel:DWORD dst_unused:UNUSED_PAD src0_sel:DWORD src1_sel:WORD_1
; %bb.228:
	s_or_b32 exec_lo, exec_lo, s1
	global_store_short v[0:1], v2, off offset:1408
	s_or_b32 exec_lo, exec_lo, s0
	s_and_saveexec_b32 s0, s24
	s_cbranch_execz .LBB855_154
.LBB855_229:
	v_mov_b32_e32 v2, 0
	s_and_saveexec_b32 s1, s45
; %bb.230:
	v_fma_f32 v2, -v5, v66, v18
	v_bfe_u32 v3, v2, 16, 1
	v_cmp_o_f32_e32 vcc_lo, v2, v2
	v_add3_u32 v2, v2, v3, 0x7fff
	v_mov_b32_e32 v3, 0x7fc0
	v_cndmask_b32_sdwa v2, v3, v2, vcc_lo dst_sel:DWORD dst_unused:UNUSED_PAD src0_sel:DWORD src1_sel:WORD_1
; %bb.231:
	s_or_b32 exec_lo, exec_lo, s1
	global_store_short v[0:1], v2, off offset:1472
	s_or_b32 exec_lo, exec_lo, s0
	s_and_saveexec_b32 s0, s25
	s_cbranch_execz .LBB855_155
.LBB855_232:
	v_mov_b32_e32 v2, 0
	s_and_saveexec_b32 s1, s44
; %bb.233:
	v_fma_f32 v2, -v5, v67, v17
	v_bfe_u32 v3, v2, 16, 1
	v_cmp_o_f32_e32 vcc_lo, v2, v2
	v_add3_u32 v2, v2, v3, 0x7fff
	v_mov_b32_e32 v3, 0x7fc0
	v_cndmask_b32_sdwa v2, v3, v2, vcc_lo dst_sel:DWORD dst_unused:UNUSED_PAD src0_sel:DWORD src1_sel:WORD_1
; %bb.234:
	s_or_b32 exec_lo, exec_lo, s1
	global_store_short v[0:1], v2, off offset:1536
	s_or_b32 exec_lo, exec_lo, s0
	s_and_saveexec_b32 s0, s26
	s_cbranch_execz .LBB855_156
.LBB855_235:
	v_mov_b32_e32 v2, 0
	s_and_saveexec_b32 s1, s43
; %bb.236:
	v_fma_f32 v2, -v5, v68, v16
	v_bfe_u32 v3, v2, 16, 1
	v_cmp_o_f32_e32 vcc_lo, v2, v2
	v_add3_u32 v2, v2, v3, 0x7fff
	v_mov_b32_e32 v3, 0x7fc0
	v_cndmask_b32_sdwa v2, v3, v2, vcc_lo dst_sel:DWORD dst_unused:UNUSED_PAD src0_sel:DWORD src1_sel:WORD_1
; %bb.237:
	s_or_b32 exec_lo, exec_lo, s1
	global_store_short v[0:1], v2, off offset:1600
	s_or_b32 exec_lo, exec_lo, s0
	s_and_saveexec_b32 s0, s27
	s_cbranch_execz .LBB855_157
.LBB855_238:
	v_mov_b32_e32 v2, 0
	s_and_saveexec_b32 s1, s42
; %bb.239:
	v_fma_f32 v2, -v5, v69, v15
	v_bfe_u32 v3, v2, 16, 1
	v_cmp_o_f32_e32 vcc_lo, v2, v2
	v_add3_u32 v2, v2, v3, 0x7fff
	v_mov_b32_e32 v3, 0x7fc0
	v_cndmask_b32_sdwa v2, v3, v2, vcc_lo dst_sel:DWORD dst_unused:UNUSED_PAD src0_sel:DWORD src1_sel:WORD_1
; %bb.240:
	s_or_b32 exec_lo, exec_lo, s1
	global_store_short v[0:1], v2, off offset:1664
	s_or_b32 exec_lo, exec_lo, s0
	s_and_saveexec_b32 s0, s28
	s_cbranch_execz .LBB855_158
.LBB855_241:
	v_mov_b32_e32 v2, 0
	s_and_saveexec_b32 s1, s36
; %bb.242:
	v_fma_f32 v2, -v5, v70, v14
	v_bfe_u32 v3, v2, 16, 1
	v_cmp_o_f32_e32 vcc_lo, v2, v2
	v_add3_u32 v2, v2, v3, 0x7fff
	v_mov_b32_e32 v3, 0x7fc0
	v_cndmask_b32_sdwa v2, v3, v2, vcc_lo dst_sel:DWORD dst_unused:UNUSED_PAD src0_sel:DWORD src1_sel:WORD_1
; %bb.243:
	s_or_b32 exec_lo, exec_lo, s1
	global_store_short v[0:1], v2, off offset:1728
	s_or_b32 exec_lo, exec_lo, s0
	s_and_saveexec_b32 s0, s29
	s_cbranch_execz .LBB855_159
.LBB855_244:
	v_mov_b32_e32 v2, 0
	s_and_saveexec_b32 s1, s35
; %bb.245:
	v_fma_f32 v2, -v5, v71, v13
	v_bfe_u32 v3, v2, 16, 1
	v_cmp_o_f32_e32 vcc_lo, v2, v2
	v_add3_u32 v2, v2, v3, 0x7fff
	v_mov_b32_e32 v3, 0x7fc0
	v_cndmask_b32_sdwa v2, v3, v2, vcc_lo dst_sel:DWORD dst_unused:UNUSED_PAD src0_sel:DWORD src1_sel:WORD_1
; %bb.246:
	s_or_b32 exec_lo, exec_lo, s1
	global_store_short v[0:1], v2, off offset:1792
	s_or_b32 exec_lo, exec_lo, s0
	s_and_saveexec_b32 s0, s30
	s_cbranch_execz .LBB855_160
.LBB855_247:
	v_mov_b32_e32 v2, 0
	s_and_saveexec_b32 s1, s34
; %bb.248:
	v_fma_f32 v2, -v5, v72, v12
	v_bfe_u32 v3, v2, 16, 1
	v_cmp_o_f32_e32 vcc_lo, v2, v2
	v_add3_u32 v2, v2, v3, 0x7fff
	v_mov_b32_e32 v3, 0x7fc0
	v_cndmask_b32_sdwa v2, v3, v2, vcc_lo dst_sel:DWORD dst_unused:UNUSED_PAD src0_sel:DWORD src1_sel:WORD_1
; %bb.249:
	s_or_b32 exec_lo, exec_lo, s1
	global_store_short v[0:1], v2, off offset:1856
	s_or_b32 exec_lo, exec_lo, s0
	s_and_saveexec_b32 s0, s31
	s_cbranch_execz .LBB855_161
.LBB855_250:
	v_mov_b32_e32 v2, 0
	s_and_saveexec_b32 s1, s5
; %bb.251:
	v_fma_f32 v2, -v5, v9, v10
	v_bfe_u32 v3, v2, 16, 1
	v_cmp_o_f32_e32 vcc_lo, v2, v2
	v_add3_u32 v2, v2, v3, 0x7fff
	v_mov_b32_e32 v3, 0x7fc0
	v_cndmask_b32_sdwa v2, v3, v2, vcc_lo dst_sel:DWORD dst_unused:UNUSED_PAD src0_sel:DWORD src1_sel:WORD_1
; %bb.252:
	s_or_b32 exec_lo, exec_lo, s1
	global_store_short v[0:1], v2, off offset:1920
	s_or_b32 exec_lo, exec_lo, s0
	s_and_b32 exec_lo, exec_lo, s33
	s_cbranch_execz .LBB855_162
.LBB855_253:
	v_mov_b32_e32 v2, 0
	s_and_saveexec_b32 s0, s4
; %bb.254:
	v_fma_f32 v2, -v5, v73, v11
	v_bfe_u32 v3, v2, 16, 1
	v_cmp_o_f32_e32 vcc_lo, v2, v2
	v_add3_u32 v2, v2, v3, 0x7fff
	v_mov_b32_e32 v3, 0x7fc0
	v_cndmask_b32_sdwa v2, v3, v2, vcc_lo dst_sel:DWORD dst_unused:UNUSED_PAD src0_sel:DWORD src1_sel:WORD_1
; %bb.255:
	s_or_b32 exec_lo, exec_lo, s0
	global_store_short v[0:1], v2, off offset:1984
	s_endpgm
	.section	.rodata,"a",@progbits
	.p2align	6, 0x0
	.amdhsa_kernel _ZN12_GLOBAL__N_121softmax_warp_backwardIN3c108BFloat16ES2_fLi10ELb0ELb1ELi32EEEvPT0_PKT_S7_iiiPKb
		.amdhsa_group_segment_fixed_size 0
		.amdhsa_private_segment_fixed_size 0
		.amdhsa_kernarg_size 304
		.amdhsa_user_sgpr_count 6
		.amdhsa_user_sgpr_private_segment_buffer 1
		.amdhsa_user_sgpr_dispatch_ptr 0
		.amdhsa_user_sgpr_queue_ptr 0
		.amdhsa_user_sgpr_kernarg_segment_ptr 1
		.amdhsa_user_sgpr_dispatch_id 0
		.amdhsa_user_sgpr_flat_scratch_init 0
		.amdhsa_user_sgpr_private_segment_size 0
		.amdhsa_wavefront_size32 1
		.amdhsa_uses_dynamic_stack 0
		.amdhsa_system_sgpr_private_segment_wavefront_offset 0
		.amdhsa_system_sgpr_workgroup_id_x 1
		.amdhsa_system_sgpr_workgroup_id_y 0
		.amdhsa_system_sgpr_workgroup_id_z 0
		.amdhsa_system_sgpr_workgroup_info 0
		.amdhsa_system_vgpr_workitem_id 1
		.amdhsa_next_free_vgpr 74
		.amdhsa_next_free_sgpr 48
		.amdhsa_reserve_vcc 1
		.amdhsa_reserve_flat_scratch 0
		.amdhsa_float_round_mode_32 0
		.amdhsa_float_round_mode_16_64 0
		.amdhsa_float_denorm_mode_32 3
		.amdhsa_float_denorm_mode_16_64 3
		.amdhsa_dx10_clamp 1
		.amdhsa_ieee_mode 1
		.amdhsa_fp16_overflow 0
		.amdhsa_workgroup_processor_mode 1
		.amdhsa_memory_ordered 1
		.amdhsa_forward_progress 1
		.amdhsa_shared_vgpr_count 0
		.amdhsa_exception_fp_ieee_invalid_op 0
		.amdhsa_exception_fp_denorm_src 0
		.amdhsa_exception_fp_ieee_div_zero 0
		.amdhsa_exception_fp_ieee_overflow 0
		.amdhsa_exception_fp_ieee_underflow 0
		.amdhsa_exception_fp_ieee_inexact 0
		.amdhsa_exception_int_div_zero 0
	.end_amdhsa_kernel
	.section	.text._ZN12_GLOBAL__N_121softmax_warp_backwardIN3c108BFloat16ES2_fLi10ELb0ELb1ELi32EEEvPT0_PKT_S7_iiiPKb,"axG",@progbits,_ZN12_GLOBAL__N_121softmax_warp_backwardIN3c108BFloat16ES2_fLi10ELb0ELb1ELi32EEEvPT0_PKT_S7_iiiPKb,comdat
.Lfunc_end855:
	.size	_ZN12_GLOBAL__N_121softmax_warp_backwardIN3c108BFloat16ES2_fLi10ELb0ELb1ELi32EEEvPT0_PKT_S7_iiiPKb, .Lfunc_end855-_ZN12_GLOBAL__N_121softmax_warp_backwardIN3c108BFloat16ES2_fLi10ELb0ELb1ELi32EEEvPT0_PKT_S7_iiiPKb
                                        ; -- End function
	.set _ZN12_GLOBAL__N_121softmax_warp_backwardIN3c108BFloat16ES2_fLi10ELb0ELb1ELi32EEEvPT0_PKT_S7_iiiPKb.num_vgpr, 74
	.set _ZN12_GLOBAL__N_121softmax_warp_backwardIN3c108BFloat16ES2_fLi10ELb0ELb1ELi32EEEvPT0_PKT_S7_iiiPKb.num_agpr, 0
	.set _ZN12_GLOBAL__N_121softmax_warp_backwardIN3c108BFloat16ES2_fLi10ELb0ELb1ELi32EEEvPT0_PKT_S7_iiiPKb.numbered_sgpr, 48
	.set _ZN12_GLOBAL__N_121softmax_warp_backwardIN3c108BFloat16ES2_fLi10ELb0ELb1ELi32EEEvPT0_PKT_S7_iiiPKb.num_named_barrier, 0
	.set _ZN12_GLOBAL__N_121softmax_warp_backwardIN3c108BFloat16ES2_fLi10ELb0ELb1ELi32EEEvPT0_PKT_S7_iiiPKb.private_seg_size, 0
	.set _ZN12_GLOBAL__N_121softmax_warp_backwardIN3c108BFloat16ES2_fLi10ELb0ELb1ELi32EEEvPT0_PKT_S7_iiiPKb.uses_vcc, 1
	.set _ZN12_GLOBAL__N_121softmax_warp_backwardIN3c108BFloat16ES2_fLi10ELb0ELb1ELi32EEEvPT0_PKT_S7_iiiPKb.uses_flat_scratch, 0
	.set _ZN12_GLOBAL__N_121softmax_warp_backwardIN3c108BFloat16ES2_fLi10ELb0ELb1ELi32EEEvPT0_PKT_S7_iiiPKb.has_dyn_sized_stack, 0
	.set _ZN12_GLOBAL__N_121softmax_warp_backwardIN3c108BFloat16ES2_fLi10ELb0ELb1ELi32EEEvPT0_PKT_S7_iiiPKb.has_recursion, 0
	.set _ZN12_GLOBAL__N_121softmax_warp_backwardIN3c108BFloat16ES2_fLi10ELb0ELb1ELi32EEEvPT0_PKT_S7_iiiPKb.has_indirect_call, 0
	.section	.AMDGPU.csdata,"",@progbits
; Kernel info:
; codeLenInByte = 7948
; TotalNumSgprs: 50
; NumVgprs: 74
; ScratchSize: 0
; MemoryBound: 0
; FloatMode: 240
; IeeeMode: 1
; LDSByteSize: 0 bytes/workgroup (compile time only)
; SGPRBlocks: 0
; VGPRBlocks: 9
; NumSGPRsForWavesPerEU: 50
; NumVGPRsForWavesPerEU: 74
; Occupancy: 12
; WaveLimiterHint : 0
; COMPUTE_PGM_RSRC2:SCRATCH_EN: 0
; COMPUTE_PGM_RSRC2:USER_SGPR: 6
; COMPUTE_PGM_RSRC2:TRAP_HANDLER: 0
; COMPUTE_PGM_RSRC2:TGID_X_EN: 1
; COMPUTE_PGM_RSRC2:TGID_Y_EN: 0
; COMPUTE_PGM_RSRC2:TGID_Z_EN: 0
; COMPUTE_PGM_RSRC2:TIDIG_COMP_CNT: 1
	.section	.AMDGPU.gpr_maximums,"",@progbits
	.set amdgpu.max_num_vgpr, 0
	.set amdgpu.max_num_agpr, 0
	.set amdgpu.max_num_sgpr, 0
	.section	.AMDGPU.csdata,"",@progbits
	.type	__hip_cuid_3283322545aac37f,@object ; @__hip_cuid_3283322545aac37f
	.section	.bss,"aw",@nobits
	.globl	__hip_cuid_3283322545aac37f
__hip_cuid_3283322545aac37f:
	.byte	0                               ; 0x0
	.size	__hip_cuid_3283322545aac37f, 1

	.ident	"AMD clang version 22.0.0git (https://github.com/RadeonOpenCompute/llvm-project roc-7.2.4 26084 f58b06dce1f9c15707c5f808fd002e18c2accf7e)"
	.section	".note.GNU-stack","",@progbits
	.addrsig
	.addrsig_sym __hip_cuid_3283322545aac37f
	.amdgpu_metadata
---
amdhsa.kernels:
  - .args:
      - .address_space:  global
        .offset:         0
        .size:           8
        .value_kind:     global_buffer
      - .address_space:  global
        .offset:         8
        .size:           8
        .value_kind:     global_buffer
      - .offset:         16
        .size:           4
        .value_kind:     by_value
      - .offset:         20
        .size:           4
        .value_kind:     by_value
      - .offset:         24
        .size:           4
        .value_kind:     by_value
      - .address_space:  global
        .offset:         32
        .size:           8
        .value_kind:     global_buffer
      - .offset:         40
        .size:           4
        .value_kind:     by_value
      - .offset:         44
        .size:           1
        .value_kind:     by_value
      - .offset:         48
        .size:           4
        .value_kind:     hidden_block_count_x
      - .offset:         52
        .size:           4
        .value_kind:     hidden_block_count_y
      - .offset:         56
        .size:           4
        .value_kind:     hidden_block_count_z
      - .offset:         60
        .size:           2
        .value_kind:     hidden_group_size_x
      - .offset:         62
        .size:           2
        .value_kind:     hidden_group_size_y
      - .offset:         64
        .size:           2
        .value_kind:     hidden_group_size_z
      - .offset:         66
        .size:           2
        .value_kind:     hidden_remainder_x
      - .offset:         68
        .size:           2
        .value_kind:     hidden_remainder_y
      - .offset:         70
        .size:           2
        .value_kind:     hidden_remainder_z
      - .offset:         88
        .size:           8
        .value_kind:     hidden_global_offset_x
      - .offset:         96
        .size:           8
        .value_kind:     hidden_global_offset_y
      - .offset:         104
        .size:           8
        .value_kind:     hidden_global_offset_z
      - .offset:         112
        .size:           2
        .value_kind:     hidden_grid_dims
    .group_segment_fixed_size: 0
    .kernarg_segment_align: 8
    .kernarg_segment_size: 304
    .language:       OpenCL C
    .language_version:
      - 2
      - 0
    .max_flat_workgroup_size: 1024
    .name:           _ZN12_GLOBAL__N_120softmax_warp_forwardIdddLi0ELb1ELb0ELi64EEEvPT0_PKT_iiiPKbib
    .private_segment_fixed_size: 0
    .sgpr_count:     18
    .sgpr_spill_count: 0
    .symbol:         _ZN12_GLOBAL__N_120softmax_warp_forwardIdddLi0ELb1ELb0ELi64EEEvPT0_PKT_iiiPKbib.kd
    .uniform_work_group_size: 1
    .uses_dynamic_stack: false
    .vgpr_count:     27
    .vgpr_spill_count: 0
    .wavefront_size: 32
    .workgroup_processor_mode: 1
  - .args:
      - .address_space:  global
        .offset:         0
        .size:           8
        .value_kind:     global_buffer
      - .address_space:  global
        .offset:         8
        .size:           8
        .value_kind:     global_buffer
      - .offset:         16
        .size:           4
        .value_kind:     by_value
      - .offset:         20
        .size:           4
        .value_kind:     by_value
      - .offset:         24
        .size:           4
        .value_kind:     by_value
      - .address_space:  global
        .offset:         32
        .size:           8
        .value_kind:     global_buffer
      - .offset:         40
        .size:           4
        .value_kind:     by_value
      - .offset:         44
        .size:           1
        .value_kind:     by_value
      - .offset:         48
        .size:           4
        .value_kind:     hidden_block_count_x
      - .offset:         52
        .size:           4
        .value_kind:     hidden_block_count_y
      - .offset:         56
        .size:           4
        .value_kind:     hidden_block_count_z
      - .offset:         60
        .size:           2
        .value_kind:     hidden_group_size_x
      - .offset:         62
        .size:           2
        .value_kind:     hidden_group_size_y
      - .offset:         64
        .size:           2
        .value_kind:     hidden_group_size_z
      - .offset:         66
        .size:           2
        .value_kind:     hidden_remainder_x
      - .offset:         68
        .size:           2
        .value_kind:     hidden_remainder_y
      - .offset:         70
        .size:           2
        .value_kind:     hidden_remainder_z
      - .offset:         88
        .size:           8
        .value_kind:     hidden_global_offset_x
      - .offset:         96
        .size:           8
        .value_kind:     hidden_global_offset_y
      - .offset:         104
        .size:           8
        .value_kind:     hidden_global_offset_z
      - .offset:         112
        .size:           2
        .value_kind:     hidden_grid_dims
    .group_segment_fixed_size: 0
    .kernarg_segment_align: 8
    .kernarg_segment_size: 304
    .language:       OpenCL C
    .language_version:
      - 2
      - 0
    .max_flat_workgroup_size: 1024
    .name:           _ZN12_GLOBAL__N_120softmax_warp_forwardIdddLi0ELb1ELb0ELi32EEEvPT0_PKT_iiiPKbib
    .private_segment_fixed_size: 0
    .sgpr_count:     18
    .sgpr_spill_count: 0
    .symbol:         _ZN12_GLOBAL__N_120softmax_warp_forwardIdddLi0ELb1ELb0ELi32EEEvPT0_PKT_iiiPKbib.kd
    .uniform_work_group_size: 1
    .uses_dynamic_stack: false
    .vgpr_count:     27
    .vgpr_spill_count: 0
    .wavefront_size: 32
    .workgroup_processor_mode: 1
  - .args:
      - .address_space:  global
        .offset:         0
        .size:           8
        .value_kind:     global_buffer
      - .address_space:  global
        .offset:         8
        .size:           8
        .value_kind:     global_buffer
      - .offset:         16
        .size:           4
        .value_kind:     by_value
      - .offset:         20
        .size:           4
        .value_kind:     by_value
      - .offset:         24
        .size:           4
        .value_kind:     by_value
      - .address_space:  global
        .offset:         32
        .size:           8
        .value_kind:     global_buffer
      - .offset:         40
        .size:           4
        .value_kind:     by_value
      - .offset:         44
        .size:           1
        .value_kind:     by_value
      - .offset:         48
        .size:           4
        .value_kind:     hidden_block_count_x
      - .offset:         52
        .size:           4
        .value_kind:     hidden_block_count_y
      - .offset:         56
        .size:           4
        .value_kind:     hidden_block_count_z
      - .offset:         60
        .size:           2
        .value_kind:     hidden_group_size_x
      - .offset:         62
        .size:           2
        .value_kind:     hidden_group_size_y
      - .offset:         64
        .size:           2
        .value_kind:     hidden_group_size_z
      - .offset:         66
        .size:           2
        .value_kind:     hidden_remainder_x
      - .offset:         68
        .size:           2
        .value_kind:     hidden_remainder_y
      - .offset:         70
        .size:           2
        .value_kind:     hidden_remainder_z
      - .offset:         88
        .size:           8
        .value_kind:     hidden_global_offset_x
      - .offset:         96
        .size:           8
        .value_kind:     hidden_global_offset_y
      - .offset:         104
        .size:           8
        .value_kind:     hidden_global_offset_z
      - .offset:         112
        .size:           2
        .value_kind:     hidden_grid_dims
    .group_segment_fixed_size: 0
    .kernarg_segment_align: 8
    .kernarg_segment_size: 304
    .language:       OpenCL C
    .language_version:
      - 2
      - 0
    .max_flat_workgroup_size: 1024
    .name:           _ZN12_GLOBAL__N_120softmax_warp_forwardIdddLi1ELb1ELb0ELi64EEEvPT0_PKT_iiiPKbib
    .private_segment_fixed_size: 0
    .sgpr_count:     18
    .sgpr_spill_count: 0
    .symbol:         _ZN12_GLOBAL__N_120softmax_warp_forwardIdddLi1ELb1ELb0ELi64EEEvPT0_PKT_iiiPKbib.kd
    .uniform_work_group_size: 1
    .uses_dynamic_stack: false
    .vgpr_count:     31
    .vgpr_spill_count: 0
    .wavefront_size: 32
    .workgroup_processor_mode: 1
  - .args:
      - .address_space:  global
        .offset:         0
        .size:           8
        .value_kind:     global_buffer
      - .address_space:  global
        .offset:         8
        .size:           8
        .value_kind:     global_buffer
      - .offset:         16
        .size:           4
        .value_kind:     by_value
      - .offset:         20
        .size:           4
        .value_kind:     by_value
      - .offset:         24
        .size:           4
        .value_kind:     by_value
      - .address_space:  global
        .offset:         32
        .size:           8
        .value_kind:     global_buffer
      - .offset:         40
        .size:           4
        .value_kind:     by_value
      - .offset:         44
        .size:           1
        .value_kind:     by_value
      - .offset:         48
        .size:           4
        .value_kind:     hidden_block_count_x
      - .offset:         52
        .size:           4
        .value_kind:     hidden_block_count_y
      - .offset:         56
        .size:           4
        .value_kind:     hidden_block_count_z
      - .offset:         60
        .size:           2
        .value_kind:     hidden_group_size_x
      - .offset:         62
        .size:           2
        .value_kind:     hidden_group_size_y
      - .offset:         64
        .size:           2
        .value_kind:     hidden_group_size_z
      - .offset:         66
        .size:           2
        .value_kind:     hidden_remainder_x
      - .offset:         68
        .size:           2
        .value_kind:     hidden_remainder_y
      - .offset:         70
        .size:           2
        .value_kind:     hidden_remainder_z
      - .offset:         88
        .size:           8
        .value_kind:     hidden_global_offset_x
      - .offset:         96
        .size:           8
        .value_kind:     hidden_global_offset_y
      - .offset:         104
        .size:           8
        .value_kind:     hidden_global_offset_z
      - .offset:         112
        .size:           2
        .value_kind:     hidden_grid_dims
    .group_segment_fixed_size: 0
    .kernarg_segment_align: 8
    .kernarg_segment_size: 304
    .language:       OpenCL C
    .language_version:
      - 2
      - 0
    .max_flat_workgroup_size: 1024
    .name:           _ZN12_GLOBAL__N_120softmax_warp_forwardIdddLi1ELb1ELb0ELi32EEEvPT0_PKT_iiiPKbib
    .private_segment_fixed_size: 0
    .sgpr_count:     18
    .sgpr_spill_count: 0
    .symbol:         _ZN12_GLOBAL__N_120softmax_warp_forwardIdddLi1ELb1ELb0ELi32EEEvPT0_PKT_iiiPKbib.kd
    .uniform_work_group_size: 1
    .uses_dynamic_stack: false
    .vgpr_count:     31
    .vgpr_spill_count: 0
    .wavefront_size: 32
    .workgroup_processor_mode: 1
  - .args:
      - .address_space:  global
        .offset:         0
        .size:           8
        .value_kind:     global_buffer
      - .address_space:  global
        .offset:         8
        .size:           8
        .value_kind:     global_buffer
      - .offset:         16
        .size:           4
        .value_kind:     by_value
      - .offset:         20
        .size:           4
        .value_kind:     by_value
      - .offset:         24
        .size:           4
        .value_kind:     by_value
      - .address_space:  global
        .offset:         32
        .size:           8
        .value_kind:     global_buffer
      - .offset:         40
        .size:           4
        .value_kind:     by_value
      - .offset:         44
        .size:           1
        .value_kind:     by_value
      - .offset:         48
        .size:           4
        .value_kind:     hidden_block_count_x
      - .offset:         52
        .size:           4
        .value_kind:     hidden_block_count_y
      - .offset:         56
        .size:           4
        .value_kind:     hidden_block_count_z
      - .offset:         60
        .size:           2
        .value_kind:     hidden_group_size_x
      - .offset:         62
        .size:           2
        .value_kind:     hidden_group_size_y
      - .offset:         64
        .size:           2
        .value_kind:     hidden_group_size_z
      - .offset:         66
        .size:           2
        .value_kind:     hidden_remainder_x
      - .offset:         68
        .size:           2
        .value_kind:     hidden_remainder_y
      - .offset:         70
        .size:           2
        .value_kind:     hidden_remainder_z
      - .offset:         88
        .size:           8
        .value_kind:     hidden_global_offset_x
      - .offset:         96
        .size:           8
        .value_kind:     hidden_global_offset_y
      - .offset:         104
        .size:           8
        .value_kind:     hidden_global_offset_z
      - .offset:         112
        .size:           2
        .value_kind:     hidden_grid_dims
    .group_segment_fixed_size: 0
    .kernarg_segment_align: 8
    .kernarg_segment_size: 304
    .language:       OpenCL C
    .language_version:
      - 2
      - 0
    .max_flat_workgroup_size: 1024
    .name:           _ZN12_GLOBAL__N_120softmax_warp_forwardIdddLi2ELb1ELb0ELi64EEEvPT0_PKT_iiiPKbib
    .private_segment_fixed_size: 0
    .sgpr_count:     18
    .sgpr_spill_count: 0
    .symbol:         _ZN12_GLOBAL__N_120softmax_warp_forwardIdddLi2ELb1ELb0ELi64EEEvPT0_PKT_iiiPKbib.kd
    .uniform_work_group_size: 1
    .uses_dynamic_stack: false
    .vgpr_count:     31
    .vgpr_spill_count: 0
    .wavefront_size: 32
    .workgroup_processor_mode: 1
  - .args:
      - .address_space:  global
        .offset:         0
        .size:           8
        .value_kind:     global_buffer
      - .address_space:  global
        .offset:         8
        .size:           8
        .value_kind:     global_buffer
      - .offset:         16
        .size:           4
        .value_kind:     by_value
      - .offset:         20
        .size:           4
        .value_kind:     by_value
      - .offset:         24
        .size:           4
        .value_kind:     by_value
      - .address_space:  global
        .offset:         32
        .size:           8
        .value_kind:     global_buffer
      - .offset:         40
        .size:           4
        .value_kind:     by_value
      - .offset:         44
        .size:           1
        .value_kind:     by_value
      - .offset:         48
        .size:           4
        .value_kind:     hidden_block_count_x
      - .offset:         52
        .size:           4
        .value_kind:     hidden_block_count_y
      - .offset:         56
        .size:           4
        .value_kind:     hidden_block_count_z
      - .offset:         60
        .size:           2
        .value_kind:     hidden_group_size_x
      - .offset:         62
        .size:           2
        .value_kind:     hidden_group_size_y
      - .offset:         64
        .size:           2
        .value_kind:     hidden_group_size_z
      - .offset:         66
        .size:           2
        .value_kind:     hidden_remainder_x
      - .offset:         68
        .size:           2
        .value_kind:     hidden_remainder_y
      - .offset:         70
        .size:           2
        .value_kind:     hidden_remainder_z
      - .offset:         88
        .size:           8
        .value_kind:     hidden_global_offset_x
      - .offset:         96
        .size:           8
        .value_kind:     hidden_global_offset_y
      - .offset:         104
        .size:           8
        .value_kind:     hidden_global_offset_z
      - .offset:         112
        .size:           2
        .value_kind:     hidden_grid_dims
    .group_segment_fixed_size: 0
    .kernarg_segment_align: 8
    .kernarg_segment_size: 304
    .language:       OpenCL C
    .language_version:
      - 2
      - 0
    .max_flat_workgroup_size: 1024
    .name:           _ZN12_GLOBAL__N_120softmax_warp_forwardIdddLi2ELb1ELb0ELi32EEEvPT0_PKT_iiiPKbib
    .private_segment_fixed_size: 0
    .sgpr_count:     18
    .sgpr_spill_count: 0
    .symbol:         _ZN12_GLOBAL__N_120softmax_warp_forwardIdddLi2ELb1ELb0ELi32EEEvPT0_PKT_iiiPKbib.kd
    .uniform_work_group_size: 1
    .uses_dynamic_stack: false
    .vgpr_count:     31
    .vgpr_spill_count: 0
    .wavefront_size: 32
    .workgroup_processor_mode: 1
  - .args:
      - .address_space:  global
        .offset:         0
        .size:           8
        .value_kind:     global_buffer
      - .address_space:  global
        .offset:         8
        .size:           8
        .value_kind:     global_buffer
      - .offset:         16
        .size:           4
        .value_kind:     by_value
      - .offset:         20
        .size:           4
        .value_kind:     by_value
      - .offset:         24
        .size:           4
        .value_kind:     by_value
      - .address_space:  global
        .offset:         32
        .size:           8
        .value_kind:     global_buffer
      - .offset:         40
        .size:           4
        .value_kind:     by_value
      - .offset:         44
        .size:           1
        .value_kind:     by_value
      - .offset:         48
        .size:           4
        .value_kind:     hidden_block_count_x
      - .offset:         52
        .size:           4
        .value_kind:     hidden_block_count_y
      - .offset:         56
        .size:           4
        .value_kind:     hidden_block_count_z
      - .offset:         60
        .size:           2
        .value_kind:     hidden_group_size_x
      - .offset:         62
        .size:           2
        .value_kind:     hidden_group_size_y
      - .offset:         64
        .size:           2
        .value_kind:     hidden_group_size_z
      - .offset:         66
        .size:           2
        .value_kind:     hidden_remainder_x
      - .offset:         68
        .size:           2
        .value_kind:     hidden_remainder_y
      - .offset:         70
        .size:           2
        .value_kind:     hidden_remainder_z
      - .offset:         88
        .size:           8
        .value_kind:     hidden_global_offset_x
      - .offset:         96
        .size:           8
        .value_kind:     hidden_global_offset_y
      - .offset:         104
        .size:           8
        .value_kind:     hidden_global_offset_z
      - .offset:         112
        .size:           2
        .value_kind:     hidden_grid_dims
    .group_segment_fixed_size: 0
    .kernarg_segment_align: 8
    .kernarg_segment_size: 304
    .language:       OpenCL C
    .language_version:
      - 2
      - 0
    .max_flat_workgroup_size: 1024
    .name:           _ZN12_GLOBAL__N_120softmax_warp_forwardIdddLi3ELb1ELb0ELi64EEEvPT0_PKT_iiiPKbib
    .private_segment_fixed_size: 0
    .sgpr_count:     18
    .sgpr_spill_count: 0
    .symbol:         _ZN12_GLOBAL__N_120softmax_warp_forwardIdddLi3ELb1ELb0ELi64EEEvPT0_PKT_iiiPKbib.kd
    .uniform_work_group_size: 1
    .uses_dynamic_stack: false
    .vgpr_count:     31
    .vgpr_spill_count: 0
    .wavefront_size: 32
    .workgroup_processor_mode: 1
  - .args:
      - .address_space:  global
        .offset:         0
        .size:           8
        .value_kind:     global_buffer
      - .address_space:  global
        .offset:         8
        .size:           8
        .value_kind:     global_buffer
      - .offset:         16
        .size:           4
        .value_kind:     by_value
      - .offset:         20
        .size:           4
        .value_kind:     by_value
      - .offset:         24
        .size:           4
        .value_kind:     by_value
      - .address_space:  global
        .offset:         32
        .size:           8
        .value_kind:     global_buffer
      - .offset:         40
        .size:           4
        .value_kind:     by_value
      - .offset:         44
        .size:           1
        .value_kind:     by_value
      - .offset:         48
        .size:           4
        .value_kind:     hidden_block_count_x
      - .offset:         52
        .size:           4
        .value_kind:     hidden_block_count_y
      - .offset:         56
        .size:           4
        .value_kind:     hidden_block_count_z
      - .offset:         60
        .size:           2
        .value_kind:     hidden_group_size_x
      - .offset:         62
        .size:           2
        .value_kind:     hidden_group_size_y
      - .offset:         64
        .size:           2
        .value_kind:     hidden_group_size_z
      - .offset:         66
        .size:           2
        .value_kind:     hidden_remainder_x
      - .offset:         68
        .size:           2
        .value_kind:     hidden_remainder_y
      - .offset:         70
        .size:           2
        .value_kind:     hidden_remainder_z
      - .offset:         88
        .size:           8
        .value_kind:     hidden_global_offset_x
      - .offset:         96
        .size:           8
        .value_kind:     hidden_global_offset_y
      - .offset:         104
        .size:           8
        .value_kind:     hidden_global_offset_z
      - .offset:         112
        .size:           2
        .value_kind:     hidden_grid_dims
    .group_segment_fixed_size: 0
    .kernarg_segment_align: 8
    .kernarg_segment_size: 304
    .language:       OpenCL C
    .language_version:
      - 2
      - 0
    .max_flat_workgroup_size: 1024
    .name:           _ZN12_GLOBAL__N_120softmax_warp_forwardIdddLi3ELb1ELb0ELi32EEEvPT0_PKT_iiiPKbib
    .private_segment_fixed_size: 0
    .sgpr_count:     18
    .sgpr_spill_count: 0
    .symbol:         _ZN12_GLOBAL__N_120softmax_warp_forwardIdddLi3ELb1ELb0ELi32EEEvPT0_PKT_iiiPKbib.kd
    .uniform_work_group_size: 1
    .uses_dynamic_stack: false
    .vgpr_count:     31
    .vgpr_spill_count: 0
    .wavefront_size: 32
    .workgroup_processor_mode: 1
  - .args:
      - .address_space:  global
        .offset:         0
        .size:           8
        .value_kind:     global_buffer
      - .address_space:  global
        .offset:         8
        .size:           8
        .value_kind:     global_buffer
      - .offset:         16
        .size:           4
        .value_kind:     by_value
      - .offset:         20
        .size:           4
        .value_kind:     by_value
      - .offset:         24
        .size:           4
        .value_kind:     by_value
      - .address_space:  global
        .offset:         32
        .size:           8
        .value_kind:     global_buffer
      - .offset:         40
        .size:           4
        .value_kind:     by_value
      - .offset:         44
        .size:           1
        .value_kind:     by_value
      - .offset:         48
        .size:           4
        .value_kind:     hidden_block_count_x
      - .offset:         52
        .size:           4
        .value_kind:     hidden_block_count_y
      - .offset:         56
        .size:           4
        .value_kind:     hidden_block_count_z
      - .offset:         60
        .size:           2
        .value_kind:     hidden_group_size_x
      - .offset:         62
        .size:           2
        .value_kind:     hidden_group_size_y
      - .offset:         64
        .size:           2
        .value_kind:     hidden_group_size_z
      - .offset:         66
        .size:           2
        .value_kind:     hidden_remainder_x
      - .offset:         68
        .size:           2
        .value_kind:     hidden_remainder_y
      - .offset:         70
        .size:           2
        .value_kind:     hidden_remainder_z
      - .offset:         88
        .size:           8
        .value_kind:     hidden_global_offset_x
      - .offset:         96
        .size:           8
        .value_kind:     hidden_global_offset_y
      - .offset:         104
        .size:           8
        .value_kind:     hidden_global_offset_z
      - .offset:         112
        .size:           2
        .value_kind:     hidden_grid_dims
    .group_segment_fixed_size: 0
    .kernarg_segment_align: 8
    .kernarg_segment_size: 304
    .language:       OpenCL C
    .language_version:
      - 2
      - 0
    .max_flat_workgroup_size: 1024
    .name:           _ZN12_GLOBAL__N_120softmax_warp_forwardIdddLi4ELb1ELb0ELi64EEEvPT0_PKT_iiiPKbib
    .private_segment_fixed_size: 0
    .sgpr_count:     18
    .sgpr_spill_count: 0
    .symbol:         _ZN12_GLOBAL__N_120softmax_warp_forwardIdddLi4ELb1ELb0ELi64EEEvPT0_PKT_iiiPKbib.kd
    .uniform_work_group_size: 1
    .uses_dynamic_stack: false
    .vgpr_count:     31
    .vgpr_spill_count: 0
    .wavefront_size: 32
    .workgroup_processor_mode: 1
  - .args:
      - .address_space:  global
        .offset:         0
        .size:           8
        .value_kind:     global_buffer
      - .address_space:  global
        .offset:         8
        .size:           8
        .value_kind:     global_buffer
      - .offset:         16
        .size:           4
        .value_kind:     by_value
      - .offset:         20
        .size:           4
        .value_kind:     by_value
      - .offset:         24
        .size:           4
        .value_kind:     by_value
      - .address_space:  global
        .offset:         32
        .size:           8
        .value_kind:     global_buffer
      - .offset:         40
        .size:           4
        .value_kind:     by_value
      - .offset:         44
        .size:           1
        .value_kind:     by_value
      - .offset:         48
        .size:           4
        .value_kind:     hidden_block_count_x
      - .offset:         52
        .size:           4
        .value_kind:     hidden_block_count_y
      - .offset:         56
        .size:           4
        .value_kind:     hidden_block_count_z
      - .offset:         60
        .size:           2
        .value_kind:     hidden_group_size_x
      - .offset:         62
        .size:           2
        .value_kind:     hidden_group_size_y
      - .offset:         64
        .size:           2
        .value_kind:     hidden_group_size_z
      - .offset:         66
        .size:           2
        .value_kind:     hidden_remainder_x
      - .offset:         68
        .size:           2
        .value_kind:     hidden_remainder_y
      - .offset:         70
        .size:           2
        .value_kind:     hidden_remainder_z
      - .offset:         88
        .size:           8
        .value_kind:     hidden_global_offset_x
      - .offset:         96
        .size:           8
        .value_kind:     hidden_global_offset_y
      - .offset:         104
        .size:           8
        .value_kind:     hidden_global_offset_z
      - .offset:         112
        .size:           2
        .value_kind:     hidden_grid_dims
    .group_segment_fixed_size: 0
    .kernarg_segment_align: 8
    .kernarg_segment_size: 304
    .language:       OpenCL C
    .language_version:
      - 2
      - 0
    .max_flat_workgroup_size: 1024
    .name:           _ZN12_GLOBAL__N_120softmax_warp_forwardIdddLi4ELb1ELb0ELi32EEEvPT0_PKT_iiiPKbib
    .private_segment_fixed_size: 0
    .sgpr_count:     18
    .sgpr_spill_count: 0
    .symbol:         _ZN12_GLOBAL__N_120softmax_warp_forwardIdddLi4ELb1ELb0ELi32EEEvPT0_PKT_iiiPKbib.kd
    .uniform_work_group_size: 1
    .uses_dynamic_stack: false
    .vgpr_count:     31
    .vgpr_spill_count: 0
    .wavefront_size: 32
    .workgroup_processor_mode: 1
  - .args:
      - .address_space:  global
        .offset:         0
        .size:           8
        .value_kind:     global_buffer
      - .address_space:  global
        .offset:         8
        .size:           8
        .value_kind:     global_buffer
      - .offset:         16
        .size:           4
        .value_kind:     by_value
      - .offset:         20
        .size:           4
        .value_kind:     by_value
      - .offset:         24
        .size:           4
        .value_kind:     by_value
      - .address_space:  global
        .offset:         32
        .size:           8
        .value_kind:     global_buffer
      - .offset:         40
        .size:           4
        .value_kind:     by_value
      - .offset:         44
        .size:           1
        .value_kind:     by_value
      - .offset:         48
        .size:           4
        .value_kind:     hidden_block_count_x
      - .offset:         52
        .size:           4
        .value_kind:     hidden_block_count_y
      - .offset:         56
        .size:           4
        .value_kind:     hidden_block_count_z
      - .offset:         60
        .size:           2
        .value_kind:     hidden_group_size_x
      - .offset:         62
        .size:           2
        .value_kind:     hidden_group_size_y
      - .offset:         64
        .size:           2
        .value_kind:     hidden_group_size_z
      - .offset:         66
        .size:           2
        .value_kind:     hidden_remainder_x
      - .offset:         68
        .size:           2
        .value_kind:     hidden_remainder_y
      - .offset:         70
        .size:           2
        .value_kind:     hidden_remainder_z
      - .offset:         88
        .size:           8
        .value_kind:     hidden_global_offset_x
      - .offset:         96
        .size:           8
        .value_kind:     hidden_global_offset_y
      - .offset:         104
        .size:           8
        .value_kind:     hidden_global_offset_z
      - .offset:         112
        .size:           2
        .value_kind:     hidden_grid_dims
    .group_segment_fixed_size: 0
    .kernarg_segment_align: 8
    .kernarg_segment_size: 304
    .language:       OpenCL C
    .language_version:
      - 2
      - 0
    .max_flat_workgroup_size: 1024
    .name:           _ZN12_GLOBAL__N_120softmax_warp_forwardIdddLi5ELb1ELb0ELi64EEEvPT0_PKT_iiiPKbib
    .private_segment_fixed_size: 0
    .sgpr_count:     18
    .sgpr_spill_count: 0
    .symbol:         _ZN12_GLOBAL__N_120softmax_warp_forwardIdddLi5ELb1ELb0ELi64EEEvPT0_PKT_iiiPKbib.kd
    .uniform_work_group_size: 1
    .uses_dynamic_stack: false
    .vgpr_count:     31
    .vgpr_spill_count: 0
    .wavefront_size: 32
    .workgroup_processor_mode: 1
  - .args:
      - .address_space:  global
        .offset:         0
        .size:           8
        .value_kind:     global_buffer
      - .address_space:  global
        .offset:         8
        .size:           8
        .value_kind:     global_buffer
      - .offset:         16
        .size:           4
        .value_kind:     by_value
      - .offset:         20
        .size:           4
        .value_kind:     by_value
      - .offset:         24
        .size:           4
        .value_kind:     by_value
      - .address_space:  global
        .offset:         32
        .size:           8
        .value_kind:     global_buffer
      - .offset:         40
        .size:           4
        .value_kind:     by_value
      - .offset:         44
        .size:           1
        .value_kind:     by_value
      - .offset:         48
        .size:           4
        .value_kind:     hidden_block_count_x
      - .offset:         52
        .size:           4
        .value_kind:     hidden_block_count_y
      - .offset:         56
        .size:           4
        .value_kind:     hidden_block_count_z
      - .offset:         60
        .size:           2
        .value_kind:     hidden_group_size_x
      - .offset:         62
        .size:           2
        .value_kind:     hidden_group_size_y
      - .offset:         64
        .size:           2
        .value_kind:     hidden_group_size_z
      - .offset:         66
        .size:           2
        .value_kind:     hidden_remainder_x
      - .offset:         68
        .size:           2
        .value_kind:     hidden_remainder_y
      - .offset:         70
        .size:           2
        .value_kind:     hidden_remainder_z
      - .offset:         88
        .size:           8
        .value_kind:     hidden_global_offset_x
      - .offset:         96
        .size:           8
        .value_kind:     hidden_global_offset_y
      - .offset:         104
        .size:           8
        .value_kind:     hidden_global_offset_z
      - .offset:         112
        .size:           2
        .value_kind:     hidden_grid_dims
    .group_segment_fixed_size: 0
    .kernarg_segment_align: 8
    .kernarg_segment_size: 304
    .language:       OpenCL C
    .language_version:
      - 2
      - 0
    .max_flat_workgroup_size: 1024
    .name:           _ZN12_GLOBAL__N_120softmax_warp_forwardIdddLi5ELb1ELb0ELi32EEEvPT0_PKT_iiiPKbib
    .private_segment_fixed_size: 0
    .sgpr_count:     18
    .sgpr_spill_count: 0
    .symbol:         _ZN12_GLOBAL__N_120softmax_warp_forwardIdddLi5ELb1ELb0ELi32EEEvPT0_PKT_iiiPKbib.kd
    .uniform_work_group_size: 1
    .uses_dynamic_stack: false
    .vgpr_count:     31
    .vgpr_spill_count: 0
    .wavefront_size: 32
    .workgroup_processor_mode: 1
  - .args:
      - .address_space:  global
        .offset:         0
        .size:           8
        .value_kind:     global_buffer
      - .address_space:  global
        .offset:         8
        .size:           8
        .value_kind:     global_buffer
      - .offset:         16
        .size:           4
        .value_kind:     by_value
      - .offset:         20
        .size:           4
        .value_kind:     by_value
      - .offset:         24
        .size:           4
        .value_kind:     by_value
      - .address_space:  global
        .offset:         32
        .size:           8
        .value_kind:     global_buffer
      - .offset:         40
        .size:           4
        .value_kind:     by_value
      - .offset:         44
        .size:           1
        .value_kind:     by_value
      - .offset:         48
        .size:           4
        .value_kind:     hidden_block_count_x
      - .offset:         52
        .size:           4
        .value_kind:     hidden_block_count_y
      - .offset:         56
        .size:           4
        .value_kind:     hidden_block_count_z
      - .offset:         60
        .size:           2
        .value_kind:     hidden_group_size_x
      - .offset:         62
        .size:           2
        .value_kind:     hidden_group_size_y
      - .offset:         64
        .size:           2
        .value_kind:     hidden_group_size_z
      - .offset:         66
        .size:           2
        .value_kind:     hidden_remainder_x
      - .offset:         68
        .size:           2
        .value_kind:     hidden_remainder_y
      - .offset:         70
        .size:           2
        .value_kind:     hidden_remainder_z
      - .offset:         88
        .size:           8
        .value_kind:     hidden_global_offset_x
      - .offset:         96
        .size:           8
        .value_kind:     hidden_global_offset_y
      - .offset:         104
        .size:           8
        .value_kind:     hidden_global_offset_z
      - .offset:         112
        .size:           2
        .value_kind:     hidden_grid_dims
    .group_segment_fixed_size: 0
    .kernarg_segment_align: 8
    .kernarg_segment_size: 304
    .language:       OpenCL C
    .language_version:
      - 2
      - 0
    .max_flat_workgroup_size: 1024
    .name:           _ZN12_GLOBAL__N_120softmax_warp_forwardIdddLi6ELb1ELb0ELi64EEEvPT0_PKT_iiiPKbib
    .private_segment_fixed_size: 0
    .sgpr_count:     18
    .sgpr_spill_count: 0
    .symbol:         _ZN12_GLOBAL__N_120softmax_warp_forwardIdddLi6ELb1ELb0ELi64EEEvPT0_PKT_iiiPKbib.kd
    .uniform_work_group_size: 1
    .uses_dynamic_stack: false
    .vgpr_count:     31
    .vgpr_spill_count: 0
    .wavefront_size: 32
    .workgroup_processor_mode: 1
  - .args:
      - .address_space:  global
        .offset:         0
        .size:           8
        .value_kind:     global_buffer
      - .address_space:  global
        .offset:         8
        .size:           8
        .value_kind:     global_buffer
      - .offset:         16
        .size:           4
        .value_kind:     by_value
      - .offset:         20
        .size:           4
        .value_kind:     by_value
      - .offset:         24
        .size:           4
        .value_kind:     by_value
      - .address_space:  global
        .offset:         32
        .size:           8
        .value_kind:     global_buffer
      - .offset:         40
        .size:           4
        .value_kind:     by_value
      - .offset:         44
        .size:           1
        .value_kind:     by_value
      - .offset:         48
        .size:           4
        .value_kind:     hidden_block_count_x
      - .offset:         52
        .size:           4
        .value_kind:     hidden_block_count_y
      - .offset:         56
        .size:           4
        .value_kind:     hidden_block_count_z
      - .offset:         60
        .size:           2
        .value_kind:     hidden_group_size_x
      - .offset:         62
        .size:           2
        .value_kind:     hidden_group_size_y
      - .offset:         64
        .size:           2
        .value_kind:     hidden_group_size_z
      - .offset:         66
        .size:           2
        .value_kind:     hidden_remainder_x
      - .offset:         68
        .size:           2
        .value_kind:     hidden_remainder_y
      - .offset:         70
        .size:           2
        .value_kind:     hidden_remainder_z
      - .offset:         88
        .size:           8
        .value_kind:     hidden_global_offset_x
      - .offset:         96
        .size:           8
        .value_kind:     hidden_global_offset_y
      - .offset:         104
        .size:           8
        .value_kind:     hidden_global_offset_z
      - .offset:         112
        .size:           2
        .value_kind:     hidden_grid_dims
    .group_segment_fixed_size: 0
    .kernarg_segment_align: 8
    .kernarg_segment_size: 304
    .language:       OpenCL C
    .language_version:
      - 2
      - 0
    .max_flat_workgroup_size: 1024
    .name:           _ZN12_GLOBAL__N_120softmax_warp_forwardIdddLi6ELb1ELb0ELi32EEEvPT0_PKT_iiiPKbib
    .private_segment_fixed_size: 0
    .sgpr_count:     22
    .sgpr_spill_count: 0
    .symbol:         _ZN12_GLOBAL__N_120softmax_warp_forwardIdddLi6ELb1ELb0ELi32EEEvPT0_PKT_iiiPKbib.kd
    .uniform_work_group_size: 1
    .uses_dynamic_stack: false
    .vgpr_count:     41
    .vgpr_spill_count: 0
    .wavefront_size: 32
    .workgroup_processor_mode: 1
  - .args:
      - .address_space:  global
        .offset:         0
        .size:           8
        .value_kind:     global_buffer
      - .address_space:  global
        .offset:         8
        .size:           8
        .value_kind:     global_buffer
      - .offset:         16
        .size:           4
        .value_kind:     by_value
      - .offset:         20
        .size:           4
        .value_kind:     by_value
      - .offset:         24
        .size:           4
        .value_kind:     by_value
      - .address_space:  global
        .offset:         32
        .size:           8
        .value_kind:     global_buffer
      - .offset:         40
        .size:           4
        .value_kind:     by_value
      - .offset:         44
        .size:           1
        .value_kind:     by_value
      - .offset:         48
        .size:           4
        .value_kind:     hidden_block_count_x
      - .offset:         52
        .size:           4
        .value_kind:     hidden_block_count_y
      - .offset:         56
        .size:           4
        .value_kind:     hidden_block_count_z
      - .offset:         60
        .size:           2
        .value_kind:     hidden_group_size_x
      - .offset:         62
        .size:           2
        .value_kind:     hidden_group_size_y
      - .offset:         64
        .size:           2
        .value_kind:     hidden_group_size_z
      - .offset:         66
        .size:           2
        .value_kind:     hidden_remainder_x
      - .offset:         68
        .size:           2
        .value_kind:     hidden_remainder_y
      - .offset:         70
        .size:           2
        .value_kind:     hidden_remainder_z
      - .offset:         88
        .size:           8
        .value_kind:     hidden_global_offset_x
      - .offset:         96
        .size:           8
        .value_kind:     hidden_global_offset_y
      - .offset:         104
        .size:           8
        .value_kind:     hidden_global_offset_z
      - .offset:         112
        .size:           2
        .value_kind:     hidden_grid_dims
    .group_segment_fixed_size: 0
    .kernarg_segment_align: 8
    .kernarg_segment_size: 304
    .language:       OpenCL C
    .language_version:
      - 2
      - 0
    .max_flat_workgroup_size: 1024
    .name:           _ZN12_GLOBAL__N_120softmax_warp_forwardIdddLi7ELb1ELb0ELi64EEEvPT0_PKT_iiiPKbib
    .private_segment_fixed_size: 0
    .sgpr_count:     22
    .sgpr_spill_count: 0
    .symbol:         _ZN12_GLOBAL__N_120softmax_warp_forwardIdddLi7ELb1ELb0ELi64EEEvPT0_PKT_iiiPKbib.kd
    .uniform_work_group_size: 1
    .uses_dynamic_stack: false
    .vgpr_count:     42
    .vgpr_spill_count: 0
    .wavefront_size: 32
    .workgroup_processor_mode: 1
  - .args:
      - .address_space:  global
        .offset:         0
        .size:           8
        .value_kind:     global_buffer
      - .address_space:  global
        .offset:         8
        .size:           8
        .value_kind:     global_buffer
      - .offset:         16
        .size:           4
        .value_kind:     by_value
      - .offset:         20
        .size:           4
        .value_kind:     by_value
      - .offset:         24
        .size:           4
        .value_kind:     by_value
      - .address_space:  global
        .offset:         32
        .size:           8
        .value_kind:     global_buffer
      - .offset:         40
        .size:           4
        .value_kind:     by_value
      - .offset:         44
        .size:           1
        .value_kind:     by_value
      - .offset:         48
        .size:           4
        .value_kind:     hidden_block_count_x
      - .offset:         52
        .size:           4
        .value_kind:     hidden_block_count_y
      - .offset:         56
        .size:           4
        .value_kind:     hidden_block_count_z
      - .offset:         60
        .size:           2
        .value_kind:     hidden_group_size_x
      - .offset:         62
        .size:           2
        .value_kind:     hidden_group_size_y
      - .offset:         64
        .size:           2
        .value_kind:     hidden_group_size_z
      - .offset:         66
        .size:           2
        .value_kind:     hidden_remainder_x
      - .offset:         68
        .size:           2
        .value_kind:     hidden_remainder_y
      - .offset:         70
        .size:           2
        .value_kind:     hidden_remainder_z
      - .offset:         88
        .size:           8
        .value_kind:     hidden_global_offset_x
      - .offset:         96
        .size:           8
        .value_kind:     hidden_global_offset_y
      - .offset:         104
        .size:           8
        .value_kind:     hidden_global_offset_z
      - .offset:         112
        .size:           2
        .value_kind:     hidden_grid_dims
    .group_segment_fixed_size: 0
    .kernarg_segment_align: 8
    .kernarg_segment_size: 304
    .language:       OpenCL C
    .language_version:
      - 2
      - 0
    .max_flat_workgroup_size: 1024
    .name:           _ZN12_GLOBAL__N_120softmax_warp_forwardIdddLi7ELb1ELb0ELi32EEEvPT0_PKT_iiiPKbib
    .private_segment_fixed_size: 0
    .sgpr_count:     40
    .sgpr_spill_count: 0
    .symbol:         _ZN12_GLOBAL__N_120softmax_warp_forwardIdddLi7ELb1ELb0ELi32EEEvPT0_PKT_iiiPKbib.kd
    .uniform_work_group_size: 1
    .uses_dynamic_stack: false
    .vgpr_count:     46
    .vgpr_spill_count: 0
    .wavefront_size: 32
    .workgroup_processor_mode: 1
  - .args:
      - .address_space:  global
        .offset:         0
        .size:           8
        .value_kind:     global_buffer
      - .address_space:  global
        .offset:         8
        .size:           8
        .value_kind:     global_buffer
      - .offset:         16
        .size:           4
        .value_kind:     by_value
      - .offset:         20
        .size:           4
        .value_kind:     by_value
      - .offset:         24
        .size:           4
        .value_kind:     by_value
      - .address_space:  global
        .offset:         32
        .size:           8
        .value_kind:     global_buffer
      - .offset:         40
        .size:           4
        .value_kind:     by_value
      - .offset:         44
        .size:           1
        .value_kind:     by_value
      - .offset:         48
        .size:           4
        .value_kind:     hidden_block_count_x
      - .offset:         52
        .size:           4
        .value_kind:     hidden_block_count_y
      - .offset:         56
        .size:           4
        .value_kind:     hidden_block_count_z
      - .offset:         60
        .size:           2
        .value_kind:     hidden_group_size_x
      - .offset:         62
        .size:           2
        .value_kind:     hidden_group_size_y
      - .offset:         64
        .size:           2
        .value_kind:     hidden_group_size_z
      - .offset:         66
        .size:           2
        .value_kind:     hidden_remainder_x
      - .offset:         68
        .size:           2
        .value_kind:     hidden_remainder_y
      - .offset:         70
        .size:           2
        .value_kind:     hidden_remainder_z
      - .offset:         88
        .size:           8
        .value_kind:     hidden_global_offset_x
      - .offset:         96
        .size:           8
        .value_kind:     hidden_global_offset_y
      - .offset:         104
        .size:           8
        .value_kind:     hidden_global_offset_z
      - .offset:         112
        .size:           2
        .value_kind:     hidden_grid_dims
    .group_segment_fixed_size: 0
    .kernarg_segment_align: 8
    .kernarg_segment_size: 304
    .language:       OpenCL C
    .language_version:
      - 2
      - 0
    .max_flat_workgroup_size: 1024
    .name:           _ZN12_GLOBAL__N_120softmax_warp_forwardIdddLi8ELb1ELb0ELi64EEEvPT0_PKT_iiiPKbib
    .private_segment_fixed_size: 0
    .sgpr_count:     22
    .sgpr_spill_count: 0
    .symbol:         _ZN12_GLOBAL__N_120softmax_warp_forwardIdddLi8ELb1ELb0ELi64EEEvPT0_PKT_iiiPKbib.kd
    .uniform_work_group_size: 1
    .uses_dynamic_stack: false
    .vgpr_count:     43
    .vgpr_spill_count: 0
    .wavefront_size: 32
    .workgroup_processor_mode: 1
  - .args:
      - .address_space:  global
        .offset:         0
        .size:           8
        .value_kind:     global_buffer
      - .address_space:  global
        .offset:         8
        .size:           8
        .value_kind:     global_buffer
      - .offset:         16
        .size:           4
        .value_kind:     by_value
      - .offset:         20
        .size:           4
        .value_kind:     by_value
      - .offset:         24
        .size:           4
        .value_kind:     by_value
      - .address_space:  global
        .offset:         32
        .size:           8
        .value_kind:     global_buffer
      - .offset:         40
        .size:           4
        .value_kind:     by_value
      - .offset:         44
        .size:           1
        .value_kind:     by_value
      - .offset:         48
        .size:           4
        .value_kind:     hidden_block_count_x
      - .offset:         52
        .size:           4
        .value_kind:     hidden_block_count_y
      - .offset:         56
        .size:           4
        .value_kind:     hidden_block_count_z
      - .offset:         60
        .size:           2
        .value_kind:     hidden_group_size_x
      - .offset:         62
        .size:           2
        .value_kind:     hidden_group_size_y
      - .offset:         64
        .size:           2
        .value_kind:     hidden_group_size_z
      - .offset:         66
        .size:           2
        .value_kind:     hidden_remainder_x
      - .offset:         68
        .size:           2
        .value_kind:     hidden_remainder_y
      - .offset:         70
        .size:           2
        .value_kind:     hidden_remainder_z
      - .offset:         88
        .size:           8
        .value_kind:     hidden_global_offset_x
      - .offset:         96
        .size:           8
        .value_kind:     hidden_global_offset_y
      - .offset:         104
        .size:           8
        .value_kind:     hidden_global_offset_z
      - .offset:         112
        .size:           2
        .value_kind:     hidden_grid_dims
    .group_segment_fixed_size: 0
    .kernarg_segment_align: 8
    .kernarg_segment_size: 304
    .language:       OpenCL C
    .language_version:
      - 2
      - 0
    .max_flat_workgroup_size: 1024
    .name:           _ZN12_GLOBAL__N_120softmax_warp_forwardIdddLi8ELb1ELb0ELi32EEEvPT0_PKT_iiiPKbib
    .private_segment_fixed_size: 0
    .sgpr_count:     40
    .sgpr_spill_count: 0
    .symbol:         _ZN12_GLOBAL__N_120softmax_warp_forwardIdddLi8ELb1ELb0ELi32EEEvPT0_PKT_iiiPKbib.kd
    .uniform_work_group_size: 1
    .uses_dynamic_stack: false
    .vgpr_count:     63
    .vgpr_spill_count: 0
    .wavefront_size: 32
    .workgroup_processor_mode: 1
  - .args:
      - .address_space:  global
        .offset:         0
        .size:           8
        .value_kind:     global_buffer
      - .address_space:  global
        .offset:         8
        .size:           8
        .value_kind:     global_buffer
      - .offset:         16
        .size:           4
        .value_kind:     by_value
      - .offset:         20
        .size:           4
        .value_kind:     by_value
      - .offset:         24
        .size:           4
        .value_kind:     by_value
      - .address_space:  global
        .offset:         32
        .size:           8
        .value_kind:     global_buffer
      - .offset:         40
        .size:           4
        .value_kind:     by_value
      - .offset:         44
        .size:           1
        .value_kind:     by_value
      - .offset:         48
        .size:           4
        .value_kind:     hidden_block_count_x
      - .offset:         52
        .size:           4
        .value_kind:     hidden_block_count_y
      - .offset:         56
        .size:           4
        .value_kind:     hidden_block_count_z
      - .offset:         60
        .size:           2
        .value_kind:     hidden_group_size_x
      - .offset:         62
        .size:           2
        .value_kind:     hidden_group_size_y
      - .offset:         64
        .size:           2
        .value_kind:     hidden_group_size_z
      - .offset:         66
        .size:           2
        .value_kind:     hidden_remainder_x
      - .offset:         68
        .size:           2
        .value_kind:     hidden_remainder_y
      - .offset:         70
        .size:           2
        .value_kind:     hidden_remainder_z
      - .offset:         88
        .size:           8
        .value_kind:     hidden_global_offset_x
      - .offset:         96
        .size:           8
        .value_kind:     hidden_global_offset_y
      - .offset:         104
        .size:           8
        .value_kind:     hidden_global_offset_z
      - .offset:         112
        .size:           2
        .value_kind:     hidden_grid_dims
    .group_segment_fixed_size: 0
    .kernarg_segment_align: 8
    .kernarg_segment_size: 304
    .language:       OpenCL C
    .language_version:
      - 2
      - 0
    .max_flat_workgroup_size: 1024
    .name:           _ZN12_GLOBAL__N_120softmax_warp_forwardIdddLi9ELb1ELb0ELi64EEEvPT0_PKT_iiiPKbib
    .private_segment_fixed_size: 0
    .sgpr_count:     40
    .sgpr_spill_count: 0
    .symbol:         _ZN12_GLOBAL__N_120softmax_warp_forwardIdddLi9ELb1ELb0ELi64EEEvPT0_PKT_iiiPKbib.kd
    .uniform_work_group_size: 1
    .uses_dynamic_stack: false
    .vgpr_count:     64
    .vgpr_spill_count: 0
    .wavefront_size: 32
    .workgroup_processor_mode: 1
  - .args:
      - .address_space:  global
        .offset:         0
        .size:           8
        .value_kind:     global_buffer
      - .address_space:  global
        .offset:         8
        .size:           8
        .value_kind:     global_buffer
      - .offset:         16
        .size:           4
        .value_kind:     by_value
      - .offset:         20
        .size:           4
        .value_kind:     by_value
      - .offset:         24
        .size:           4
        .value_kind:     by_value
      - .address_space:  global
        .offset:         32
        .size:           8
        .value_kind:     global_buffer
      - .offset:         40
        .size:           4
        .value_kind:     by_value
      - .offset:         44
        .size:           1
        .value_kind:     by_value
      - .offset:         48
        .size:           4
        .value_kind:     hidden_block_count_x
      - .offset:         52
        .size:           4
        .value_kind:     hidden_block_count_y
      - .offset:         56
        .size:           4
        .value_kind:     hidden_block_count_z
      - .offset:         60
        .size:           2
        .value_kind:     hidden_group_size_x
      - .offset:         62
        .size:           2
        .value_kind:     hidden_group_size_y
      - .offset:         64
        .size:           2
        .value_kind:     hidden_group_size_z
      - .offset:         66
        .size:           2
        .value_kind:     hidden_remainder_x
      - .offset:         68
        .size:           2
        .value_kind:     hidden_remainder_y
      - .offset:         70
        .size:           2
        .value_kind:     hidden_remainder_z
      - .offset:         88
        .size:           8
        .value_kind:     hidden_global_offset_x
      - .offset:         96
        .size:           8
        .value_kind:     hidden_global_offset_y
      - .offset:         104
        .size:           8
        .value_kind:     hidden_global_offset_z
      - .offset:         112
        .size:           2
        .value_kind:     hidden_grid_dims
    .group_segment_fixed_size: 0
    .kernarg_segment_align: 8
    .kernarg_segment_size: 304
    .language:       OpenCL C
    .language_version:
      - 2
      - 0
    .max_flat_workgroup_size: 1024
    .name:           _ZN12_GLOBAL__N_120softmax_warp_forwardIdddLi9ELb1ELb0ELi32EEEvPT0_PKT_iiiPKbib
    .private_segment_fixed_size: 0
    .sgpr_count:     52
    .sgpr_spill_count: 0
    .symbol:         _ZN12_GLOBAL__N_120softmax_warp_forwardIdddLi9ELb1ELb0ELi32EEEvPT0_PKT_iiiPKbib.kd
    .uniform_work_group_size: 1
    .uses_dynamic_stack: false
    .vgpr_count:     99
    .vgpr_spill_count: 0
    .wavefront_size: 32
    .workgroup_processor_mode: 1
  - .args:
      - .address_space:  global
        .offset:         0
        .size:           8
        .value_kind:     global_buffer
      - .address_space:  global
        .offset:         8
        .size:           8
        .value_kind:     global_buffer
      - .offset:         16
        .size:           4
        .value_kind:     by_value
      - .offset:         20
        .size:           4
        .value_kind:     by_value
      - .offset:         24
        .size:           4
        .value_kind:     by_value
      - .address_space:  global
        .offset:         32
        .size:           8
        .value_kind:     global_buffer
      - .offset:         40
        .size:           4
        .value_kind:     by_value
      - .offset:         44
        .size:           1
        .value_kind:     by_value
      - .offset:         48
        .size:           4
        .value_kind:     hidden_block_count_x
      - .offset:         52
        .size:           4
        .value_kind:     hidden_block_count_y
      - .offset:         56
        .size:           4
        .value_kind:     hidden_block_count_z
      - .offset:         60
        .size:           2
        .value_kind:     hidden_group_size_x
      - .offset:         62
        .size:           2
        .value_kind:     hidden_group_size_y
      - .offset:         64
        .size:           2
        .value_kind:     hidden_group_size_z
      - .offset:         66
        .size:           2
        .value_kind:     hidden_remainder_x
      - .offset:         68
        .size:           2
        .value_kind:     hidden_remainder_y
      - .offset:         70
        .size:           2
        .value_kind:     hidden_remainder_z
      - .offset:         88
        .size:           8
        .value_kind:     hidden_global_offset_x
      - .offset:         96
        .size:           8
        .value_kind:     hidden_global_offset_y
      - .offset:         104
        .size:           8
        .value_kind:     hidden_global_offset_z
      - .offset:         112
        .size:           2
        .value_kind:     hidden_grid_dims
    .group_segment_fixed_size: 0
    .kernarg_segment_align: 8
    .kernarg_segment_size: 304
    .language:       OpenCL C
    .language_version:
      - 2
      - 0
    .max_flat_workgroup_size: 1024
    .name:           _ZN12_GLOBAL__N_120softmax_warp_forwardIdddLi10ELb1ELb0ELi64EEEvPT0_PKT_iiiPKbib
    .private_segment_fixed_size: 0
    .sgpr_count:     52
    .sgpr_spill_count: 0
    .symbol:         _ZN12_GLOBAL__N_120softmax_warp_forwardIdddLi10ELb1ELb0ELi64EEEvPT0_PKT_iiiPKbib.kd
    .uniform_work_group_size: 1
    .uses_dynamic_stack: false
    .vgpr_count:     101
    .vgpr_spill_count: 0
    .wavefront_size: 32
    .workgroup_processor_mode: 1
  - .args:
      - .address_space:  global
        .offset:         0
        .size:           8
        .value_kind:     global_buffer
      - .address_space:  global
        .offset:         8
        .size:           8
        .value_kind:     global_buffer
      - .offset:         16
        .size:           4
        .value_kind:     by_value
      - .offset:         20
        .size:           4
        .value_kind:     by_value
      - .offset:         24
        .size:           4
        .value_kind:     by_value
      - .address_space:  global
        .offset:         32
        .size:           8
        .value_kind:     global_buffer
      - .offset:         40
        .size:           4
        .value_kind:     by_value
      - .offset:         44
        .size:           1
        .value_kind:     by_value
      - .offset:         48
        .size:           4
        .value_kind:     hidden_block_count_x
      - .offset:         52
        .size:           4
        .value_kind:     hidden_block_count_y
      - .offset:         56
        .size:           4
        .value_kind:     hidden_block_count_z
      - .offset:         60
        .size:           2
        .value_kind:     hidden_group_size_x
      - .offset:         62
        .size:           2
        .value_kind:     hidden_group_size_y
      - .offset:         64
        .size:           2
        .value_kind:     hidden_group_size_z
      - .offset:         66
        .size:           2
        .value_kind:     hidden_remainder_x
      - .offset:         68
        .size:           2
        .value_kind:     hidden_remainder_y
      - .offset:         70
        .size:           2
        .value_kind:     hidden_remainder_z
      - .offset:         88
        .size:           8
        .value_kind:     hidden_global_offset_x
      - .offset:         96
        .size:           8
        .value_kind:     hidden_global_offset_y
      - .offset:         104
        .size:           8
        .value_kind:     hidden_global_offset_z
      - .offset:         112
        .size:           2
        .value_kind:     hidden_grid_dims
    .group_segment_fixed_size: 0
    .kernarg_segment_align: 8
    .kernarg_segment_size: 304
    .language:       OpenCL C
    .language_version:
      - 2
      - 0
    .max_flat_workgroup_size: 1024
    .name:           _ZN12_GLOBAL__N_120softmax_warp_forwardIdddLi10ELb1ELb0ELi32EEEvPT0_PKT_iiiPKbib
    .private_segment_fixed_size: 0
    .sgpr_count:     64
    .sgpr_spill_count: 0
    .symbol:         _ZN12_GLOBAL__N_120softmax_warp_forwardIdddLi10ELb1ELb0ELi32EEEvPT0_PKT_iiiPKbib.kd
    .uniform_work_group_size: 1
    .uses_dynamic_stack: false
    .vgpr_count:     87
    .vgpr_spill_count: 0
    .wavefront_size: 32
    .workgroup_processor_mode: 1
  - .args:
      - .address_space:  global
        .offset:         0
        .size:           8
        .value_kind:     global_buffer
      - .address_space:  global
        .offset:         8
        .size:           8
        .value_kind:     global_buffer
      - .offset:         16
        .size:           4
        .value_kind:     by_value
      - .offset:         20
        .size:           4
        .value_kind:     by_value
      - .offset:         24
        .size:           4
        .value_kind:     by_value
      - .address_space:  global
        .offset:         32
        .size:           8
        .value_kind:     global_buffer
      - .offset:         40
        .size:           4
        .value_kind:     by_value
      - .offset:         44
        .size:           1
        .value_kind:     by_value
      - .offset:         48
        .size:           4
        .value_kind:     hidden_block_count_x
      - .offset:         52
        .size:           4
        .value_kind:     hidden_block_count_y
      - .offset:         56
        .size:           4
        .value_kind:     hidden_block_count_z
      - .offset:         60
        .size:           2
        .value_kind:     hidden_group_size_x
      - .offset:         62
        .size:           2
        .value_kind:     hidden_group_size_y
      - .offset:         64
        .size:           2
        .value_kind:     hidden_group_size_z
      - .offset:         66
        .size:           2
        .value_kind:     hidden_remainder_x
      - .offset:         68
        .size:           2
        .value_kind:     hidden_remainder_y
      - .offset:         70
        .size:           2
        .value_kind:     hidden_remainder_z
      - .offset:         88
        .size:           8
        .value_kind:     hidden_global_offset_x
      - .offset:         96
        .size:           8
        .value_kind:     hidden_global_offset_y
      - .offset:         104
        .size:           8
        .value_kind:     hidden_global_offset_z
      - .offset:         112
        .size:           2
        .value_kind:     hidden_grid_dims
    .group_segment_fixed_size: 0
    .kernarg_segment_align: 8
    .kernarg_segment_size: 304
    .language:       OpenCL C
    .language_version:
      - 2
      - 0
    .max_flat_workgroup_size: 1024
    .name:           _ZN12_GLOBAL__N_120softmax_warp_forwardIdddLi11ELb1ELb0ELi64EEEvPT0_PKT_iiiPKbib
    .private_segment_fixed_size: 0
    .sgpr_count:     64
    .sgpr_spill_count: 0
    .symbol:         _ZN12_GLOBAL__N_120softmax_warp_forwardIdddLi11ELb1ELb0ELi64EEEvPT0_PKT_iiiPKbib.kd
    .uniform_work_group_size: 1
    .uses_dynamic_stack: false
    .vgpr_count:     87
    .vgpr_spill_count: 0
    .wavefront_size: 32
    .workgroup_processor_mode: 1
  - .args:
      - .address_space:  global
        .offset:         0
        .size:           8
        .value_kind:     global_buffer
      - .address_space:  global
        .offset:         8
        .size:           8
        .value_kind:     global_buffer
      - .offset:         16
        .size:           4
        .value_kind:     by_value
      - .offset:         20
        .size:           4
        .value_kind:     by_value
      - .offset:         24
        .size:           4
        .value_kind:     by_value
      - .address_space:  global
        .offset:         32
        .size:           8
        .value_kind:     global_buffer
      - .offset:         40
        .size:           4
        .value_kind:     by_value
      - .offset:         44
        .size:           1
        .value_kind:     by_value
      - .offset:         48
        .size:           4
        .value_kind:     hidden_block_count_x
      - .offset:         52
        .size:           4
        .value_kind:     hidden_block_count_y
      - .offset:         56
        .size:           4
        .value_kind:     hidden_block_count_z
      - .offset:         60
        .size:           2
        .value_kind:     hidden_group_size_x
      - .offset:         62
        .size:           2
        .value_kind:     hidden_group_size_y
      - .offset:         64
        .size:           2
        .value_kind:     hidden_group_size_z
      - .offset:         66
        .size:           2
        .value_kind:     hidden_remainder_x
      - .offset:         68
        .size:           2
        .value_kind:     hidden_remainder_y
      - .offset:         70
        .size:           2
        .value_kind:     hidden_remainder_z
      - .offset:         88
        .size:           8
        .value_kind:     hidden_global_offset_x
      - .offset:         96
        .size:           8
        .value_kind:     hidden_global_offset_y
      - .offset:         104
        .size:           8
        .value_kind:     hidden_global_offset_z
      - .offset:         112
        .size:           2
        .value_kind:     hidden_grid_dims
    .group_segment_fixed_size: 0
    .kernarg_segment_align: 8
    .kernarg_segment_size: 304
    .language:       OpenCL C
    .language_version:
      - 2
      - 0
    .max_flat_workgroup_size: 1024
    .name:           _ZN12_GLOBAL__N_120softmax_warp_forwardIdddLi11ELb1ELb0ELi32EEEvPT0_PKT_iiiPKbib
    .private_segment_fixed_size: 424
    .sgpr_count:     102
    .sgpr_spill_count: 0
    .symbol:         _ZN12_GLOBAL__N_120softmax_warp_forwardIdddLi11ELb1ELb0ELi32EEEvPT0_PKT_iiiPKbib.kd
    .uniform_work_group_size: 1
    .uses_dynamic_stack: false
    .vgpr_count:     128
    .vgpr_spill_count: 119
    .wavefront_size: 32
    .workgroup_processor_mode: 1
  - .args:
      - .address_space:  global
        .offset:         0
        .size:           8
        .value_kind:     global_buffer
      - .address_space:  global
        .offset:         8
        .size:           8
        .value_kind:     global_buffer
      - .offset:         16
        .size:           8
        .value_kind:     by_value
      - .offset:         24
        .size:           4
        .value_kind:     hidden_block_count_x
      - .offset:         28
        .size:           4
        .value_kind:     hidden_block_count_y
      - .offset:         32
        .size:           4
        .value_kind:     hidden_block_count_z
      - .offset:         36
        .size:           2
        .value_kind:     hidden_group_size_x
      - .offset:         38
        .size:           2
        .value_kind:     hidden_group_size_y
      - .offset:         40
        .size:           2
        .value_kind:     hidden_group_size_z
      - .offset:         42
        .size:           2
        .value_kind:     hidden_remainder_x
      - .offset:         44
        .size:           2
        .value_kind:     hidden_remainder_y
      - .offset:         46
        .size:           2
        .value_kind:     hidden_remainder_z
      - .offset:         64
        .size:           8
        .value_kind:     hidden_global_offset_x
      - .offset:         72
        .size:           8
        .value_kind:     hidden_global_offset_y
      - .offset:         80
        .size:           8
        .value_kind:     hidden_global_offset_z
      - .offset:         88
        .size:           2
        .value_kind:     hidden_grid_dims
      - .offset:         144
        .size:           4
        .value_kind:     hidden_dynamic_lds_size
    .group_segment_fixed_size: 0
    .kernarg_segment_align: 8
    .kernarg_segment_size: 280
    .language:       OpenCL C
    .language_version:
      - 2
      - 0
    .max_flat_workgroup_size: 1024
    .name:           _ZN2at6native12_GLOBAL__N_122cunn_SoftMaxForwardRegIdddNS1_25LogSoftMaxForwardEpilogueElLi1EEEvPT1_PKT_T3_
    .private_segment_fixed_size: 0
    .sgpr_count:     16
    .sgpr_spill_count: 0
    .symbol:         _ZN2at6native12_GLOBAL__N_122cunn_SoftMaxForwardRegIdddNS1_25LogSoftMaxForwardEpilogueElLi1EEEvPT1_PKT_T3_.kd
    .uniform_work_group_size: 1
    .uses_dynamic_stack: false
    .vgpr_count:     24
    .vgpr_spill_count: 0
    .wavefront_size: 32
    .workgroup_processor_mode: 1
  - .args:
      - .address_space:  global
        .offset:         0
        .size:           8
        .value_kind:     global_buffer
      - .address_space:  global
        .offset:         8
        .size:           8
        .value_kind:     global_buffer
      - .offset:         16
        .size:           8
        .value_kind:     by_value
      - .offset:         24
        .size:           4
        .value_kind:     hidden_block_count_x
      - .offset:         28
        .size:           4
        .value_kind:     hidden_block_count_y
      - .offset:         32
        .size:           4
        .value_kind:     hidden_block_count_z
      - .offset:         36
        .size:           2
        .value_kind:     hidden_group_size_x
      - .offset:         38
        .size:           2
        .value_kind:     hidden_group_size_y
      - .offset:         40
        .size:           2
        .value_kind:     hidden_group_size_z
      - .offset:         42
        .size:           2
        .value_kind:     hidden_remainder_x
      - .offset:         44
        .size:           2
        .value_kind:     hidden_remainder_y
      - .offset:         46
        .size:           2
        .value_kind:     hidden_remainder_z
      - .offset:         64
        .size:           8
        .value_kind:     hidden_global_offset_x
      - .offset:         72
        .size:           8
        .value_kind:     hidden_global_offset_y
      - .offset:         80
        .size:           8
        .value_kind:     hidden_global_offset_z
      - .offset:         88
        .size:           2
        .value_kind:     hidden_grid_dims
      - .offset:         144
        .size:           4
        .value_kind:     hidden_dynamic_lds_size
    .group_segment_fixed_size: 0
    .kernarg_segment_align: 8
    .kernarg_segment_size: 280
    .language:       OpenCL C
    .language_version:
      - 2
      - 0
    .max_flat_workgroup_size: 1024
    .name:           _ZN2at6native12_GLOBAL__N_122cunn_SoftMaxForwardRegIdddNS1_25LogSoftMaxForwardEpilogueElLi2EEEvPT1_PKT_T3_
    .private_segment_fixed_size: 0
    .sgpr_count:     18
    .sgpr_spill_count: 0
    .symbol:         _ZN2at6native12_GLOBAL__N_122cunn_SoftMaxForwardRegIdddNS1_25LogSoftMaxForwardEpilogueElLi2EEEvPT1_PKT_T3_.kd
    .uniform_work_group_size: 1
    .uses_dynamic_stack: false
    .vgpr_count:     30
    .vgpr_spill_count: 0
    .wavefront_size: 32
    .workgroup_processor_mode: 1
  - .args:
      - .address_space:  global
        .offset:         0
        .size:           8
        .value_kind:     global_buffer
      - .address_space:  global
        .offset:         8
        .size:           8
        .value_kind:     global_buffer
      - .offset:         16
        .size:           8
        .value_kind:     by_value
      - .offset:         24
        .size:           4
        .value_kind:     hidden_block_count_x
      - .offset:         28
        .size:           4
        .value_kind:     hidden_block_count_y
      - .offset:         32
        .size:           4
        .value_kind:     hidden_block_count_z
      - .offset:         36
        .size:           2
        .value_kind:     hidden_group_size_x
      - .offset:         38
        .size:           2
        .value_kind:     hidden_group_size_y
      - .offset:         40
        .size:           2
        .value_kind:     hidden_group_size_z
      - .offset:         42
        .size:           2
        .value_kind:     hidden_remainder_x
      - .offset:         44
        .size:           2
        .value_kind:     hidden_remainder_y
      - .offset:         46
        .size:           2
        .value_kind:     hidden_remainder_z
      - .offset:         64
        .size:           8
        .value_kind:     hidden_global_offset_x
      - .offset:         72
        .size:           8
        .value_kind:     hidden_global_offset_y
      - .offset:         80
        .size:           8
        .value_kind:     hidden_global_offset_z
      - .offset:         88
        .size:           2
        .value_kind:     hidden_grid_dims
      - .offset:         144
        .size:           4
        .value_kind:     hidden_dynamic_lds_size
    .group_segment_fixed_size: 0
    .kernarg_segment_align: 8
    .kernarg_segment_size: 280
    .language:       OpenCL C
    .language_version:
      - 2
      - 0
    .max_flat_workgroup_size: 1024
    .name:           _ZN2at6native12_GLOBAL__N_122cunn_SoftMaxForwardRegIdddNS1_25LogSoftMaxForwardEpilogueElLi3EEEvPT1_PKT_T3_
    .private_segment_fixed_size: 0
    .sgpr_count:     18
    .sgpr_spill_count: 0
    .symbol:         _ZN2at6native12_GLOBAL__N_122cunn_SoftMaxForwardRegIdddNS1_25LogSoftMaxForwardEpilogueElLi3EEEvPT1_PKT_T3_.kd
    .uniform_work_group_size: 1
    .uses_dynamic_stack: false
    .vgpr_count:     34
    .vgpr_spill_count: 0
    .wavefront_size: 32
    .workgroup_processor_mode: 1
  - .args:
      - .address_space:  global
        .offset:         0
        .size:           8
        .value_kind:     global_buffer
      - .address_space:  global
        .offset:         8
        .size:           8
        .value_kind:     global_buffer
      - .offset:         16
        .size:           8
        .value_kind:     by_value
      - .offset:         24
        .size:           4
        .value_kind:     hidden_block_count_x
      - .offset:         28
        .size:           4
        .value_kind:     hidden_block_count_y
      - .offset:         32
        .size:           4
        .value_kind:     hidden_block_count_z
      - .offset:         36
        .size:           2
        .value_kind:     hidden_group_size_x
      - .offset:         38
        .size:           2
        .value_kind:     hidden_group_size_y
      - .offset:         40
        .size:           2
        .value_kind:     hidden_group_size_z
      - .offset:         42
        .size:           2
        .value_kind:     hidden_remainder_x
      - .offset:         44
        .size:           2
        .value_kind:     hidden_remainder_y
      - .offset:         46
        .size:           2
        .value_kind:     hidden_remainder_z
      - .offset:         64
        .size:           8
        .value_kind:     hidden_global_offset_x
      - .offset:         72
        .size:           8
        .value_kind:     hidden_global_offset_y
      - .offset:         80
        .size:           8
        .value_kind:     hidden_global_offset_z
      - .offset:         88
        .size:           2
        .value_kind:     hidden_grid_dims
      - .offset:         144
        .size:           4
        .value_kind:     hidden_dynamic_lds_size
    .group_segment_fixed_size: 0
    .kernarg_segment_align: 8
    .kernarg_segment_size: 280
    .language:       OpenCL C
    .language_version:
      - 2
      - 0
    .max_flat_workgroup_size: 1024
    .name:           _ZN2at6native12_GLOBAL__N_122cunn_SoftMaxForwardRegIdddNS1_25LogSoftMaxForwardEpilogueElLi4EEEvPT1_PKT_T3_
    .private_segment_fixed_size: 0
    .sgpr_count:     20
    .sgpr_spill_count: 0
    .symbol:         _ZN2at6native12_GLOBAL__N_122cunn_SoftMaxForwardRegIdddNS1_25LogSoftMaxForwardEpilogueElLi4EEEvPT1_PKT_T3_.kd
    .uniform_work_group_size: 1
    .uses_dynamic_stack: false
    .vgpr_count:     37
    .vgpr_spill_count: 0
    .wavefront_size: 32
    .workgroup_processor_mode: 1
  - .args:
      - .address_space:  global
        .offset:         0
        .size:           8
        .value_kind:     global_buffer
      - .address_space:  global
        .offset:         8
        .size:           8
        .value_kind:     global_buffer
      - .offset:         16
        .size:           8
        .value_kind:     by_value
      - .offset:         24
        .size:           4
        .value_kind:     hidden_block_count_x
      - .offset:         28
        .size:           4
        .value_kind:     hidden_block_count_y
      - .offset:         32
        .size:           4
        .value_kind:     hidden_block_count_z
      - .offset:         36
        .size:           2
        .value_kind:     hidden_group_size_x
      - .offset:         38
        .size:           2
        .value_kind:     hidden_group_size_y
      - .offset:         40
        .size:           2
        .value_kind:     hidden_group_size_z
      - .offset:         42
        .size:           2
        .value_kind:     hidden_remainder_x
      - .offset:         44
        .size:           2
        .value_kind:     hidden_remainder_y
      - .offset:         46
        .size:           2
        .value_kind:     hidden_remainder_z
      - .offset:         64
        .size:           8
        .value_kind:     hidden_global_offset_x
      - .offset:         72
        .size:           8
        .value_kind:     hidden_global_offset_y
      - .offset:         80
        .size:           8
        .value_kind:     hidden_global_offset_z
      - .offset:         88
        .size:           2
        .value_kind:     hidden_grid_dims
      - .offset:         144
        .size:           4
        .value_kind:     hidden_dynamic_lds_size
    .group_segment_fixed_size: 0
    .kernarg_segment_align: 8
    .kernarg_segment_size: 280
    .language:       OpenCL C
    .language_version:
      - 2
      - 0
    .max_flat_workgroup_size: 1024
    .name:           _ZN2at6native12_GLOBAL__N_122cunn_SoftMaxForwardRegIdddNS1_25LogSoftMaxForwardEpilogueElLi5EEEvPT1_PKT_T3_
    .private_segment_fixed_size: 0
    .sgpr_count:     20
    .sgpr_spill_count: 0
    .symbol:         _ZN2at6native12_GLOBAL__N_122cunn_SoftMaxForwardRegIdddNS1_25LogSoftMaxForwardEpilogueElLi5EEEvPT1_PKT_T3_.kd
    .uniform_work_group_size: 1
    .uses_dynamic_stack: false
    .vgpr_count:     39
    .vgpr_spill_count: 0
    .wavefront_size: 32
    .workgroup_processor_mode: 1
  - .args:
      - .address_space:  global
        .offset:         0
        .size:           8
        .value_kind:     global_buffer
      - .address_space:  global
        .offset:         8
        .size:           8
        .value_kind:     global_buffer
      - .offset:         16
        .size:           8
        .value_kind:     by_value
      - .offset:         24
        .size:           4
        .value_kind:     hidden_block_count_x
      - .offset:         28
        .size:           4
        .value_kind:     hidden_block_count_y
      - .offset:         32
        .size:           4
        .value_kind:     hidden_block_count_z
      - .offset:         36
        .size:           2
        .value_kind:     hidden_group_size_x
      - .offset:         38
        .size:           2
        .value_kind:     hidden_group_size_y
      - .offset:         40
        .size:           2
        .value_kind:     hidden_group_size_z
      - .offset:         42
        .size:           2
        .value_kind:     hidden_remainder_x
      - .offset:         44
        .size:           2
        .value_kind:     hidden_remainder_y
      - .offset:         46
        .size:           2
        .value_kind:     hidden_remainder_z
      - .offset:         64
        .size:           8
        .value_kind:     hidden_global_offset_x
      - .offset:         72
        .size:           8
        .value_kind:     hidden_global_offset_y
      - .offset:         80
        .size:           8
        .value_kind:     hidden_global_offset_z
      - .offset:         88
        .size:           2
        .value_kind:     hidden_grid_dims
      - .offset:         144
        .size:           4
        .value_kind:     hidden_dynamic_lds_size
    .group_segment_fixed_size: 0
    .kernarg_segment_align: 8
    .kernarg_segment_size: 280
    .language:       OpenCL C
    .language_version:
      - 2
      - 0
    .max_flat_workgroup_size: 1024
    .name:           _ZN2at6native12_GLOBAL__N_122cunn_SoftMaxForwardRegIdddNS1_25LogSoftMaxForwardEpilogueElLi6EEEvPT1_PKT_T3_
    .private_segment_fixed_size: 0
    .sgpr_count:     22
    .sgpr_spill_count: 0
    .symbol:         _ZN2at6native12_GLOBAL__N_122cunn_SoftMaxForwardRegIdddNS1_25LogSoftMaxForwardEpilogueElLi6EEEvPT1_PKT_T3_.kd
    .uniform_work_group_size: 1
    .uses_dynamic_stack: false
    .vgpr_count:     42
    .vgpr_spill_count: 0
    .wavefront_size: 32
    .workgroup_processor_mode: 1
  - .args:
      - .address_space:  global
        .offset:         0
        .size:           8
        .value_kind:     global_buffer
      - .address_space:  global
        .offset:         8
        .size:           8
        .value_kind:     global_buffer
      - .offset:         16
        .size:           8
        .value_kind:     by_value
      - .offset:         24
        .size:           4
        .value_kind:     hidden_block_count_x
      - .offset:         28
        .size:           4
        .value_kind:     hidden_block_count_y
      - .offset:         32
        .size:           4
        .value_kind:     hidden_block_count_z
      - .offset:         36
        .size:           2
        .value_kind:     hidden_group_size_x
      - .offset:         38
        .size:           2
        .value_kind:     hidden_group_size_y
      - .offset:         40
        .size:           2
        .value_kind:     hidden_group_size_z
      - .offset:         42
        .size:           2
        .value_kind:     hidden_remainder_x
      - .offset:         44
        .size:           2
        .value_kind:     hidden_remainder_y
      - .offset:         46
        .size:           2
        .value_kind:     hidden_remainder_z
      - .offset:         64
        .size:           8
        .value_kind:     hidden_global_offset_x
      - .offset:         72
        .size:           8
        .value_kind:     hidden_global_offset_y
      - .offset:         80
        .size:           8
        .value_kind:     hidden_global_offset_z
      - .offset:         88
        .size:           2
        .value_kind:     hidden_grid_dims
      - .offset:         144
        .size:           4
        .value_kind:     hidden_dynamic_lds_size
    .group_segment_fixed_size: 0
    .kernarg_segment_align: 8
    .kernarg_segment_size: 280
    .language:       OpenCL C
    .language_version:
      - 2
      - 0
    .max_flat_workgroup_size: 1024
    .name:           _ZN2at6native12_GLOBAL__N_122cunn_SoftMaxForwardRegIdddNS1_25LogSoftMaxForwardEpilogueElLi7EEEvPT1_PKT_T3_
    .private_segment_fixed_size: 0
    .sgpr_count:     22
    .sgpr_spill_count: 0
    .symbol:         _ZN2at6native12_GLOBAL__N_122cunn_SoftMaxForwardRegIdddNS1_25LogSoftMaxForwardEpilogueElLi7EEEvPT1_PKT_T3_.kd
    .uniform_work_group_size: 1
    .uses_dynamic_stack: false
    .vgpr_count:     46
    .vgpr_spill_count: 0
    .wavefront_size: 32
    .workgroup_processor_mode: 1
  - .args:
      - .address_space:  global
        .offset:         0
        .size:           8
        .value_kind:     global_buffer
      - .address_space:  global
        .offset:         8
        .size:           8
        .value_kind:     global_buffer
      - .offset:         16
        .size:           8
        .value_kind:     by_value
      - .offset:         24
        .size:           4
        .value_kind:     hidden_block_count_x
      - .offset:         28
        .size:           4
        .value_kind:     hidden_block_count_y
      - .offset:         32
        .size:           4
        .value_kind:     hidden_block_count_z
      - .offset:         36
        .size:           2
        .value_kind:     hidden_group_size_x
      - .offset:         38
        .size:           2
        .value_kind:     hidden_group_size_y
      - .offset:         40
        .size:           2
        .value_kind:     hidden_group_size_z
      - .offset:         42
        .size:           2
        .value_kind:     hidden_remainder_x
      - .offset:         44
        .size:           2
        .value_kind:     hidden_remainder_y
      - .offset:         46
        .size:           2
        .value_kind:     hidden_remainder_z
      - .offset:         64
        .size:           8
        .value_kind:     hidden_global_offset_x
      - .offset:         72
        .size:           8
        .value_kind:     hidden_global_offset_y
      - .offset:         80
        .size:           8
        .value_kind:     hidden_global_offset_z
      - .offset:         88
        .size:           2
        .value_kind:     hidden_grid_dims
      - .offset:         144
        .size:           4
        .value_kind:     hidden_dynamic_lds_size
    .group_segment_fixed_size: 0
    .kernarg_segment_align: 8
    .kernarg_segment_size: 280
    .language:       OpenCL C
    .language_version:
      - 2
      - 0
    .max_flat_workgroup_size: 1024
    .name:           _ZN2at6native12_GLOBAL__N_122cunn_SoftMaxForwardRegIdddNS1_25LogSoftMaxForwardEpilogueElLi8EEEvPT1_PKT_T3_
    .private_segment_fixed_size: 0
    .sgpr_count:     24
    .sgpr_spill_count: 0
    .symbol:         _ZN2at6native12_GLOBAL__N_122cunn_SoftMaxForwardRegIdddNS1_25LogSoftMaxForwardEpilogueElLi8EEEvPT1_PKT_T3_.kd
    .uniform_work_group_size: 1
    .uses_dynamic_stack: false
    .vgpr_count:     49
    .vgpr_spill_count: 0
    .wavefront_size: 32
    .workgroup_processor_mode: 1
  - .args:
      - .address_space:  global
        .offset:         0
        .size:           8
        .value_kind:     global_buffer
      - .address_space:  global
        .offset:         8
        .size:           8
        .value_kind:     global_buffer
      - .offset:         16
        .size:           8
        .value_kind:     by_value
      - .offset:         24
        .size:           4
        .value_kind:     hidden_block_count_x
      - .offset:         28
        .size:           4
        .value_kind:     hidden_block_count_y
      - .offset:         32
        .size:           4
        .value_kind:     hidden_block_count_z
      - .offset:         36
        .size:           2
        .value_kind:     hidden_group_size_x
      - .offset:         38
        .size:           2
        .value_kind:     hidden_group_size_y
      - .offset:         40
        .size:           2
        .value_kind:     hidden_group_size_z
      - .offset:         42
        .size:           2
        .value_kind:     hidden_remainder_x
      - .offset:         44
        .size:           2
        .value_kind:     hidden_remainder_y
      - .offset:         46
        .size:           2
        .value_kind:     hidden_remainder_z
      - .offset:         64
        .size:           8
        .value_kind:     hidden_global_offset_x
      - .offset:         72
        .size:           8
        .value_kind:     hidden_global_offset_y
      - .offset:         80
        .size:           8
        .value_kind:     hidden_global_offset_z
      - .offset:         88
        .size:           2
        .value_kind:     hidden_grid_dims
      - .offset:         144
        .size:           4
        .value_kind:     hidden_dynamic_lds_size
    .group_segment_fixed_size: 0
    .kernarg_segment_align: 8
    .kernarg_segment_size: 280
    .language:       OpenCL C
    .language_version:
      - 2
      - 0
    .max_flat_workgroup_size: 1024
    .name:           _ZN2at6native12_GLOBAL__N_122cunn_SoftMaxForwardRegIdddNS1_25LogSoftMaxForwardEpilogueElLi9EEEvPT1_PKT_T3_
    .private_segment_fixed_size: 0
    .sgpr_count:     24
    .sgpr_spill_count: 0
    .symbol:         _ZN2at6native12_GLOBAL__N_122cunn_SoftMaxForwardRegIdddNS1_25LogSoftMaxForwardEpilogueElLi9EEEvPT1_PKT_T3_.kd
    .uniform_work_group_size: 1
    .uses_dynamic_stack: false
    .vgpr_count:     64
    .vgpr_spill_count: 0
    .wavefront_size: 32
    .workgroup_processor_mode: 1
  - .args:
      - .address_space:  global
        .offset:         0
        .size:           8
        .value_kind:     global_buffer
      - .address_space:  global
        .offset:         8
        .size:           8
        .value_kind:     global_buffer
      - .offset:         16
        .size:           8
        .value_kind:     by_value
      - .offset:         24
        .size:           4
        .value_kind:     hidden_block_count_x
      - .offset:         28
        .size:           4
        .value_kind:     hidden_block_count_y
      - .offset:         32
        .size:           4
        .value_kind:     hidden_block_count_z
      - .offset:         36
        .size:           2
        .value_kind:     hidden_group_size_x
      - .offset:         38
        .size:           2
        .value_kind:     hidden_group_size_y
      - .offset:         40
        .size:           2
        .value_kind:     hidden_group_size_z
      - .offset:         42
        .size:           2
        .value_kind:     hidden_remainder_x
      - .offset:         44
        .size:           2
        .value_kind:     hidden_remainder_y
      - .offset:         46
        .size:           2
        .value_kind:     hidden_remainder_z
      - .offset:         64
        .size:           8
        .value_kind:     hidden_global_offset_x
      - .offset:         72
        .size:           8
        .value_kind:     hidden_global_offset_y
      - .offset:         80
        .size:           8
        .value_kind:     hidden_global_offset_z
      - .offset:         88
        .size:           2
        .value_kind:     hidden_grid_dims
      - .offset:         144
        .size:           4
        .value_kind:     hidden_dynamic_lds_size
    .group_segment_fixed_size: 0
    .kernarg_segment_align: 8
    .kernarg_segment_size: 280
    .language:       OpenCL C
    .language_version:
      - 2
      - 0
    .max_flat_workgroup_size: 1024
    .name:           _ZN2at6native12_GLOBAL__N_123cunn_SoftMaxForwardSmemILi2EdddNS1_25LogSoftMaxForwardEpilogueElEEvPT2_PKT0_T4_
    .private_segment_fixed_size: 0
    .sgpr_count:     49
    .sgpr_spill_count: 0
    .symbol:         _ZN2at6native12_GLOBAL__N_123cunn_SoftMaxForwardSmemILi2EdddNS1_25LogSoftMaxForwardEpilogueElEEvPT2_PKT0_T4_.kd
    .uniform_work_group_size: 1
    .uses_dynamic_stack: false
    .vgpr_count:     34
    .vgpr_spill_count: 0
    .wavefront_size: 32
    .workgroup_processor_mode: 1
  - .args:
      - .address_space:  global
        .offset:         0
        .size:           8
        .value_kind:     global_buffer
      - .address_space:  global
        .offset:         8
        .size:           8
        .value_kind:     global_buffer
      - .offset:         16
        .size:           4
        .value_kind:     by_value
      - .offset:         24
        .size:           4
        .value_kind:     hidden_block_count_x
      - .offset:         28
        .size:           4
        .value_kind:     hidden_block_count_y
      - .offset:         32
        .size:           4
        .value_kind:     hidden_block_count_z
      - .offset:         36
        .size:           2
        .value_kind:     hidden_group_size_x
      - .offset:         38
        .size:           2
        .value_kind:     hidden_group_size_y
      - .offset:         40
        .size:           2
        .value_kind:     hidden_group_size_z
      - .offset:         42
        .size:           2
        .value_kind:     hidden_remainder_x
      - .offset:         44
        .size:           2
        .value_kind:     hidden_remainder_y
      - .offset:         46
        .size:           2
        .value_kind:     hidden_remainder_z
      - .offset:         64
        .size:           8
        .value_kind:     hidden_global_offset_x
      - .offset:         72
        .size:           8
        .value_kind:     hidden_global_offset_y
      - .offset:         80
        .size:           8
        .value_kind:     hidden_global_offset_z
      - .offset:         88
        .size:           2
        .value_kind:     hidden_grid_dims
      - .offset:         144
        .size:           4
        .value_kind:     hidden_dynamic_lds_size
    .group_segment_fixed_size: 0
    .kernarg_segment_align: 8
    .kernarg_segment_size: 280
    .language:       OpenCL C
    .language_version:
      - 2
      - 0
    .max_flat_workgroup_size: 1024
    .name:           _ZN2at6native12_GLOBAL__N_119cunn_SoftMaxForwardILi2EdddNS1_25LogSoftMaxForwardEpilogueEEEvPT2_PKT0_i
    .private_segment_fixed_size: 0
    .sgpr_count:     53
    .sgpr_spill_count: 0
    .symbol:         _ZN2at6native12_GLOBAL__N_119cunn_SoftMaxForwardILi2EdddNS1_25LogSoftMaxForwardEpilogueEEEvPT2_PKT0_i.kd
    .uniform_work_group_size: 1
    .uses_dynamic_stack: false
    .vgpr_count:     33
    .vgpr_spill_count: 0
    .wavefront_size: 32
    .workgroup_processor_mode: 1
  - .args:
      - .address_space:  global
        .offset:         0
        .size:           8
        .value_kind:     global_buffer
      - .address_space:  global
        .offset:         8
        .size:           8
        .value_kind:     global_buffer
      - .offset:         16
        .size:           4
        .value_kind:     by_value
      - .offset:         20
        .size:           4
        .value_kind:     by_value
      - .offset:         24
        .size:           4
        .value_kind:     by_value
      - .address_space:  global
        .offset:         32
        .size:           8
        .value_kind:     global_buffer
      - .offset:         40
        .size:           4
        .value_kind:     by_value
      - .offset:         44
        .size:           1
        .value_kind:     by_value
      - .offset:         48
        .size:           4
        .value_kind:     hidden_block_count_x
      - .offset:         52
        .size:           4
        .value_kind:     hidden_block_count_y
      - .offset:         56
        .size:           4
        .value_kind:     hidden_block_count_z
      - .offset:         60
        .size:           2
        .value_kind:     hidden_group_size_x
      - .offset:         62
        .size:           2
        .value_kind:     hidden_group_size_y
      - .offset:         64
        .size:           2
        .value_kind:     hidden_group_size_z
      - .offset:         66
        .size:           2
        .value_kind:     hidden_remainder_x
      - .offset:         68
        .size:           2
        .value_kind:     hidden_remainder_y
      - .offset:         70
        .size:           2
        .value_kind:     hidden_remainder_z
      - .offset:         88
        .size:           8
        .value_kind:     hidden_global_offset_x
      - .offset:         96
        .size:           8
        .value_kind:     hidden_global_offset_y
      - .offset:         104
        .size:           8
        .value_kind:     hidden_global_offset_z
      - .offset:         112
        .size:           2
        .value_kind:     hidden_grid_dims
    .group_segment_fixed_size: 0
    .kernarg_segment_align: 8
    .kernarg_segment_size: 304
    .language:       OpenCL C
    .language_version:
      - 2
      - 0
    .max_flat_workgroup_size: 1024
    .name:           _ZN12_GLOBAL__N_120softmax_warp_forwardIfffLi0ELb1ELb0ELi64EEEvPT0_PKT_iiiPKbib
    .private_segment_fixed_size: 0
    .sgpr_count:     18
    .sgpr_spill_count: 0
    .symbol:         _ZN12_GLOBAL__N_120softmax_warp_forwardIfffLi0ELb1ELb0ELi64EEEvPT0_PKT_iiiPKbib.kd
    .uniform_work_group_size: 1
    .uses_dynamic_stack: false
    .vgpr_count:     8
    .vgpr_spill_count: 0
    .wavefront_size: 32
    .workgroup_processor_mode: 1
  - .args:
      - .address_space:  global
        .offset:         0
        .size:           8
        .value_kind:     global_buffer
      - .address_space:  global
        .offset:         8
        .size:           8
        .value_kind:     global_buffer
      - .offset:         16
        .size:           4
        .value_kind:     by_value
      - .offset:         20
        .size:           4
        .value_kind:     by_value
      - .offset:         24
        .size:           4
        .value_kind:     by_value
      - .address_space:  global
        .offset:         32
        .size:           8
        .value_kind:     global_buffer
      - .offset:         40
        .size:           4
        .value_kind:     by_value
      - .offset:         44
        .size:           1
        .value_kind:     by_value
      - .offset:         48
        .size:           4
        .value_kind:     hidden_block_count_x
      - .offset:         52
        .size:           4
        .value_kind:     hidden_block_count_y
      - .offset:         56
        .size:           4
        .value_kind:     hidden_block_count_z
      - .offset:         60
        .size:           2
        .value_kind:     hidden_group_size_x
      - .offset:         62
        .size:           2
        .value_kind:     hidden_group_size_y
      - .offset:         64
        .size:           2
        .value_kind:     hidden_group_size_z
      - .offset:         66
        .size:           2
        .value_kind:     hidden_remainder_x
      - .offset:         68
        .size:           2
        .value_kind:     hidden_remainder_y
      - .offset:         70
        .size:           2
        .value_kind:     hidden_remainder_z
      - .offset:         88
        .size:           8
        .value_kind:     hidden_global_offset_x
      - .offset:         96
        .size:           8
        .value_kind:     hidden_global_offset_y
      - .offset:         104
        .size:           8
        .value_kind:     hidden_global_offset_z
      - .offset:         112
        .size:           2
        .value_kind:     hidden_grid_dims
    .group_segment_fixed_size: 0
    .kernarg_segment_align: 8
    .kernarg_segment_size: 304
    .language:       OpenCL C
    .language_version:
      - 2
      - 0
    .max_flat_workgroup_size: 1024
    .name:           _ZN12_GLOBAL__N_120softmax_warp_forwardIfffLi0ELb1ELb0ELi32EEEvPT0_PKT_iiiPKbib
    .private_segment_fixed_size: 0
    .sgpr_count:     18
    .sgpr_spill_count: 0
    .symbol:         _ZN12_GLOBAL__N_120softmax_warp_forwardIfffLi0ELb1ELb0ELi32EEEvPT0_PKT_iiiPKbib.kd
    .uniform_work_group_size: 1
    .uses_dynamic_stack: false
    .vgpr_count:     8
    .vgpr_spill_count: 0
    .wavefront_size: 32
    .workgroup_processor_mode: 1
  - .args:
      - .address_space:  global
        .offset:         0
        .size:           8
        .value_kind:     global_buffer
      - .address_space:  global
        .offset:         8
        .size:           8
        .value_kind:     global_buffer
      - .offset:         16
        .size:           4
        .value_kind:     by_value
      - .offset:         20
        .size:           4
        .value_kind:     by_value
      - .offset:         24
        .size:           4
        .value_kind:     by_value
      - .address_space:  global
        .offset:         32
        .size:           8
        .value_kind:     global_buffer
      - .offset:         40
        .size:           4
        .value_kind:     by_value
      - .offset:         44
        .size:           1
        .value_kind:     by_value
      - .offset:         48
        .size:           4
        .value_kind:     hidden_block_count_x
      - .offset:         52
        .size:           4
        .value_kind:     hidden_block_count_y
      - .offset:         56
        .size:           4
        .value_kind:     hidden_block_count_z
      - .offset:         60
        .size:           2
        .value_kind:     hidden_group_size_x
      - .offset:         62
        .size:           2
        .value_kind:     hidden_group_size_y
      - .offset:         64
        .size:           2
        .value_kind:     hidden_group_size_z
      - .offset:         66
        .size:           2
        .value_kind:     hidden_remainder_x
      - .offset:         68
        .size:           2
        .value_kind:     hidden_remainder_y
      - .offset:         70
        .size:           2
        .value_kind:     hidden_remainder_z
      - .offset:         88
        .size:           8
        .value_kind:     hidden_global_offset_x
      - .offset:         96
        .size:           8
        .value_kind:     hidden_global_offset_y
      - .offset:         104
        .size:           8
        .value_kind:     hidden_global_offset_z
      - .offset:         112
        .size:           2
        .value_kind:     hidden_grid_dims
    .group_segment_fixed_size: 0
    .kernarg_segment_align: 8
    .kernarg_segment_size: 304
    .language:       OpenCL C
    .language_version:
      - 2
      - 0
    .max_flat_workgroup_size: 1024
    .name:           _ZN12_GLOBAL__N_120softmax_warp_forwardIfffLi1ELb1ELb0ELi64EEEvPT0_PKT_iiiPKbib
    .private_segment_fixed_size: 0
    .sgpr_count:     18
    .sgpr_spill_count: 0
    .symbol:         _ZN12_GLOBAL__N_120softmax_warp_forwardIfffLi1ELb1ELb0ELi64EEEvPT0_PKT_iiiPKbib.kd
    .uniform_work_group_size: 1
    .uses_dynamic_stack: false
    .vgpr_count:     12
    .vgpr_spill_count: 0
    .wavefront_size: 32
    .workgroup_processor_mode: 1
  - .args:
      - .address_space:  global
        .offset:         0
        .size:           8
        .value_kind:     global_buffer
      - .address_space:  global
        .offset:         8
        .size:           8
        .value_kind:     global_buffer
      - .offset:         16
        .size:           4
        .value_kind:     by_value
      - .offset:         20
        .size:           4
        .value_kind:     by_value
      - .offset:         24
        .size:           4
        .value_kind:     by_value
      - .address_space:  global
        .offset:         32
        .size:           8
        .value_kind:     global_buffer
      - .offset:         40
        .size:           4
        .value_kind:     by_value
      - .offset:         44
        .size:           1
        .value_kind:     by_value
      - .offset:         48
        .size:           4
        .value_kind:     hidden_block_count_x
      - .offset:         52
        .size:           4
        .value_kind:     hidden_block_count_y
      - .offset:         56
        .size:           4
        .value_kind:     hidden_block_count_z
      - .offset:         60
        .size:           2
        .value_kind:     hidden_group_size_x
      - .offset:         62
        .size:           2
        .value_kind:     hidden_group_size_y
      - .offset:         64
        .size:           2
        .value_kind:     hidden_group_size_z
      - .offset:         66
        .size:           2
        .value_kind:     hidden_remainder_x
      - .offset:         68
        .size:           2
        .value_kind:     hidden_remainder_y
      - .offset:         70
        .size:           2
        .value_kind:     hidden_remainder_z
      - .offset:         88
        .size:           8
        .value_kind:     hidden_global_offset_x
      - .offset:         96
        .size:           8
        .value_kind:     hidden_global_offset_y
      - .offset:         104
        .size:           8
        .value_kind:     hidden_global_offset_z
      - .offset:         112
        .size:           2
        .value_kind:     hidden_grid_dims
    .group_segment_fixed_size: 0
    .kernarg_segment_align: 8
    .kernarg_segment_size: 304
    .language:       OpenCL C
    .language_version:
      - 2
      - 0
    .max_flat_workgroup_size: 1024
    .name:           _ZN12_GLOBAL__N_120softmax_warp_forwardIfffLi1ELb1ELb0ELi32EEEvPT0_PKT_iiiPKbib
    .private_segment_fixed_size: 0
    .sgpr_count:     18
    .sgpr_spill_count: 0
    .symbol:         _ZN12_GLOBAL__N_120softmax_warp_forwardIfffLi1ELb1ELb0ELi32EEEvPT0_PKT_iiiPKbib.kd
    .uniform_work_group_size: 1
    .uses_dynamic_stack: false
    .vgpr_count:     12
    .vgpr_spill_count: 0
    .wavefront_size: 32
    .workgroup_processor_mode: 1
  - .args:
      - .address_space:  global
        .offset:         0
        .size:           8
        .value_kind:     global_buffer
      - .address_space:  global
        .offset:         8
        .size:           8
        .value_kind:     global_buffer
      - .offset:         16
        .size:           4
        .value_kind:     by_value
      - .offset:         20
        .size:           4
        .value_kind:     by_value
      - .offset:         24
        .size:           4
        .value_kind:     by_value
      - .address_space:  global
        .offset:         32
        .size:           8
        .value_kind:     global_buffer
      - .offset:         40
        .size:           4
        .value_kind:     by_value
      - .offset:         44
        .size:           1
        .value_kind:     by_value
      - .offset:         48
        .size:           4
        .value_kind:     hidden_block_count_x
      - .offset:         52
        .size:           4
        .value_kind:     hidden_block_count_y
      - .offset:         56
        .size:           4
        .value_kind:     hidden_block_count_z
      - .offset:         60
        .size:           2
        .value_kind:     hidden_group_size_x
      - .offset:         62
        .size:           2
        .value_kind:     hidden_group_size_y
      - .offset:         64
        .size:           2
        .value_kind:     hidden_group_size_z
      - .offset:         66
        .size:           2
        .value_kind:     hidden_remainder_x
      - .offset:         68
        .size:           2
        .value_kind:     hidden_remainder_y
      - .offset:         70
        .size:           2
        .value_kind:     hidden_remainder_z
      - .offset:         88
        .size:           8
        .value_kind:     hidden_global_offset_x
      - .offset:         96
        .size:           8
        .value_kind:     hidden_global_offset_y
      - .offset:         104
        .size:           8
        .value_kind:     hidden_global_offset_z
      - .offset:         112
        .size:           2
        .value_kind:     hidden_grid_dims
    .group_segment_fixed_size: 0
    .kernarg_segment_align: 8
    .kernarg_segment_size: 304
    .language:       OpenCL C
    .language_version:
      - 2
      - 0
    .max_flat_workgroup_size: 1024
    .name:           _ZN12_GLOBAL__N_120softmax_warp_forwardIfffLi2ELb1ELb0ELi64EEEvPT0_PKT_iiiPKbib
    .private_segment_fixed_size: 0
    .sgpr_count:     18
    .sgpr_spill_count: 0
    .symbol:         _ZN12_GLOBAL__N_120softmax_warp_forwardIfffLi2ELb1ELb0ELi64EEEvPT0_PKT_iiiPKbib.kd
    .uniform_work_group_size: 1
    .uses_dynamic_stack: false
    .vgpr_count:     13
    .vgpr_spill_count: 0
    .wavefront_size: 32
    .workgroup_processor_mode: 1
  - .args:
      - .address_space:  global
        .offset:         0
        .size:           8
        .value_kind:     global_buffer
      - .address_space:  global
        .offset:         8
        .size:           8
        .value_kind:     global_buffer
      - .offset:         16
        .size:           4
        .value_kind:     by_value
      - .offset:         20
        .size:           4
        .value_kind:     by_value
      - .offset:         24
        .size:           4
        .value_kind:     by_value
      - .address_space:  global
        .offset:         32
        .size:           8
        .value_kind:     global_buffer
      - .offset:         40
        .size:           4
        .value_kind:     by_value
      - .offset:         44
        .size:           1
        .value_kind:     by_value
      - .offset:         48
        .size:           4
        .value_kind:     hidden_block_count_x
      - .offset:         52
        .size:           4
        .value_kind:     hidden_block_count_y
      - .offset:         56
        .size:           4
        .value_kind:     hidden_block_count_z
      - .offset:         60
        .size:           2
        .value_kind:     hidden_group_size_x
      - .offset:         62
        .size:           2
        .value_kind:     hidden_group_size_y
      - .offset:         64
        .size:           2
        .value_kind:     hidden_group_size_z
      - .offset:         66
        .size:           2
        .value_kind:     hidden_remainder_x
      - .offset:         68
        .size:           2
        .value_kind:     hidden_remainder_y
      - .offset:         70
        .size:           2
        .value_kind:     hidden_remainder_z
      - .offset:         88
        .size:           8
        .value_kind:     hidden_global_offset_x
      - .offset:         96
        .size:           8
        .value_kind:     hidden_global_offset_y
      - .offset:         104
        .size:           8
        .value_kind:     hidden_global_offset_z
      - .offset:         112
        .size:           2
        .value_kind:     hidden_grid_dims
    .group_segment_fixed_size: 0
    .kernarg_segment_align: 8
    .kernarg_segment_size: 304
    .language:       OpenCL C
    .language_version:
      - 2
      - 0
    .max_flat_workgroup_size: 1024
    .name:           _ZN12_GLOBAL__N_120softmax_warp_forwardIfffLi2ELb1ELb0ELi32EEEvPT0_PKT_iiiPKbib
    .private_segment_fixed_size: 0
    .sgpr_count:     18
    .sgpr_spill_count: 0
    .symbol:         _ZN12_GLOBAL__N_120softmax_warp_forwardIfffLi2ELb1ELb0ELi32EEEvPT0_PKT_iiiPKbib.kd
    .uniform_work_group_size: 1
    .uses_dynamic_stack: false
    .vgpr_count:     13
    .vgpr_spill_count: 0
    .wavefront_size: 32
    .workgroup_processor_mode: 1
  - .args:
      - .address_space:  global
        .offset:         0
        .size:           8
        .value_kind:     global_buffer
      - .address_space:  global
        .offset:         8
        .size:           8
        .value_kind:     global_buffer
      - .offset:         16
        .size:           4
        .value_kind:     by_value
      - .offset:         20
        .size:           4
        .value_kind:     by_value
      - .offset:         24
        .size:           4
        .value_kind:     by_value
      - .address_space:  global
        .offset:         32
        .size:           8
        .value_kind:     global_buffer
      - .offset:         40
        .size:           4
        .value_kind:     by_value
      - .offset:         44
        .size:           1
        .value_kind:     by_value
      - .offset:         48
        .size:           4
        .value_kind:     hidden_block_count_x
      - .offset:         52
        .size:           4
        .value_kind:     hidden_block_count_y
      - .offset:         56
        .size:           4
        .value_kind:     hidden_block_count_z
      - .offset:         60
        .size:           2
        .value_kind:     hidden_group_size_x
      - .offset:         62
        .size:           2
        .value_kind:     hidden_group_size_y
      - .offset:         64
        .size:           2
        .value_kind:     hidden_group_size_z
      - .offset:         66
        .size:           2
        .value_kind:     hidden_remainder_x
      - .offset:         68
        .size:           2
        .value_kind:     hidden_remainder_y
      - .offset:         70
        .size:           2
        .value_kind:     hidden_remainder_z
      - .offset:         88
        .size:           8
        .value_kind:     hidden_global_offset_x
      - .offset:         96
        .size:           8
        .value_kind:     hidden_global_offset_y
      - .offset:         104
        .size:           8
        .value_kind:     hidden_global_offset_z
      - .offset:         112
        .size:           2
        .value_kind:     hidden_grid_dims
    .group_segment_fixed_size: 0
    .kernarg_segment_align: 8
    .kernarg_segment_size: 304
    .language:       OpenCL C
    .language_version:
      - 2
      - 0
    .max_flat_workgroup_size: 1024
    .name:           _ZN12_GLOBAL__N_120softmax_warp_forwardIfffLi3ELb1ELb0ELi64EEEvPT0_PKT_iiiPKbib
    .private_segment_fixed_size: 0
    .sgpr_count:     18
    .sgpr_spill_count: 0
    .symbol:         _ZN12_GLOBAL__N_120softmax_warp_forwardIfffLi3ELb1ELb0ELi64EEEvPT0_PKT_iiiPKbib.kd
    .uniform_work_group_size: 1
    .uses_dynamic_stack: false
    .vgpr_count:     14
    .vgpr_spill_count: 0
    .wavefront_size: 32
    .workgroup_processor_mode: 1
  - .args:
      - .address_space:  global
        .offset:         0
        .size:           8
        .value_kind:     global_buffer
      - .address_space:  global
        .offset:         8
        .size:           8
        .value_kind:     global_buffer
      - .offset:         16
        .size:           4
        .value_kind:     by_value
      - .offset:         20
        .size:           4
        .value_kind:     by_value
      - .offset:         24
        .size:           4
        .value_kind:     by_value
      - .address_space:  global
        .offset:         32
        .size:           8
        .value_kind:     global_buffer
      - .offset:         40
        .size:           4
        .value_kind:     by_value
      - .offset:         44
        .size:           1
        .value_kind:     by_value
      - .offset:         48
        .size:           4
        .value_kind:     hidden_block_count_x
      - .offset:         52
        .size:           4
        .value_kind:     hidden_block_count_y
      - .offset:         56
        .size:           4
        .value_kind:     hidden_block_count_z
      - .offset:         60
        .size:           2
        .value_kind:     hidden_group_size_x
      - .offset:         62
        .size:           2
        .value_kind:     hidden_group_size_y
      - .offset:         64
        .size:           2
        .value_kind:     hidden_group_size_z
      - .offset:         66
        .size:           2
        .value_kind:     hidden_remainder_x
      - .offset:         68
        .size:           2
        .value_kind:     hidden_remainder_y
      - .offset:         70
        .size:           2
        .value_kind:     hidden_remainder_z
      - .offset:         88
        .size:           8
        .value_kind:     hidden_global_offset_x
      - .offset:         96
        .size:           8
        .value_kind:     hidden_global_offset_y
      - .offset:         104
        .size:           8
        .value_kind:     hidden_global_offset_z
      - .offset:         112
        .size:           2
        .value_kind:     hidden_grid_dims
    .group_segment_fixed_size: 0
    .kernarg_segment_align: 8
    .kernarg_segment_size: 304
    .language:       OpenCL C
    .language_version:
      - 2
      - 0
    .max_flat_workgroup_size: 1024
    .name:           _ZN12_GLOBAL__N_120softmax_warp_forwardIfffLi3ELb1ELb0ELi32EEEvPT0_PKT_iiiPKbib
    .private_segment_fixed_size: 0
    .sgpr_count:     18
    .sgpr_spill_count: 0
    .symbol:         _ZN12_GLOBAL__N_120softmax_warp_forwardIfffLi3ELb1ELb0ELi32EEEvPT0_PKT_iiiPKbib.kd
    .uniform_work_group_size: 1
    .uses_dynamic_stack: false
    .vgpr_count:     14
    .vgpr_spill_count: 0
    .wavefront_size: 32
    .workgroup_processor_mode: 1
  - .args:
      - .address_space:  global
        .offset:         0
        .size:           8
        .value_kind:     global_buffer
      - .address_space:  global
        .offset:         8
        .size:           8
        .value_kind:     global_buffer
      - .offset:         16
        .size:           4
        .value_kind:     by_value
      - .offset:         20
        .size:           4
        .value_kind:     by_value
      - .offset:         24
        .size:           4
        .value_kind:     by_value
      - .address_space:  global
        .offset:         32
        .size:           8
        .value_kind:     global_buffer
      - .offset:         40
        .size:           4
        .value_kind:     by_value
      - .offset:         44
        .size:           1
        .value_kind:     by_value
      - .offset:         48
        .size:           4
        .value_kind:     hidden_block_count_x
      - .offset:         52
        .size:           4
        .value_kind:     hidden_block_count_y
      - .offset:         56
        .size:           4
        .value_kind:     hidden_block_count_z
      - .offset:         60
        .size:           2
        .value_kind:     hidden_group_size_x
      - .offset:         62
        .size:           2
        .value_kind:     hidden_group_size_y
      - .offset:         64
        .size:           2
        .value_kind:     hidden_group_size_z
      - .offset:         66
        .size:           2
        .value_kind:     hidden_remainder_x
      - .offset:         68
        .size:           2
        .value_kind:     hidden_remainder_y
      - .offset:         70
        .size:           2
        .value_kind:     hidden_remainder_z
      - .offset:         88
        .size:           8
        .value_kind:     hidden_global_offset_x
      - .offset:         96
        .size:           8
        .value_kind:     hidden_global_offset_y
      - .offset:         104
        .size:           8
        .value_kind:     hidden_global_offset_z
      - .offset:         112
        .size:           2
        .value_kind:     hidden_grid_dims
    .group_segment_fixed_size: 0
    .kernarg_segment_align: 8
    .kernarg_segment_size: 304
    .language:       OpenCL C
    .language_version:
      - 2
      - 0
    .max_flat_workgroup_size: 1024
    .name:           _ZN12_GLOBAL__N_120softmax_warp_forwardIfffLi4ELb1ELb0ELi64EEEvPT0_PKT_iiiPKbib
    .private_segment_fixed_size: 0
    .sgpr_count:     18
    .sgpr_spill_count: 0
    .symbol:         _ZN12_GLOBAL__N_120softmax_warp_forwardIfffLi4ELb1ELb0ELi64EEEvPT0_PKT_iiiPKbib.kd
    .uniform_work_group_size: 1
    .uses_dynamic_stack: false
    .vgpr_count:     15
    .vgpr_spill_count: 0
    .wavefront_size: 32
    .workgroup_processor_mode: 1
  - .args:
      - .address_space:  global
        .offset:         0
        .size:           8
        .value_kind:     global_buffer
      - .address_space:  global
        .offset:         8
        .size:           8
        .value_kind:     global_buffer
      - .offset:         16
        .size:           4
        .value_kind:     by_value
      - .offset:         20
        .size:           4
        .value_kind:     by_value
      - .offset:         24
        .size:           4
        .value_kind:     by_value
      - .address_space:  global
        .offset:         32
        .size:           8
        .value_kind:     global_buffer
      - .offset:         40
        .size:           4
        .value_kind:     by_value
      - .offset:         44
        .size:           1
        .value_kind:     by_value
      - .offset:         48
        .size:           4
        .value_kind:     hidden_block_count_x
      - .offset:         52
        .size:           4
        .value_kind:     hidden_block_count_y
      - .offset:         56
        .size:           4
        .value_kind:     hidden_block_count_z
      - .offset:         60
        .size:           2
        .value_kind:     hidden_group_size_x
      - .offset:         62
        .size:           2
        .value_kind:     hidden_group_size_y
      - .offset:         64
        .size:           2
        .value_kind:     hidden_group_size_z
      - .offset:         66
        .size:           2
        .value_kind:     hidden_remainder_x
      - .offset:         68
        .size:           2
        .value_kind:     hidden_remainder_y
      - .offset:         70
        .size:           2
        .value_kind:     hidden_remainder_z
      - .offset:         88
        .size:           8
        .value_kind:     hidden_global_offset_x
      - .offset:         96
        .size:           8
        .value_kind:     hidden_global_offset_y
      - .offset:         104
        .size:           8
        .value_kind:     hidden_global_offset_z
      - .offset:         112
        .size:           2
        .value_kind:     hidden_grid_dims
    .group_segment_fixed_size: 0
    .kernarg_segment_align: 8
    .kernarg_segment_size: 304
    .language:       OpenCL C
    .language_version:
      - 2
      - 0
    .max_flat_workgroup_size: 1024
    .name:           _ZN12_GLOBAL__N_120softmax_warp_forwardIfffLi4ELb1ELb0ELi32EEEvPT0_PKT_iiiPKbib
    .private_segment_fixed_size: 0
    .sgpr_count:     18
    .sgpr_spill_count: 0
    .symbol:         _ZN12_GLOBAL__N_120softmax_warp_forwardIfffLi4ELb1ELb0ELi32EEEvPT0_PKT_iiiPKbib.kd
    .uniform_work_group_size: 1
    .uses_dynamic_stack: false
    .vgpr_count:     15
    .vgpr_spill_count: 0
    .wavefront_size: 32
    .workgroup_processor_mode: 1
  - .args:
      - .address_space:  global
        .offset:         0
        .size:           8
        .value_kind:     global_buffer
      - .address_space:  global
        .offset:         8
        .size:           8
        .value_kind:     global_buffer
      - .offset:         16
        .size:           4
        .value_kind:     by_value
      - .offset:         20
        .size:           4
        .value_kind:     by_value
      - .offset:         24
        .size:           4
        .value_kind:     by_value
      - .address_space:  global
        .offset:         32
        .size:           8
        .value_kind:     global_buffer
      - .offset:         40
        .size:           4
        .value_kind:     by_value
      - .offset:         44
        .size:           1
        .value_kind:     by_value
      - .offset:         48
        .size:           4
        .value_kind:     hidden_block_count_x
      - .offset:         52
        .size:           4
        .value_kind:     hidden_block_count_y
      - .offset:         56
        .size:           4
        .value_kind:     hidden_block_count_z
      - .offset:         60
        .size:           2
        .value_kind:     hidden_group_size_x
      - .offset:         62
        .size:           2
        .value_kind:     hidden_group_size_y
      - .offset:         64
        .size:           2
        .value_kind:     hidden_group_size_z
      - .offset:         66
        .size:           2
        .value_kind:     hidden_remainder_x
      - .offset:         68
        .size:           2
        .value_kind:     hidden_remainder_y
      - .offset:         70
        .size:           2
        .value_kind:     hidden_remainder_z
      - .offset:         88
        .size:           8
        .value_kind:     hidden_global_offset_x
      - .offset:         96
        .size:           8
        .value_kind:     hidden_global_offset_y
      - .offset:         104
        .size:           8
        .value_kind:     hidden_global_offset_z
      - .offset:         112
        .size:           2
        .value_kind:     hidden_grid_dims
    .group_segment_fixed_size: 0
    .kernarg_segment_align: 8
    .kernarg_segment_size: 304
    .language:       OpenCL C
    .language_version:
      - 2
      - 0
    .max_flat_workgroup_size: 1024
    .name:           _ZN12_GLOBAL__N_120softmax_warp_forwardIfffLi5ELb1ELb0ELi64EEEvPT0_PKT_iiiPKbib
    .private_segment_fixed_size: 0
    .sgpr_count:     18
    .sgpr_spill_count: 0
    .symbol:         _ZN12_GLOBAL__N_120softmax_warp_forwardIfffLi5ELb1ELb0ELi64EEEvPT0_PKT_iiiPKbib.kd
    .uniform_work_group_size: 1
    .uses_dynamic_stack: false
    .vgpr_count:     16
    .vgpr_spill_count: 0
    .wavefront_size: 32
    .workgroup_processor_mode: 1
  - .args:
      - .address_space:  global
        .offset:         0
        .size:           8
        .value_kind:     global_buffer
      - .address_space:  global
        .offset:         8
        .size:           8
        .value_kind:     global_buffer
      - .offset:         16
        .size:           4
        .value_kind:     by_value
      - .offset:         20
        .size:           4
        .value_kind:     by_value
      - .offset:         24
        .size:           4
        .value_kind:     by_value
      - .address_space:  global
        .offset:         32
        .size:           8
        .value_kind:     global_buffer
      - .offset:         40
        .size:           4
        .value_kind:     by_value
      - .offset:         44
        .size:           1
        .value_kind:     by_value
      - .offset:         48
        .size:           4
        .value_kind:     hidden_block_count_x
      - .offset:         52
        .size:           4
        .value_kind:     hidden_block_count_y
      - .offset:         56
        .size:           4
        .value_kind:     hidden_block_count_z
      - .offset:         60
        .size:           2
        .value_kind:     hidden_group_size_x
      - .offset:         62
        .size:           2
        .value_kind:     hidden_group_size_y
      - .offset:         64
        .size:           2
        .value_kind:     hidden_group_size_z
      - .offset:         66
        .size:           2
        .value_kind:     hidden_remainder_x
      - .offset:         68
        .size:           2
        .value_kind:     hidden_remainder_y
      - .offset:         70
        .size:           2
        .value_kind:     hidden_remainder_z
      - .offset:         88
        .size:           8
        .value_kind:     hidden_global_offset_x
      - .offset:         96
        .size:           8
        .value_kind:     hidden_global_offset_y
      - .offset:         104
        .size:           8
        .value_kind:     hidden_global_offset_z
      - .offset:         112
        .size:           2
        .value_kind:     hidden_grid_dims
    .group_segment_fixed_size: 0
    .kernarg_segment_align: 8
    .kernarg_segment_size: 304
    .language:       OpenCL C
    .language_version:
      - 2
      - 0
    .max_flat_workgroup_size: 1024
    .name:           _ZN12_GLOBAL__N_120softmax_warp_forwardIfffLi5ELb1ELb0ELi32EEEvPT0_PKT_iiiPKbib
    .private_segment_fixed_size: 0
    .sgpr_count:     18
    .sgpr_spill_count: 0
    .symbol:         _ZN12_GLOBAL__N_120softmax_warp_forwardIfffLi5ELb1ELb0ELi32EEEvPT0_PKT_iiiPKbib.kd
    .uniform_work_group_size: 1
    .uses_dynamic_stack: false
    .vgpr_count:     16
    .vgpr_spill_count: 0
    .wavefront_size: 32
    .workgroup_processor_mode: 1
  - .args:
      - .address_space:  global
        .offset:         0
        .size:           8
        .value_kind:     global_buffer
      - .address_space:  global
        .offset:         8
        .size:           8
        .value_kind:     global_buffer
      - .offset:         16
        .size:           4
        .value_kind:     by_value
      - .offset:         20
        .size:           4
        .value_kind:     by_value
      - .offset:         24
        .size:           4
        .value_kind:     by_value
      - .address_space:  global
        .offset:         32
        .size:           8
        .value_kind:     global_buffer
      - .offset:         40
        .size:           4
        .value_kind:     by_value
      - .offset:         44
        .size:           1
        .value_kind:     by_value
      - .offset:         48
        .size:           4
        .value_kind:     hidden_block_count_x
      - .offset:         52
        .size:           4
        .value_kind:     hidden_block_count_y
      - .offset:         56
        .size:           4
        .value_kind:     hidden_block_count_z
      - .offset:         60
        .size:           2
        .value_kind:     hidden_group_size_x
      - .offset:         62
        .size:           2
        .value_kind:     hidden_group_size_y
      - .offset:         64
        .size:           2
        .value_kind:     hidden_group_size_z
      - .offset:         66
        .size:           2
        .value_kind:     hidden_remainder_x
      - .offset:         68
        .size:           2
        .value_kind:     hidden_remainder_y
      - .offset:         70
        .size:           2
        .value_kind:     hidden_remainder_z
      - .offset:         88
        .size:           8
        .value_kind:     hidden_global_offset_x
      - .offset:         96
        .size:           8
        .value_kind:     hidden_global_offset_y
      - .offset:         104
        .size:           8
        .value_kind:     hidden_global_offset_z
      - .offset:         112
        .size:           2
        .value_kind:     hidden_grid_dims
    .group_segment_fixed_size: 0
    .kernarg_segment_align: 8
    .kernarg_segment_size: 304
    .language:       OpenCL C
    .language_version:
      - 2
      - 0
    .max_flat_workgroup_size: 1024
    .name:           _ZN12_GLOBAL__N_120softmax_warp_forwardIfffLi6ELb1ELb0ELi64EEEvPT0_PKT_iiiPKbib
    .private_segment_fixed_size: 0
    .sgpr_count:     18
    .sgpr_spill_count: 0
    .symbol:         _ZN12_GLOBAL__N_120softmax_warp_forwardIfffLi6ELb1ELb0ELi64EEEvPT0_PKT_iiiPKbib.kd
    .uniform_work_group_size: 1
    .uses_dynamic_stack: false
    .vgpr_count:     17
    .vgpr_spill_count: 0
    .wavefront_size: 32
    .workgroup_processor_mode: 1
  - .args:
      - .address_space:  global
        .offset:         0
        .size:           8
        .value_kind:     global_buffer
      - .address_space:  global
        .offset:         8
        .size:           8
        .value_kind:     global_buffer
      - .offset:         16
        .size:           4
        .value_kind:     by_value
      - .offset:         20
        .size:           4
        .value_kind:     by_value
      - .offset:         24
        .size:           4
        .value_kind:     by_value
      - .address_space:  global
        .offset:         32
        .size:           8
        .value_kind:     global_buffer
      - .offset:         40
        .size:           4
        .value_kind:     by_value
      - .offset:         44
        .size:           1
        .value_kind:     by_value
      - .offset:         48
        .size:           4
        .value_kind:     hidden_block_count_x
      - .offset:         52
        .size:           4
        .value_kind:     hidden_block_count_y
      - .offset:         56
        .size:           4
        .value_kind:     hidden_block_count_z
      - .offset:         60
        .size:           2
        .value_kind:     hidden_group_size_x
      - .offset:         62
        .size:           2
        .value_kind:     hidden_group_size_y
      - .offset:         64
        .size:           2
        .value_kind:     hidden_group_size_z
      - .offset:         66
        .size:           2
        .value_kind:     hidden_remainder_x
      - .offset:         68
        .size:           2
        .value_kind:     hidden_remainder_y
      - .offset:         70
        .size:           2
        .value_kind:     hidden_remainder_z
      - .offset:         88
        .size:           8
        .value_kind:     hidden_global_offset_x
      - .offset:         96
        .size:           8
        .value_kind:     hidden_global_offset_y
      - .offset:         104
        .size:           8
        .value_kind:     hidden_global_offset_z
      - .offset:         112
        .size:           2
        .value_kind:     hidden_grid_dims
    .group_segment_fixed_size: 0
    .kernarg_segment_align: 8
    .kernarg_segment_size: 304
    .language:       OpenCL C
    .language_version:
      - 2
      - 0
    .max_flat_workgroup_size: 1024
    .name:           _ZN12_GLOBAL__N_120softmax_warp_forwardIfffLi6ELb1ELb0ELi32EEEvPT0_PKT_iiiPKbib
    .private_segment_fixed_size: 0
    .sgpr_count:     18
    .sgpr_spill_count: 0
    .symbol:         _ZN12_GLOBAL__N_120softmax_warp_forwardIfffLi6ELb1ELb0ELi32EEEvPT0_PKT_iiiPKbib.kd
    .uniform_work_group_size: 1
    .uses_dynamic_stack: false
    .vgpr_count:     24
    .vgpr_spill_count: 0
    .wavefront_size: 32
    .workgroup_processor_mode: 1
  - .args:
      - .address_space:  global
        .offset:         0
        .size:           8
        .value_kind:     global_buffer
      - .address_space:  global
        .offset:         8
        .size:           8
        .value_kind:     global_buffer
      - .offset:         16
        .size:           4
        .value_kind:     by_value
      - .offset:         20
        .size:           4
        .value_kind:     by_value
      - .offset:         24
        .size:           4
        .value_kind:     by_value
      - .address_space:  global
        .offset:         32
        .size:           8
        .value_kind:     global_buffer
      - .offset:         40
        .size:           4
        .value_kind:     by_value
      - .offset:         44
        .size:           1
        .value_kind:     by_value
      - .offset:         48
        .size:           4
        .value_kind:     hidden_block_count_x
      - .offset:         52
        .size:           4
        .value_kind:     hidden_block_count_y
      - .offset:         56
        .size:           4
        .value_kind:     hidden_block_count_z
      - .offset:         60
        .size:           2
        .value_kind:     hidden_group_size_x
      - .offset:         62
        .size:           2
        .value_kind:     hidden_group_size_y
      - .offset:         64
        .size:           2
        .value_kind:     hidden_group_size_z
      - .offset:         66
        .size:           2
        .value_kind:     hidden_remainder_x
      - .offset:         68
        .size:           2
        .value_kind:     hidden_remainder_y
      - .offset:         70
        .size:           2
        .value_kind:     hidden_remainder_z
      - .offset:         88
        .size:           8
        .value_kind:     hidden_global_offset_x
      - .offset:         96
        .size:           8
        .value_kind:     hidden_global_offset_y
      - .offset:         104
        .size:           8
        .value_kind:     hidden_global_offset_z
      - .offset:         112
        .size:           2
        .value_kind:     hidden_grid_dims
    .group_segment_fixed_size: 0
    .kernarg_segment_align: 8
    .kernarg_segment_size: 304
    .language:       OpenCL C
    .language_version:
      - 2
      - 0
    .max_flat_workgroup_size: 1024
    .name:           _ZN12_GLOBAL__N_120softmax_warp_forwardIfffLi7ELb1ELb0ELi64EEEvPT0_PKT_iiiPKbib
    .private_segment_fixed_size: 0
    .sgpr_count:     18
    .sgpr_spill_count: 0
    .symbol:         _ZN12_GLOBAL__N_120softmax_warp_forwardIfffLi7ELb1ELb0ELi64EEEvPT0_PKT_iiiPKbib.kd
    .uniform_work_group_size: 1
    .uses_dynamic_stack: false
    .vgpr_count:     25
    .vgpr_spill_count: 0
    .wavefront_size: 32
    .workgroup_processor_mode: 1
  - .args:
      - .address_space:  global
        .offset:         0
        .size:           8
        .value_kind:     global_buffer
      - .address_space:  global
        .offset:         8
        .size:           8
        .value_kind:     global_buffer
      - .offset:         16
        .size:           4
        .value_kind:     by_value
      - .offset:         20
        .size:           4
        .value_kind:     by_value
      - .offset:         24
        .size:           4
        .value_kind:     by_value
      - .address_space:  global
        .offset:         32
        .size:           8
        .value_kind:     global_buffer
      - .offset:         40
        .size:           4
        .value_kind:     by_value
      - .offset:         44
        .size:           1
        .value_kind:     by_value
      - .offset:         48
        .size:           4
        .value_kind:     hidden_block_count_x
      - .offset:         52
        .size:           4
        .value_kind:     hidden_block_count_y
      - .offset:         56
        .size:           4
        .value_kind:     hidden_block_count_z
      - .offset:         60
        .size:           2
        .value_kind:     hidden_group_size_x
      - .offset:         62
        .size:           2
        .value_kind:     hidden_group_size_y
      - .offset:         64
        .size:           2
        .value_kind:     hidden_group_size_z
      - .offset:         66
        .size:           2
        .value_kind:     hidden_remainder_x
      - .offset:         68
        .size:           2
        .value_kind:     hidden_remainder_y
      - .offset:         70
        .size:           2
        .value_kind:     hidden_remainder_z
      - .offset:         88
        .size:           8
        .value_kind:     hidden_global_offset_x
      - .offset:         96
        .size:           8
        .value_kind:     hidden_global_offset_y
      - .offset:         104
        .size:           8
        .value_kind:     hidden_global_offset_z
      - .offset:         112
        .size:           2
        .value_kind:     hidden_grid_dims
    .group_segment_fixed_size: 0
    .kernarg_segment_align: 8
    .kernarg_segment_size: 304
    .language:       OpenCL C
    .language_version:
      - 2
      - 0
    .max_flat_workgroup_size: 1024
    .name:           _ZN12_GLOBAL__N_120softmax_warp_forwardIfffLi7ELb1ELb0ELi32EEEvPT0_PKT_iiiPKbib
    .private_segment_fixed_size: 0
    .sgpr_count:     18
    .sgpr_spill_count: 0
    .symbol:         _ZN12_GLOBAL__N_120softmax_warp_forwardIfffLi7ELb1ELb0ELi32EEEvPT0_PKT_iiiPKbib.kd
    .uniform_work_group_size: 1
    .uses_dynamic_stack: false
    .vgpr_count:     40
    .vgpr_spill_count: 0
    .wavefront_size: 32
    .workgroup_processor_mode: 1
  - .args:
      - .address_space:  global
        .offset:         0
        .size:           8
        .value_kind:     global_buffer
      - .address_space:  global
        .offset:         8
        .size:           8
        .value_kind:     global_buffer
      - .offset:         16
        .size:           4
        .value_kind:     by_value
      - .offset:         20
        .size:           4
        .value_kind:     by_value
      - .offset:         24
        .size:           4
        .value_kind:     by_value
      - .address_space:  global
        .offset:         32
        .size:           8
        .value_kind:     global_buffer
      - .offset:         40
        .size:           4
        .value_kind:     by_value
      - .offset:         44
        .size:           1
        .value_kind:     by_value
      - .offset:         48
        .size:           4
        .value_kind:     hidden_block_count_x
      - .offset:         52
        .size:           4
        .value_kind:     hidden_block_count_y
      - .offset:         56
        .size:           4
        .value_kind:     hidden_block_count_z
      - .offset:         60
        .size:           2
        .value_kind:     hidden_group_size_x
      - .offset:         62
        .size:           2
        .value_kind:     hidden_group_size_y
      - .offset:         64
        .size:           2
        .value_kind:     hidden_group_size_z
      - .offset:         66
        .size:           2
        .value_kind:     hidden_remainder_x
      - .offset:         68
        .size:           2
        .value_kind:     hidden_remainder_y
      - .offset:         70
        .size:           2
        .value_kind:     hidden_remainder_z
      - .offset:         88
        .size:           8
        .value_kind:     hidden_global_offset_x
      - .offset:         96
        .size:           8
        .value_kind:     hidden_global_offset_y
      - .offset:         104
        .size:           8
        .value_kind:     hidden_global_offset_z
      - .offset:         112
        .size:           2
        .value_kind:     hidden_grid_dims
    .group_segment_fixed_size: 0
    .kernarg_segment_align: 8
    .kernarg_segment_size: 304
    .language:       OpenCL C
    .language_version:
      - 2
      - 0
    .max_flat_workgroup_size: 1024
    .name:           _ZN12_GLOBAL__N_120softmax_warp_forwardIfffLi8ELb1ELb0ELi64EEEvPT0_PKT_iiiPKbib
    .private_segment_fixed_size: 0
    .sgpr_count:     18
    .sgpr_spill_count: 0
    .symbol:         _ZN12_GLOBAL__N_120softmax_warp_forwardIfffLi8ELb1ELb0ELi64EEEvPT0_PKT_iiiPKbib.kd
    .uniform_work_group_size: 1
    .uses_dynamic_stack: false
    .vgpr_count:     24
    .vgpr_spill_count: 0
    .wavefront_size: 32
    .workgroup_processor_mode: 1
  - .args:
      - .address_space:  global
        .offset:         0
        .size:           8
        .value_kind:     global_buffer
      - .address_space:  global
        .offset:         8
        .size:           8
        .value_kind:     global_buffer
      - .offset:         16
        .size:           4
        .value_kind:     by_value
      - .offset:         20
        .size:           4
        .value_kind:     by_value
      - .offset:         24
        .size:           4
        .value_kind:     by_value
      - .address_space:  global
        .offset:         32
        .size:           8
        .value_kind:     global_buffer
      - .offset:         40
        .size:           4
        .value_kind:     by_value
      - .offset:         44
        .size:           1
        .value_kind:     by_value
      - .offset:         48
        .size:           4
        .value_kind:     hidden_block_count_x
      - .offset:         52
        .size:           4
        .value_kind:     hidden_block_count_y
      - .offset:         56
        .size:           4
        .value_kind:     hidden_block_count_z
      - .offset:         60
        .size:           2
        .value_kind:     hidden_group_size_x
      - .offset:         62
        .size:           2
        .value_kind:     hidden_group_size_y
      - .offset:         64
        .size:           2
        .value_kind:     hidden_group_size_z
      - .offset:         66
        .size:           2
        .value_kind:     hidden_remainder_x
      - .offset:         68
        .size:           2
        .value_kind:     hidden_remainder_y
      - .offset:         70
        .size:           2
        .value_kind:     hidden_remainder_z
      - .offset:         88
        .size:           8
        .value_kind:     hidden_global_offset_x
      - .offset:         96
        .size:           8
        .value_kind:     hidden_global_offset_y
      - .offset:         104
        .size:           8
        .value_kind:     hidden_global_offset_z
      - .offset:         112
        .size:           2
        .value_kind:     hidden_grid_dims
    .group_segment_fixed_size: 0
    .kernarg_segment_align: 8
    .kernarg_segment_size: 304
    .language:       OpenCL C
    .language_version:
      - 2
      - 0
    .max_flat_workgroup_size: 1024
    .name:           _ZN12_GLOBAL__N_120softmax_warp_forwardIfffLi8ELb1ELb0ELi32EEEvPT0_PKT_iiiPKbib
    .private_segment_fixed_size: 0
    .sgpr_count:     18
    .sgpr_spill_count: 0
    .symbol:         _ZN12_GLOBAL__N_120softmax_warp_forwardIfffLi8ELb1ELb0ELi32EEEvPT0_PKT_iiiPKbib.kd
    .uniform_work_group_size: 1
    .uses_dynamic_stack: false
    .vgpr_count:     40
    .vgpr_spill_count: 0
    .wavefront_size: 32
    .workgroup_processor_mode: 1
  - .args:
      - .address_space:  global
        .offset:         0
        .size:           8
        .value_kind:     global_buffer
      - .address_space:  global
        .offset:         8
        .size:           8
        .value_kind:     global_buffer
      - .offset:         16
        .size:           4
        .value_kind:     by_value
      - .offset:         20
        .size:           4
        .value_kind:     by_value
      - .offset:         24
        .size:           4
        .value_kind:     by_value
      - .address_space:  global
        .offset:         32
        .size:           8
        .value_kind:     global_buffer
      - .offset:         40
        .size:           4
        .value_kind:     by_value
      - .offset:         44
        .size:           1
        .value_kind:     by_value
      - .offset:         48
        .size:           4
        .value_kind:     hidden_block_count_x
      - .offset:         52
        .size:           4
        .value_kind:     hidden_block_count_y
      - .offset:         56
        .size:           4
        .value_kind:     hidden_block_count_z
      - .offset:         60
        .size:           2
        .value_kind:     hidden_group_size_x
      - .offset:         62
        .size:           2
        .value_kind:     hidden_group_size_y
      - .offset:         64
        .size:           2
        .value_kind:     hidden_group_size_z
      - .offset:         66
        .size:           2
        .value_kind:     hidden_remainder_x
      - .offset:         68
        .size:           2
        .value_kind:     hidden_remainder_y
      - .offset:         70
        .size:           2
        .value_kind:     hidden_remainder_z
      - .offset:         88
        .size:           8
        .value_kind:     hidden_global_offset_x
      - .offset:         96
        .size:           8
        .value_kind:     hidden_global_offset_y
      - .offset:         104
        .size:           8
        .value_kind:     hidden_global_offset_z
      - .offset:         112
        .size:           2
        .value_kind:     hidden_grid_dims
    .group_segment_fixed_size: 0
    .kernarg_segment_align: 8
    .kernarg_segment_size: 304
    .language:       OpenCL C
    .language_version:
      - 2
      - 0
    .max_flat_workgroup_size: 1024
    .name:           _ZN12_GLOBAL__N_120softmax_warp_forwardIfffLi9ELb1ELb0ELi64EEEvPT0_PKT_iiiPKbib
    .private_segment_fixed_size: 0
    .sgpr_count:     18
    .sgpr_spill_count: 0
    .symbol:         _ZN12_GLOBAL__N_120softmax_warp_forwardIfffLi9ELb1ELb0ELi64EEEvPT0_PKT_iiiPKbib.kd
    .uniform_work_group_size: 1
    .uses_dynamic_stack: false
    .vgpr_count:     41
    .vgpr_spill_count: 0
    .wavefront_size: 32
    .workgroup_processor_mode: 1
  - .args:
      - .address_space:  global
        .offset:         0
        .size:           8
        .value_kind:     global_buffer
      - .address_space:  global
        .offset:         8
        .size:           8
        .value_kind:     global_buffer
      - .offset:         16
        .size:           4
        .value_kind:     by_value
      - .offset:         20
        .size:           4
        .value_kind:     by_value
      - .offset:         24
        .size:           4
        .value_kind:     by_value
      - .address_space:  global
        .offset:         32
        .size:           8
        .value_kind:     global_buffer
      - .offset:         40
        .size:           4
        .value_kind:     by_value
      - .offset:         44
        .size:           1
        .value_kind:     by_value
      - .offset:         48
        .size:           4
        .value_kind:     hidden_block_count_x
      - .offset:         52
        .size:           4
        .value_kind:     hidden_block_count_y
      - .offset:         56
        .size:           4
        .value_kind:     hidden_block_count_z
      - .offset:         60
        .size:           2
        .value_kind:     hidden_group_size_x
      - .offset:         62
        .size:           2
        .value_kind:     hidden_group_size_y
      - .offset:         64
        .size:           2
        .value_kind:     hidden_group_size_z
      - .offset:         66
        .size:           2
        .value_kind:     hidden_remainder_x
      - .offset:         68
        .size:           2
        .value_kind:     hidden_remainder_y
      - .offset:         70
        .size:           2
        .value_kind:     hidden_remainder_z
      - .offset:         88
        .size:           8
        .value_kind:     hidden_global_offset_x
      - .offset:         96
        .size:           8
        .value_kind:     hidden_global_offset_y
      - .offset:         104
        .size:           8
        .value_kind:     hidden_global_offset_z
      - .offset:         112
        .size:           2
        .value_kind:     hidden_grid_dims
    .group_segment_fixed_size: 0
    .kernarg_segment_align: 8
    .kernarg_segment_size: 304
    .language:       OpenCL C
    .language_version:
      - 2
      - 0
    .max_flat_workgroup_size: 1024
    .name:           _ZN12_GLOBAL__N_120softmax_warp_forwardIfffLi9ELb1ELb0ELi32EEEvPT0_PKT_iiiPKbib
    .private_segment_fixed_size: 0
    .sgpr_count:     26
    .sgpr_spill_count: 0
    .symbol:         _ZN12_GLOBAL__N_120softmax_warp_forwardIfffLi9ELb1ELb0ELi32EEEvPT0_PKT_iiiPKbib.kd
    .uniform_work_group_size: 1
    .uses_dynamic_stack: false
    .vgpr_count:     62
    .vgpr_spill_count: 0
    .wavefront_size: 32
    .workgroup_processor_mode: 1
  - .args:
      - .address_space:  global
        .offset:         0
        .size:           8
        .value_kind:     global_buffer
      - .address_space:  global
        .offset:         8
        .size:           8
        .value_kind:     global_buffer
      - .offset:         16
        .size:           4
        .value_kind:     by_value
      - .offset:         20
        .size:           4
        .value_kind:     by_value
      - .offset:         24
        .size:           4
        .value_kind:     by_value
      - .address_space:  global
        .offset:         32
        .size:           8
        .value_kind:     global_buffer
      - .offset:         40
        .size:           4
        .value_kind:     by_value
      - .offset:         44
        .size:           1
        .value_kind:     by_value
      - .offset:         48
        .size:           4
        .value_kind:     hidden_block_count_x
      - .offset:         52
        .size:           4
        .value_kind:     hidden_block_count_y
      - .offset:         56
        .size:           4
        .value_kind:     hidden_block_count_z
      - .offset:         60
        .size:           2
        .value_kind:     hidden_group_size_x
      - .offset:         62
        .size:           2
        .value_kind:     hidden_group_size_y
      - .offset:         64
        .size:           2
        .value_kind:     hidden_group_size_z
      - .offset:         66
        .size:           2
        .value_kind:     hidden_remainder_x
      - .offset:         68
        .size:           2
        .value_kind:     hidden_remainder_y
      - .offset:         70
        .size:           2
        .value_kind:     hidden_remainder_z
      - .offset:         88
        .size:           8
        .value_kind:     hidden_global_offset_x
      - .offset:         96
        .size:           8
        .value_kind:     hidden_global_offset_y
      - .offset:         104
        .size:           8
        .value_kind:     hidden_global_offset_z
      - .offset:         112
        .size:           2
        .value_kind:     hidden_grid_dims
    .group_segment_fixed_size: 0
    .kernarg_segment_align: 8
    .kernarg_segment_size: 304
    .language:       OpenCL C
    .language_version:
      - 2
      - 0
    .max_flat_workgroup_size: 1024
    .name:           _ZN12_GLOBAL__N_120softmax_warp_forwardIfffLi10ELb1ELb0ELi64EEEvPT0_PKT_iiiPKbib
    .private_segment_fixed_size: 0
    .sgpr_count:     26
    .sgpr_spill_count: 0
    .symbol:         _ZN12_GLOBAL__N_120softmax_warp_forwardIfffLi10ELb1ELb0ELi64EEEvPT0_PKT_iiiPKbib.kd
    .uniform_work_group_size: 1
    .uses_dynamic_stack: false
    .vgpr_count:     62
    .vgpr_spill_count: 0
    .wavefront_size: 32
    .workgroup_processor_mode: 1
  - .args:
      - .address_space:  global
        .offset:         0
        .size:           8
        .value_kind:     global_buffer
      - .address_space:  global
        .offset:         8
        .size:           8
        .value_kind:     global_buffer
      - .offset:         16
        .size:           4
        .value_kind:     by_value
      - .offset:         20
        .size:           4
        .value_kind:     by_value
      - .offset:         24
        .size:           4
        .value_kind:     by_value
      - .address_space:  global
        .offset:         32
        .size:           8
        .value_kind:     global_buffer
      - .offset:         40
        .size:           4
        .value_kind:     by_value
      - .offset:         44
        .size:           1
        .value_kind:     by_value
      - .offset:         48
        .size:           4
        .value_kind:     hidden_block_count_x
      - .offset:         52
        .size:           4
        .value_kind:     hidden_block_count_y
      - .offset:         56
        .size:           4
        .value_kind:     hidden_block_count_z
      - .offset:         60
        .size:           2
        .value_kind:     hidden_group_size_x
      - .offset:         62
        .size:           2
        .value_kind:     hidden_group_size_y
      - .offset:         64
        .size:           2
        .value_kind:     hidden_group_size_z
      - .offset:         66
        .size:           2
        .value_kind:     hidden_remainder_x
      - .offset:         68
        .size:           2
        .value_kind:     hidden_remainder_y
      - .offset:         70
        .size:           2
        .value_kind:     hidden_remainder_z
      - .offset:         88
        .size:           8
        .value_kind:     hidden_global_offset_x
      - .offset:         96
        .size:           8
        .value_kind:     hidden_global_offset_y
      - .offset:         104
        .size:           8
        .value_kind:     hidden_global_offset_z
      - .offset:         112
        .size:           2
        .value_kind:     hidden_grid_dims
    .group_segment_fixed_size: 0
    .kernarg_segment_align: 8
    .kernarg_segment_size: 304
    .language:       OpenCL C
    .language_version:
      - 2
      - 0
    .max_flat_workgroup_size: 1024
    .name:           _ZN12_GLOBAL__N_120softmax_warp_forwardIfffLi10ELb1ELb0ELi32EEEvPT0_PKT_iiiPKbib
    .private_segment_fixed_size: 0
    .sgpr_count:     46
    .sgpr_spill_count: 0
    .symbol:         _ZN12_GLOBAL__N_120softmax_warp_forwardIfffLi10ELb1ELb0ELi32EEEvPT0_PKT_iiiPKbib.kd
    .uniform_work_group_size: 1
    .uses_dynamic_stack: false
    .vgpr_count:     45
    .vgpr_spill_count: 0
    .wavefront_size: 32
    .workgroup_processor_mode: 1
  - .args:
      - .address_space:  global
        .offset:         0
        .size:           8
        .value_kind:     global_buffer
      - .address_space:  global
        .offset:         8
        .size:           8
        .value_kind:     global_buffer
      - .offset:         16
        .size:           4
        .value_kind:     by_value
      - .offset:         20
        .size:           4
        .value_kind:     by_value
      - .offset:         24
        .size:           4
        .value_kind:     by_value
      - .address_space:  global
        .offset:         32
        .size:           8
        .value_kind:     global_buffer
      - .offset:         40
        .size:           4
        .value_kind:     by_value
      - .offset:         44
        .size:           1
        .value_kind:     by_value
      - .offset:         48
        .size:           4
        .value_kind:     hidden_block_count_x
      - .offset:         52
        .size:           4
        .value_kind:     hidden_block_count_y
      - .offset:         56
        .size:           4
        .value_kind:     hidden_block_count_z
      - .offset:         60
        .size:           2
        .value_kind:     hidden_group_size_x
      - .offset:         62
        .size:           2
        .value_kind:     hidden_group_size_y
      - .offset:         64
        .size:           2
        .value_kind:     hidden_group_size_z
      - .offset:         66
        .size:           2
        .value_kind:     hidden_remainder_x
      - .offset:         68
        .size:           2
        .value_kind:     hidden_remainder_y
      - .offset:         70
        .size:           2
        .value_kind:     hidden_remainder_z
      - .offset:         88
        .size:           8
        .value_kind:     hidden_global_offset_x
      - .offset:         96
        .size:           8
        .value_kind:     hidden_global_offset_y
      - .offset:         104
        .size:           8
        .value_kind:     hidden_global_offset_z
      - .offset:         112
        .size:           2
        .value_kind:     hidden_grid_dims
    .group_segment_fixed_size: 0
    .kernarg_segment_align: 8
    .kernarg_segment_size: 304
    .language:       OpenCL C
    .language_version:
      - 2
      - 0
    .max_flat_workgroup_size: 1024
    .name:           _ZN12_GLOBAL__N_120softmax_warp_forwardIfffLi11ELb1ELb0ELi64EEEvPT0_PKT_iiiPKbib
    .private_segment_fixed_size: 0
    .sgpr_count:     46
    .sgpr_spill_count: 0
    .symbol:         _ZN12_GLOBAL__N_120softmax_warp_forwardIfffLi11ELb1ELb0ELi64EEEvPT0_PKT_iiiPKbib.kd
    .uniform_work_group_size: 1
    .uses_dynamic_stack: false
    .vgpr_count:     46
    .vgpr_spill_count: 0
    .wavefront_size: 32
    .workgroup_processor_mode: 1
  - .args:
      - .address_space:  global
        .offset:         0
        .size:           8
        .value_kind:     global_buffer
      - .address_space:  global
        .offset:         8
        .size:           8
        .value_kind:     global_buffer
      - .offset:         16
        .size:           4
        .value_kind:     by_value
      - .offset:         20
        .size:           4
        .value_kind:     by_value
      - .offset:         24
        .size:           4
        .value_kind:     by_value
      - .address_space:  global
        .offset:         32
        .size:           8
        .value_kind:     global_buffer
      - .offset:         40
        .size:           4
        .value_kind:     by_value
      - .offset:         44
        .size:           1
        .value_kind:     by_value
      - .offset:         48
        .size:           4
        .value_kind:     hidden_block_count_x
      - .offset:         52
        .size:           4
        .value_kind:     hidden_block_count_y
      - .offset:         56
        .size:           4
        .value_kind:     hidden_block_count_z
      - .offset:         60
        .size:           2
        .value_kind:     hidden_group_size_x
      - .offset:         62
        .size:           2
        .value_kind:     hidden_group_size_y
      - .offset:         64
        .size:           2
        .value_kind:     hidden_group_size_z
      - .offset:         66
        .size:           2
        .value_kind:     hidden_remainder_x
      - .offset:         68
        .size:           2
        .value_kind:     hidden_remainder_y
      - .offset:         70
        .size:           2
        .value_kind:     hidden_remainder_z
      - .offset:         88
        .size:           8
        .value_kind:     hidden_global_offset_x
      - .offset:         96
        .size:           8
        .value_kind:     hidden_global_offset_y
      - .offset:         104
        .size:           8
        .value_kind:     hidden_global_offset_z
      - .offset:         112
        .size:           2
        .value_kind:     hidden_grid_dims
    .group_segment_fixed_size: 0
    .kernarg_segment_align: 8
    .kernarg_segment_size: 304
    .language:       OpenCL C
    .language_version:
      - 2
      - 0
    .max_flat_workgroup_size: 1024
    .name:           _ZN12_GLOBAL__N_120softmax_warp_forwardIfffLi11ELb1ELb0ELi32EEEvPT0_PKT_iiiPKbib
    .private_segment_fixed_size: 0
    .sgpr_count:     78
    .sgpr_spill_count: 0
    .symbol:         _ZN12_GLOBAL__N_120softmax_warp_forwardIfffLi11ELb1ELb0ELi32EEEvPT0_PKT_iiiPKbib.kd
    .uniform_work_group_size: 1
    .uses_dynamic_stack: false
    .vgpr_count:     77
    .vgpr_spill_count: 0
    .wavefront_size: 32
    .workgroup_processor_mode: 1
  - .args:
      - .address_space:  global
        .offset:         0
        .size:           8
        .value_kind:     global_buffer
      - .address_space:  global
        .offset:         8
        .size:           8
        .value_kind:     global_buffer
      - .offset:         16
        .size:           8
        .value_kind:     by_value
      - .offset:         24
        .size:           4
        .value_kind:     hidden_block_count_x
      - .offset:         28
        .size:           4
        .value_kind:     hidden_block_count_y
      - .offset:         32
        .size:           4
        .value_kind:     hidden_block_count_z
      - .offset:         36
        .size:           2
        .value_kind:     hidden_group_size_x
      - .offset:         38
        .size:           2
        .value_kind:     hidden_group_size_y
      - .offset:         40
        .size:           2
        .value_kind:     hidden_group_size_z
      - .offset:         42
        .size:           2
        .value_kind:     hidden_remainder_x
      - .offset:         44
        .size:           2
        .value_kind:     hidden_remainder_y
      - .offset:         46
        .size:           2
        .value_kind:     hidden_remainder_z
      - .offset:         64
        .size:           8
        .value_kind:     hidden_global_offset_x
      - .offset:         72
        .size:           8
        .value_kind:     hidden_global_offset_y
      - .offset:         80
        .size:           8
        .value_kind:     hidden_global_offset_z
      - .offset:         88
        .size:           2
        .value_kind:     hidden_grid_dims
      - .offset:         144
        .size:           4
        .value_kind:     hidden_dynamic_lds_size
    .group_segment_fixed_size: 0
    .kernarg_segment_align: 8
    .kernarg_segment_size: 280
    .language:       OpenCL C
    .language_version:
      - 2
      - 0
    .max_flat_workgroup_size: 1024
    .name:           _ZN2at6native12_GLOBAL__N_122cunn_SoftMaxForwardRegIfffNS1_25LogSoftMaxForwardEpilogueElLi1EEEvPT1_PKT_T3_
    .private_segment_fixed_size: 0
    .sgpr_count:     14
    .sgpr_spill_count: 0
    .symbol:         _ZN2at6native12_GLOBAL__N_122cunn_SoftMaxForwardRegIfffNS1_25LogSoftMaxForwardEpilogueElLi1EEEvPT1_PKT_T3_.kd
    .uniform_work_group_size: 1
    .uses_dynamic_stack: false
    .vgpr_count:     13
    .vgpr_spill_count: 0
    .wavefront_size: 32
    .workgroup_processor_mode: 1
  - .args:
      - .address_space:  global
        .offset:         0
        .size:           8
        .value_kind:     global_buffer
      - .address_space:  global
        .offset:         8
        .size:           8
        .value_kind:     global_buffer
      - .offset:         16
        .size:           8
        .value_kind:     by_value
      - .offset:         24
        .size:           4
        .value_kind:     hidden_block_count_x
      - .offset:         28
        .size:           4
        .value_kind:     hidden_block_count_y
      - .offset:         32
        .size:           4
        .value_kind:     hidden_block_count_z
      - .offset:         36
        .size:           2
        .value_kind:     hidden_group_size_x
      - .offset:         38
        .size:           2
        .value_kind:     hidden_group_size_y
      - .offset:         40
        .size:           2
        .value_kind:     hidden_group_size_z
      - .offset:         42
        .size:           2
        .value_kind:     hidden_remainder_x
      - .offset:         44
        .size:           2
        .value_kind:     hidden_remainder_y
      - .offset:         46
        .size:           2
        .value_kind:     hidden_remainder_z
      - .offset:         64
        .size:           8
        .value_kind:     hidden_global_offset_x
      - .offset:         72
        .size:           8
        .value_kind:     hidden_global_offset_y
      - .offset:         80
        .size:           8
        .value_kind:     hidden_global_offset_z
      - .offset:         88
        .size:           2
        .value_kind:     hidden_grid_dims
      - .offset:         144
        .size:           4
        .value_kind:     hidden_dynamic_lds_size
    .group_segment_fixed_size: 0
    .kernarg_segment_align: 8
    .kernarg_segment_size: 280
    .language:       OpenCL C
    .language_version:
      - 2
      - 0
    .max_flat_workgroup_size: 1024
    .name:           _ZN2at6native12_GLOBAL__N_122cunn_SoftMaxForwardRegIfffNS1_25LogSoftMaxForwardEpilogueElLi2EEEvPT1_PKT_T3_
    .private_segment_fixed_size: 0
    .sgpr_count:     14
    .sgpr_spill_count: 0
    .symbol:         _ZN2at6native12_GLOBAL__N_122cunn_SoftMaxForwardRegIfffNS1_25LogSoftMaxForwardEpilogueElLi2EEEvPT1_PKT_T3_.kd
    .uniform_work_group_size: 1
    .uses_dynamic_stack: false
    .vgpr_count:     18
    .vgpr_spill_count: 0
    .wavefront_size: 32
    .workgroup_processor_mode: 1
  - .args:
      - .address_space:  global
        .offset:         0
        .size:           8
        .value_kind:     global_buffer
      - .address_space:  global
        .offset:         8
        .size:           8
        .value_kind:     global_buffer
      - .offset:         16
        .size:           8
        .value_kind:     by_value
      - .offset:         24
        .size:           4
        .value_kind:     hidden_block_count_x
      - .offset:         28
        .size:           4
        .value_kind:     hidden_block_count_y
      - .offset:         32
        .size:           4
        .value_kind:     hidden_block_count_z
      - .offset:         36
        .size:           2
        .value_kind:     hidden_group_size_x
      - .offset:         38
        .size:           2
        .value_kind:     hidden_group_size_y
      - .offset:         40
        .size:           2
        .value_kind:     hidden_group_size_z
      - .offset:         42
        .size:           2
        .value_kind:     hidden_remainder_x
      - .offset:         44
        .size:           2
        .value_kind:     hidden_remainder_y
      - .offset:         46
        .size:           2
        .value_kind:     hidden_remainder_z
      - .offset:         64
        .size:           8
        .value_kind:     hidden_global_offset_x
      - .offset:         72
        .size:           8
        .value_kind:     hidden_global_offset_y
      - .offset:         80
        .size:           8
        .value_kind:     hidden_global_offset_z
      - .offset:         88
        .size:           2
        .value_kind:     hidden_grid_dims
      - .offset:         144
        .size:           4
        .value_kind:     hidden_dynamic_lds_size
    .group_segment_fixed_size: 0
    .kernarg_segment_align: 8
    .kernarg_segment_size: 280
    .language:       OpenCL C
    .language_version:
      - 2
      - 0
    .max_flat_workgroup_size: 1024
    .name:           _ZN2at6native12_GLOBAL__N_122cunn_SoftMaxForwardRegIfffNS1_25LogSoftMaxForwardEpilogueElLi3EEEvPT1_PKT_T3_
    .private_segment_fixed_size: 0
    .sgpr_count:     16
    .sgpr_spill_count: 0
    .symbol:         _ZN2at6native12_GLOBAL__N_122cunn_SoftMaxForwardRegIfffNS1_25LogSoftMaxForwardEpilogueElLi3EEEvPT1_PKT_T3_.kd
    .uniform_work_group_size: 1
    .uses_dynamic_stack: false
    .vgpr_count:     21
    .vgpr_spill_count: 0
    .wavefront_size: 32
    .workgroup_processor_mode: 1
  - .args:
      - .address_space:  global
        .offset:         0
        .size:           8
        .value_kind:     global_buffer
      - .address_space:  global
        .offset:         8
        .size:           8
        .value_kind:     global_buffer
      - .offset:         16
        .size:           8
        .value_kind:     by_value
      - .offset:         24
        .size:           4
        .value_kind:     hidden_block_count_x
      - .offset:         28
        .size:           4
        .value_kind:     hidden_block_count_y
      - .offset:         32
        .size:           4
        .value_kind:     hidden_block_count_z
      - .offset:         36
        .size:           2
        .value_kind:     hidden_group_size_x
      - .offset:         38
        .size:           2
        .value_kind:     hidden_group_size_y
      - .offset:         40
        .size:           2
        .value_kind:     hidden_group_size_z
      - .offset:         42
        .size:           2
        .value_kind:     hidden_remainder_x
      - .offset:         44
        .size:           2
        .value_kind:     hidden_remainder_y
      - .offset:         46
        .size:           2
        .value_kind:     hidden_remainder_z
      - .offset:         64
        .size:           8
        .value_kind:     hidden_global_offset_x
      - .offset:         72
        .size:           8
        .value_kind:     hidden_global_offset_y
      - .offset:         80
        .size:           8
        .value_kind:     hidden_global_offset_z
      - .offset:         88
        .size:           2
        .value_kind:     hidden_grid_dims
      - .offset:         144
        .size:           4
        .value_kind:     hidden_dynamic_lds_size
    .group_segment_fixed_size: 0
    .kernarg_segment_align: 8
    .kernarg_segment_size: 280
    .language:       OpenCL C
    .language_version:
      - 2
      - 0
    .max_flat_workgroup_size: 1024
    .name:           _ZN2at6native12_GLOBAL__N_122cunn_SoftMaxForwardRegIfffNS1_25LogSoftMaxForwardEpilogueElLi4EEEvPT1_PKT_T3_
    .private_segment_fixed_size: 0
    .sgpr_count:     16
    .sgpr_spill_count: 0
    .symbol:         _ZN2at6native12_GLOBAL__N_122cunn_SoftMaxForwardRegIfffNS1_25LogSoftMaxForwardEpilogueElLi4EEEvPT1_PKT_T3_.kd
    .uniform_work_group_size: 1
    .uses_dynamic_stack: false
    .vgpr_count:     26
    .vgpr_spill_count: 0
    .wavefront_size: 32
    .workgroup_processor_mode: 1
  - .args:
      - .address_space:  global
        .offset:         0
        .size:           8
        .value_kind:     global_buffer
      - .address_space:  global
        .offset:         8
        .size:           8
        .value_kind:     global_buffer
      - .offset:         16
        .size:           8
        .value_kind:     by_value
      - .offset:         24
        .size:           4
        .value_kind:     hidden_block_count_x
      - .offset:         28
        .size:           4
        .value_kind:     hidden_block_count_y
      - .offset:         32
        .size:           4
        .value_kind:     hidden_block_count_z
      - .offset:         36
        .size:           2
        .value_kind:     hidden_group_size_x
      - .offset:         38
        .size:           2
        .value_kind:     hidden_group_size_y
      - .offset:         40
        .size:           2
        .value_kind:     hidden_group_size_z
      - .offset:         42
        .size:           2
        .value_kind:     hidden_remainder_x
      - .offset:         44
        .size:           2
        .value_kind:     hidden_remainder_y
      - .offset:         46
        .size:           2
        .value_kind:     hidden_remainder_z
      - .offset:         64
        .size:           8
        .value_kind:     hidden_global_offset_x
      - .offset:         72
        .size:           8
        .value_kind:     hidden_global_offset_y
      - .offset:         80
        .size:           8
        .value_kind:     hidden_global_offset_z
      - .offset:         88
        .size:           2
        .value_kind:     hidden_grid_dims
      - .offset:         144
        .size:           4
        .value_kind:     hidden_dynamic_lds_size
    .group_segment_fixed_size: 0
    .kernarg_segment_align: 8
    .kernarg_segment_size: 280
    .language:       OpenCL C
    .language_version:
      - 2
      - 0
    .max_flat_workgroup_size: 1024
    .name:           _ZN2at6native12_GLOBAL__N_122cunn_SoftMaxForwardRegIfffNS1_25LogSoftMaxForwardEpilogueElLi5EEEvPT1_PKT_T3_
    .private_segment_fixed_size: 0
    .sgpr_count:     18
    .sgpr_spill_count: 0
    .symbol:         _ZN2at6native12_GLOBAL__N_122cunn_SoftMaxForwardRegIfffNS1_25LogSoftMaxForwardEpilogueElLi5EEEvPT1_PKT_T3_.kd
    .uniform_work_group_size: 1
    .uses_dynamic_stack: false
    .vgpr_count:     31
    .vgpr_spill_count: 0
    .wavefront_size: 32
    .workgroup_processor_mode: 1
  - .args:
      - .address_space:  global
        .offset:         0
        .size:           8
        .value_kind:     global_buffer
      - .address_space:  global
        .offset:         8
        .size:           8
        .value_kind:     global_buffer
      - .offset:         16
        .size:           8
        .value_kind:     by_value
      - .offset:         24
        .size:           4
        .value_kind:     hidden_block_count_x
      - .offset:         28
        .size:           4
        .value_kind:     hidden_block_count_y
      - .offset:         32
        .size:           4
        .value_kind:     hidden_block_count_z
      - .offset:         36
        .size:           2
        .value_kind:     hidden_group_size_x
      - .offset:         38
        .size:           2
        .value_kind:     hidden_group_size_y
      - .offset:         40
        .size:           2
        .value_kind:     hidden_group_size_z
      - .offset:         42
        .size:           2
        .value_kind:     hidden_remainder_x
      - .offset:         44
        .size:           2
        .value_kind:     hidden_remainder_y
      - .offset:         46
        .size:           2
        .value_kind:     hidden_remainder_z
      - .offset:         64
        .size:           8
        .value_kind:     hidden_global_offset_x
      - .offset:         72
        .size:           8
        .value_kind:     hidden_global_offset_y
      - .offset:         80
        .size:           8
        .value_kind:     hidden_global_offset_z
      - .offset:         88
        .size:           2
        .value_kind:     hidden_grid_dims
      - .offset:         144
        .size:           4
        .value_kind:     hidden_dynamic_lds_size
    .group_segment_fixed_size: 0
    .kernarg_segment_align: 8
    .kernarg_segment_size: 280
    .language:       OpenCL C
    .language_version:
      - 2
      - 0
    .max_flat_workgroup_size: 1024
    .name:           _ZN2at6native12_GLOBAL__N_122cunn_SoftMaxForwardRegIfffNS1_25LogSoftMaxForwardEpilogueElLi6EEEvPT1_PKT_T3_
    .private_segment_fixed_size: 0
    .sgpr_count:     18
    .sgpr_spill_count: 0
    .symbol:         _ZN2at6native12_GLOBAL__N_122cunn_SoftMaxForwardRegIfffNS1_25LogSoftMaxForwardEpilogueElLi6EEEvPT1_PKT_T3_.kd
    .uniform_work_group_size: 1
    .uses_dynamic_stack: false
    .vgpr_count:     37
    .vgpr_spill_count: 0
    .wavefront_size: 32
    .workgroup_processor_mode: 1
  - .args:
      - .address_space:  global
        .offset:         0
        .size:           8
        .value_kind:     global_buffer
      - .address_space:  global
        .offset:         8
        .size:           8
        .value_kind:     global_buffer
      - .offset:         16
        .size:           8
        .value_kind:     by_value
      - .offset:         24
        .size:           4
        .value_kind:     hidden_block_count_x
      - .offset:         28
        .size:           4
        .value_kind:     hidden_block_count_y
      - .offset:         32
        .size:           4
        .value_kind:     hidden_block_count_z
      - .offset:         36
        .size:           2
        .value_kind:     hidden_group_size_x
      - .offset:         38
        .size:           2
        .value_kind:     hidden_group_size_y
      - .offset:         40
        .size:           2
        .value_kind:     hidden_group_size_z
      - .offset:         42
        .size:           2
        .value_kind:     hidden_remainder_x
      - .offset:         44
        .size:           2
        .value_kind:     hidden_remainder_y
      - .offset:         46
        .size:           2
        .value_kind:     hidden_remainder_z
      - .offset:         64
        .size:           8
        .value_kind:     hidden_global_offset_x
      - .offset:         72
        .size:           8
        .value_kind:     hidden_global_offset_y
      - .offset:         80
        .size:           8
        .value_kind:     hidden_global_offset_z
      - .offset:         88
        .size:           2
        .value_kind:     hidden_grid_dims
      - .offset:         144
        .size:           4
        .value_kind:     hidden_dynamic_lds_size
    .group_segment_fixed_size: 0
    .kernarg_segment_align: 8
    .kernarg_segment_size: 280
    .language:       OpenCL C
    .language_version:
      - 2
      - 0
    .max_flat_workgroup_size: 1024
    .name:           _ZN2at6native12_GLOBAL__N_122cunn_SoftMaxForwardRegIfffNS1_25LogSoftMaxForwardEpilogueElLi7EEEvPT1_PKT_T3_
    .private_segment_fixed_size: 0
    .sgpr_count:     20
    .sgpr_spill_count: 0
    .symbol:         _ZN2at6native12_GLOBAL__N_122cunn_SoftMaxForwardRegIfffNS1_25LogSoftMaxForwardEpilogueElLi7EEEvPT1_PKT_T3_.kd
    .uniform_work_group_size: 1
    .uses_dynamic_stack: false
    .vgpr_count:     43
    .vgpr_spill_count: 0
    .wavefront_size: 32
    .workgroup_processor_mode: 1
  - .args:
      - .address_space:  global
        .offset:         0
        .size:           8
        .value_kind:     global_buffer
      - .address_space:  global
        .offset:         8
        .size:           8
        .value_kind:     global_buffer
      - .offset:         16
        .size:           8
        .value_kind:     by_value
      - .offset:         24
        .size:           4
        .value_kind:     hidden_block_count_x
      - .offset:         28
        .size:           4
        .value_kind:     hidden_block_count_y
      - .offset:         32
        .size:           4
        .value_kind:     hidden_block_count_z
      - .offset:         36
        .size:           2
        .value_kind:     hidden_group_size_x
      - .offset:         38
        .size:           2
        .value_kind:     hidden_group_size_y
      - .offset:         40
        .size:           2
        .value_kind:     hidden_group_size_z
      - .offset:         42
        .size:           2
        .value_kind:     hidden_remainder_x
      - .offset:         44
        .size:           2
        .value_kind:     hidden_remainder_y
      - .offset:         46
        .size:           2
        .value_kind:     hidden_remainder_z
      - .offset:         64
        .size:           8
        .value_kind:     hidden_global_offset_x
      - .offset:         72
        .size:           8
        .value_kind:     hidden_global_offset_y
      - .offset:         80
        .size:           8
        .value_kind:     hidden_global_offset_z
      - .offset:         88
        .size:           2
        .value_kind:     hidden_grid_dims
      - .offset:         144
        .size:           4
        .value_kind:     hidden_dynamic_lds_size
    .group_segment_fixed_size: 0
    .kernarg_segment_align: 8
    .kernarg_segment_size: 280
    .language:       OpenCL C
    .language_version:
      - 2
      - 0
    .max_flat_workgroup_size: 1024
    .name:           _ZN2at6native12_GLOBAL__N_122cunn_SoftMaxForwardRegIfffNS1_25LogSoftMaxForwardEpilogueElLi8EEEvPT1_PKT_T3_
    .private_segment_fixed_size: 0
    .sgpr_count:     20
    .sgpr_spill_count: 0
    .symbol:         _ZN2at6native12_GLOBAL__N_122cunn_SoftMaxForwardRegIfffNS1_25LogSoftMaxForwardEpilogueElLi8EEEvPT1_PKT_T3_.kd
    .uniform_work_group_size: 1
    .uses_dynamic_stack: false
    .vgpr_count:     48
    .vgpr_spill_count: 0
    .wavefront_size: 32
    .workgroup_processor_mode: 1
  - .args:
      - .address_space:  global
        .offset:         0
        .size:           8
        .value_kind:     global_buffer
      - .address_space:  global
        .offset:         8
        .size:           8
        .value_kind:     global_buffer
      - .offset:         16
        .size:           8
        .value_kind:     by_value
      - .offset:         24
        .size:           4
        .value_kind:     hidden_block_count_x
      - .offset:         28
        .size:           4
        .value_kind:     hidden_block_count_y
      - .offset:         32
        .size:           4
        .value_kind:     hidden_block_count_z
      - .offset:         36
        .size:           2
        .value_kind:     hidden_group_size_x
      - .offset:         38
        .size:           2
        .value_kind:     hidden_group_size_y
      - .offset:         40
        .size:           2
        .value_kind:     hidden_group_size_z
      - .offset:         42
        .size:           2
        .value_kind:     hidden_remainder_x
      - .offset:         44
        .size:           2
        .value_kind:     hidden_remainder_y
      - .offset:         46
        .size:           2
        .value_kind:     hidden_remainder_z
      - .offset:         64
        .size:           8
        .value_kind:     hidden_global_offset_x
      - .offset:         72
        .size:           8
        .value_kind:     hidden_global_offset_y
      - .offset:         80
        .size:           8
        .value_kind:     hidden_global_offset_z
      - .offset:         88
        .size:           2
        .value_kind:     hidden_grid_dims
      - .offset:         144
        .size:           4
        .value_kind:     hidden_dynamic_lds_size
    .group_segment_fixed_size: 0
    .kernarg_segment_align: 8
    .kernarg_segment_size: 280
    .language:       OpenCL C
    .language_version:
      - 2
      - 0
    .max_flat_workgroup_size: 1024
    .name:           _ZN2at6native12_GLOBAL__N_122cunn_SoftMaxForwardRegIfffNS1_25LogSoftMaxForwardEpilogueElLi9EEEvPT1_PKT_T3_
    .private_segment_fixed_size: 0
    .sgpr_count:     22
    .sgpr_spill_count: 0
    .symbol:         _ZN2at6native12_GLOBAL__N_122cunn_SoftMaxForwardRegIfffNS1_25LogSoftMaxForwardEpilogueElLi9EEEvPT1_PKT_T3_.kd
    .uniform_work_group_size: 1
    .uses_dynamic_stack: false
    .vgpr_count:     52
    .vgpr_spill_count: 0
    .wavefront_size: 32
    .workgroup_processor_mode: 1
  - .args:
      - .address_space:  global
        .offset:         0
        .size:           8
        .value_kind:     global_buffer
      - .address_space:  global
        .offset:         8
        .size:           8
        .value_kind:     global_buffer
      - .offset:         16
        .size:           8
        .value_kind:     by_value
      - .offset:         24
        .size:           4
        .value_kind:     hidden_block_count_x
      - .offset:         28
        .size:           4
        .value_kind:     hidden_block_count_y
      - .offset:         32
        .size:           4
        .value_kind:     hidden_block_count_z
      - .offset:         36
        .size:           2
        .value_kind:     hidden_group_size_x
      - .offset:         38
        .size:           2
        .value_kind:     hidden_group_size_y
      - .offset:         40
        .size:           2
        .value_kind:     hidden_group_size_z
      - .offset:         42
        .size:           2
        .value_kind:     hidden_remainder_x
      - .offset:         44
        .size:           2
        .value_kind:     hidden_remainder_y
      - .offset:         46
        .size:           2
        .value_kind:     hidden_remainder_z
      - .offset:         64
        .size:           8
        .value_kind:     hidden_global_offset_x
      - .offset:         72
        .size:           8
        .value_kind:     hidden_global_offset_y
      - .offset:         80
        .size:           8
        .value_kind:     hidden_global_offset_z
      - .offset:         88
        .size:           2
        .value_kind:     hidden_grid_dims
      - .offset:         144
        .size:           4
        .value_kind:     hidden_dynamic_lds_size
    .group_segment_fixed_size: 0
    .kernarg_segment_align: 8
    .kernarg_segment_size: 280
    .language:       OpenCL C
    .language_version:
      - 2
      - 0
    .max_flat_workgroup_size: 1024
    .name:           _ZN2at6native12_GLOBAL__N_123cunn_SoftMaxForwardSmemILi4EfffNS1_25LogSoftMaxForwardEpilogueElEEvPT2_PKT0_T4_
    .private_segment_fixed_size: 0
    .sgpr_count:     19
    .sgpr_spill_count: 0
    .symbol:         _ZN2at6native12_GLOBAL__N_123cunn_SoftMaxForwardSmemILi4EfffNS1_25LogSoftMaxForwardEpilogueElEEvPT2_PKT0_T4_.kd
    .uniform_work_group_size: 1
    .uses_dynamic_stack: false
    .vgpr_count:     33
    .vgpr_spill_count: 0
    .wavefront_size: 32
    .workgroup_processor_mode: 1
  - .args:
      - .address_space:  global
        .offset:         0
        .size:           8
        .value_kind:     global_buffer
      - .address_space:  global
        .offset:         8
        .size:           8
        .value_kind:     global_buffer
      - .offset:         16
        .size:           4
        .value_kind:     by_value
      - .offset:         24
        .size:           4
        .value_kind:     hidden_block_count_x
      - .offset:         28
        .size:           4
        .value_kind:     hidden_block_count_y
      - .offset:         32
        .size:           4
        .value_kind:     hidden_block_count_z
      - .offset:         36
        .size:           2
        .value_kind:     hidden_group_size_x
      - .offset:         38
        .size:           2
        .value_kind:     hidden_group_size_y
      - .offset:         40
        .size:           2
        .value_kind:     hidden_group_size_z
      - .offset:         42
        .size:           2
        .value_kind:     hidden_remainder_x
      - .offset:         44
        .size:           2
        .value_kind:     hidden_remainder_y
      - .offset:         46
        .size:           2
        .value_kind:     hidden_remainder_z
      - .offset:         64
        .size:           8
        .value_kind:     hidden_global_offset_x
      - .offset:         72
        .size:           8
        .value_kind:     hidden_global_offset_y
      - .offset:         80
        .size:           8
        .value_kind:     hidden_global_offset_z
      - .offset:         88
        .size:           2
        .value_kind:     hidden_grid_dims
      - .offset:         144
        .size:           4
        .value_kind:     hidden_dynamic_lds_size
    .group_segment_fixed_size: 0
    .kernarg_segment_align: 8
    .kernarg_segment_size: 280
    .language:       OpenCL C
    .language_version:
      - 2
      - 0
    .max_flat_workgroup_size: 1024
    .name:           _ZN2at6native12_GLOBAL__N_119cunn_SoftMaxForwardILi4EfffNS1_25LogSoftMaxForwardEpilogueEEEvPT2_PKT0_i
    .private_segment_fixed_size: 0
    .sgpr_count:     23
    .sgpr_spill_count: 0
    .symbol:         _ZN2at6native12_GLOBAL__N_119cunn_SoftMaxForwardILi4EfffNS1_25LogSoftMaxForwardEpilogueEEEvPT2_PKT0_i.kd
    .uniform_work_group_size: 1
    .uses_dynamic_stack: false
    .vgpr_count:     30
    .vgpr_spill_count: 0
    .wavefront_size: 32
    .workgroup_processor_mode: 1
  - .args:
      - .address_space:  global
        .offset:         0
        .size:           8
        .value_kind:     global_buffer
      - .address_space:  global
        .offset:         8
        .size:           8
        .value_kind:     global_buffer
      - .offset:         16
        .size:           4
        .value_kind:     by_value
      - .offset:         20
        .size:           4
        .value_kind:     by_value
      - .offset:         24
        .size:           4
        .value_kind:     by_value
      - .address_space:  global
        .offset:         32
        .size:           8
        .value_kind:     global_buffer
      - .offset:         40
        .size:           4
        .value_kind:     by_value
      - .offset:         44
        .size:           1
        .value_kind:     by_value
      - .offset:         48
        .size:           4
        .value_kind:     hidden_block_count_x
      - .offset:         52
        .size:           4
        .value_kind:     hidden_block_count_y
      - .offset:         56
        .size:           4
        .value_kind:     hidden_block_count_z
      - .offset:         60
        .size:           2
        .value_kind:     hidden_group_size_x
      - .offset:         62
        .size:           2
        .value_kind:     hidden_group_size_y
      - .offset:         64
        .size:           2
        .value_kind:     hidden_group_size_z
      - .offset:         66
        .size:           2
        .value_kind:     hidden_remainder_x
      - .offset:         68
        .size:           2
        .value_kind:     hidden_remainder_y
      - .offset:         70
        .size:           2
        .value_kind:     hidden_remainder_z
      - .offset:         88
        .size:           8
        .value_kind:     hidden_global_offset_x
      - .offset:         96
        .size:           8
        .value_kind:     hidden_global_offset_y
      - .offset:         104
        .size:           8
        .value_kind:     hidden_global_offset_z
      - .offset:         112
        .size:           2
        .value_kind:     hidden_grid_dims
    .group_segment_fixed_size: 0
    .kernarg_segment_align: 8
    .kernarg_segment_size: 304
    .language:       OpenCL C
    .language_version:
      - 2
      - 0
    .max_flat_workgroup_size: 1024
    .name:           _ZN12_GLOBAL__N_120softmax_warp_forwardIN3c104HalfES2_fLi0ELb1ELb0ELi64EEEvPT0_PKT_iiiPKbib
    .private_segment_fixed_size: 0
    .sgpr_count:     18
    .sgpr_spill_count: 0
    .symbol:         _ZN12_GLOBAL__N_120softmax_warp_forwardIN3c104HalfES2_fLi0ELb1ELb0ELi64EEEvPT0_PKT_iiiPKbib.kd
    .uniform_work_group_size: 1
    .uses_dynamic_stack: false
    .vgpr_count:     8
    .vgpr_spill_count: 0
    .wavefront_size: 32
    .workgroup_processor_mode: 1
  - .args:
      - .address_space:  global
        .offset:         0
        .size:           8
        .value_kind:     global_buffer
      - .address_space:  global
        .offset:         8
        .size:           8
        .value_kind:     global_buffer
      - .offset:         16
        .size:           4
        .value_kind:     by_value
      - .offset:         20
        .size:           4
        .value_kind:     by_value
      - .offset:         24
        .size:           4
        .value_kind:     by_value
      - .address_space:  global
        .offset:         32
        .size:           8
        .value_kind:     global_buffer
      - .offset:         40
        .size:           4
        .value_kind:     by_value
      - .offset:         44
        .size:           1
        .value_kind:     by_value
      - .offset:         48
        .size:           4
        .value_kind:     hidden_block_count_x
      - .offset:         52
        .size:           4
        .value_kind:     hidden_block_count_y
      - .offset:         56
        .size:           4
        .value_kind:     hidden_block_count_z
      - .offset:         60
        .size:           2
        .value_kind:     hidden_group_size_x
      - .offset:         62
        .size:           2
        .value_kind:     hidden_group_size_y
      - .offset:         64
        .size:           2
        .value_kind:     hidden_group_size_z
      - .offset:         66
        .size:           2
        .value_kind:     hidden_remainder_x
      - .offset:         68
        .size:           2
        .value_kind:     hidden_remainder_y
      - .offset:         70
        .size:           2
        .value_kind:     hidden_remainder_z
      - .offset:         88
        .size:           8
        .value_kind:     hidden_global_offset_x
      - .offset:         96
        .size:           8
        .value_kind:     hidden_global_offset_y
      - .offset:         104
        .size:           8
        .value_kind:     hidden_global_offset_z
      - .offset:         112
        .size:           2
        .value_kind:     hidden_grid_dims
    .group_segment_fixed_size: 0
    .kernarg_segment_align: 8
    .kernarg_segment_size: 304
    .language:       OpenCL C
    .language_version:
      - 2
      - 0
    .max_flat_workgroup_size: 1024
    .name:           _ZN12_GLOBAL__N_120softmax_warp_forwardIN3c104HalfES2_fLi0ELb1ELb0ELi32EEEvPT0_PKT_iiiPKbib
    .private_segment_fixed_size: 0
    .sgpr_count:     18
    .sgpr_spill_count: 0
    .symbol:         _ZN12_GLOBAL__N_120softmax_warp_forwardIN3c104HalfES2_fLi0ELb1ELb0ELi32EEEvPT0_PKT_iiiPKbib.kd
    .uniform_work_group_size: 1
    .uses_dynamic_stack: false
    .vgpr_count:     8
    .vgpr_spill_count: 0
    .wavefront_size: 32
    .workgroup_processor_mode: 1
  - .args:
      - .address_space:  global
        .offset:         0
        .size:           8
        .value_kind:     global_buffer
      - .address_space:  global
        .offset:         8
        .size:           8
        .value_kind:     global_buffer
      - .offset:         16
        .size:           4
        .value_kind:     by_value
      - .offset:         20
        .size:           4
        .value_kind:     by_value
      - .offset:         24
        .size:           4
        .value_kind:     by_value
      - .address_space:  global
        .offset:         32
        .size:           8
        .value_kind:     global_buffer
      - .offset:         40
        .size:           4
        .value_kind:     by_value
      - .offset:         44
        .size:           1
        .value_kind:     by_value
      - .offset:         48
        .size:           4
        .value_kind:     hidden_block_count_x
      - .offset:         52
        .size:           4
        .value_kind:     hidden_block_count_y
      - .offset:         56
        .size:           4
        .value_kind:     hidden_block_count_z
      - .offset:         60
        .size:           2
        .value_kind:     hidden_group_size_x
      - .offset:         62
        .size:           2
        .value_kind:     hidden_group_size_y
      - .offset:         64
        .size:           2
        .value_kind:     hidden_group_size_z
      - .offset:         66
        .size:           2
        .value_kind:     hidden_remainder_x
      - .offset:         68
        .size:           2
        .value_kind:     hidden_remainder_y
      - .offset:         70
        .size:           2
        .value_kind:     hidden_remainder_z
      - .offset:         88
        .size:           8
        .value_kind:     hidden_global_offset_x
      - .offset:         96
        .size:           8
        .value_kind:     hidden_global_offset_y
      - .offset:         104
        .size:           8
        .value_kind:     hidden_global_offset_z
      - .offset:         112
        .size:           2
        .value_kind:     hidden_grid_dims
    .group_segment_fixed_size: 0
    .kernarg_segment_align: 8
    .kernarg_segment_size: 304
    .language:       OpenCL C
    .language_version:
      - 2
      - 0
    .max_flat_workgroup_size: 1024
    .name:           _ZN12_GLOBAL__N_120softmax_warp_forwardIN3c104HalfES2_fLi1ELb1ELb0ELi64EEEvPT0_PKT_iiiPKbib
    .private_segment_fixed_size: 0
    .sgpr_count:     18
    .sgpr_spill_count: 0
    .symbol:         _ZN12_GLOBAL__N_120softmax_warp_forwardIN3c104HalfES2_fLi1ELb1ELb0ELi64EEEvPT0_PKT_iiiPKbib.kd
    .uniform_work_group_size: 1
    .uses_dynamic_stack: false
    .vgpr_count:     12
    .vgpr_spill_count: 0
    .wavefront_size: 32
    .workgroup_processor_mode: 1
  - .args:
      - .address_space:  global
        .offset:         0
        .size:           8
        .value_kind:     global_buffer
      - .address_space:  global
        .offset:         8
        .size:           8
        .value_kind:     global_buffer
      - .offset:         16
        .size:           4
        .value_kind:     by_value
      - .offset:         20
        .size:           4
        .value_kind:     by_value
      - .offset:         24
        .size:           4
        .value_kind:     by_value
      - .address_space:  global
        .offset:         32
        .size:           8
        .value_kind:     global_buffer
      - .offset:         40
        .size:           4
        .value_kind:     by_value
      - .offset:         44
        .size:           1
        .value_kind:     by_value
      - .offset:         48
        .size:           4
        .value_kind:     hidden_block_count_x
      - .offset:         52
        .size:           4
        .value_kind:     hidden_block_count_y
      - .offset:         56
        .size:           4
        .value_kind:     hidden_block_count_z
      - .offset:         60
        .size:           2
        .value_kind:     hidden_group_size_x
      - .offset:         62
        .size:           2
        .value_kind:     hidden_group_size_y
      - .offset:         64
        .size:           2
        .value_kind:     hidden_group_size_z
      - .offset:         66
        .size:           2
        .value_kind:     hidden_remainder_x
      - .offset:         68
        .size:           2
        .value_kind:     hidden_remainder_y
      - .offset:         70
        .size:           2
        .value_kind:     hidden_remainder_z
      - .offset:         88
        .size:           8
        .value_kind:     hidden_global_offset_x
      - .offset:         96
        .size:           8
        .value_kind:     hidden_global_offset_y
      - .offset:         104
        .size:           8
        .value_kind:     hidden_global_offset_z
      - .offset:         112
        .size:           2
        .value_kind:     hidden_grid_dims
    .group_segment_fixed_size: 0
    .kernarg_segment_align: 8
    .kernarg_segment_size: 304
    .language:       OpenCL C
    .language_version:
      - 2
      - 0
    .max_flat_workgroup_size: 1024
    .name:           _ZN12_GLOBAL__N_120softmax_warp_forwardIN3c104HalfES2_fLi1ELb1ELb0ELi32EEEvPT0_PKT_iiiPKbib
    .private_segment_fixed_size: 0
    .sgpr_count:     18
    .sgpr_spill_count: 0
    .symbol:         _ZN12_GLOBAL__N_120softmax_warp_forwardIN3c104HalfES2_fLi1ELb1ELb0ELi32EEEvPT0_PKT_iiiPKbib.kd
    .uniform_work_group_size: 1
    .uses_dynamic_stack: false
    .vgpr_count:     12
    .vgpr_spill_count: 0
    .wavefront_size: 32
    .workgroup_processor_mode: 1
  - .args:
      - .address_space:  global
        .offset:         0
        .size:           8
        .value_kind:     global_buffer
      - .address_space:  global
        .offset:         8
        .size:           8
        .value_kind:     global_buffer
      - .offset:         16
        .size:           4
        .value_kind:     by_value
      - .offset:         20
        .size:           4
        .value_kind:     by_value
      - .offset:         24
        .size:           4
        .value_kind:     by_value
      - .address_space:  global
        .offset:         32
        .size:           8
        .value_kind:     global_buffer
      - .offset:         40
        .size:           4
        .value_kind:     by_value
      - .offset:         44
        .size:           1
        .value_kind:     by_value
      - .offset:         48
        .size:           4
        .value_kind:     hidden_block_count_x
      - .offset:         52
        .size:           4
        .value_kind:     hidden_block_count_y
      - .offset:         56
        .size:           4
        .value_kind:     hidden_block_count_z
      - .offset:         60
        .size:           2
        .value_kind:     hidden_group_size_x
      - .offset:         62
        .size:           2
        .value_kind:     hidden_group_size_y
      - .offset:         64
        .size:           2
        .value_kind:     hidden_group_size_z
      - .offset:         66
        .size:           2
        .value_kind:     hidden_remainder_x
      - .offset:         68
        .size:           2
        .value_kind:     hidden_remainder_y
      - .offset:         70
        .size:           2
        .value_kind:     hidden_remainder_z
      - .offset:         88
        .size:           8
        .value_kind:     hidden_global_offset_x
      - .offset:         96
        .size:           8
        .value_kind:     hidden_global_offset_y
      - .offset:         104
        .size:           8
        .value_kind:     hidden_global_offset_z
      - .offset:         112
        .size:           2
        .value_kind:     hidden_grid_dims
    .group_segment_fixed_size: 0
    .kernarg_segment_align: 8
    .kernarg_segment_size: 304
    .language:       OpenCL C
    .language_version:
      - 2
      - 0
    .max_flat_workgroup_size: 1024
    .name:           _ZN12_GLOBAL__N_120softmax_warp_forwardIN3c104HalfES2_fLi2ELb1ELb0ELi64EEEvPT0_PKT_iiiPKbib
    .private_segment_fixed_size: 0
    .sgpr_count:     18
    .sgpr_spill_count: 0
    .symbol:         _ZN12_GLOBAL__N_120softmax_warp_forwardIN3c104HalfES2_fLi2ELb1ELb0ELi64EEEvPT0_PKT_iiiPKbib.kd
    .uniform_work_group_size: 1
    .uses_dynamic_stack: false
    .vgpr_count:     13
    .vgpr_spill_count: 0
    .wavefront_size: 32
    .workgroup_processor_mode: 1
  - .args:
      - .address_space:  global
        .offset:         0
        .size:           8
        .value_kind:     global_buffer
      - .address_space:  global
        .offset:         8
        .size:           8
        .value_kind:     global_buffer
      - .offset:         16
        .size:           4
        .value_kind:     by_value
      - .offset:         20
        .size:           4
        .value_kind:     by_value
      - .offset:         24
        .size:           4
        .value_kind:     by_value
      - .address_space:  global
        .offset:         32
        .size:           8
        .value_kind:     global_buffer
      - .offset:         40
        .size:           4
        .value_kind:     by_value
      - .offset:         44
        .size:           1
        .value_kind:     by_value
      - .offset:         48
        .size:           4
        .value_kind:     hidden_block_count_x
      - .offset:         52
        .size:           4
        .value_kind:     hidden_block_count_y
      - .offset:         56
        .size:           4
        .value_kind:     hidden_block_count_z
      - .offset:         60
        .size:           2
        .value_kind:     hidden_group_size_x
      - .offset:         62
        .size:           2
        .value_kind:     hidden_group_size_y
      - .offset:         64
        .size:           2
        .value_kind:     hidden_group_size_z
      - .offset:         66
        .size:           2
        .value_kind:     hidden_remainder_x
      - .offset:         68
        .size:           2
        .value_kind:     hidden_remainder_y
      - .offset:         70
        .size:           2
        .value_kind:     hidden_remainder_z
      - .offset:         88
        .size:           8
        .value_kind:     hidden_global_offset_x
      - .offset:         96
        .size:           8
        .value_kind:     hidden_global_offset_y
      - .offset:         104
        .size:           8
        .value_kind:     hidden_global_offset_z
      - .offset:         112
        .size:           2
        .value_kind:     hidden_grid_dims
    .group_segment_fixed_size: 0
    .kernarg_segment_align: 8
    .kernarg_segment_size: 304
    .language:       OpenCL C
    .language_version:
      - 2
      - 0
    .max_flat_workgroup_size: 1024
    .name:           _ZN12_GLOBAL__N_120softmax_warp_forwardIN3c104HalfES2_fLi2ELb1ELb0ELi32EEEvPT0_PKT_iiiPKbib
    .private_segment_fixed_size: 0
    .sgpr_count:     18
    .sgpr_spill_count: 0
    .symbol:         _ZN12_GLOBAL__N_120softmax_warp_forwardIN3c104HalfES2_fLi2ELb1ELb0ELi32EEEvPT0_PKT_iiiPKbib.kd
    .uniform_work_group_size: 1
    .uses_dynamic_stack: false
    .vgpr_count:     13
    .vgpr_spill_count: 0
    .wavefront_size: 32
    .workgroup_processor_mode: 1
  - .args:
      - .address_space:  global
        .offset:         0
        .size:           8
        .value_kind:     global_buffer
      - .address_space:  global
        .offset:         8
        .size:           8
        .value_kind:     global_buffer
      - .offset:         16
        .size:           4
        .value_kind:     by_value
      - .offset:         20
        .size:           4
        .value_kind:     by_value
      - .offset:         24
        .size:           4
        .value_kind:     by_value
      - .address_space:  global
        .offset:         32
        .size:           8
        .value_kind:     global_buffer
      - .offset:         40
        .size:           4
        .value_kind:     by_value
      - .offset:         44
        .size:           1
        .value_kind:     by_value
      - .offset:         48
        .size:           4
        .value_kind:     hidden_block_count_x
      - .offset:         52
        .size:           4
        .value_kind:     hidden_block_count_y
      - .offset:         56
        .size:           4
        .value_kind:     hidden_block_count_z
      - .offset:         60
        .size:           2
        .value_kind:     hidden_group_size_x
      - .offset:         62
        .size:           2
        .value_kind:     hidden_group_size_y
      - .offset:         64
        .size:           2
        .value_kind:     hidden_group_size_z
      - .offset:         66
        .size:           2
        .value_kind:     hidden_remainder_x
      - .offset:         68
        .size:           2
        .value_kind:     hidden_remainder_y
      - .offset:         70
        .size:           2
        .value_kind:     hidden_remainder_z
      - .offset:         88
        .size:           8
        .value_kind:     hidden_global_offset_x
      - .offset:         96
        .size:           8
        .value_kind:     hidden_global_offset_y
      - .offset:         104
        .size:           8
        .value_kind:     hidden_global_offset_z
      - .offset:         112
        .size:           2
        .value_kind:     hidden_grid_dims
    .group_segment_fixed_size: 0
    .kernarg_segment_align: 8
    .kernarg_segment_size: 304
    .language:       OpenCL C
    .language_version:
      - 2
      - 0
    .max_flat_workgroup_size: 1024
    .name:           _ZN12_GLOBAL__N_120softmax_warp_forwardIN3c104HalfES2_fLi3ELb1ELb0ELi64EEEvPT0_PKT_iiiPKbib
    .private_segment_fixed_size: 0
    .sgpr_count:     18
    .sgpr_spill_count: 0
    .symbol:         _ZN12_GLOBAL__N_120softmax_warp_forwardIN3c104HalfES2_fLi3ELb1ELb0ELi64EEEvPT0_PKT_iiiPKbib.kd
    .uniform_work_group_size: 1
    .uses_dynamic_stack: false
    .vgpr_count:     14
    .vgpr_spill_count: 0
    .wavefront_size: 32
    .workgroup_processor_mode: 1
  - .args:
      - .address_space:  global
        .offset:         0
        .size:           8
        .value_kind:     global_buffer
      - .address_space:  global
        .offset:         8
        .size:           8
        .value_kind:     global_buffer
      - .offset:         16
        .size:           4
        .value_kind:     by_value
      - .offset:         20
        .size:           4
        .value_kind:     by_value
      - .offset:         24
        .size:           4
        .value_kind:     by_value
      - .address_space:  global
        .offset:         32
        .size:           8
        .value_kind:     global_buffer
      - .offset:         40
        .size:           4
        .value_kind:     by_value
      - .offset:         44
        .size:           1
        .value_kind:     by_value
      - .offset:         48
        .size:           4
        .value_kind:     hidden_block_count_x
      - .offset:         52
        .size:           4
        .value_kind:     hidden_block_count_y
      - .offset:         56
        .size:           4
        .value_kind:     hidden_block_count_z
      - .offset:         60
        .size:           2
        .value_kind:     hidden_group_size_x
      - .offset:         62
        .size:           2
        .value_kind:     hidden_group_size_y
      - .offset:         64
        .size:           2
        .value_kind:     hidden_group_size_z
      - .offset:         66
        .size:           2
        .value_kind:     hidden_remainder_x
      - .offset:         68
        .size:           2
        .value_kind:     hidden_remainder_y
      - .offset:         70
        .size:           2
        .value_kind:     hidden_remainder_z
      - .offset:         88
        .size:           8
        .value_kind:     hidden_global_offset_x
      - .offset:         96
        .size:           8
        .value_kind:     hidden_global_offset_y
      - .offset:         104
        .size:           8
        .value_kind:     hidden_global_offset_z
      - .offset:         112
        .size:           2
        .value_kind:     hidden_grid_dims
    .group_segment_fixed_size: 0
    .kernarg_segment_align: 8
    .kernarg_segment_size: 304
    .language:       OpenCL C
    .language_version:
      - 2
      - 0
    .max_flat_workgroup_size: 1024
    .name:           _ZN12_GLOBAL__N_120softmax_warp_forwardIN3c104HalfES2_fLi3ELb1ELb0ELi32EEEvPT0_PKT_iiiPKbib
    .private_segment_fixed_size: 0
    .sgpr_count:     18
    .sgpr_spill_count: 0
    .symbol:         _ZN12_GLOBAL__N_120softmax_warp_forwardIN3c104HalfES2_fLi3ELb1ELb0ELi32EEEvPT0_PKT_iiiPKbib.kd
    .uniform_work_group_size: 1
    .uses_dynamic_stack: false
    .vgpr_count:     14
    .vgpr_spill_count: 0
    .wavefront_size: 32
    .workgroup_processor_mode: 1
  - .args:
      - .address_space:  global
        .offset:         0
        .size:           8
        .value_kind:     global_buffer
      - .address_space:  global
        .offset:         8
        .size:           8
        .value_kind:     global_buffer
      - .offset:         16
        .size:           4
        .value_kind:     by_value
      - .offset:         20
        .size:           4
        .value_kind:     by_value
      - .offset:         24
        .size:           4
        .value_kind:     by_value
      - .address_space:  global
        .offset:         32
        .size:           8
        .value_kind:     global_buffer
      - .offset:         40
        .size:           4
        .value_kind:     by_value
      - .offset:         44
        .size:           1
        .value_kind:     by_value
      - .offset:         48
        .size:           4
        .value_kind:     hidden_block_count_x
      - .offset:         52
        .size:           4
        .value_kind:     hidden_block_count_y
      - .offset:         56
        .size:           4
        .value_kind:     hidden_block_count_z
      - .offset:         60
        .size:           2
        .value_kind:     hidden_group_size_x
      - .offset:         62
        .size:           2
        .value_kind:     hidden_group_size_y
      - .offset:         64
        .size:           2
        .value_kind:     hidden_group_size_z
      - .offset:         66
        .size:           2
        .value_kind:     hidden_remainder_x
      - .offset:         68
        .size:           2
        .value_kind:     hidden_remainder_y
      - .offset:         70
        .size:           2
        .value_kind:     hidden_remainder_z
      - .offset:         88
        .size:           8
        .value_kind:     hidden_global_offset_x
      - .offset:         96
        .size:           8
        .value_kind:     hidden_global_offset_y
      - .offset:         104
        .size:           8
        .value_kind:     hidden_global_offset_z
      - .offset:         112
        .size:           2
        .value_kind:     hidden_grid_dims
    .group_segment_fixed_size: 0
    .kernarg_segment_align: 8
    .kernarg_segment_size: 304
    .language:       OpenCL C
    .language_version:
      - 2
      - 0
    .max_flat_workgroup_size: 1024
    .name:           _ZN12_GLOBAL__N_120softmax_warp_forwardIN3c104HalfES2_fLi4ELb1ELb0ELi64EEEvPT0_PKT_iiiPKbib
    .private_segment_fixed_size: 0
    .sgpr_count:     18
    .sgpr_spill_count: 0
    .symbol:         _ZN12_GLOBAL__N_120softmax_warp_forwardIN3c104HalfES2_fLi4ELb1ELb0ELi64EEEvPT0_PKT_iiiPKbib.kd
    .uniform_work_group_size: 1
    .uses_dynamic_stack: false
    .vgpr_count:     15
    .vgpr_spill_count: 0
    .wavefront_size: 32
    .workgroup_processor_mode: 1
  - .args:
      - .address_space:  global
        .offset:         0
        .size:           8
        .value_kind:     global_buffer
      - .address_space:  global
        .offset:         8
        .size:           8
        .value_kind:     global_buffer
      - .offset:         16
        .size:           4
        .value_kind:     by_value
      - .offset:         20
        .size:           4
        .value_kind:     by_value
      - .offset:         24
        .size:           4
        .value_kind:     by_value
      - .address_space:  global
        .offset:         32
        .size:           8
        .value_kind:     global_buffer
      - .offset:         40
        .size:           4
        .value_kind:     by_value
      - .offset:         44
        .size:           1
        .value_kind:     by_value
      - .offset:         48
        .size:           4
        .value_kind:     hidden_block_count_x
      - .offset:         52
        .size:           4
        .value_kind:     hidden_block_count_y
      - .offset:         56
        .size:           4
        .value_kind:     hidden_block_count_z
      - .offset:         60
        .size:           2
        .value_kind:     hidden_group_size_x
      - .offset:         62
        .size:           2
        .value_kind:     hidden_group_size_y
      - .offset:         64
        .size:           2
        .value_kind:     hidden_group_size_z
      - .offset:         66
        .size:           2
        .value_kind:     hidden_remainder_x
      - .offset:         68
        .size:           2
        .value_kind:     hidden_remainder_y
      - .offset:         70
        .size:           2
        .value_kind:     hidden_remainder_z
      - .offset:         88
        .size:           8
        .value_kind:     hidden_global_offset_x
      - .offset:         96
        .size:           8
        .value_kind:     hidden_global_offset_y
      - .offset:         104
        .size:           8
        .value_kind:     hidden_global_offset_z
      - .offset:         112
        .size:           2
        .value_kind:     hidden_grid_dims
    .group_segment_fixed_size: 0
    .kernarg_segment_align: 8
    .kernarg_segment_size: 304
    .language:       OpenCL C
    .language_version:
      - 2
      - 0
    .max_flat_workgroup_size: 1024
    .name:           _ZN12_GLOBAL__N_120softmax_warp_forwardIN3c104HalfES2_fLi4ELb1ELb0ELi32EEEvPT0_PKT_iiiPKbib
    .private_segment_fixed_size: 0
    .sgpr_count:     18
    .sgpr_spill_count: 0
    .symbol:         _ZN12_GLOBAL__N_120softmax_warp_forwardIN3c104HalfES2_fLi4ELb1ELb0ELi32EEEvPT0_PKT_iiiPKbib.kd
    .uniform_work_group_size: 1
    .uses_dynamic_stack: false
    .vgpr_count:     15
    .vgpr_spill_count: 0
    .wavefront_size: 32
    .workgroup_processor_mode: 1
  - .args:
      - .address_space:  global
        .offset:         0
        .size:           8
        .value_kind:     global_buffer
      - .address_space:  global
        .offset:         8
        .size:           8
        .value_kind:     global_buffer
      - .offset:         16
        .size:           4
        .value_kind:     by_value
      - .offset:         20
        .size:           4
        .value_kind:     by_value
      - .offset:         24
        .size:           4
        .value_kind:     by_value
      - .address_space:  global
        .offset:         32
        .size:           8
        .value_kind:     global_buffer
      - .offset:         40
        .size:           4
        .value_kind:     by_value
      - .offset:         44
        .size:           1
        .value_kind:     by_value
      - .offset:         48
        .size:           4
        .value_kind:     hidden_block_count_x
      - .offset:         52
        .size:           4
        .value_kind:     hidden_block_count_y
      - .offset:         56
        .size:           4
        .value_kind:     hidden_block_count_z
      - .offset:         60
        .size:           2
        .value_kind:     hidden_group_size_x
      - .offset:         62
        .size:           2
        .value_kind:     hidden_group_size_y
      - .offset:         64
        .size:           2
        .value_kind:     hidden_group_size_z
      - .offset:         66
        .size:           2
        .value_kind:     hidden_remainder_x
      - .offset:         68
        .size:           2
        .value_kind:     hidden_remainder_y
      - .offset:         70
        .size:           2
        .value_kind:     hidden_remainder_z
      - .offset:         88
        .size:           8
        .value_kind:     hidden_global_offset_x
      - .offset:         96
        .size:           8
        .value_kind:     hidden_global_offset_y
      - .offset:         104
        .size:           8
        .value_kind:     hidden_global_offset_z
      - .offset:         112
        .size:           2
        .value_kind:     hidden_grid_dims
    .group_segment_fixed_size: 0
    .kernarg_segment_align: 8
    .kernarg_segment_size: 304
    .language:       OpenCL C
    .language_version:
      - 2
      - 0
    .max_flat_workgroup_size: 1024
    .name:           _ZN12_GLOBAL__N_120softmax_warp_forwardIN3c104HalfES2_fLi5ELb1ELb0ELi64EEEvPT0_PKT_iiiPKbib
    .private_segment_fixed_size: 0
    .sgpr_count:     18
    .sgpr_spill_count: 0
    .symbol:         _ZN12_GLOBAL__N_120softmax_warp_forwardIN3c104HalfES2_fLi5ELb1ELb0ELi64EEEvPT0_PKT_iiiPKbib.kd
    .uniform_work_group_size: 1
    .uses_dynamic_stack: false
    .vgpr_count:     16
    .vgpr_spill_count: 0
    .wavefront_size: 32
    .workgroup_processor_mode: 1
  - .args:
      - .address_space:  global
        .offset:         0
        .size:           8
        .value_kind:     global_buffer
      - .address_space:  global
        .offset:         8
        .size:           8
        .value_kind:     global_buffer
      - .offset:         16
        .size:           4
        .value_kind:     by_value
      - .offset:         20
        .size:           4
        .value_kind:     by_value
      - .offset:         24
        .size:           4
        .value_kind:     by_value
      - .address_space:  global
        .offset:         32
        .size:           8
        .value_kind:     global_buffer
      - .offset:         40
        .size:           4
        .value_kind:     by_value
      - .offset:         44
        .size:           1
        .value_kind:     by_value
      - .offset:         48
        .size:           4
        .value_kind:     hidden_block_count_x
      - .offset:         52
        .size:           4
        .value_kind:     hidden_block_count_y
      - .offset:         56
        .size:           4
        .value_kind:     hidden_block_count_z
      - .offset:         60
        .size:           2
        .value_kind:     hidden_group_size_x
      - .offset:         62
        .size:           2
        .value_kind:     hidden_group_size_y
      - .offset:         64
        .size:           2
        .value_kind:     hidden_group_size_z
      - .offset:         66
        .size:           2
        .value_kind:     hidden_remainder_x
      - .offset:         68
        .size:           2
        .value_kind:     hidden_remainder_y
      - .offset:         70
        .size:           2
        .value_kind:     hidden_remainder_z
      - .offset:         88
        .size:           8
        .value_kind:     hidden_global_offset_x
      - .offset:         96
        .size:           8
        .value_kind:     hidden_global_offset_y
      - .offset:         104
        .size:           8
        .value_kind:     hidden_global_offset_z
      - .offset:         112
        .size:           2
        .value_kind:     hidden_grid_dims
    .group_segment_fixed_size: 0
    .kernarg_segment_align: 8
    .kernarg_segment_size: 304
    .language:       OpenCL C
    .language_version:
      - 2
      - 0
    .max_flat_workgroup_size: 1024
    .name:           _ZN12_GLOBAL__N_120softmax_warp_forwardIN3c104HalfES2_fLi5ELb1ELb0ELi32EEEvPT0_PKT_iiiPKbib
    .private_segment_fixed_size: 0
    .sgpr_count:     18
    .sgpr_spill_count: 0
    .symbol:         _ZN12_GLOBAL__N_120softmax_warp_forwardIN3c104HalfES2_fLi5ELb1ELb0ELi32EEEvPT0_PKT_iiiPKbib.kd
    .uniform_work_group_size: 1
    .uses_dynamic_stack: false
    .vgpr_count:     16
    .vgpr_spill_count: 0
    .wavefront_size: 32
    .workgroup_processor_mode: 1
  - .args:
      - .address_space:  global
        .offset:         0
        .size:           8
        .value_kind:     global_buffer
      - .address_space:  global
        .offset:         8
        .size:           8
        .value_kind:     global_buffer
      - .offset:         16
        .size:           4
        .value_kind:     by_value
      - .offset:         20
        .size:           4
        .value_kind:     by_value
      - .offset:         24
        .size:           4
        .value_kind:     by_value
      - .address_space:  global
        .offset:         32
        .size:           8
        .value_kind:     global_buffer
      - .offset:         40
        .size:           4
        .value_kind:     by_value
      - .offset:         44
        .size:           1
        .value_kind:     by_value
      - .offset:         48
        .size:           4
        .value_kind:     hidden_block_count_x
      - .offset:         52
        .size:           4
        .value_kind:     hidden_block_count_y
      - .offset:         56
        .size:           4
        .value_kind:     hidden_block_count_z
      - .offset:         60
        .size:           2
        .value_kind:     hidden_group_size_x
      - .offset:         62
        .size:           2
        .value_kind:     hidden_group_size_y
      - .offset:         64
        .size:           2
        .value_kind:     hidden_group_size_z
      - .offset:         66
        .size:           2
        .value_kind:     hidden_remainder_x
      - .offset:         68
        .size:           2
        .value_kind:     hidden_remainder_y
      - .offset:         70
        .size:           2
        .value_kind:     hidden_remainder_z
      - .offset:         88
        .size:           8
        .value_kind:     hidden_global_offset_x
      - .offset:         96
        .size:           8
        .value_kind:     hidden_global_offset_y
      - .offset:         104
        .size:           8
        .value_kind:     hidden_global_offset_z
      - .offset:         112
        .size:           2
        .value_kind:     hidden_grid_dims
    .group_segment_fixed_size: 0
    .kernarg_segment_align: 8
    .kernarg_segment_size: 304
    .language:       OpenCL C
    .language_version:
      - 2
      - 0
    .max_flat_workgroup_size: 1024
    .name:           _ZN12_GLOBAL__N_120softmax_warp_forwardIN3c104HalfES2_fLi6ELb1ELb0ELi64EEEvPT0_PKT_iiiPKbib
    .private_segment_fixed_size: 0
    .sgpr_count:     18
    .sgpr_spill_count: 0
    .symbol:         _ZN12_GLOBAL__N_120softmax_warp_forwardIN3c104HalfES2_fLi6ELb1ELb0ELi64EEEvPT0_PKT_iiiPKbib.kd
    .uniform_work_group_size: 1
    .uses_dynamic_stack: false
    .vgpr_count:     17
    .vgpr_spill_count: 0
    .wavefront_size: 32
    .workgroup_processor_mode: 1
  - .args:
      - .address_space:  global
        .offset:         0
        .size:           8
        .value_kind:     global_buffer
      - .address_space:  global
        .offset:         8
        .size:           8
        .value_kind:     global_buffer
      - .offset:         16
        .size:           4
        .value_kind:     by_value
      - .offset:         20
        .size:           4
        .value_kind:     by_value
      - .offset:         24
        .size:           4
        .value_kind:     by_value
      - .address_space:  global
        .offset:         32
        .size:           8
        .value_kind:     global_buffer
      - .offset:         40
        .size:           4
        .value_kind:     by_value
      - .offset:         44
        .size:           1
        .value_kind:     by_value
      - .offset:         48
        .size:           4
        .value_kind:     hidden_block_count_x
      - .offset:         52
        .size:           4
        .value_kind:     hidden_block_count_y
      - .offset:         56
        .size:           4
        .value_kind:     hidden_block_count_z
      - .offset:         60
        .size:           2
        .value_kind:     hidden_group_size_x
      - .offset:         62
        .size:           2
        .value_kind:     hidden_group_size_y
      - .offset:         64
        .size:           2
        .value_kind:     hidden_group_size_z
      - .offset:         66
        .size:           2
        .value_kind:     hidden_remainder_x
      - .offset:         68
        .size:           2
        .value_kind:     hidden_remainder_y
      - .offset:         70
        .size:           2
        .value_kind:     hidden_remainder_z
      - .offset:         88
        .size:           8
        .value_kind:     hidden_global_offset_x
      - .offset:         96
        .size:           8
        .value_kind:     hidden_global_offset_y
      - .offset:         104
        .size:           8
        .value_kind:     hidden_global_offset_z
      - .offset:         112
        .size:           2
        .value_kind:     hidden_grid_dims
    .group_segment_fixed_size: 0
    .kernarg_segment_align: 8
    .kernarg_segment_size: 304
    .language:       OpenCL C
    .language_version:
      - 2
      - 0
    .max_flat_workgroup_size: 1024
    .name:           _ZN12_GLOBAL__N_120softmax_warp_forwardIN3c104HalfES2_fLi6ELb1ELb0ELi32EEEvPT0_PKT_iiiPKbib
    .private_segment_fixed_size: 0
    .sgpr_count:     18
    .sgpr_spill_count: 0
    .symbol:         _ZN12_GLOBAL__N_120softmax_warp_forwardIN3c104HalfES2_fLi6ELb1ELb0ELi32EEEvPT0_PKT_iiiPKbib.kd
    .uniform_work_group_size: 1
    .uses_dynamic_stack: false
    .vgpr_count:     24
    .vgpr_spill_count: 0
    .wavefront_size: 32
    .workgroup_processor_mode: 1
  - .args:
      - .address_space:  global
        .offset:         0
        .size:           8
        .value_kind:     global_buffer
      - .address_space:  global
        .offset:         8
        .size:           8
        .value_kind:     global_buffer
      - .offset:         16
        .size:           4
        .value_kind:     by_value
      - .offset:         20
        .size:           4
        .value_kind:     by_value
      - .offset:         24
        .size:           4
        .value_kind:     by_value
      - .address_space:  global
        .offset:         32
        .size:           8
        .value_kind:     global_buffer
      - .offset:         40
        .size:           4
        .value_kind:     by_value
      - .offset:         44
        .size:           1
        .value_kind:     by_value
      - .offset:         48
        .size:           4
        .value_kind:     hidden_block_count_x
      - .offset:         52
        .size:           4
        .value_kind:     hidden_block_count_y
      - .offset:         56
        .size:           4
        .value_kind:     hidden_block_count_z
      - .offset:         60
        .size:           2
        .value_kind:     hidden_group_size_x
      - .offset:         62
        .size:           2
        .value_kind:     hidden_group_size_y
      - .offset:         64
        .size:           2
        .value_kind:     hidden_group_size_z
      - .offset:         66
        .size:           2
        .value_kind:     hidden_remainder_x
      - .offset:         68
        .size:           2
        .value_kind:     hidden_remainder_y
      - .offset:         70
        .size:           2
        .value_kind:     hidden_remainder_z
      - .offset:         88
        .size:           8
        .value_kind:     hidden_global_offset_x
      - .offset:         96
        .size:           8
        .value_kind:     hidden_global_offset_y
      - .offset:         104
        .size:           8
        .value_kind:     hidden_global_offset_z
      - .offset:         112
        .size:           2
        .value_kind:     hidden_grid_dims
    .group_segment_fixed_size: 0
    .kernarg_segment_align: 8
    .kernarg_segment_size: 304
    .language:       OpenCL C
    .language_version:
      - 2
      - 0
    .max_flat_workgroup_size: 1024
    .name:           _ZN12_GLOBAL__N_120softmax_warp_forwardIN3c104HalfES2_fLi7ELb1ELb0ELi64EEEvPT0_PKT_iiiPKbib
    .private_segment_fixed_size: 0
    .sgpr_count:     18
    .sgpr_spill_count: 0
    .symbol:         _ZN12_GLOBAL__N_120softmax_warp_forwardIN3c104HalfES2_fLi7ELb1ELb0ELi64EEEvPT0_PKT_iiiPKbib.kd
    .uniform_work_group_size: 1
    .uses_dynamic_stack: false
    .vgpr_count:     25
    .vgpr_spill_count: 0
    .wavefront_size: 32
    .workgroup_processor_mode: 1
  - .args:
      - .address_space:  global
        .offset:         0
        .size:           8
        .value_kind:     global_buffer
      - .address_space:  global
        .offset:         8
        .size:           8
        .value_kind:     global_buffer
      - .offset:         16
        .size:           4
        .value_kind:     by_value
      - .offset:         20
        .size:           4
        .value_kind:     by_value
      - .offset:         24
        .size:           4
        .value_kind:     by_value
      - .address_space:  global
        .offset:         32
        .size:           8
        .value_kind:     global_buffer
      - .offset:         40
        .size:           4
        .value_kind:     by_value
      - .offset:         44
        .size:           1
        .value_kind:     by_value
      - .offset:         48
        .size:           4
        .value_kind:     hidden_block_count_x
      - .offset:         52
        .size:           4
        .value_kind:     hidden_block_count_y
      - .offset:         56
        .size:           4
        .value_kind:     hidden_block_count_z
      - .offset:         60
        .size:           2
        .value_kind:     hidden_group_size_x
      - .offset:         62
        .size:           2
        .value_kind:     hidden_group_size_y
      - .offset:         64
        .size:           2
        .value_kind:     hidden_group_size_z
      - .offset:         66
        .size:           2
        .value_kind:     hidden_remainder_x
      - .offset:         68
        .size:           2
        .value_kind:     hidden_remainder_y
      - .offset:         70
        .size:           2
        .value_kind:     hidden_remainder_z
      - .offset:         88
        .size:           8
        .value_kind:     hidden_global_offset_x
      - .offset:         96
        .size:           8
        .value_kind:     hidden_global_offset_y
      - .offset:         104
        .size:           8
        .value_kind:     hidden_global_offset_z
      - .offset:         112
        .size:           2
        .value_kind:     hidden_grid_dims
    .group_segment_fixed_size: 0
    .kernarg_segment_align: 8
    .kernarg_segment_size: 304
    .language:       OpenCL C
    .language_version:
      - 2
      - 0
    .max_flat_workgroup_size: 1024
    .name:           _ZN12_GLOBAL__N_120softmax_warp_forwardIN3c104HalfES2_fLi7ELb1ELb0ELi32EEEvPT0_PKT_iiiPKbib
    .private_segment_fixed_size: 0
    .sgpr_count:     18
    .sgpr_spill_count: 0
    .symbol:         _ZN12_GLOBAL__N_120softmax_warp_forwardIN3c104HalfES2_fLi7ELb1ELb0ELi32EEEvPT0_PKT_iiiPKbib.kd
    .uniform_work_group_size: 1
    .uses_dynamic_stack: false
    .vgpr_count:     40
    .vgpr_spill_count: 0
    .wavefront_size: 32
    .workgroup_processor_mode: 1
  - .args:
      - .address_space:  global
        .offset:         0
        .size:           8
        .value_kind:     global_buffer
      - .address_space:  global
        .offset:         8
        .size:           8
        .value_kind:     global_buffer
      - .offset:         16
        .size:           4
        .value_kind:     by_value
      - .offset:         20
        .size:           4
        .value_kind:     by_value
      - .offset:         24
        .size:           4
        .value_kind:     by_value
      - .address_space:  global
        .offset:         32
        .size:           8
        .value_kind:     global_buffer
      - .offset:         40
        .size:           4
        .value_kind:     by_value
      - .offset:         44
        .size:           1
        .value_kind:     by_value
      - .offset:         48
        .size:           4
        .value_kind:     hidden_block_count_x
      - .offset:         52
        .size:           4
        .value_kind:     hidden_block_count_y
      - .offset:         56
        .size:           4
        .value_kind:     hidden_block_count_z
      - .offset:         60
        .size:           2
        .value_kind:     hidden_group_size_x
      - .offset:         62
        .size:           2
        .value_kind:     hidden_group_size_y
      - .offset:         64
        .size:           2
        .value_kind:     hidden_group_size_z
      - .offset:         66
        .size:           2
        .value_kind:     hidden_remainder_x
      - .offset:         68
        .size:           2
        .value_kind:     hidden_remainder_y
      - .offset:         70
        .size:           2
        .value_kind:     hidden_remainder_z
      - .offset:         88
        .size:           8
        .value_kind:     hidden_global_offset_x
      - .offset:         96
        .size:           8
        .value_kind:     hidden_global_offset_y
      - .offset:         104
        .size:           8
        .value_kind:     hidden_global_offset_z
      - .offset:         112
        .size:           2
        .value_kind:     hidden_grid_dims
    .group_segment_fixed_size: 0
    .kernarg_segment_align: 8
    .kernarg_segment_size: 304
    .language:       OpenCL C
    .language_version:
      - 2
      - 0
    .max_flat_workgroup_size: 1024
    .name:           _ZN12_GLOBAL__N_120softmax_warp_forwardIN3c104HalfES2_fLi8ELb1ELb0ELi64EEEvPT0_PKT_iiiPKbib
    .private_segment_fixed_size: 0
    .sgpr_count:     18
    .sgpr_spill_count: 0
    .symbol:         _ZN12_GLOBAL__N_120softmax_warp_forwardIN3c104HalfES2_fLi8ELb1ELb0ELi64EEEvPT0_PKT_iiiPKbib.kd
    .uniform_work_group_size: 1
    .uses_dynamic_stack: false
    .vgpr_count:     24
    .vgpr_spill_count: 0
    .wavefront_size: 32
    .workgroup_processor_mode: 1
  - .args:
      - .address_space:  global
        .offset:         0
        .size:           8
        .value_kind:     global_buffer
      - .address_space:  global
        .offset:         8
        .size:           8
        .value_kind:     global_buffer
      - .offset:         16
        .size:           4
        .value_kind:     by_value
      - .offset:         20
        .size:           4
        .value_kind:     by_value
      - .offset:         24
        .size:           4
        .value_kind:     by_value
      - .address_space:  global
        .offset:         32
        .size:           8
        .value_kind:     global_buffer
      - .offset:         40
        .size:           4
        .value_kind:     by_value
      - .offset:         44
        .size:           1
        .value_kind:     by_value
      - .offset:         48
        .size:           4
        .value_kind:     hidden_block_count_x
      - .offset:         52
        .size:           4
        .value_kind:     hidden_block_count_y
      - .offset:         56
        .size:           4
        .value_kind:     hidden_block_count_z
      - .offset:         60
        .size:           2
        .value_kind:     hidden_group_size_x
      - .offset:         62
        .size:           2
        .value_kind:     hidden_group_size_y
      - .offset:         64
        .size:           2
        .value_kind:     hidden_group_size_z
      - .offset:         66
        .size:           2
        .value_kind:     hidden_remainder_x
      - .offset:         68
        .size:           2
        .value_kind:     hidden_remainder_y
      - .offset:         70
        .size:           2
        .value_kind:     hidden_remainder_z
      - .offset:         88
        .size:           8
        .value_kind:     hidden_global_offset_x
      - .offset:         96
        .size:           8
        .value_kind:     hidden_global_offset_y
      - .offset:         104
        .size:           8
        .value_kind:     hidden_global_offset_z
      - .offset:         112
        .size:           2
        .value_kind:     hidden_grid_dims
    .group_segment_fixed_size: 0
    .kernarg_segment_align: 8
    .kernarg_segment_size: 304
    .language:       OpenCL C
    .language_version:
      - 2
      - 0
    .max_flat_workgroup_size: 1024
    .name:           _ZN12_GLOBAL__N_120softmax_warp_forwardIN3c104HalfES2_fLi8ELb1ELb0ELi32EEEvPT0_PKT_iiiPKbib
    .private_segment_fixed_size: 0
    .sgpr_count:     18
    .sgpr_spill_count: 0
    .symbol:         _ZN12_GLOBAL__N_120softmax_warp_forwardIN3c104HalfES2_fLi8ELb1ELb0ELi32EEEvPT0_PKT_iiiPKbib.kd
    .uniform_work_group_size: 1
    .uses_dynamic_stack: false
    .vgpr_count:     40
    .vgpr_spill_count: 0
    .wavefront_size: 32
    .workgroup_processor_mode: 1
  - .args:
      - .address_space:  global
        .offset:         0
        .size:           8
        .value_kind:     global_buffer
      - .address_space:  global
        .offset:         8
        .size:           8
        .value_kind:     global_buffer
      - .offset:         16
        .size:           4
        .value_kind:     by_value
      - .offset:         20
        .size:           4
        .value_kind:     by_value
      - .offset:         24
        .size:           4
        .value_kind:     by_value
      - .address_space:  global
        .offset:         32
        .size:           8
        .value_kind:     global_buffer
      - .offset:         40
        .size:           4
        .value_kind:     by_value
      - .offset:         44
        .size:           1
        .value_kind:     by_value
      - .offset:         48
        .size:           4
        .value_kind:     hidden_block_count_x
      - .offset:         52
        .size:           4
        .value_kind:     hidden_block_count_y
      - .offset:         56
        .size:           4
        .value_kind:     hidden_block_count_z
      - .offset:         60
        .size:           2
        .value_kind:     hidden_group_size_x
      - .offset:         62
        .size:           2
        .value_kind:     hidden_group_size_y
      - .offset:         64
        .size:           2
        .value_kind:     hidden_group_size_z
      - .offset:         66
        .size:           2
        .value_kind:     hidden_remainder_x
      - .offset:         68
        .size:           2
        .value_kind:     hidden_remainder_y
      - .offset:         70
        .size:           2
        .value_kind:     hidden_remainder_z
      - .offset:         88
        .size:           8
        .value_kind:     hidden_global_offset_x
      - .offset:         96
        .size:           8
        .value_kind:     hidden_global_offset_y
      - .offset:         104
        .size:           8
        .value_kind:     hidden_global_offset_z
      - .offset:         112
        .size:           2
        .value_kind:     hidden_grid_dims
    .group_segment_fixed_size: 0
    .kernarg_segment_align: 8
    .kernarg_segment_size: 304
    .language:       OpenCL C
    .language_version:
      - 2
      - 0
    .max_flat_workgroup_size: 1024
    .name:           _ZN12_GLOBAL__N_120softmax_warp_forwardIN3c104HalfES2_fLi9ELb1ELb0ELi64EEEvPT0_PKT_iiiPKbib
    .private_segment_fixed_size: 0
    .sgpr_count:     18
    .sgpr_spill_count: 0
    .symbol:         _ZN12_GLOBAL__N_120softmax_warp_forwardIN3c104HalfES2_fLi9ELb1ELb0ELi64EEEvPT0_PKT_iiiPKbib.kd
    .uniform_work_group_size: 1
    .uses_dynamic_stack: false
    .vgpr_count:     41
    .vgpr_spill_count: 0
    .wavefront_size: 32
    .workgroup_processor_mode: 1
  - .args:
      - .address_space:  global
        .offset:         0
        .size:           8
        .value_kind:     global_buffer
      - .address_space:  global
        .offset:         8
        .size:           8
        .value_kind:     global_buffer
      - .offset:         16
        .size:           4
        .value_kind:     by_value
      - .offset:         20
        .size:           4
        .value_kind:     by_value
      - .offset:         24
        .size:           4
        .value_kind:     by_value
      - .address_space:  global
        .offset:         32
        .size:           8
        .value_kind:     global_buffer
      - .offset:         40
        .size:           4
        .value_kind:     by_value
      - .offset:         44
        .size:           1
        .value_kind:     by_value
      - .offset:         48
        .size:           4
        .value_kind:     hidden_block_count_x
      - .offset:         52
        .size:           4
        .value_kind:     hidden_block_count_y
      - .offset:         56
        .size:           4
        .value_kind:     hidden_block_count_z
      - .offset:         60
        .size:           2
        .value_kind:     hidden_group_size_x
      - .offset:         62
        .size:           2
        .value_kind:     hidden_group_size_y
      - .offset:         64
        .size:           2
        .value_kind:     hidden_group_size_z
      - .offset:         66
        .size:           2
        .value_kind:     hidden_remainder_x
      - .offset:         68
        .size:           2
        .value_kind:     hidden_remainder_y
      - .offset:         70
        .size:           2
        .value_kind:     hidden_remainder_z
      - .offset:         88
        .size:           8
        .value_kind:     hidden_global_offset_x
      - .offset:         96
        .size:           8
        .value_kind:     hidden_global_offset_y
      - .offset:         104
        .size:           8
        .value_kind:     hidden_global_offset_z
      - .offset:         112
        .size:           2
        .value_kind:     hidden_grid_dims
    .group_segment_fixed_size: 0
    .kernarg_segment_align: 8
    .kernarg_segment_size: 304
    .language:       OpenCL C
    .language_version:
      - 2
      - 0
    .max_flat_workgroup_size: 1024
    .name:           _ZN12_GLOBAL__N_120softmax_warp_forwardIN3c104HalfES2_fLi9ELb1ELb0ELi32EEEvPT0_PKT_iiiPKbib
    .private_segment_fixed_size: 0
    .sgpr_count:     26
    .sgpr_spill_count: 0
    .symbol:         _ZN12_GLOBAL__N_120softmax_warp_forwardIN3c104HalfES2_fLi9ELb1ELb0ELi32EEEvPT0_PKT_iiiPKbib.kd
    .uniform_work_group_size: 1
    .uses_dynamic_stack: false
    .vgpr_count:     62
    .vgpr_spill_count: 0
    .wavefront_size: 32
    .workgroup_processor_mode: 1
  - .args:
      - .address_space:  global
        .offset:         0
        .size:           8
        .value_kind:     global_buffer
      - .address_space:  global
        .offset:         8
        .size:           8
        .value_kind:     global_buffer
      - .offset:         16
        .size:           4
        .value_kind:     by_value
      - .offset:         20
        .size:           4
        .value_kind:     by_value
      - .offset:         24
        .size:           4
        .value_kind:     by_value
      - .address_space:  global
        .offset:         32
        .size:           8
        .value_kind:     global_buffer
      - .offset:         40
        .size:           4
        .value_kind:     by_value
      - .offset:         44
        .size:           1
        .value_kind:     by_value
      - .offset:         48
        .size:           4
        .value_kind:     hidden_block_count_x
      - .offset:         52
        .size:           4
        .value_kind:     hidden_block_count_y
      - .offset:         56
        .size:           4
        .value_kind:     hidden_block_count_z
      - .offset:         60
        .size:           2
        .value_kind:     hidden_group_size_x
      - .offset:         62
        .size:           2
        .value_kind:     hidden_group_size_y
      - .offset:         64
        .size:           2
        .value_kind:     hidden_group_size_z
      - .offset:         66
        .size:           2
        .value_kind:     hidden_remainder_x
      - .offset:         68
        .size:           2
        .value_kind:     hidden_remainder_y
      - .offset:         70
        .size:           2
        .value_kind:     hidden_remainder_z
      - .offset:         88
        .size:           8
        .value_kind:     hidden_global_offset_x
      - .offset:         96
        .size:           8
        .value_kind:     hidden_global_offset_y
      - .offset:         104
        .size:           8
        .value_kind:     hidden_global_offset_z
      - .offset:         112
        .size:           2
        .value_kind:     hidden_grid_dims
    .group_segment_fixed_size: 0
    .kernarg_segment_align: 8
    .kernarg_segment_size: 304
    .language:       OpenCL C
    .language_version:
      - 2
      - 0
    .max_flat_workgroup_size: 1024
    .name:           _ZN12_GLOBAL__N_120softmax_warp_forwardIN3c104HalfES2_fLi10ELb1ELb0ELi64EEEvPT0_PKT_iiiPKbib
    .private_segment_fixed_size: 0
    .sgpr_count:     26
    .sgpr_spill_count: 0
    .symbol:         _ZN12_GLOBAL__N_120softmax_warp_forwardIN3c104HalfES2_fLi10ELb1ELb0ELi64EEEvPT0_PKT_iiiPKbib.kd
    .uniform_work_group_size: 1
    .uses_dynamic_stack: false
    .vgpr_count:     62
    .vgpr_spill_count: 0
    .wavefront_size: 32
    .workgroup_processor_mode: 1
  - .args:
      - .address_space:  global
        .offset:         0
        .size:           8
        .value_kind:     global_buffer
      - .address_space:  global
        .offset:         8
        .size:           8
        .value_kind:     global_buffer
      - .offset:         16
        .size:           4
        .value_kind:     by_value
      - .offset:         20
        .size:           4
        .value_kind:     by_value
      - .offset:         24
        .size:           4
        .value_kind:     by_value
      - .address_space:  global
        .offset:         32
        .size:           8
        .value_kind:     global_buffer
      - .offset:         40
        .size:           4
        .value_kind:     by_value
      - .offset:         44
        .size:           1
        .value_kind:     by_value
      - .offset:         48
        .size:           4
        .value_kind:     hidden_block_count_x
      - .offset:         52
        .size:           4
        .value_kind:     hidden_block_count_y
      - .offset:         56
        .size:           4
        .value_kind:     hidden_block_count_z
      - .offset:         60
        .size:           2
        .value_kind:     hidden_group_size_x
      - .offset:         62
        .size:           2
        .value_kind:     hidden_group_size_y
      - .offset:         64
        .size:           2
        .value_kind:     hidden_group_size_z
      - .offset:         66
        .size:           2
        .value_kind:     hidden_remainder_x
      - .offset:         68
        .size:           2
        .value_kind:     hidden_remainder_y
      - .offset:         70
        .size:           2
        .value_kind:     hidden_remainder_z
      - .offset:         88
        .size:           8
        .value_kind:     hidden_global_offset_x
      - .offset:         96
        .size:           8
        .value_kind:     hidden_global_offset_y
      - .offset:         104
        .size:           8
        .value_kind:     hidden_global_offset_z
      - .offset:         112
        .size:           2
        .value_kind:     hidden_grid_dims
    .group_segment_fixed_size: 0
    .kernarg_segment_align: 8
    .kernarg_segment_size: 304
    .language:       OpenCL C
    .language_version:
      - 2
      - 0
    .max_flat_workgroup_size: 1024
    .name:           _ZN12_GLOBAL__N_120softmax_warp_forwardIN3c104HalfES2_fLi10ELb1ELb0ELi32EEEvPT0_PKT_iiiPKbib
    .private_segment_fixed_size: 0
    .sgpr_count:     46
    .sgpr_spill_count: 0
    .symbol:         _ZN12_GLOBAL__N_120softmax_warp_forwardIN3c104HalfES2_fLi10ELb1ELb0ELi32EEEvPT0_PKT_iiiPKbib.kd
    .uniform_work_group_size: 1
    .uses_dynamic_stack: false
    .vgpr_count:     45
    .vgpr_spill_count: 0
    .wavefront_size: 32
    .workgroup_processor_mode: 1
  - .args:
      - .address_space:  global
        .offset:         0
        .size:           8
        .value_kind:     global_buffer
      - .address_space:  global
        .offset:         8
        .size:           8
        .value_kind:     global_buffer
      - .offset:         16
        .size:           4
        .value_kind:     by_value
      - .offset:         20
        .size:           4
        .value_kind:     by_value
      - .offset:         24
        .size:           4
        .value_kind:     by_value
      - .address_space:  global
        .offset:         32
        .size:           8
        .value_kind:     global_buffer
      - .offset:         40
        .size:           4
        .value_kind:     by_value
      - .offset:         44
        .size:           1
        .value_kind:     by_value
      - .offset:         48
        .size:           4
        .value_kind:     hidden_block_count_x
      - .offset:         52
        .size:           4
        .value_kind:     hidden_block_count_y
      - .offset:         56
        .size:           4
        .value_kind:     hidden_block_count_z
      - .offset:         60
        .size:           2
        .value_kind:     hidden_group_size_x
      - .offset:         62
        .size:           2
        .value_kind:     hidden_group_size_y
      - .offset:         64
        .size:           2
        .value_kind:     hidden_group_size_z
      - .offset:         66
        .size:           2
        .value_kind:     hidden_remainder_x
      - .offset:         68
        .size:           2
        .value_kind:     hidden_remainder_y
      - .offset:         70
        .size:           2
        .value_kind:     hidden_remainder_z
      - .offset:         88
        .size:           8
        .value_kind:     hidden_global_offset_x
      - .offset:         96
        .size:           8
        .value_kind:     hidden_global_offset_y
      - .offset:         104
        .size:           8
        .value_kind:     hidden_global_offset_z
      - .offset:         112
        .size:           2
        .value_kind:     hidden_grid_dims
    .group_segment_fixed_size: 0
    .kernarg_segment_align: 8
    .kernarg_segment_size: 304
    .language:       OpenCL C
    .language_version:
      - 2
      - 0
    .max_flat_workgroup_size: 1024
    .name:           _ZN12_GLOBAL__N_120softmax_warp_forwardIN3c104HalfES2_fLi11ELb1ELb0ELi64EEEvPT0_PKT_iiiPKbib
    .private_segment_fixed_size: 0
    .sgpr_count:     46
    .sgpr_spill_count: 0
    .symbol:         _ZN12_GLOBAL__N_120softmax_warp_forwardIN3c104HalfES2_fLi11ELb1ELb0ELi64EEEvPT0_PKT_iiiPKbib.kd
    .uniform_work_group_size: 1
    .uses_dynamic_stack: false
    .vgpr_count:     46
    .vgpr_spill_count: 0
    .wavefront_size: 32
    .workgroup_processor_mode: 1
  - .args:
      - .address_space:  global
        .offset:         0
        .size:           8
        .value_kind:     global_buffer
      - .address_space:  global
        .offset:         8
        .size:           8
        .value_kind:     global_buffer
      - .offset:         16
        .size:           4
        .value_kind:     by_value
      - .offset:         20
        .size:           4
        .value_kind:     by_value
      - .offset:         24
        .size:           4
        .value_kind:     by_value
      - .address_space:  global
        .offset:         32
        .size:           8
        .value_kind:     global_buffer
      - .offset:         40
        .size:           4
        .value_kind:     by_value
      - .offset:         44
        .size:           1
        .value_kind:     by_value
      - .offset:         48
        .size:           4
        .value_kind:     hidden_block_count_x
      - .offset:         52
        .size:           4
        .value_kind:     hidden_block_count_y
      - .offset:         56
        .size:           4
        .value_kind:     hidden_block_count_z
      - .offset:         60
        .size:           2
        .value_kind:     hidden_group_size_x
      - .offset:         62
        .size:           2
        .value_kind:     hidden_group_size_y
      - .offset:         64
        .size:           2
        .value_kind:     hidden_group_size_z
      - .offset:         66
        .size:           2
        .value_kind:     hidden_remainder_x
      - .offset:         68
        .size:           2
        .value_kind:     hidden_remainder_y
      - .offset:         70
        .size:           2
        .value_kind:     hidden_remainder_z
      - .offset:         88
        .size:           8
        .value_kind:     hidden_global_offset_x
      - .offset:         96
        .size:           8
        .value_kind:     hidden_global_offset_y
      - .offset:         104
        .size:           8
        .value_kind:     hidden_global_offset_z
      - .offset:         112
        .size:           2
        .value_kind:     hidden_grid_dims
    .group_segment_fixed_size: 0
    .kernarg_segment_align: 8
    .kernarg_segment_size: 304
    .language:       OpenCL C
    .language_version:
      - 2
      - 0
    .max_flat_workgroup_size: 1024
    .name:           _ZN12_GLOBAL__N_120softmax_warp_forwardIN3c104HalfES2_fLi11ELb1ELb0ELi32EEEvPT0_PKT_iiiPKbib
    .private_segment_fixed_size: 0
    .sgpr_count:     78
    .sgpr_spill_count: 0
    .symbol:         _ZN12_GLOBAL__N_120softmax_warp_forwardIN3c104HalfES2_fLi11ELb1ELb0ELi32EEEvPT0_PKT_iiiPKbib.kd
    .uniform_work_group_size: 1
    .uses_dynamic_stack: false
    .vgpr_count:     77
    .vgpr_spill_count: 0
    .wavefront_size: 32
    .workgroup_processor_mode: 1
  - .args:
      - .address_space:  global
        .offset:         0
        .size:           8
        .value_kind:     global_buffer
      - .address_space:  global
        .offset:         8
        .size:           8
        .value_kind:     global_buffer
      - .offset:         16
        .size:           8
        .value_kind:     by_value
      - .offset:         24
        .size:           4
        .value_kind:     hidden_block_count_x
      - .offset:         28
        .size:           4
        .value_kind:     hidden_block_count_y
      - .offset:         32
        .size:           4
        .value_kind:     hidden_block_count_z
      - .offset:         36
        .size:           2
        .value_kind:     hidden_group_size_x
      - .offset:         38
        .size:           2
        .value_kind:     hidden_group_size_y
      - .offset:         40
        .size:           2
        .value_kind:     hidden_group_size_z
      - .offset:         42
        .size:           2
        .value_kind:     hidden_remainder_x
      - .offset:         44
        .size:           2
        .value_kind:     hidden_remainder_y
      - .offset:         46
        .size:           2
        .value_kind:     hidden_remainder_z
      - .offset:         64
        .size:           8
        .value_kind:     hidden_global_offset_x
      - .offset:         72
        .size:           8
        .value_kind:     hidden_global_offset_y
      - .offset:         80
        .size:           8
        .value_kind:     hidden_global_offset_z
      - .offset:         88
        .size:           2
        .value_kind:     hidden_grid_dims
      - .offset:         144
        .size:           4
        .value_kind:     hidden_dynamic_lds_size
    .group_segment_fixed_size: 0
    .kernarg_segment_align: 8
    .kernarg_segment_size: 280
    .language:       OpenCL C
    .language_version:
      - 2
      - 0
    .max_flat_workgroup_size: 1024
    .name:           _ZN2at6native12_GLOBAL__N_122cunn_SoftMaxForwardRegIN3c104HalfEfS4_NS1_25LogSoftMaxForwardEpilogueElLi1EEEvPT1_PKT_T3_
    .private_segment_fixed_size: 0
    .sgpr_count:     14
    .sgpr_spill_count: 0
    .symbol:         _ZN2at6native12_GLOBAL__N_122cunn_SoftMaxForwardRegIN3c104HalfEfS4_NS1_25LogSoftMaxForwardEpilogueElLi1EEEvPT1_PKT_T3_.kd
    .uniform_work_group_size: 1
    .uses_dynamic_stack: false
    .vgpr_count:     13
    .vgpr_spill_count: 0
    .wavefront_size: 32
    .workgroup_processor_mode: 1
  - .args:
      - .address_space:  global
        .offset:         0
        .size:           8
        .value_kind:     global_buffer
      - .address_space:  global
        .offset:         8
        .size:           8
        .value_kind:     global_buffer
      - .offset:         16
        .size:           8
        .value_kind:     by_value
      - .offset:         24
        .size:           4
        .value_kind:     hidden_block_count_x
      - .offset:         28
        .size:           4
        .value_kind:     hidden_block_count_y
      - .offset:         32
        .size:           4
        .value_kind:     hidden_block_count_z
      - .offset:         36
        .size:           2
        .value_kind:     hidden_group_size_x
      - .offset:         38
        .size:           2
        .value_kind:     hidden_group_size_y
      - .offset:         40
        .size:           2
        .value_kind:     hidden_group_size_z
      - .offset:         42
        .size:           2
        .value_kind:     hidden_remainder_x
      - .offset:         44
        .size:           2
        .value_kind:     hidden_remainder_y
      - .offset:         46
        .size:           2
        .value_kind:     hidden_remainder_z
      - .offset:         64
        .size:           8
        .value_kind:     hidden_global_offset_x
      - .offset:         72
        .size:           8
        .value_kind:     hidden_global_offset_y
      - .offset:         80
        .size:           8
        .value_kind:     hidden_global_offset_z
      - .offset:         88
        .size:           2
        .value_kind:     hidden_grid_dims
      - .offset:         144
        .size:           4
        .value_kind:     hidden_dynamic_lds_size
    .group_segment_fixed_size: 0
    .kernarg_segment_align: 8
    .kernarg_segment_size: 280
    .language:       OpenCL C
    .language_version:
      - 2
      - 0
    .max_flat_workgroup_size: 1024
    .name:           _ZN2at6native12_GLOBAL__N_122cunn_SoftMaxForwardRegIN3c104HalfEfS4_NS1_25LogSoftMaxForwardEpilogueElLi2EEEvPT1_PKT_T3_
    .private_segment_fixed_size: 0
    .sgpr_count:     14
    .sgpr_spill_count: 0
    .symbol:         _ZN2at6native12_GLOBAL__N_122cunn_SoftMaxForwardRegIN3c104HalfEfS4_NS1_25LogSoftMaxForwardEpilogueElLi2EEEvPT1_PKT_T3_.kd
    .uniform_work_group_size: 1
    .uses_dynamic_stack: false
    .vgpr_count:     18
    .vgpr_spill_count: 0
    .wavefront_size: 32
    .workgroup_processor_mode: 1
  - .args:
      - .address_space:  global
        .offset:         0
        .size:           8
        .value_kind:     global_buffer
      - .address_space:  global
        .offset:         8
        .size:           8
        .value_kind:     global_buffer
      - .offset:         16
        .size:           8
        .value_kind:     by_value
      - .offset:         24
        .size:           4
        .value_kind:     hidden_block_count_x
      - .offset:         28
        .size:           4
        .value_kind:     hidden_block_count_y
      - .offset:         32
        .size:           4
        .value_kind:     hidden_block_count_z
      - .offset:         36
        .size:           2
        .value_kind:     hidden_group_size_x
      - .offset:         38
        .size:           2
        .value_kind:     hidden_group_size_y
      - .offset:         40
        .size:           2
        .value_kind:     hidden_group_size_z
      - .offset:         42
        .size:           2
        .value_kind:     hidden_remainder_x
      - .offset:         44
        .size:           2
        .value_kind:     hidden_remainder_y
      - .offset:         46
        .size:           2
        .value_kind:     hidden_remainder_z
      - .offset:         64
        .size:           8
        .value_kind:     hidden_global_offset_x
      - .offset:         72
        .size:           8
        .value_kind:     hidden_global_offset_y
      - .offset:         80
        .size:           8
        .value_kind:     hidden_global_offset_z
      - .offset:         88
        .size:           2
        .value_kind:     hidden_grid_dims
      - .offset:         144
        .size:           4
        .value_kind:     hidden_dynamic_lds_size
    .group_segment_fixed_size: 0
    .kernarg_segment_align: 8
    .kernarg_segment_size: 280
    .language:       OpenCL C
    .language_version:
      - 2
      - 0
    .max_flat_workgroup_size: 1024
    .name:           _ZN2at6native12_GLOBAL__N_122cunn_SoftMaxForwardRegIN3c104HalfEfS4_NS1_25LogSoftMaxForwardEpilogueElLi3EEEvPT1_PKT_T3_
    .private_segment_fixed_size: 0
    .sgpr_count:     16
    .sgpr_spill_count: 0
    .symbol:         _ZN2at6native12_GLOBAL__N_122cunn_SoftMaxForwardRegIN3c104HalfEfS4_NS1_25LogSoftMaxForwardEpilogueElLi3EEEvPT1_PKT_T3_.kd
    .uniform_work_group_size: 1
    .uses_dynamic_stack: false
    .vgpr_count:     21
    .vgpr_spill_count: 0
    .wavefront_size: 32
    .workgroup_processor_mode: 1
  - .args:
      - .address_space:  global
        .offset:         0
        .size:           8
        .value_kind:     global_buffer
      - .address_space:  global
        .offset:         8
        .size:           8
        .value_kind:     global_buffer
      - .offset:         16
        .size:           8
        .value_kind:     by_value
      - .offset:         24
        .size:           4
        .value_kind:     hidden_block_count_x
      - .offset:         28
        .size:           4
        .value_kind:     hidden_block_count_y
      - .offset:         32
        .size:           4
        .value_kind:     hidden_block_count_z
      - .offset:         36
        .size:           2
        .value_kind:     hidden_group_size_x
      - .offset:         38
        .size:           2
        .value_kind:     hidden_group_size_y
      - .offset:         40
        .size:           2
        .value_kind:     hidden_group_size_z
      - .offset:         42
        .size:           2
        .value_kind:     hidden_remainder_x
      - .offset:         44
        .size:           2
        .value_kind:     hidden_remainder_y
      - .offset:         46
        .size:           2
        .value_kind:     hidden_remainder_z
      - .offset:         64
        .size:           8
        .value_kind:     hidden_global_offset_x
      - .offset:         72
        .size:           8
        .value_kind:     hidden_global_offset_y
      - .offset:         80
        .size:           8
        .value_kind:     hidden_global_offset_z
      - .offset:         88
        .size:           2
        .value_kind:     hidden_grid_dims
      - .offset:         144
        .size:           4
        .value_kind:     hidden_dynamic_lds_size
    .group_segment_fixed_size: 0
    .kernarg_segment_align: 8
    .kernarg_segment_size: 280
    .language:       OpenCL C
    .language_version:
      - 2
      - 0
    .max_flat_workgroup_size: 1024
    .name:           _ZN2at6native12_GLOBAL__N_122cunn_SoftMaxForwardRegIN3c104HalfEfS4_NS1_25LogSoftMaxForwardEpilogueElLi4EEEvPT1_PKT_T3_
    .private_segment_fixed_size: 0
    .sgpr_count:     16
    .sgpr_spill_count: 0
    .symbol:         _ZN2at6native12_GLOBAL__N_122cunn_SoftMaxForwardRegIN3c104HalfEfS4_NS1_25LogSoftMaxForwardEpilogueElLi4EEEvPT1_PKT_T3_.kd
    .uniform_work_group_size: 1
    .uses_dynamic_stack: false
    .vgpr_count:     26
    .vgpr_spill_count: 0
    .wavefront_size: 32
    .workgroup_processor_mode: 1
  - .args:
      - .address_space:  global
        .offset:         0
        .size:           8
        .value_kind:     global_buffer
      - .address_space:  global
        .offset:         8
        .size:           8
        .value_kind:     global_buffer
      - .offset:         16
        .size:           8
        .value_kind:     by_value
      - .offset:         24
        .size:           4
        .value_kind:     hidden_block_count_x
      - .offset:         28
        .size:           4
        .value_kind:     hidden_block_count_y
      - .offset:         32
        .size:           4
        .value_kind:     hidden_block_count_z
      - .offset:         36
        .size:           2
        .value_kind:     hidden_group_size_x
      - .offset:         38
        .size:           2
        .value_kind:     hidden_group_size_y
      - .offset:         40
        .size:           2
        .value_kind:     hidden_group_size_z
      - .offset:         42
        .size:           2
        .value_kind:     hidden_remainder_x
      - .offset:         44
        .size:           2
        .value_kind:     hidden_remainder_y
      - .offset:         46
        .size:           2
        .value_kind:     hidden_remainder_z
      - .offset:         64
        .size:           8
        .value_kind:     hidden_global_offset_x
      - .offset:         72
        .size:           8
        .value_kind:     hidden_global_offset_y
      - .offset:         80
        .size:           8
        .value_kind:     hidden_global_offset_z
      - .offset:         88
        .size:           2
        .value_kind:     hidden_grid_dims
      - .offset:         144
        .size:           4
        .value_kind:     hidden_dynamic_lds_size
    .group_segment_fixed_size: 0
    .kernarg_segment_align: 8
    .kernarg_segment_size: 280
    .language:       OpenCL C
    .language_version:
      - 2
      - 0
    .max_flat_workgroup_size: 1024
    .name:           _ZN2at6native12_GLOBAL__N_122cunn_SoftMaxForwardRegIN3c104HalfEfS4_NS1_25LogSoftMaxForwardEpilogueElLi5EEEvPT1_PKT_T3_
    .private_segment_fixed_size: 0
    .sgpr_count:     18
    .sgpr_spill_count: 0
    .symbol:         _ZN2at6native12_GLOBAL__N_122cunn_SoftMaxForwardRegIN3c104HalfEfS4_NS1_25LogSoftMaxForwardEpilogueElLi5EEEvPT1_PKT_T3_.kd
    .uniform_work_group_size: 1
    .uses_dynamic_stack: false
    .vgpr_count:     31
    .vgpr_spill_count: 0
    .wavefront_size: 32
    .workgroup_processor_mode: 1
  - .args:
      - .address_space:  global
        .offset:         0
        .size:           8
        .value_kind:     global_buffer
      - .address_space:  global
        .offset:         8
        .size:           8
        .value_kind:     global_buffer
      - .offset:         16
        .size:           8
        .value_kind:     by_value
      - .offset:         24
        .size:           4
        .value_kind:     hidden_block_count_x
      - .offset:         28
        .size:           4
        .value_kind:     hidden_block_count_y
      - .offset:         32
        .size:           4
        .value_kind:     hidden_block_count_z
      - .offset:         36
        .size:           2
        .value_kind:     hidden_group_size_x
      - .offset:         38
        .size:           2
        .value_kind:     hidden_group_size_y
      - .offset:         40
        .size:           2
        .value_kind:     hidden_group_size_z
      - .offset:         42
        .size:           2
        .value_kind:     hidden_remainder_x
      - .offset:         44
        .size:           2
        .value_kind:     hidden_remainder_y
      - .offset:         46
        .size:           2
        .value_kind:     hidden_remainder_z
      - .offset:         64
        .size:           8
        .value_kind:     hidden_global_offset_x
      - .offset:         72
        .size:           8
        .value_kind:     hidden_global_offset_y
      - .offset:         80
        .size:           8
        .value_kind:     hidden_global_offset_z
      - .offset:         88
        .size:           2
        .value_kind:     hidden_grid_dims
      - .offset:         144
        .size:           4
        .value_kind:     hidden_dynamic_lds_size
    .group_segment_fixed_size: 0
    .kernarg_segment_align: 8
    .kernarg_segment_size: 280
    .language:       OpenCL C
    .language_version:
      - 2
      - 0
    .max_flat_workgroup_size: 1024
    .name:           _ZN2at6native12_GLOBAL__N_122cunn_SoftMaxForwardRegIN3c104HalfEfS4_NS1_25LogSoftMaxForwardEpilogueElLi6EEEvPT1_PKT_T3_
    .private_segment_fixed_size: 0
    .sgpr_count:     18
    .sgpr_spill_count: 0
    .symbol:         _ZN2at6native12_GLOBAL__N_122cunn_SoftMaxForwardRegIN3c104HalfEfS4_NS1_25LogSoftMaxForwardEpilogueElLi6EEEvPT1_PKT_T3_.kd
    .uniform_work_group_size: 1
    .uses_dynamic_stack: false
    .vgpr_count:     37
    .vgpr_spill_count: 0
    .wavefront_size: 32
    .workgroup_processor_mode: 1
  - .args:
      - .address_space:  global
        .offset:         0
        .size:           8
        .value_kind:     global_buffer
      - .address_space:  global
        .offset:         8
        .size:           8
        .value_kind:     global_buffer
      - .offset:         16
        .size:           8
        .value_kind:     by_value
      - .offset:         24
        .size:           4
        .value_kind:     hidden_block_count_x
      - .offset:         28
        .size:           4
        .value_kind:     hidden_block_count_y
      - .offset:         32
        .size:           4
        .value_kind:     hidden_block_count_z
      - .offset:         36
        .size:           2
        .value_kind:     hidden_group_size_x
      - .offset:         38
        .size:           2
        .value_kind:     hidden_group_size_y
      - .offset:         40
        .size:           2
        .value_kind:     hidden_group_size_z
      - .offset:         42
        .size:           2
        .value_kind:     hidden_remainder_x
      - .offset:         44
        .size:           2
        .value_kind:     hidden_remainder_y
      - .offset:         46
        .size:           2
        .value_kind:     hidden_remainder_z
      - .offset:         64
        .size:           8
        .value_kind:     hidden_global_offset_x
      - .offset:         72
        .size:           8
        .value_kind:     hidden_global_offset_y
      - .offset:         80
        .size:           8
        .value_kind:     hidden_global_offset_z
      - .offset:         88
        .size:           2
        .value_kind:     hidden_grid_dims
      - .offset:         144
        .size:           4
        .value_kind:     hidden_dynamic_lds_size
    .group_segment_fixed_size: 0
    .kernarg_segment_align: 8
    .kernarg_segment_size: 280
    .language:       OpenCL C
    .language_version:
      - 2
      - 0
    .max_flat_workgroup_size: 1024
    .name:           _ZN2at6native12_GLOBAL__N_122cunn_SoftMaxForwardRegIN3c104HalfEfS4_NS1_25LogSoftMaxForwardEpilogueElLi7EEEvPT1_PKT_T3_
    .private_segment_fixed_size: 0
    .sgpr_count:     20
    .sgpr_spill_count: 0
    .symbol:         _ZN2at6native12_GLOBAL__N_122cunn_SoftMaxForwardRegIN3c104HalfEfS4_NS1_25LogSoftMaxForwardEpilogueElLi7EEEvPT1_PKT_T3_.kd
    .uniform_work_group_size: 1
    .uses_dynamic_stack: false
    .vgpr_count:     43
    .vgpr_spill_count: 0
    .wavefront_size: 32
    .workgroup_processor_mode: 1
  - .args:
      - .address_space:  global
        .offset:         0
        .size:           8
        .value_kind:     global_buffer
      - .address_space:  global
        .offset:         8
        .size:           8
        .value_kind:     global_buffer
      - .offset:         16
        .size:           8
        .value_kind:     by_value
      - .offset:         24
        .size:           4
        .value_kind:     hidden_block_count_x
      - .offset:         28
        .size:           4
        .value_kind:     hidden_block_count_y
      - .offset:         32
        .size:           4
        .value_kind:     hidden_block_count_z
      - .offset:         36
        .size:           2
        .value_kind:     hidden_group_size_x
      - .offset:         38
        .size:           2
        .value_kind:     hidden_group_size_y
      - .offset:         40
        .size:           2
        .value_kind:     hidden_group_size_z
      - .offset:         42
        .size:           2
        .value_kind:     hidden_remainder_x
      - .offset:         44
        .size:           2
        .value_kind:     hidden_remainder_y
      - .offset:         46
        .size:           2
        .value_kind:     hidden_remainder_z
      - .offset:         64
        .size:           8
        .value_kind:     hidden_global_offset_x
      - .offset:         72
        .size:           8
        .value_kind:     hidden_global_offset_y
      - .offset:         80
        .size:           8
        .value_kind:     hidden_global_offset_z
      - .offset:         88
        .size:           2
        .value_kind:     hidden_grid_dims
      - .offset:         144
        .size:           4
        .value_kind:     hidden_dynamic_lds_size
    .group_segment_fixed_size: 0
    .kernarg_segment_align: 8
    .kernarg_segment_size: 280
    .language:       OpenCL C
    .language_version:
      - 2
      - 0
    .max_flat_workgroup_size: 1024
    .name:           _ZN2at6native12_GLOBAL__N_122cunn_SoftMaxForwardRegIN3c104HalfEfS4_NS1_25LogSoftMaxForwardEpilogueElLi8EEEvPT1_PKT_T3_
    .private_segment_fixed_size: 0
    .sgpr_count:     20
    .sgpr_spill_count: 0
    .symbol:         _ZN2at6native12_GLOBAL__N_122cunn_SoftMaxForwardRegIN3c104HalfEfS4_NS1_25LogSoftMaxForwardEpilogueElLi8EEEvPT1_PKT_T3_.kd
    .uniform_work_group_size: 1
    .uses_dynamic_stack: false
    .vgpr_count:     48
    .vgpr_spill_count: 0
    .wavefront_size: 32
    .workgroup_processor_mode: 1
  - .args:
      - .address_space:  global
        .offset:         0
        .size:           8
        .value_kind:     global_buffer
      - .address_space:  global
        .offset:         8
        .size:           8
        .value_kind:     global_buffer
      - .offset:         16
        .size:           8
        .value_kind:     by_value
      - .offset:         24
        .size:           4
        .value_kind:     hidden_block_count_x
      - .offset:         28
        .size:           4
        .value_kind:     hidden_block_count_y
      - .offset:         32
        .size:           4
        .value_kind:     hidden_block_count_z
      - .offset:         36
        .size:           2
        .value_kind:     hidden_group_size_x
      - .offset:         38
        .size:           2
        .value_kind:     hidden_group_size_y
      - .offset:         40
        .size:           2
        .value_kind:     hidden_group_size_z
      - .offset:         42
        .size:           2
        .value_kind:     hidden_remainder_x
      - .offset:         44
        .size:           2
        .value_kind:     hidden_remainder_y
      - .offset:         46
        .size:           2
        .value_kind:     hidden_remainder_z
      - .offset:         64
        .size:           8
        .value_kind:     hidden_global_offset_x
      - .offset:         72
        .size:           8
        .value_kind:     hidden_global_offset_y
      - .offset:         80
        .size:           8
        .value_kind:     hidden_global_offset_z
      - .offset:         88
        .size:           2
        .value_kind:     hidden_grid_dims
      - .offset:         144
        .size:           4
        .value_kind:     hidden_dynamic_lds_size
    .group_segment_fixed_size: 0
    .kernarg_segment_align: 8
    .kernarg_segment_size: 280
    .language:       OpenCL C
    .language_version:
      - 2
      - 0
    .max_flat_workgroup_size: 1024
    .name:           _ZN2at6native12_GLOBAL__N_122cunn_SoftMaxForwardRegIN3c104HalfEfS4_NS1_25LogSoftMaxForwardEpilogueElLi9EEEvPT1_PKT_T3_
    .private_segment_fixed_size: 0
    .sgpr_count:     22
    .sgpr_spill_count: 0
    .symbol:         _ZN2at6native12_GLOBAL__N_122cunn_SoftMaxForwardRegIN3c104HalfEfS4_NS1_25LogSoftMaxForwardEpilogueElLi9EEEvPT1_PKT_T3_.kd
    .uniform_work_group_size: 1
    .uses_dynamic_stack: false
    .vgpr_count:     52
    .vgpr_spill_count: 0
    .wavefront_size: 32
    .workgroup_processor_mode: 1
  - .args:
      - .address_space:  global
        .offset:         0
        .size:           8
        .value_kind:     global_buffer
      - .address_space:  global
        .offset:         8
        .size:           8
        .value_kind:     global_buffer
      - .offset:         16
        .size:           8
        .value_kind:     by_value
      - .offset:         24
        .size:           4
        .value_kind:     hidden_block_count_x
      - .offset:         28
        .size:           4
        .value_kind:     hidden_block_count_y
      - .offset:         32
        .size:           4
        .value_kind:     hidden_block_count_z
      - .offset:         36
        .size:           2
        .value_kind:     hidden_group_size_x
      - .offset:         38
        .size:           2
        .value_kind:     hidden_group_size_y
      - .offset:         40
        .size:           2
        .value_kind:     hidden_group_size_z
      - .offset:         42
        .size:           2
        .value_kind:     hidden_remainder_x
      - .offset:         44
        .size:           2
        .value_kind:     hidden_remainder_y
      - .offset:         46
        .size:           2
        .value_kind:     hidden_remainder_z
      - .offset:         64
        .size:           8
        .value_kind:     hidden_global_offset_x
      - .offset:         72
        .size:           8
        .value_kind:     hidden_global_offset_y
      - .offset:         80
        .size:           8
        .value_kind:     hidden_global_offset_z
      - .offset:         88
        .size:           2
        .value_kind:     hidden_grid_dims
      - .offset:         144
        .size:           4
        .value_kind:     hidden_dynamic_lds_size
    .group_segment_fixed_size: 0
    .kernarg_segment_align: 8
    .kernarg_segment_size: 280
    .language:       OpenCL C
    .language_version:
      - 2
      - 0
    .max_flat_workgroup_size: 1024
    .name:           _ZN2at6native12_GLOBAL__N_123cunn_SoftMaxForwardSmemILi8EN3c104HalfEfS4_NS1_25LogSoftMaxForwardEpilogueElEEvPT2_PKT0_T4_
    .private_segment_fixed_size: 0
    .sgpr_count:     19
    .sgpr_spill_count: 0
    .symbol:         _ZN2at6native12_GLOBAL__N_123cunn_SoftMaxForwardSmemILi8EN3c104HalfEfS4_NS1_25LogSoftMaxForwardEpilogueElEEvPT2_PKT0_T4_.kd
    .uniform_work_group_size: 1
    .uses_dynamic_stack: false
    .vgpr_count:     49
    .vgpr_spill_count: 0
    .wavefront_size: 32
    .workgroup_processor_mode: 1
  - .args:
      - .address_space:  global
        .offset:         0
        .size:           8
        .value_kind:     global_buffer
      - .address_space:  global
        .offset:         8
        .size:           8
        .value_kind:     global_buffer
      - .offset:         16
        .size:           4
        .value_kind:     by_value
      - .offset:         24
        .size:           4
        .value_kind:     hidden_block_count_x
      - .offset:         28
        .size:           4
        .value_kind:     hidden_block_count_y
      - .offset:         32
        .size:           4
        .value_kind:     hidden_block_count_z
      - .offset:         36
        .size:           2
        .value_kind:     hidden_group_size_x
      - .offset:         38
        .size:           2
        .value_kind:     hidden_group_size_y
      - .offset:         40
        .size:           2
        .value_kind:     hidden_group_size_z
      - .offset:         42
        .size:           2
        .value_kind:     hidden_remainder_x
      - .offset:         44
        .size:           2
        .value_kind:     hidden_remainder_y
      - .offset:         46
        .size:           2
        .value_kind:     hidden_remainder_z
      - .offset:         64
        .size:           8
        .value_kind:     hidden_global_offset_x
      - .offset:         72
        .size:           8
        .value_kind:     hidden_global_offset_y
      - .offset:         80
        .size:           8
        .value_kind:     hidden_global_offset_z
      - .offset:         88
        .size:           2
        .value_kind:     hidden_grid_dims
      - .offset:         144
        .size:           4
        .value_kind:     hidden_dynamic_lds_size
    .group_segment_fixed_size: 0
    .kernarg_segment_align: 8
    .kernarg_segment_size: 280
    .language:       OpenCL C
    .language_version:
      - 2
      - 0
    .max_flat_workgroup_size: 1024
    .name:           _ZN2at6native12_GLOBAL__N_119cunn_SoftMaxForwardILi8EN3c104HalfEfS4_NS1_25LogSoftMaxForwardEpilogueEEEvPT2_PKT0_i
    .private_segment_fixed_size: 0
    .sgpr_count:     23
    .sgpr_spill_count: 0
    .symbol:         _ZN2at6native12_GLOBAL__N_119cunn_SoftMaxForwardILi8EN3c104HalfEfS4_NS1_25LogSoftMaxForwardEpilogueEEEvPT2_PKT0_i.kd
    .uniform_work_group_size: 1
    .uses_dynamic_stack: false
    .vgpr_count:     46
    .vgpr_spill_count: 0
    .wavefront_size: 32
    .workgroup_processor_mode: 1
  - .args:
      - .address_space:  global
        .offset:         0
        .size:           8
        .value_kind:     global_buffer
      - .address_space:  global
        .offset:         8
        .size:           8
        .value_kind:     global_buffer
      - .offset:         16
        .size:           4
        .value_kind:     by_value
      - .offset:         20
        .size:           4
        .value_kind:     by_value
      - .offset:         24
        .size:           4
        .value_kind:     by_value
      - .address_space:  global
        .offset:         32
        .size:           8
        .value_kind:     global_buffer
      - .offset:         40
        .size:           4
        .value_kind:     by_value
      - .offset:         44
        .size:           1
        .value_kind:     by_value
      - .offset:         48
        .size:           4
        .value_kind:     hidden_block_count_x
      - .offset:         52
        .size:           4
        .value_kind:     hidden_block_count_y
      - .offset:         56
        .size:           4
        .value_kind:     hidden_block_count_z
      - .offset:         60
        .size:           2
        .value_kind:     hidden_group_size_x
      - .offset:         62
        .size:           2
        .value_kind:     hidden_group_size_y
      - .offset:         64
        .size:           2
        .value_kind:     hidden_group_size_z
      - .offset:         66
        .size:           2
        .value_kind:     hidden_remainder_x
      - .offset:         68
        .size:           2
        .value_kind:     hidden_remainder_y
      - .offset:         70
        .size:           2
        .value_kind:     hidden_remainder_z
      - .offset:         88
        .size:           8
        .value_kind:     hidden_global_offset_x
      - .offset:         96
        .size:           8
        .value_kind:     hidden_global_offset_y
      - .offset:         104
        .size:           8
        .value_kind:     hidden_global_offset_z
      - .offset:         112
        .size:           2
        .value_kind:     hidden_grid_dims
    .group_segment_fixed_size: 0
    .kernarg_segment_align: 8
    .kernarg_segment_size: 304
    .language:       OpenCL C
    .language_version:
      - 2
      - 0
    .max_flat_workgroup_size: 1024
    .name:           _ZN12_GLOBAL__N_120softmax_warp_forwardIN3c104HalfEffLi0ELb1ELb0ELi64EEEvPT0_PKT_iiiPKbib
    .private_segment_fixed_size: 0
    .sgpr_count:     18
    .sgpr_spill_count: 0
    .symbol:         _ZN12_GLOBAL__N_120softmax_warp_forwardIN3c104HalfEffLi0ELb1ELb0ELi64EEEvPT0_PKT_iiiPKbib.kd
    .uniform_work_group_size: 1
    .uses_dynamic_stack: false
    .vgpr_count:     8
    .vgpr_spill_count: 0
    .wavefront_size: 32
    .workgroup_processor_mode: 1
  - .args:
      - .address_space:  global
        .offset:         0
        .size:           8
        .value_kind:     global_buffer
      - .address_space:  global
        .offset:         8
        .size:           8
        .value_kind:     global_buffer
      - .offset:         16
        .size:           4
        .value_kind:     by_value
      - .offset:         20
        .size:           4
        .value_kind:     by_value
      - .offset:         24
        .size:           4
        .value_kind:     by_value
      - .address_space:  global
        .offset:         32
        .size:           8
        .value_kind:     global_buffer
      - .offset:         40
        .size:           4
        .value_kind:     by_value
      - .offset:         44
        .size:           1
        .value_kind:     by_value
      - .offset:         48
        .size:           4
        .value_kind:     hidden_block_count_x
      - .offset:         52
        .size:           4
        .value_kind:     hidden_block_count_y
      - .offset:         56
        .size:           4
        .value_kind:     hidden_block_count_z
      - .offset:         60
        .size:           2
        .value_kind:     hidden_group_size_x
      - .offset:         62
        .size:           2
        .value_kind:     hidden_group_size_y
      - .offset:         64
        .size:           2
        .value_kind:     hidden_group_size_z
      - .offset:         66
        .size:           2
        .value_kind:     hidden_remainder_x
      - .offset:         68
        .size:           2
        .value_kind:     hidden_remainder_y
      - .offset:         70
        .size:           2
        .value_kind:     hidden_remainder_z
      - .offset:         88
        .size:           8
        .value_kind:     hidden_global_offset_x
      - .offset:         96
        .size:           8
        .value_kind:     hidden_global_offset_y
      - .offset:         104
        .size:           8
        .value_kind:     hidden_global_offset_z
      - .offset:         112
        .size:           2
        .value_kind:     hidden_grid_dims
    .group_segment_fixed_size: 0
    .kernarg_segment_align: 8
    .kernarg_segment_size: 304
    .language:       OpenCL C
    .language_version:
      - 2
      - 0
    .max_flat_workgroup_size: 1024
    .name:           _ZN12_GLOBAL__N_120softmax_warp_forwardIN3c104HalfEffLi0ELb1ELb0ELi32EEEvPT0_PKT_iiiPKbib
    .private_segment_fixed_size: 0
    .sgpr_count:     18
    .sgpr_spill_count: 0
    .symbol:         _ZN12_GLOBAL__N_120softmax_warp_forwardIN3c104HalfEffLi0ELb1ELb0ELi32EEEvPT0_PKT_iiiPKbib.kd
    .uniform_work_group_size: 1
    .uses_dynamic_stack: false
    .vgpr_count:     8
    .vgpr_spill_count: 0
    .wavefront_size: 32
    .workgroup_processor_mode: 1
  - .args:
      - .address_space:  global
        .offset:         0
        .size:           8
        .value_kind:     global_buffer
      - .address_space:  global
        .offset:         8
        .size:           8
        .value_kind:     global_buffer
      - .offset:         16
        .size:           4
        .value_kind:     by_value
      - .offset:         20
        .size:           4
        .value_kind:     by_value
      - .offset:         24
        .size:           4
        .value_kind:     by_value
      - .address_space:  global
        .offset:         32
        .size:           8
        .value_kind:     global_buffer
      - .offset:         40
        .size:           4
        .value_kind:     by_value
      - .offset:         44
        .size:           1
        .value_kind:     by_value
      - .offset:         48
        .size:           4
        .value_kind:     hidden_block_count_x
      - .offset:         52
        .size:           4
        .value_kind:     hidden_block_count_y
      - .offset:         56
        .size:           4
        .value_kind:     hidden_block_count_z
      - .offset:         60
        .size:           2
        .value_kind:     hidden_group_size_x
      - .offset:         62
        .size:           2
        .value_kind:     hidden_group_size_y
      - .offset:         64
        .size:           2
        .value_kind:     hidden_group_size_z
      - .offset:         66
        .size:           2
        .value_kind:     hidden_remainder_x
      - .offset:         68
        .size:           2
        .value_kind:     hidden_remainder_y
      - .offset:         70
        .size:           2
        .value_kind:     hidden_remainder_z
      - .offset:         88
        .size:           8
        .value_kind:     hidden_global_offset_x
      - .offset:         96
        .size:           8
        .value_kind:     hidden_global_offset_y
      - .offset:         104
        .size:           8
        .value_kind:     hidden_global_offset_z
      - .offset:         112
        .size:           2
        .value_kind:     hidden_grid_dims
    .group_segment_fixed_size: 0
    .kernarg_segment_align: 8
    .kernarg_segment_size: 304
    .language:       OpenCL C
    .language_version:
      - 2
      - 0
    .max_flat_workgroup_size: 1024
    .name:           _ZN12_GLOBAL__N_120softmax_warp_forwardIN3c104HalfEffLi1ELb1ELb0ELi64EEEvPT0_PKT_iiiPKbib
    .private_segment_fixed_size: 0
    .sgpr_count:     18
    .sgpr_spill_count: 0
    .symbol:         _ZN12_GLOBAL__N_120softmax_warp_forwardIN3c104HalfEffLi1ELb1ELb0ELi64EEEvPT0_PKT_iiiPKbib.kd
    .uniform_work_group_size: 1
    .uses_dynamic_stack: false
    .vgpr_count:     12
    .vgpr_spill_count: 0
    .wavefront_size: 32
    .workgroup_processor_mode: 1
  - .args:
      - .address_space:  global
        .offset:         0
        .size:           8
        .value_kind:     global_buffer
      - .address_space:  global
        .offset:         8
        .size:           8
        .value_kind:     global_buffer
      - .offset:         16
        .size:           4
        .value_kind:     by_value
      - .offset:         20
        .size:           4
        .value_kind:     by_value
      - .offset:         24
        .size:           4
        .value_kind:     by_value
      - .address_space:  global
        .offset:         32
        .size:           8
        .value_kind:     global_buffer
      - .offset:         40
        .size:           4
        .value_kind:     by_value
      - .offset:         44
        .size:           1
        .value_kind:     by_value
      - .offset:         48
        .size:           4
        .value_kind:     hidden_block_count_x
      - .offset:         52
        .size:           4
        .value_kind:     hidden_block_count_y
      - .offset:         56
        .size:           4
        .value_kind:     hidden_block_count_z
      - .offset:         60
        .size:           2
        .value_kind:     hidden_group_size_x
      - .offset:         62
        .size:           2
        .value_kind:     hidden_group_size_y
      - .offset:         64
        .size:           2
        .value_kind:     hidden_group_size_z
      - .offset:         66
        .size:           2
        .value_kind:     hidden_remainder_x
      - .offset:         68
        .size:           2
        .value_kind:     hidden_remainder_y
      - .offset:         70
        .size:           2
        .value_kind:     hidden_remainder_z
      - .offset:         88
        .size:           8
        .value_kind:     hidden_global_offset_x
      - .offset:         96
        .size:           8
        .value_kind:     hidden_global_offset_y
      - .offset:         104
        .size:           8
        .value_kind:     hidden_global_offset_z
      - .offset:         112
        .size:           2
        .value_kind:     hidden_grid_dims
    .group_segment_fixed_size: 0
    .kernarg_segment_align: 8
    .kernarg_segment_size: 304
    .language:       OpenCL C
    .language_version:
      - 2
      - 0
    .max_flat_workgroup_size: 1024
    .name:           _ZN12_GLOBAL__N_120softmax_warp_forwardIN3c104HalfEffLi1ELb1ELb0ELi32EEEvPT0_PKT_iiiPKbib
    .private_segment_fixed_size: 0
    .sgpr_count:     18
    .sgpr_spill_count: 0
    .symbol:         _ZN12_GLOBAL__N_120softmax_warp_forwardIN3c104HalfEffLi1ELb1ELb0ELi32EEEvPT0_PKT_iiiPKbib.kd
    .uniform_work_group_size: 1
    .uses_dynamic_stack: false
    .vgpr_count:     12
    .vgpr_spill_count: 0
    .wavefront_size: 32
    .workgroup_processor_mode: 1
  - .args:
      - .address_space:  global
        .offset:         0
        .size:           8
        .value_kind:     global_buffer
      - .address_space:  global
        .offset:         8
        .size:           8
        .value_kind:     global_buffer
      - .offset:         16
        .size:           4
        .value_kind:     by_value
      - .offset:         20
        .size:           4
        .value_kind:     by_value
      - .offset:         24
        .size:           4
        .value_kind:     by_value
      - .address_space:  global
        .offset:         32
        .size:           8
        .value_kind:     global_buffer
      - .offset:         40
        .size:           4
        .value_kind:     by_value
      - .offset:         44
        .size:           1
        .value_kind:     by_value
      - .offset:         48
        .size:           4
        .value_kind:     hidden_block_count_x
      - .offset:         52
        .size:           4
        .value_kind:     hidden_block_count_y
      - .offset:         56
        .size:           4
        .value_kind:     hidden_block_count_z
      - .offset:         60
        .size:           2
        .value_kind:     hidden_group_size_x
      - .offset:         62
        .size:           2
        .value_kind:     hidden_group_size_y
      - .offset:         64
        .size:           2
        .value_kind:     hidden_group_size_z
      - .offset:         66
        .size:           2
        .value_kind:     hidden_remainder_x
      - .offset:         68
        .size:           2
        .value_kind:     hidden_remainder_y
      - .offset:         70
        .size:           2
        .value_kind:     hidden_remainder_z
      - .offset:         88
        .size:           8
        .value_kind:     hidden_global_offset_x
      - .offset:         96
        .size:           8
        .value_kind:     hidden_global_offset_y
      - .offset:         104
        .size:           8
        .value_kind:     hidden_global_offset_z
      - .offset:         112
        .size:           2
        .value_kind:     hidden_grid_dims
    .group_segment_fixed_size: 0
    .kernarg_segment_align: 8
    .kernarg_segment_size: 304
    .language:       OpenCL C
    .language_version:
      - 2
      - 0
    .max_flat_workgroup_size: 1024
    .name:           _ZN12_GLOBAL__N_120softmax_warp_forwardIN3c104HalfEffLi2ELb1ELb0ELi64EEEvPT0_PKT_iiiPKbib
    .private_segment_fixed_size: 0
    .sgpr_count:     18
    .sgpr_spill_count: 0
    .symbol:         _ZN12_GLOBAL__N_120softmax_warp_forwardIN3c104HalfEffLi2ELb1ELb0ELi64EEEvPT0_PKT_iiiPKbib.kd
    .uniform_work_group_size: 1
    .uses_dynamic_stack: false
    .vgpr_count:     13
    .vgpr_spill_count: 0
    .wavefront_size: 32
    .workgroup_processor_mode: 1
  - .args:
      - .address_space:  global
        .offset:         0
        .size:           8
        .value_kind:     global_buffer
      - .address_space:  global
        .offset:         8
        .size:           8
        .value_kind:     global_buffer
      - .offset:         16
        .size:           4
        .value_kind:     by_value
      - .offset:         20
        .size:           4
        .value_kind:     by_value
      - .offset:         24
        .size:           4
        .value_kind:     by_value
      - .address_space:  global
        .offset:         32
        .size:           8
        .value_kind:     global_buffer
      - .offset:         40
        .size:           4
        .value_kind:     by_value
      - .offset:         44
        .size:           1
        .value_kind:     by_value
      - .offset:         48
        .size:           4
        .value_kind:     hidden_block_count_x
      - .offset:         52
        .size:           4
        .value_kind:     hidden_block_count_y
      - .offset:         56
        .size:           4
        .value_kind:     hidden_block_count_z
      - .offset:         60
        .size:           2
        .value_kind:     hidden_group_size_x
      - .offset:         62
        .size:           2
        .value_kind:     hidden_group_size_y
      - .offset:         64
        .size:           2
        .value_kind:     hidden_group_size_z
      - .offset:         66
        .size:           2
        .value_kind:     hidden_remainder_x
      - .offset:         68
        .size:           2
        .value_kind:     hidden_remainder_y
      - .offset:         70
        .size:           2
        .value_kind:     hidden_remainder_z
      - .offset:         88
        .size:           8
        .value_kind:     hidden_global_offset_x
      - .offset:         96
        .size:           8
        .value_kind:     hidden_global_offset_y
      - .offset:         104
        .size:           8
        .value_kind:     hidden_global_offset_z
      - .offset:         112
        .size:           2
        .value_kind:     hidden_grid_dims
    .group_segment_fixed_size: 0
    .kernarg_segment_align: 8
    .kernarg_segment_size: 304
    .language:       OpenCL C
    .language_version:
      - 2
      - 0
    .max_flat_workgroup_size: 1024
    .name:           _ZN12_GLOBAL__N_120softmax_warp_forwardIN3c104HalfEffLi2ELb1ELb0ELi32EEEvPT0_PKT_iiiPKbib
    .private_segment_fixed_size: 0
    .sgpr_count:     18
    .sgpr_spill_count: 0
    .symbol:         _ZN12_GLOBAL__N_120softmax_warp_forwardIN3c104HalfEffLi2ELb1ELb0ELi32EEEvPT0_PKT_iiiPKbib.kd
    .uniform_work_group_size: 1
    .uses_dynamic_stack: false
    .vgpr_count:     13
    .vgpr_spill_count: 0
    .wavefront_size: 32
    .workgroup_processor_mode: 1
  - .args:
      - .address_space:  global
        .offset:         0
        .size:           8
        .value_kind:     global_buffer
      - .address_space:  global
        .offset:         8
        .size:           8
        .value_kind:     global_buffer
      - .offset:         16
        .size:           4
        .value_kind:     by_value
      - .offset:         20
        .size:           4
        .value_kind:     by_value
      - .offset:         24
        .size:           4
        .value_kind:     by_value
      - .address_space:  global
        .offset:         32
        .size:           8
        .value_kind:     global_buffer
      - .offset:         40
        .size:           4
        .value_kind:     by_value
      - .offset:         44
        .size:           1
        .value_kind:     by_value
      - .offset:         48
        .size:           4
        .value_kind:     hidden_block_count_x
      - .offset:         52
        .size:           4
        .value_kind:     hidden_block_count_y
      - .offset:         56
        .size:           4
        .value_kind:     hidden_block_count_z
      - .offset:         60
        .size:           2
        .value_kind:     hidden_group_size_x
      - .offset:         62
        .size:           2
        .value_kind:     hidden_group_size_y
      - .offset:         64
        .size:           2
        .value_kind:     hidden_group_size_z
      - .offset:         66
        .size:           2
        .value_kind:     hidden_remainder_x
      - .offset:         68
        .size:           2
        .value_kind:     hidden_remainder_y
      - .offset:         70
        .size:           2
        .value_kind:     hidden_remainder_z
      - .offset:         88
        .size:           8
        .value_kind:     hidden_global_offset_x
      - .offset:         96
        .size:           8
        .value_kind:     hidden_global_offset_y
      - .offset:         104
        .size:           8
        .value_kind:     hidden_global_offset_z
      - .offset:         112
        .size:           2
        .value_kind:     hidden_grid_dims
    .group_segment_fixed_size: 0
    .kernarg_segment_align: 8
    .kernarg_segment_size: 304
    .language:       OpenCL C
    .language_version:
      - 2
      - 0
    .max_flat_workgroup_size: 1024
    .name:           _ZN12_GLOBAL__N_120softmax_warp_forwardIN3c104HalfEffLi3ELb1ELb0ELi64EEEvPT0_PKT_iiiPKbib
    .private_segment_fixed_size: 0
    .sgpr_count:     18
    .sgpr_spill_count: 0
    .symbol:         _ZN12_GLOBAL__N_120softmax_warp_forwardIN3c104HalfEffLi3ELb1ELb0ELi64EEEvPT0_PKT_iiiPKbib.kd
    .uniform_work_group_size: 1
    .uses_dynamic_stack: false
    .vgpr_count:     14
    .vgpr_spill_count: 0
    .wavefront_size: 32
    .workgroup_processor_mode: 1
  - .args:
      - .address_space:  global
        .offset:         0
        .size:           8
        .value_kind:     global_buffer
      - .address_space:  global
        .offset:         8
        .size:           8
        .value_kind:     global_buffer
      - .offset:         16
        .size:           4
        .value_kind:     by_value
      - .offset:         20
        .size:           4
        .value_kind:     by_value
      - .offset:         24
        .size:           4
        .value_kind:     by_value
      - .address_space:  global
        .offset:         32
        .size:           8
        .value_kind:     global_buffer
      - .offset:         40
        .size:           4
        .value_kind:     by_value
      - .offset:         44
        .size:           1
        .value_kind:     by_value
      - .offset:         48
        .size:           4
        .value_kind:     hidden_block_count_x
      - .offset:         52
        .size:           4
        .value_kind:     hidden_block_count_y
      - .offset:         56
        .size:           4
        .value_kind:     hidden_block_count_z
      - .offset:         60
        .size:           2
        .value_kind:     hidden_group_size_x
      - .offset:         62
        .size:           2
        .value_kind:     hidden_group_size_y
      - .offset:         64
        .size:           2
        .value_kind:     hidden_group_size_z
      - .offset:         66
        .size:           2
        .value_kind:     hidden_remainder_x
      - .offset:         68
        .size:           2
        .value_kind:     hidden_remainder_y
      - .offset:         70
        .size:           2
        .value_kind:     hidden_remainder_z
      - .offset:         88
        .size:           8
        .value_kind:     hidden_global_offset_x
      - .offset:         96
        .size:           8
        .value_kind:     hidden_global_offset_y
      - .offset:         104
        .size:           8
        .value_kind:     hidden_global_offset_z
      - .offset:         112
        .size:           2
        .value_kind:     hidden_grid_dims
    .group_segment_fixed_size: 0
    .kernarg_segment_align: 8
    .kernarg_segment_size: 304
    .language:       OpenCL C
    .language_version:
      - 2
      - 0
    .max_flat_workgroup_size: 1024
    .name:           _ZN12_GLOBAL__N_120softmax_warp_forwardIN3c104HalfEffLi3ELb1ELb0ELi32EEEvPT0_PKT_iiiPKbib
    .private_segment_fixed_size: 0
    .sgpr_count:     18
    .sgpr_spill_count: 0
    .symbol:         _ZN12_GLOBAL__N_120softmax_warp_forwardIN3c104HalfEffLi3ELb1ELb0ELi32EEEvPT0_PKT_iiiPKbib.kd
    .uniform_work_group_size: 1
    .uses_dynamic_stack: false
    .vgpr_count:     14
    .vgpr_spill_count: 0
    .wavefront_size: 32
    .workgroup_processor_mode: 1
  - .args:
      - .address_space:  global
        .offset:         0
        .size:           8
        .value_kind:     global_buffer
      - .address_space:  global
        .offset:         8
        .size:           8
        .value_kind:     global_buffer
      - .offset:         16
        .size:           4
        .value_kind:     by_value
      - .offset:         20
        .size:           4
        .value_kind:     by_value
      - .offset:         24
        .size:           4
        .value_kind:     by_value
      - .address_space:  global
        .offset:         32
        .size:           8
        .value_kind:     global_buffer
      - .offset:         40
        .size:           4
        .value_kind:     by_value
      - .offset:         44
        .size:           1
        .value_kind:     by_value
      - .offset:         48
        .size:           4
        .value_kind:     hidden_block_count_x
      - .offset:         52
        .size:           4
        .value_kind:     hidden_block_count_y
      - .offset:         56
        .size:           4
        .value_kind:     hidden_block_count_z
      - .offset:         60
        .size:           2
        .value_kind:     hidden_group_size_x
      - .offset:         62
        .size:           2
        .value_kind:     hidden_group_size_y
      - .offset:         64
        .size:           2
        .value_kind:     hidden_group_size_z
      - .offset:         66
        .size:           2
        .value_kind:     hidden_remainder_x
      - .offset:         68
        .size:           2
        .value_kind:     hidden_remainder_y
      - .offset:         70
        .size:           2
        .value_kind:     hidden_remainder_z
      - .offset:         88
        .size:           8
        .value_kind:     hidden_global_offset_x
      - .offset:         96
        .size:           8
        .value_kind:     hidden_global_offset_y
      - .offset:         104
        .size:           8
        .value_kind:     hidden_global_offset_z
      - .offset:         112
        .size:           2
        .value_kind:     hidden_grid_dims
    .group_segment_fixed_size: 0
    .kernarg_segment_align: 8
    .kernarg_segment_size: 304
    .language:       OpenCL C
    .language_version:
      - 2
      - 0
    .max_flat_workgroup_size: 1024
    .name:           _ZN12_GLOBAL__N_120softmax_warp_forwardIN3c104HalfEffLi4ELb1ELb0ELi64EEEvPT0_PKT_iiiPKbib
    .private_segment_fixed_size: 0
    .sgpr_count:     18
    .sgpr_spill_count: 0
    .symbol:         _ZN12_GLOBAL__N_120softmax_warp_forwardIN3c104HalfEffLi4ELb1ELb0ELi64EEEvPT0_PKT_iiiPKbib.kd
    .uniform_work_group_size: 1
    .uses_dynamic_stack: false
    .vgpr_count:     15
    .vgpr_spill_count: 0
    .wavefront_size: 32
    .workgroup_processor_mode: 1
  - .args:
      - .address_space:  global
        .offset:         0
        .size:           8
        .value_kind:     global_buffer
      - .address_space:  global
        .offset:         8
        .size:           8
        .value_kind:     global_buffer
      - .offset:         16
        .size:           4
        .value_kind:     by_value
      - .offset:         20
        .size:           4
        .value_kind:     by_value
      - .offset:         24
        .size:           4
        .value_kind:     by_value
      - .address_space:  global
        .offset:         32
        .size:           8
        .value_kind:     global_buffer
      - .offset:         40
        .size:           4
        .value_kind:     by_value
      - .offset:         44
        .size:           1
        .value_kind:     by_value
      - .offset:         48
        .size:           4
        .value_kind:     hidden_block_count_x
      - .offset:         52
        .size:           4
        .value_kind:     hidden_block_count_y
      - .offset:         56
        .size:           4
        .value_kind:     hidden_block_count_z
      - .offset:         60
        .size:           2
        .value_kind:     hidden_group_size_x
      - .offset:         62
        .size:           2
        .value_kind:     hidden_group_size_y
      - .offset:         64
        .size:           2
        .value_kind:     hidden_group_size_z
      - .offset:         66
        .size:           2
        .value_kind:     hidden_remainder_x
      - .offset:         68
        .size:           2
        .value_kind:     hidden_remainder_y
      - .offset:         70
        .size:           2
        .value_kind:     hidden_remainder_z
      - .offset:         88
        .size:           8
        .value_kind:     hidden_global_offset_x
      - .offset:         96
        .size:           8
        .value_kind:     hidden_global_offset_y
      - .offset:         104
        .size:           8
        .value_kind:     hidden_global_offset_z
      - .offset:         112
        .size:           2
        .value_kind:     hidden_grid_dims
    .group_segment_fixed_size: 0
    .kernarg_segment_align: 8
    .kernarg_segment_size: 304
    .language:       OpenCL C
    .language_version:
      - 2
      - 0
    .max_flat_workgroup_size: 1024
    .name:           _ZN12_GLOBAL__N_120softmax_warp_forwardIN3c104HalfEffLi4ELb1ELb0ELi32EEEvPT0_PKT_iiiPKbib
    .private_segment_fixed_size: 0
    .sgpr_count:     18
    .sgpr_spill_count: 0
    .symbol:         _ZN12_GLOBAL__N_120softmax_warp_forwardIN3c104HalfEffLi4ELb1ELb0ELi32EEEvPT0_PKT_iiiPKbib.kd
    .uniform_work_group_size: 1
    .uses_dynamic_stack: false
    .vgpr_count:     15
    .vgpr_spill_count: 0
    .wavefront_size: 32
    .workgroup_processor_mode: 1
  - .args:
      - .address_space:  global
        .offset:         0
        .size:           8
        .value_kind:     global_buffer
      - .address_space:  global
        .offset:         8
        .size:           8
        .value_kind:     global_buffer
      - .offset:         16
        .size:           4
        .value_kind:     by_value
      - .offset:         20
        .size:           4
        .value_kind:     by_value
      - .offset:         24
        .size:           4
        .value_kind:     by_value
      - .address_space:  global
        .offset:         32
        .size:           8
        .value_kind:     global_buffer
      - .offset:         40
        .size:           4
        .value_kind:     by_value
      - .offset:         44
        .size:           1
        .value_kind:     by_value
      - .offset:         48
        .size:           4
        .value_kind:     hidden_block_count_x
      - .offset:         52
        .size:           4
        .value_kind:     hidden_block_count_y
      - .offset:         56
        .size:           4
        .value_kind:     hidden_block_count_z
      - .offset:         60
        .size:           2
        .value_kind:     hidden_group_size_x
      - .offset:         62
        .size:           2
        .value_kind:     hidden_group_size_y
      - .offset:         64
        .size:           2
        .value_kind:     hidden_group_size_z
      - .offset:         66
        .size:           2
        .value_kind:     hidden_remainder_x
      - .offset:         68
        .size:           2
        .value_kind:     hidden_remainder_y
      - .offset:         70
        .size:           2
        .value_kind:     hidden_remainder_z
      - .offset:         88
        .size:           8
        .value_kind:     hidden_global_offset_x
      - .offset:         96
        .size:           8
        .value_kind:     hidden_global_offset_y
      - .offset:         104
        .size:           8
        .value_kind:     hidden_global_offset_z
      - .offset:         112
        .size:           2
        .value_kind:     hidden_grid_dims
    .group_segment_fixed_size: 0
    .kernarg_segment_align: 8
    .kernarg_segment_size: 304
    .language:       OpenCL C
    .language_version:
      - 2
      - 0
    .max_flat_workgroup_size: 1024
    .name:           _ZN12_GLOBAL__N_120softmax_warp_forwardIN3c104HalfEffLi5ELb1ELb0ELi64EEEvPT0_PKT_iiiPKbib
    .private_segment_fixed_size: 0
    .sgpr_count:     18
    .sgpr_spill_count: 0
    .symbol:         _ZN12_GLOBAL__N_120softmax_warp_forwardIN3c104HalfEffLi5ELb1ELb0ELi64EEEvPT0_PKT_iiiPKbib.kd
    .uniform_work_group_size: 1
    .uses_dynamic_stack: false
    .vgpr_count:     16
    .vgpr_spill_count: 0
    .wavefront_size: 32
    .workgroup_processor_mode: 1
  - .args:
      - .address_space:  global
        .offset:         0
        .size:           8
        .value_kind:     global_buffer
      - .address_space:  global
        .offset:         8
        .size:           8
        .value_kind:     global_buffer
      - .offset:         16
        .size:           4
        .value_kind:     by_value
      - .offset:         20
        .size:           4
        .value_kind:     by_value
      - .offset:         24
        .size:           4
        .value_kind:     by_value
      - .address_space:  global
        .offset:         32
        .size:           8
        .value_kind:     global_buffer
      - .offset:         40
        .size:           4
        .value_kind:     by_value
      - .offset:         44
        .size:           1
        .value_kind:     by_value
      - .offset:         48
        .size:           4
        .value_kind:     hidden_block_count_x
      - .offset:         52
        .size:           4
        .value_kind:     hidden_block_count_y
      - .offset:         56
        .size:           4
        .value_kind:     hidden_block_count_z
      - .offset:         60
        .size:           2
        .value_kind:     hidden_group_size_x
      - .offset:         62
        .size:           2
        .value_kind:     hidden_group_size_y
      - .offset:         64
        .size:           2
        .value_kind:     hidden_group_size_z
      - .offset:         66
        .size:           2
        .value_kind:     hidden_remainder_x
      - .offset:         68
        .size:           2
        .value_kind:     hidden_remainder_y
      - .offset:         70
        .size:           2
        .value_kind:     hidden_remainder_z
      - .offset:         88
        .size:           8
        .value_kind:     hidden_global_offset_x
      - .offset:         96
        .size:           8
        .value_kind:     hidden_global_offset_y
      - .offset:         104
        .size:           8
        .value_kind:     hidden_global_offset_z
      - .offset:         112
        .size:           2
        .value_kind:     hidden_grid_dims
    .group_segment_fixed_size: 0
    .kernarg_segment_align: 8
    .kernarg_segment_size: 304
    .language:       OpenCL C
    .language_version:
      - 2
      - 0
    .max_flat_workgroup_size: 1024
    .name:           _ZN12_GLOBAL__N_120softmax_warp_forwardIN3c104HalfEffLi5ELb1ELb0ELi32EEEvPT0_PKT_iiiPKbib
    .private_segment_fixed_size: 0
    .sgpr_count:     18
    .sgpr_spill_count: 0
    .symbol:         _ZN12_GLOBAL__N_120softmax_warp_forwardIN3c104HalfEffLi5ELb1ELb0ELi32EEEvPT0_PKT_iiiPKbib.kd
    .uniform_work_group_size: 1
    .uses_dynamic_stack: false
    .vgpr_count:     16
    .vgpr_spill_count: 0
    .wavefront_size: 32
    .workgroup_processor_mode: 1
  - .args:
      - .address_space:  global
        .offset:         0
        .size:           8
        .value_kind:     global_buffer
      - .address_space:  global
        .offset:         8
        .size:           8
        .value_kind:     global_buffer
      - .offset:         16
        .size:           4
        .value_kind:     by_value
      - .offset:         20
        .size:           4
        .value_kind:     by_value
      - .offset:         24
        .size:           4
        .value_kind:     by_value
      - .address_space:  global
        .offset:         32
        .size:           8
        .value_kind:     global_buffer
      - .offset:         40
        .size:           4
        .value_kind:     by_value
      - .offset:         44
        .size:           1
        .value_kind:     by_value
      - .offset:         48
        .size:           4
        .value_kind:     hidden_block_count_x
      - .offset:         52
        .size:           4
        .value_kind:     hidden_block_count_y
      - .offset:         56
        .size:           4
        .value_kind:     hidden_block_count_z
      - .offset:         60
        .size:           2
        .value_kind:     hidden_group_size_x
      - .offset:         62
        .size:           2
        .value_kind:     hidden_group_size_y
      - .offset:         64
        .size:           2
        .value_kind:     hidden_group_size_z
      - .offset:         66
        .size:           2
        .value_kind:     hidden_remainder_x
      - .offset:         68
        .size:           2
        .value_kind:     hidden_remainder_y
      - .offset:         70
        .size:           2
        .value_kind:     hidden_remainder_z
      - .offset:         88
        .size:           8
        .value_kind:     hidden_global_offset_x
      - .offset:         96
        .size:           8
        .value_kind:     hidden_global_offset_y
      - .offset:         104
        .size:           8
        .value_kind:     hidden_global_offset_z
      - .offset:         112
        .size:           2
        .value_kind:     hidden_grid_dims
    .group_segment_fixed_size: 0
    .kernarg_segment_align: 8
    .kernarg_segment_size: 304
    .language:       OpenCL C
    .language_version:
      - 2
      - 0
    .max_flat_workgroup_size: 1024
    .name:           _ZN12_GLOBAL__N_120softmax_warp_forwardIN3c104HalfEffLi6ELb1ELb0ELi64EEEvPT0_PKT_iiiPKbib
    .private_segment_fixed_size: 0
    .sgpr_count:     18
    .sgpr_spill_count: 0
    .symbol:         _ZN12_GLOBAL__N_120softmax_warp_forwardIN3c104HalfEffLi6ELb1ELb0ELi64EEEvPT0_PKT_iiiPKbib.kd
    .uniform_work_group_size: 1
    .uses_dynamic_stack: false
    .vgpr_count:     17
    .vgpr_spill_count: 0
    .wavefront_size: 32
    .workgroup_processor_mode: 1
  - .args:
      - .address_space:  global
        .offset:         0
        .size:           8
        .value_kind:     global_buffer
      - .address_space:  global
        .offset:         8
        .size:           8
        .value_kind:     global_buffer
      - .offset:         16
        .size:           4
        .value_kind:     by_value
      - .offset:         20
        .size:           4
        .value_kind:     by_value
      - .offset:         24
        .size:           4
        .value_kind:     by_value
      - .address_space:  global
        .offset:         32
        .size:           8
        .value_kind:     global_buffer
      - .offset:         40
        .size:           4
        .value_kind:     by_value
      - .offset:         44
        .size:           1
        .value_kind:     by_value
      - .offset:         48
        .size:           4
        .value_kind:     hidden_block_count_x
      - .offset:         52
        .size:           4
        .value_kind:     hidden_block_count_y
      - .offset:         56
        .size:           4
        .value_kind:     hidden_block_count_z
      - .offset:         60
        .size:           2
        .value_kind:     hidden_group_size_x
      - .offset:         62
        .size:           2
        .value_kind:     hidden_group_size_y
      - .offset:         64
        .size:           2
        .value_kind:     hidden_group_size_z
      - .offset:         66
        .size:           2
        .value_kind:     hidden_remainder_x
      - .offset:         68
        .size:           2
        .value_kind:     hidden_remainder_y
      - .offset:         70
        .size:           2
        .value_kind:     hidden_remainder_z
      - .offset:         88
        .size:           8
        .value_kind:     hidden_global_offset_x
      - .offset:         96
        .size:           8
        .value_kind:     hidden_global_offset_y
      - .offset:         104
        .size:           8
        .value_kind:     hidden_global_offset_z
      - .offset:         112
        .size:           2
        .value_kind:     hidden_grid_dims
    .group_segment_fixed_size: 0
    .kernarg_segment_align: 8
    .kernarg_segment_size: 304
    .language:       OpenCL C
    .language_version:
      - 2
      - 0
    .max_flat_workgroup_size: 1024
    .name:           _ZN12_GLOBAL__N_120softmax_warp_forwardIN3c104HalfEffLi6ELb1ELb0ELi32EEEvPT0_PKT_iiiPKbib
    .private_segment_fixed_size: 0
    .sgpr_count:     18
    .sgpr_spill_count: 0
    .symbol:         _ZN12_GLOBAL__N_120softmax_warp_forwardIN3c104HalfEffLi6ELb1ELb0ELi32EEEvPT0_PKT_iiiPKbib.kd
    .uniform_work_group_size: 1
    .uses_dynamic_stack: false
    .vgpr_count:     24
    .vgpr_spill_count: 0
    .wavefront_size: 32
    .workgroup_processor_mode: 1
  - .args:
      - .address_space:  global
        .offset:         0
        .size:           8
        .value_kind:     global_buffer
      - .address_space:  global
        .offset:         8
        .size:           8
        .value_kind:     global_buffer
      - .offset:         16
        .size:           4
        .value_kind:     by_value
      - .offset:         20
        .size:           4
        .value_kind:     by_value
      - .offset:         24
        .size:           4
        .value_kind:     by_value
      - .address_space:  global
        .offset:         32
        .size:           8
        .value_kind:     global_buffer
      - .offset:         40
        .size:           4
        .value_kind:     by_value
      - .offset:         44
        .size:           1
        .value_kind:     by_value
      - .offset:         48
        .size:           4
        .value_kind:     hidden_block_count_x
      - .offset:         52
        .size:           4
        .value_kind:     hidden_block_count_y
      - .offset:         56
        .size:           4
        .value_kind:     hidden_block_count_z
      - .offset:         60
        .size:           2
        .value_kind:     hidden_group_size_x
      - .offset:         62
        .size:           2
        .value_kind:     hidden_group_size_y
      - .offset:         64
        .size:           2
        .value_kind:     hidden_group_size_z
      - .offset:         66
        .size:           2
        .value_kind:     hidden_remainder_x
      - .offset:         68
        .size:           2
        .value_kind:     hidden_remainder_y
      - .offset:         70
        .size:           2
        .value_kind:     hidden_remainder_z
      - .offset:         88
        .size:           8
        .value_kind:     hidden_global_offset_x
      - .offset:         96
        .size:           8
        .value_kind:     hidden_global_offset_y
      - .offset:         104
        .size:           8
        .value_kind:     hidden_global_offset_z
      - .offset:         112
        .size:           2
        .value_kind:     hidden_grid_dims
    .group_segment_fixed_size: 0
    .kernarg_segment_align: 8
    .kernarg_segment_size: 304
    .language:       OpenCL C
    .language_version:
      - 2
      - 0
    .max_flat_workgroup_size: 1024
    .name:           _ZN12_GLOBAL__N_120softmax_warp_forwardIN3c104HalfEffLi7ELb1ELb0ELi64EEEvPT0_PKT_iiiPKbib
    .private_segment_fixed_size: 0
    .sgpr_count:     18
    .sgpr_spill_count: 0
    .symbol:         _ZN12_GLOBAL__N_120softmax_warp_forwardIN3c104HalfEffLi7ELb1ELb0ELi64EEEvPT0_PKT_iiiPKbib.kd
    .uniform_work_group_size: 1
    .uses_dynamic_stack: false
    .vgpr_count:     25
    .vgpr_spill_count: 0
    .wavefront_size: 32
    .workgroup_processor_mode: 1
  - .args:
      - .address_space:  global
        .offset:         0
        .size:           8
        .value_kind:     global_buffer
      - .address_space:  global
        .offset:         8
        .size:           8
        .value_kind:     global_buffer
      - .offset:         16
        .size:           4
        .value_kind:     by_value
      - .offset:         20
        .size:           4
        .value_kind:     by_value
      - .offset:         24
        .size:           4
        .value_kind:     by_value
      - .address_space:  global
        .offset:         32
        .size:           8
        .value_kind:     global_buffer
      - .offset:         40
        .size:           4
        .value_kind:     by_value
      - .offset:         44
        .size:           1
        .value_kind:     by_value
      - .offset:         48
        .size:           4
        .value_kind:     hidden_block_count_x
      - .offset:         52
        .size:           4
        .value_kind:     hidden_block_count_y
      - .offset:         56
        .size:           4
        .value_kind:     hidden_block_count_z
      - .offset:         60
        .size:           2
        .value_kind:     hidden_group_size_x
      - .offset:         62
        .size:           2
        .value_kind:     hidden_group_size_y
      - .offset:         64
        .size:           2
        .value_kind:     hidden_group_size_z
      - .offset:         66
        .size:           2
        .value_kind:     hidden_remainder_x
      - .offset:         68
        .size:           2
        .value_kind:     hidden_remainder_y
      - .offset:         70
        .size:           2
        .value_kind:     hidden_remainder_z
      - .offset:         88
        .size:           8
        .value_kind:     hidden_global_offset_x
      - .offset:         96
        .size:           8
        .value_kind:     hidden_global_offset_y
      - .offset:         104
        .size:           8
        .value_kind:     hidden_global_offset_z
      - .offset:         112
        .size:           2
        .value_kind:     hidden_grid_dims
    .group_segment_fixed_size: 0
    .kernarg_segment_align: 8
    .kernarg_segment_size: 304
    .language:       OpenCL C
    .language_version:
      - 2
      - 0
    .max_flat_workgroup_size: 1024
    .name:           _ZN12_GLOBAL__N_120softmax_warp_forwardIN3c104HalfEffLi7ELb1ELb0ELi32EEEvPT0_PKT_iiiPKbib
    .private_segment_fixed_size: 0
    .sgpr_count:     18
    .sgpr_spill_count: 0
    .symbol:         _ZN12_GLOBAL__N_120softmax_warp_forwardIN3c104HalfEffLi7ELb1ELb0ELi32EEEvPT0_PKT_iiiPKbib.kd
    .uniform_work_group_size: 1
    .uses_dynamic_stack: false
    .vgpr_count:     40
    .vgpr_spill_count: 0
    .wavefront_size: 32
    .workgroup_processor_mode: 1
  - .args:
      - .address_space:  global
        .offset:         0
        .size:           8
        .value_kind:     global_buffer
      - .address_space:  global
        .offset:         8
        .size:           8
        .value_kind:     global_buffer
      - .offset:         16
        .size:           4
        .value_kind:     by_value
      - .offset:         20
        .size:           4
        .value_kind:     by_value
      - .offset:         24
        .size:           4
        .value_kind:     by_value
      - .address_space:  global
        .offset:         32
        .size:           8
        .value_kind:     global_buffer
      - .offset:         40
        .size:           4
        .value_kind:     by_value
      - .offset:         44
        .size:           1
        .value_kind:     by_value
      - .offset:         48
        .size:           4
        .value_kind:     hidden_block_count_x
      - .offset:         52
        .size:           4
        .value_kind:     hidden_block_count_y
      - .offset:         56
        .size:           4
        .value_kind:     hidden_block_count_z
      - .offset:         60
        .size:           2
        .value_kind:     hidden_group_size_x
      - .offset:         62
        .size:           2
        .value_kind:     hidden_group_size_y
      - .offset:         64
        .size:           2
        .value_kind:     hidden_group_size_z
      - .offset:         66
        .size:           2
        .value_kind:     hidden_remainder_x
      - .offset:         68
        .size:           2
        .value_kind:     hidden_remainder_y
      - .offset:         70
        .size:           2
        .value_kind:     hidden_remainder_z
      - .offset:         88
        .size:           8
        .value_kind:     hidden_global_offset_x
      - .offset:         96
        .size:           8
        .value_kind:     hidden_global_offset_y
      - .offset:         104
        .size:           8
        .value_kind:     hidden_global_offset_z
      - .offset:         112
        .size:           2
        .value_kind:     hidden_grid_dims
    .group_segment_fixed_size: 0
    .kernarg_segment_align: 8
    .kernarg_segment_size: 304
    .language:       OpenCL C
    .language_version:
      - 2
      - 0
    .max_flat_workgroup_size: 1024
    .name:           _ZN12_GLOBAL__N_120softmax_warp_forwardIN3c104HalfEffLi8ELb1ELb0ELi64EEEvPT0_PKT_iiiPKbib
    .private_segment_fixed_size: 0
    .sgpr_count:     18
    .sgpr_spill_count: 0
    .symbol:         _ZN12_GLOBAL__N_120softmax_warp_forwardIN3c104HalfEffLi8ELb1ELb0ELi64EEEvPT0_PKT_iiiPKbib.kd
    .uniform_work_group_size: 1
    .uses_dynamic_stack: false
    .vgpr_count:     24
    .vgpr_spill_count: 0
    .wavefront_size: 32
    .workgroup_processor_mode: 1
  - .args:
      - .address_space:  global
        .offset:         0
        .size:           8
        .value_kind:     global_buffer
      - .address_space:  global
        .offset:         8
        .size:           8
        .value_kind:     global_buffer
      - .offset:         16
        .size:           4
        .value_kind:     by_value
      - .offset:         20
        .size:           4
        .value_kind:     by_value
      - .offset:         24
        .size:           4
        .value_kind:     by_value
      - .address_space:  global
        .offset:         32
        .size:           8
        .value_kind:     global_buffer
      - .offset:         40
        .size:           4
        .value_kind:     by_value
      - .offset:         44
        .size:           1
        .value_kind:     by_value
      - .offset:         48
        .size:           4
        .value_kind:     hidden_block_count_x
      - .offset:         52
        .size:           4
        .value_kind:     hidden_block_count_y
      - .offset:         56
        .size:           4
        .value_kind:     hidden_block_count_z
      - .offset:         60
        .size:           2
        .value_kind:     hidden_group_size_x
      - .offset:         62
        .size:           2
        .value_kind:     hidden_group_size_y
      - .offset:         64
        .size:           2
        .value_kind:     hidden_group_size_z
      - .offset:         66
        .size:           2
        .value_kind:     hidden_remainder_x
      - .offset:         68
        .size:           2
        .value_kind:     hidden_remainder_y
      - .offset:         70
        .size:           2
        .value_kind:     hidden_remainder_z
      - .offset:         88
        .size:           8
        .value_kind:     hidden_global_offset_x
      - .offset:         96
        .size:           8
        .value_kind:     hidden_global_offset_y
      - .offset:         104
        .size:           8
        .value_kind:     hidden_global_offset_z
      - .offset:         112
        .size:           2
        .value_kind:     hidden_grid_dims
    .group_segment_fixed_size: 0
    .kernarg_segment_align: 8
    .kernarg_segment_size: 304
    .language:       OpenCL C
    .language_version:
      - 2
      - 0
    .max_flat_workgroup_size: 1024
    .name:           _ZN12_GLOBAL__N_120softmax_warp_forwardIN3c104HalfEffLi8ELb1ELb0ELi32EEEvPT0_PKT_iiiPKbib
    .private_segment_fixed_size: 0
    .sgpr_count:     18
    .sgpr_spill_count: 0
    .symbol:         _ZN12_GLOBAL__N_120softmax_warp_forwardIN3c104HalfEffLi8ELb1ELb0ELi32EEEvPT0_PKT_iiiPKbib.kd
    .uniform_work_group_size: 1
    .uses_dynamic_stack: false
    .vgpr_count:     40
    .vgpr_spill_count: 0
    .wavefront_size: 32
    .workgroup_processor_mode: 1
  - .args:
      - .address_space:  global
        .offset:         0
        .size:           8
        .value_kind:     global_buffer
      - .address_space:  global
        .offset:         8
        .size:           8
        .value_kind:     global_buffer
      - .offset:         16
        .size:           4
        .value_kind:     by_value
      - .offset:         20
        .size:           4
        .value_kind:     by_value
      - .offset:         24
        .size:           4
        .value_kind:     by_value
      - .address_space:  global
        .offset:         32
        .size:           8
        .value_kind:     global_buffer
      - .offset:         40
        .size:           4
        .value_kind:     by_value
      - .offset:         44
        .size:           1
        .value_kind:     by_value
      - .offset:         48
        .size:           4
        .value_kind:     hidden_block_count_x
      - .offset:         52
        .size:           4
        .value_kind:     hidden_block_count_y
      - .offset:         56
        .size:           4
        .value_kind:     hidden_block_count_z
      - .offset:         60
        .size:           2
        .value_kind:     hidden_group_size_x
      - .offset:         62
        .size:           2
        .value_kind:     hidden_group_size_y
      - .offset:         64
        .size:           2
        .value_kind:     hidden_group_size_z
      - .offset:         66
        .size:           2
        .value_kind:     hidden_remainder_x
      - .offset:         68
        .size:           2
        .value_kind:     hidden_remainder_y
      - .offset:         70
        .size:           2
        .value_kind:     hidden_remainder_z
      - .offset:         88
        .size:           8
        .value_kind:     hidden_global_offset_x
      - .offset:         96
        .size:           8
        .value_kind:     hidden_global_offset_y
      - .offset:         104
        .size:           8
        .value_kind:     hidden_global_offset_z
      - .offset:         112
        .size:           2
        .value_kind:     hidden_grid_dims
    .group_segment_fixed_size: 0
    .kernarg_segment_align: 8
    .kernarg_segment_size: 304
    .language:       OpenCL C
    .language_version:
      - 2
      - 0
    .max_flat_workgroup_size: 1024
    .name:           _ZN12_GLOBAL__N_120softmax_warp_forwardIN3c104HalfEffLi9ELb1ELb0ELi64EEEvPT0_PKT_iiiPKbib
    .private_segment_fixed_size: 0
    .sgpr_count:     18
    .sgpr_spill_count: 0
    .symbol:         _ZN12_GLOBAL__N_120softmax_warp_forwardIN3c104HalfEffLi9ELb1ELb0ELi64EEEvPT0_PKT_iiiPKbib.kd
    .uniform_work_group_size: 1
    .uses_dynamic_stack: false
    .vgpr_count:     41
    .vgpr_spill_count: 0
    .wavefront_size: 32
    .workgroup_processor_mode: 1
  - .args:
      - .address_space:  global
        .offset:         0
        .size:           8
        .value_kind:     global_buffer
      - .address_space:  global
        .offset:         8
        .size:           8
        .value_kind:     global_buffer
      - .offset:         16
        .size:           4
        .value_kind:     by_value
      - .offset:         20
        .size:           4
        .value_kind:     by_value
      - .offset:         24
        .size:           4
        .value_kind:     by_value
      - .address_space:  global
        .offset:         32
        .size:           8
        .value_kind:     global_buffer
      - .offset:         40
        .size:           4
        .value_kind:     by_value
      - .offset:         44
        .size:           1
        .value_kind:     by_value
      - .offset:         48
        .size:           4
        .value_kind:     hidden_block_count_x
      - .offset:         52
        .size:           4
        .value_kind:     hidden_block_count_y
      - .offset:         56
        .size:           4
        .value_kind:     hidden_block_count_z
      - .offset:         60
        .size:           2
        .value_kind:     hidden_group_size_x
      - .offset:         62
        .size:           2
        .value_kind:     hidden_group_size_y
      - .offset:         64
        .size:           2
        .value_kind:     hidden_group_size_z
      - .offset:         66
        .size:           2
        .value_kind:     hidden_remainder_x
      - .offset:         68
        .size:           2
        .value_kind:     hidden_remainder_y
      - .offset:         70
        .size:           2
        .value_kind:     hidden_remainder_z
      - .offset:         88
        .size:           8
        .value_kind:     hidden_global_offset_x
      - .offset:         96
        .size:           8
        .value_kind:     hidden_global_offset_y
      - .offset:         104
        .size:           8
        .value_kind:     hidden_global_offset_z
      - .offset:         112
        .size:           2
        .value_kind:     hidden_grid_dims
    .group_segment_fixed_size: 0
    .kernarg_segment_align: 8
    .kernarg_segment_size: 304
    .language:       OpenCL C
    .language_version:
      - 2
      - 0
    .max_flat_workgroup_size: 1024
    .name:           _ZN12_GLOBAL__N_120softmax_warp_forwardIN3c104HalfEffLi9ELb1ELb0ELi32EEEvPT0_PKT_iiiPKbib
    .private_segment_fixed_size: 0
    .sgpr_count:     26
    .sgpr_spill_count: 0
    .symbol:         _ZN12_GLOBAL__N_120softmax_warp_forwardIN3c104HalfEffLi9ELb1ELb0ELi32EEEvPT0_PKT_iiiPKbib.kd
    .uniform_work_group_size: 1
    .uses_dynamic_stack: false
    .vgpr_count:     62
    .vgpr_spill_count: 0
    .wavefront_size: 32
    .workgroup_processor_mode: 1
  - .args:
      - .address_space:  global
        .offset:         0
        .size:           8
        .value_kind:     global_buffer
      - .address_space:  global
        .offset:         8
        .size:           8
        .value_kind:     global_buffer
      - .offset:         16
        .size:           4
        .value_kind:     by_value
      - .offset:         20
        .size:           4
        .value_kind:     by_value
      - .offset:         24
        .size:           4
        .value_kind:     by_value
      - .address_space:  global
        .offset:         32
        .size:           8
        .value_kind:     global_buffer
      - .offset:         40
        .size:           4
        .value_kind:     by_value
      - .offset:         44
        .size:           1
        .value_kind:     by_value
      - .offset:         48
        .size:           4
        .value_kind:     hidden_block_count_x
      - .offset:         52
        .size:           4
        .value_kind:     hidden_block_count_y
      - .offset:         56
        .size:           4
        .value_kind:     hidden_block_count_z
      - .offset:         60
        .size:           2
        .value_kind:     hidden_group_size_x
      - .offset:         62
        .size:           2
        .value_kind:     hidden_group_size_y
      - .offset:         64
        .size:           2
        .value_kind:     hidden_group_size_z
      - .offset:         66
        .size:           2
        .value_kind:     hidden_remainder_x
      - .offset:         68
        .size:           2
        .value_kind:     hidden_remainder_y
      - .offset:         70
        .size:           2
        .value_kind:     hidden_remainder_z
      - .offset:         88
        .size:           8
        .value_kind:     hidden_global_offset_x
      - .offset:         96
        .size:           8
        .value_kind:     hidden_global_offset_y
      - .offset:         104
        .size:           8
        .value_kind:     hidden_global_offset_z
      - .offset:         112
        .size:           2
        .value_kind:     hidden_grid_dims
    .group_segment_fixed_size: 0
    .kernarg_segment_align: 8
    .kernarg_segment_size: 304
    .language:       OpenCL C
    .language_version:
      - 2
      - 0
    .max_flat_workgroup_size: 1024
    .name:           _ZN12_GLOBAL__N_120softmax_warp_forwardIN3c104HalfEffLi10ELb1ELb0ELi64EEEvPT0_PKT_iiiPKbib
    .private_segment_fixed_size: 0
    .sgpr_count:     26
    .sgpr_spill_count: 0
    .symbol:         _ZN12_GLOBAL__N_120softmax_warp_forwardIN3c104HalfEffLi10ELb1ELb0ELi64EEEvPT0_PKT_iiiPKbib.kd
    .uniform_work_group_size: 1
    .uses_dynamic_stack: false
    .vgpr_count:     62
    .vgpr_spill_count: 0
    .wavefront_size: 32
    .workgroup_processor_mode: 1
  - .args:
      - .address_space:  global
        .offset:         0
        .size:           8
        .value_kind:     global_buffer
      - .address_space:  global
        .offset:         8
        .size:           8
        .value_kind:     global_buffer
      - .offset:         16
        .size:           4
        .value_kind:     by_value
      - .offset:         20
        .size:           4
        .value_kind:     by_value
      - .offset:         24
        .size:           4
        .value_kind:     by_value
      - .address_space:  global
        .offset:         32
        .size:           8
        .value_kind:     global_buffer
      - .offset:         40
        .size:           4
        .value_kind:     by_value
      - .offset:         44
        .size:           1
        .value_kind:     by_value
      - .offset:         48
        .size:           4
        .value_kind:     hidden_block_count_x
      - .offset:         52
        .size:           4
        .value_kind:     hidden_block_count_y
      - .offset:         56
        .size:           4
        .value_kind:     hidden_block_count_z
      - .offset:         60
        .size:           2
        .value_kind:     hidden_group_size_x
      - .offset:         62
        .size:           2
        .value_kind:     hidden_group_size_y
      - .offset:         64
        .size:           2
        .value_kind:     hidden_group_size_z
      - .offset:         66
        .size:           2
        .value_kind:     hidden_remainder_x
      - .offset:         68
        .size:           2
        .value_kind:     hidden_remainder_y
      - .offset:         70
        .size:           2
        .value_kind:     hidden_remainder_z
      - .offset:         88
        .size:           8
        .value_kind:     hidden_global_offset_x
      - .offset:         96
        .size:           8
        .value_kind:     hidden_global_offset_y
      - .offset:         104
        .size:           8
        .value_kind:     hidden_global_offset_z
      - .offset:         112
        .size:           2
        .value_kind:     hidden_grid_dims
    .group_segment_fixed_size: 0
    .kernarg_segment_align: 8
    .kernarg_segment_size: 304
    .language:       OpenCL C
    .language_version:
      - 2
      - 0
    .max_flat_workgroup_size: 1024
    .name:           _ZN12_GLOBAL__N_120softmax_warp_forwardIN3c104HalfEffLi10ELb1ELb0ELi32EEEvPT0_PKT_iiiPKbib
    .private_segment_fixed_size: 0
    .sgpr_count:     46
    .sgpr_spill_count: 0
    .symbol:         _ZN12_GLOBAL__N_120softmax_warp_forwardIN3c104HalfEffLi10ELb1ELb0ELi32EEEvPT0_PKT_iiiPKbib.kd
    .uniform_work_group_size: 1
    .uses_dynamic_stack: false
    .vgpr_count:     45
    .vgpr_spill_count: 0
    .wavefront_size: 32
    .workgroup_processor_mode: 1
  - .args:
      - .address_space:  global
        .offset:         0
        .size:           8
        .value_kind:     global_buffer
      - .address_space:  global
        .offset:         8
        .size:           8
        .value_kind:     global_buffer
      - .offset:         16
        .size:           4
        .value_kind:     by_value
      - .offset:         20
        .size:           4
        .value_kind:     by_value
      - .offset:         24
        .size:           4
        .value_kind:     by_value
      - .address_space:  global
        .offset:         32
        .size:           8
        .value_kind:     global_buffer
      - .offset:         40
        .size:           4
        .value_kind:     by_value
      - .offset:         44
        .size:           1
        .value_kind:     by_value
      - .offset:         48
        .size:           4
        .value_kind:     hidden_block_count_x
      - .offset:         52
        .size:           4
        .value_kind:     hidden_block_count_y
      - .offset:         56
        .size:           4
        .value_kind:     hidden_block_count_z
      - .offset:         60
        .size:           2
        .value_kind:     hidden_group_size_x
      - .offset:         62
        .size:           2
        .value_kind:     hidden_group_size_y
      - .offset:         64
        .size:           2
        .value_kind:     hidden_group_size_z
      - .offset:         66
        .size:           2
        .value_kind:     hidden_remainder_x
      - .offset:         68
        .size:           2
        .value_kind:     hidden_remainder_y
      - .offset:         70
        .size:           2
        .value_kind:     hidden_remainder_z
      - .offset:         88
        .size:           8
        .value_kind:     hidden_global_offset_x
      - .offset:         96
        .size:           8
        .value_kind:     hidden_global_offset_y
      - .offset:         104
        .size:           8
        .value_kind:     hidden_global_offset_z
      - .offset:         112
        .size:           2
        .value_kind:     hidden_grid_dims
    .group_segment_fixed_size: 0
    .kernarg_segment_align: 8
    .kernarg_segment_size: 304
    .language:       OpenCL C
    .language_version:
      - 2
      - 0
    .max_flat_workgroup_size: 1024
    .name:           _ZN12_GLOBAL__N_120softmax_warp_forwardIN3c104HalfEffLi11ELb1ELb0ELi64EEEvPT0_PKT_iiiPKbib
    .private_segment_fixed_size: 0
    .sgpr_count:     46
    .sgpr_spill_count: 0
    .symbol:         _ZN12_GLOBAL__N_120softmax_warp_forwardIN3c104HalfEffLi11ELb1ELb0ELi64EEEvPT0_PKT_iiiPKbib.kd
    .uniform_work_group_size: 1
    .uses_dynamic_stack: false
    .vgpr_count:     46
    .vgpr_spill_count: 0
    .wavefront_size: 32
    .workgroup_processor_mode: 1
  - .args:
      - .address_space:  global
        .offset:         0
        .size:           8
        .value_kind:     global_buffer
      - .address_space:  global
        .offset:         8
        .size:           8
        .value_kind:     global_buffer
      - .offset:         16
        .size:           4
        .value_kind:     by_value
      - .offset:         20
        .size:           4
        .value_kind:     by_value
      - .offset:         24
        .size:           4
        .value_kind:     by_value
      - .address_space:  global
        .offset:         32
        .size:           8
        .value_kind:     global_buffer
      - .offset:         40
        .size:           4
        .value_kind:     by_value
      - .offset:         44
        .size:           1
        .value_kind:     by_value
      - .offset:         48
        .size:           4
        .value_kind:     hidden_block_count_x
      - .offset:         52
        .size:           4
        .value_kind:     hidden_block_count_y
      - .offset:         56
        .size:           4
        .value_kind:     hidden_block_count_z
      - .offset:         60
        .size:           2
        .value_kind:     hidden_group_size_x
      - .offset:         62
        .size:           2
        .value_kind:     hidden_group_size_y
      - .offset:         64
        .size:           2
        .value_kind:     hidden_group_size_z
      - .offset:         66
        .size:           2
        .value_kind:     hidden_remainder_x
      - .offset:         68
        .size:           2
        .value_kind:     hidden_remainder_y
      - .offset:         70
        .size:           2
        .value_kind:     hidden_remainder_z
      - .offset:         88
        .size:           8
        .value_kind:     hidden_global_offset_x
      - .offset:         96
        .size:           8
        .value_kind:     hidden_global_offset_y
      - .offset:         104
        .size:           8
        .value_kind:     hidden_global_offset_z
      - .offset:         112
        .size:           2
        .value_kind:     hidden_grid_dims
    .group_segment_fixed_size: 0
    .kernarg_segment_align: 8
    .kernarg_segment_size: 304
    .language:       OpenCL C
    .language_version:
      - 2
      - 0
    .max_flat_workgroup_size: 1024
    .name:           _ZN12_GLOBAL__N_120softmax_warp_forwardIN3c104HalfEffLi11ELb1ELb0ELi32EEEvPT0_PKT_iiiPKbib
    .private_segment_fixed_size: 0
    .sgpr_count:     78
    .sgpr_spill_count: 0
    .symbol:         _ZN12_GLOBAL__N_120softmax_warp_forwardIN3c104HalfEffLi11ELb1ELb0ELi32EEEvPT0_PKT_iiiPKbib.kd
    .uniform_work_group_size: 1
    .uses_dynamic_stack: false
    .vgpr_count:     77
    .vgpr_spill_count: 0
    .wavefront_size: 32
    .workgroup_processor_mode: 1
  - .args:
      - .address_space:  global
        .offset:         0
        .size:           8
        .value_kind:     global_buffer
      - .address_space:  global
        .offset:         8
        .size:           8
        .value_kind:     global_buffer
      - .offset:         16
        .size:           8
        .value_kind:     by_value
      - .offset:         24
        .size:           4
        .value_kind:     hidden_block_count_x
      - .offset:         28
        .size:           4
        .value_kind:     hidden_block_count_y
      - .offset:         32
        .size:           4
        .value_kind:     hidden_block_count_z
      - .offset:         36
        .size:           2
        .value_kind:     hidden_group_size_x
      - .offset:         38
        .size:           2
        .value_kind:     hidden_group_size_y
      - .offset:         40
        .size:           2
        .value_kind:     hidden_group_size_z
      - .offset:         42
        .size:           2
        .value_kind:     hidden_remainder_x
      - .offset:         44
        .size:           2
        .value_kind:     hidden_remainder_y
      - .offset:         46
        .size:           2
        .value_kind:     hidden_remainder_z
      - .offset:         64
        .size:           8
        .value_kind:     hidden_global_offset_x
      - .offset:         72
        .size:           8
        .value_kind:     hidden_global_offset_y
      - .offset:         80
        .size:           8
        .value_kind:     hidden_global_offset_z
      - .offset:         88
        .size:           2
        .value_kind:     hidden_grid_dims
      - .offset:         144
        .size:           4
        .value_kind:     hidden_dynamic_lds_size
    .group_segment_fixed_size: 0
    .kernarg_segment_align: 8
    .kernarg_segment_size: 280
    .language:       OpenCL C
    .language_version:
      - 2
      - 0
    .max_flat_workgroup_size: 1024
    .name:           _ZN2at6native12_GLOBAL__N_123cunn_SoftMaxForwardSmemILi8EN3c104HalfEffNS1_25LogSoftMaxForwardEpilogueElEEvPT2_PKT0_T4_
    .private_segment_fixed_size: 0
    .sgpr_count:     19
    .sgpr_spill_count: 0
    .symbol:         _ZN2at6native12_GLOBAL__N_123cunn_SoftMaxForwardSmemILi8EN3c104HalfEffNS1_25LogSoftMaxForwardEpilogueElEEvPT2_PKT0_T4_.kd
    .uniform_work_group_size: 1
    .uses_dynamic_stack: false
    .vgpr_count:     49
    .vgpr_spill_count: 0
    .wavefront_size: 32
    .workgroup_processor_mode: 1
  - .args:
      - .address_space:  global
        .offset:         0
        .size:           8
        .value_kind:     global_buffer
      - .address_space:  global
        .offset:         8
        .size:           8
        .value_kind:     global_buffer
      - .offset:         16
        .size:           4
        .value_kind:     by_value
      - .offset:         24
        .size:           4
        .value_kind:     hidden_block_count_x
      - .offset:         28
        .size:           4
        .value_kind:     hidden_block_count_y
      - .offset:         32
        .size:           4
        .value_kind:     hidden_block_count_z
      - .offset:         36
        .size:           2
        .value_kind:     hidden_group_size_x
      - .offset:         38
        .size:           2
        .value_kind:     hidden_group_size_y
      - .offset:         40
        .size:           2
        .value_kind:     hidden_group_size_z
      - .offset:         42
        .size:           2
        .value_kind:     hidden_remainder_x
      - .offset:         44
        .size:           2
        .value_kind:     hidden_remainder_y
      - .offset:         46
        .size:           2
        .value_kind:     hidden_remainder_z
      - .offset:         64
        .size:           8
        .value_kind:     hidden_global_offset_x
      - .offset:         72
        .size:           8
        .value_kind:     hidden_global_offset_y
      - .offset:         80
        .size:           8
        .value_kind:     hidden_global_offset_z
      - .offset:         88
        .size:           2
        .value_kind:     hidden_grid_dims
      - .offset:         144
        .size:           4
        .value_kind:     hidden_dynamic_lds_size
    .group_segment_fixed_size: 0
    .kernarg_segment_align: 8
    .kernarg_segment_size: 280
    .language:       OpenCL C
    .language_version:
      - 2
      - 0
    .max_flat_workgroup_size: 1024
    .name:           _ZN2at6native12_GLOBAL__N_119cunn_SoftMaxForwardILi8EN3c104HalfEffNS1_25LogSoftMaxForwardEpilogueEEEvPT2_PKT0_i
    .private_segment_fixed_size: 0
    .sgpr_count:     23
    .sgpr_spill_count: 0
    .symbol:         _ZN2at6native12_GLOBAL__N_119cunn_SoftMaxForwardILi8EN3c104HalfEffNS1_25LogSoftMaxForwardEpilogueEEEvPT2_PKT0_i.kd
    .uniform_work_group_size: 1
    .uses_dynamic_stack: false
    .vgpr_count:     46
    .vgpr_spill_count: 0
    .wavefront_size: 32
    .workgroup_processor_mode: 1
  - .args:
      - .address_space:  global
        .offset:         0
        .size:           8
        .value_kind:     global_buffer
      - .address_space:  global
        .offset:         8
        .size:           8
        .value_kind:     global_buffer
      - .offset:         16
        .size:           4
        .value_kind:     by_value
      - .offset:         20
        .size:           4
        .value_kind:     by_value
      - .offset:         24
        .size:           4
        .value_kind:     by_value
      - .address_space:  global
        .offset:         32
        .size:           8
        .value_kind:     global_buffer
      - .offset:         40
        .size:           4
        .value_kind:     by_value
      - .offset:         44
        .size:           1
        .value_kind:     by_value
      - .offset:         48
        .size:           4
        .value_kind:     hidden_block_count_x
      - .offset:         52
        .size:           4
        .value_kind:     hidden_block_count_y
      - .offset:         56
        .size:           4
        .value_kind:     hidden_block_count_z
      - .offset:         60
        .size:           2
        .value_kind:     hidden_group_size_x
      - .offset:         62
        .size:           2
        .value_kind:     hidden_group_size_y
      - .offset:         64
        .size:           2
        .value_kind:     hidden_group_size_z
      - .offset:         66
        .size:           2
        .value_kind:     hidden_remainder_x
      - .offset:         68
        .size:           2
        .value_kind:     hidden_remainder_y
      - .offset:         70
        .size:           2
        .value_kind:     hidden_remainder_z
      - .offset:         88
        .size:           8
        .value_kind:     hidden_global_offset_x
      - .offset:         96
        .size:           8
        .value_kind:     hidden_global_offset_y
      - .offset:         104
        .size:           8
        .value_kind:     hidden_global_offset_z
      - .offset:         112
        .size:           2
        .value_kind:     hidden_grid_dims
    .group_segment_fixed_size: 0
    .kernarg_segment_align: 8
    .kernarg_segment_size: 304
    .language:       OpenCL C
    .language_version:
      - 2
      - 0
    .max_flat_workgroup_size: 1024
    .name:           _ZN12_GLOBAL__N_120softmax_warp_forwardIN3c108BFloat16ES2_fLi0ELb1ELb0ELi64EEEvPT0_PKT_iiiPKbib
    .private_segment_fixed_size: 0
    .sgpr_count:     18
    .sgpr_spill_count: 0
    .symbol:         _ZN12_GLOBAL__N_120softmax_warp_forwardIN3c108BFloat16ES2_fLi0ELb1ELb0ELi64EEEvPT0_PKT_iiiPKbib.kd
    .uniform_work_group_size: 1
    .uses_dynamic_stack: false
    .vgpr_count:     8
    .vgpr_spill_count: 0
    .wavefront_size: 32
    .workgroup_processor_mode: 1
  - .args:
      - .address_space:  global
        .offset:         0
        .size:           8
        .value_kind:     global_buffer
      - .address_space:  global
        .offset:         8
        .size:           8
        .value_kind:     global_buffer
      - .offset:         16
        .size:           4
        .value_kind:     by_value
      - .offset:         20
        .size:           4
        .value_kind:     by_value
      - .offset:         24
        .size:           4
        .value_kind:     by_value
      - .address_space:  global
        .offset:         32
        .size:           8
        .value_kind:     global_buffer
      - .offset:         40
        .size:           4
        .value_kind:     by_value
      - .offset:         44
        .size:           1
        .value_kind:     by_value
      - .offset:         48
        .size:           4
        .value_kind:     hidden_block_count_x
      - .offset:         52
        .size:           4
        .value_kind:     hidden_block_count_y
      - .offset:         56
        .size:           4
        .value_kind:     hidden_block_count_z
      - .offset:         60
        .size:           2
        .value_kind:     hidden_group_size_x
      - .offset:         62
        .size:           2
        .value_kind:     hidden_group_size_y
      - .offset:         64
        .size:           2
        .value_kind:     hidden_group_size_z
      - .offset:         66
        .size:           2
        .value_kind:     hidden_remainder_x
      - .offset:         68
        .size:           2
        .value_kind:     hidden_remainder_y
      - .offset:         70
        .size:           2
        .value_kind:     hidden_remainder_z
      - .offset:         88
        .size:           8
        .value_kind:     hidden_global_offset_x
      - .offset:         96
        .size:           8
        .value_kind:     hidden_global_offset_y
      - .offset:         104
        .size:           8
        .value_kind:     hidden_global_offset_z
      - .offset:         112
        .size:           2
        .value_kind:     hidden_grid_dims
    .group_segment_fixed_size: 0
    .kernarg_segment_align: 8
    .kernarg_segment_size: 304
    .language:       OpenCL C
    .language_version:
      - 2
      - 0
    .max_flat_workgroup_size: 1024
    .name:           _ZN12_GLOBAL__N_120softmax_warp_forwardIN3c108BFloat16ES2_fLi0ELb1ELb0ELi32EEEvPT0_PKT_iiiPKbib
    .private_segment_fixed_size: 0
    .sgpr_count:     18
    .sgpr_spill_count: 0
    .symbol:         _ZN12_GLOBAL__N_120softmax_warp_forwardIN3c108BFloat16ES2_fLi0ELb1ELb0ELi32EEEvPT0_PKT_iiiPKbib.kd
    .uniform_work_group_size: 1
    .uses_dynamic_stack: false
    .vgpr_count:     8
    .vgpr_spill_count: 0
    .wavefront_size: 32
    .workgroup_processor_mode: 1
  - .args:
      - .address_space:  global
        .offset:         0
        .size:           8
        .value_kind:     global_buffer
      - .address_space:  global
        .offset:         8
        .size:           8
        .value_kind:     global_buffer
      - .offset:         16
        .size:           4
        .value_kind:     by_value
      - .offset:         20
        .size:           4
        .value_kind:     by_value
      - .offset:         24
        .size:           4
        .value_kind:     by_value
      - .address_space:  global
        .offset:         32
        .size:           8
        .value_kind:     global_buffer
      - .offset:         40
        .size:           4
        .value_kind:     by_value
      - .offset:         44
        .size:           1
        .value_kind:     by_value
      - .offset:         48
        .size:           4
        .value_kind:     hidden_block_count_x
      - .offset:         52
        .size:           4
        .value_kind:     hidden_block_count_y
      - .offset:         56
        .size:           4
        .value_kind:     hidden_block_count_z
      - .offset:         60
        .size:           2
        .value_kind:     hidden_group_size_x
      - .offset:         62
        .size:           2
        .value_kind:     hidden_group_size_y
      - .offset:         64
        .size:           2
        .value_kind:     hidden_group_size_z
      - .offset:         66
        .size:           2
        .value_kind:     hidden_remainder_x
      - .offset:         68
        .size:           2
        .value_kind:     hidden_remainder_y
      - .offset:         70
        .size:           2
        .value_kind:     hidden_remainder_z
      - .offset:         88
        .size:           8
        .value_kind:     hidden_global_offset_x
      - .offset:         96
        .size:           8
        .value_kind:     hidden_global_offset_y
      - .offset:         104
        .size:           8
        .value_kind:     hidden_global_offset_z
      - .offset:         112
        .size:           2
        .value_kind:     hidden_grid_dims
    .group_segment_fixed_size: 0
    .kernarg_segment_align: 8
    .kernarg_segment_size: 304
    .language:       OpenCL C
    .language_version:
      - 2
      - 0
    .max_flat_workgroup_size: 1024
    .name:           _ZN12_GLOBAL__N_120softmax_warp_forwardIN3c108BFloat16ES2_fLi1ELb1ELb0ELi64EEEvPT0_PKT_iiiPKbib
    .private_segment_fixed_size: 0
    .sgpr_count:     18
    .sgpr_spill_count: 0
    .symbol:         _ZN12_GLOBAL__N_120softmax_warp_forwardIN3c108BFloat16ES2_fLi1ELb1ELb0ELi64EEEvPT0_PKT_iiiPKbib.kd
    .uniform_work_group_size: 1
    .uses_dynamic_stack: false
    .vgpr_count:     12
    .vgpr_spill_count: 0
    .wavefront_size: 32
    .workgroup_processor_mode: 1
  - .args:
      - .address_space:  global
        .offset:         0
        .size:           8
        .value_kind:     global_buffer
      - .address_space:  global
        .offset:         8
        .size:           8
        .value_kind:     global_buffer
      - .offset:         16
        .size:           4
        .value_kind:     by_value
      - .offset:         20
        .size:           4
        .value_kind:     by_value
      - .offset:         24
        .size:           4
        .value_kind:     by_value
      - .address_space:  global
        .offset:         32
        .size:           8
        .value_kind:     global_buffer
      - .offset:         40
        .size:           4
        .value_kind:     by_value
      - .offset:         44
        .size:           1
        .value_kind:     by_value
      - .offset:         48
        .size:           4
        .value_kind:     hidden_block_count_x
      - .offset:         52
        .size:           4
        .value_kind:     hidden_block_count_y
      - .offset:         56
        .size:           4
        .value_kind:     hidden_block_count_z
      - .offset:         60
        .size:           2
        .value_kind:     hidden_group_size_x
      - .offset:         62
        .size:           2
        .value_kind:     hidden_group_size_y
      - .offset:         64
        .size:           2
        .value_kind:     hidden_group_size_z
      - .offset:         66
        .size:           2
        .value_kind:     hidden_remainder_x
      - .offset:         68
        .size:           2
        .value_kind:     hidden_remainder_y
      - .offset:         70
        .size:           2
        .value_kind:     hidden_remainder_z
      - .offset:         88
        .size:           8
        .value_kind:     hidden_global_offset_x
      - .offset:         96
        .size:           8
        .value_kind:     hidden_global_offset_y
      - .offset:         104
        .size:           8
        .value_kind:     hidden_global_offset_z
      - .offset:         112
        .size:           2
        .value_kind:     hidden_grid_dims
    .group_segment_fixed_size: 0
    .kernarg_segment_align: 8
    .kernarg_segment_size: 304
    .language:       OpenCL C
    .language_version:
      - 2
      - 0
    .max_flat_workgroup_size: 1024
    .name:           _ZN12_GLOBAL__N_120softmax_warp_forwardIN3c108BFloat16ES2_fLi1ELb1ELb0ELi32EEEvPT0_PKT_iiiPKbib
    .private_segment_fixed_size: 0
    .sgpr_count:     18
    .sgpr_spill_count: 0
    .symbol:         _ZN12_GLOBAL__N_120softmax_warp_forwardIN3c108BFloat16ES2_fLi1ELb1ELb0ELi32EEEvPT0_PKT_iiiPKbib.kd
    .uniform_work_group_size: 1
    .uses_dynamic_stack: false
    .vgpr_count:     12
    .vgpr_spill_count: 0
    .wavefront_size: 32
    .workgroup_processor_mode: 1
  - .args:
      - .address_space:  global
        .offset:         0
        .size:           8
        .value_kind:     global_buffer
      - .address_space:  global
        .offset:         8
        .size:           8
        .value_kind:     global_buffer
      - .offset:         16
        .size:           4
        .value_kind:     by_value
      - .offset:         20
        .size:           4
        .value_kind:     by_value
      - .offset:         24
        .size:           4
        .value_kind:     by_value
      - .address_space:  global
        .offset:         32
        .size:           8
        .value_kind:     global_buffer
      - .offset:         40
        .size:           4
        .value_kind:     by_value
      - .offset:         44
        .size:           1
        .value_kind:     by_value
      - .offset:         48
        .size:           4
        .value_kind:     hidden_block_count_x
      - .offset:         52
        .size:           4
        .value_kind:     hidden_block_count_y
      - .offset:         56
        .size:           4
        .value_kind:     hidden_block_count_z
      - .offset:         60
        .size:           2
        .value_kind:     hidden_group_size_x
      - .offset:         62
        .size:           2
        .value_kind:     hidden_group_size_y
      - .offset:         64
        .size:           2
        .value_kind:     hidden_group_size_z
      - .offset:         66
        .size:           2
        .value_kind:     hidden_remainder_x
      - .offset:         68
        .size:           2
        .value_kind:     hidden_remainder_y
      - .offset:         70
        .size:           2
        .value_kind:     hidden_remainder_z
      - .offset:         88
        .size:           8
        .value_kind:     hidden_global_offset_x
      - .offset:         96
        .size:           8
        .value_kind:     hidden_global_offset_y
      - .offset:         104
        .size:           8
        .value_kind:     hidden_global_offset_z
      - .offset:         112
        .size:           2
        .value_kind:     hidden_grid_dims
    .group_segment_fixed_size: 0
    .kernarg_segment_align: 8
    .kernarg_segment_size: 304
    .language:       OpenCL C
    .language_version:
      - 2
      - 0
    .max_flat_workgroup_size: 1024
    .name:           _ZN12_GLOBAL__N_120softmax_warp_forwardIN3c108BFloat16ES2_fLi2ELb1ELb0ELi64EEEvPT0_PKT_iiiPKbib
    .private_segment_fixed_size: 0
    .sgpr_count:     18
    .sgpr_spill_count: 0
    .symbol:         _ZN12_GLOBAL__N_120softmax_warp_forwardIN3c108BFloat16ES2_fLi2ELb1ELb0ELi64EEEvPT0_PKT_iiiPKbib.kd
    .uniform_work_group_size: 1
    .uses_dynamic_stack: false
    .vgpr_count:     13
    .vgpr_spill_count: 0
    .wavefront_size: 32
    .workgroup_processor_mode: 1
  - .args:
      - .address_space:  global
        .offset:         0
        .size:           8
        .value_kind:     global_buffer
      - .address_space:  global
        .offset:         8
        .size:           8
        .value_kind:     global_buffer
      - .offset:         16
        .size:           4
        .value_kind:     by_value
      - .offset:         20
        .size:           4
        .value_kind:     by_value
      - .offset:         24
        .size:           4
        .value_kind:     by_value
      - .address_space:  global
        .offset:         32
        .size:           8
        .value_kind:     global_buffer
      - .offset:         40
        .size:           4
        .value_kind:     by_value
      - .offset:         44
        .size:           1
        .value_kind:     by_value
      - .offset:         48
        .size:           4
        .value_kind:     hidden_block_count_x
      - .offset:         52
        .size:           4
        .value_kind:     hidden_block_count_y
      - .offset:         56
        .size:           4
        .value_kind:     hidden_block_count_z
      - .offset:         60
        .size:           2
        .value_kind:     hidden_group_size_x
      - .offset:         62
        .size:           2
        .value_kind:     hidden_group_size_y
      - .offset:         64
        .size:           2
        .value_kind:     hidden_group_size_z
      - .offset:         66
        .size:           2
        .value_kind:     hidden_remainder_x
      - .offset:         68
        .size:           2
        .value_kind:     hidden_remainder_y
      - .offset:         70
        .size:           2
        .value_kind:     hidden_remainder_z
      - .offset:         88
        .size:           8
        .value_kind:     hidden_global_offset_x
      - .offset:         96
        .size:           8
        .value_kind:     hidden_global_offset_y
      - .offset:         104
        .size:           8
        .value_kind:     hidden_global_offset_z
      - .offset:         112
        .size:           2
        .value_kind:     hidden_grid_dims
    .group_segment_fixed_size: 0
    .kernarg_segment_align: 8
    .kernarg_segment_size: 304
    .language:       OpenCL C
    .language_version:
      - 2
      - 0
    .max_flat_workgroup_size: 1024
    .name:           _ZN12_GLOBAL__N_120softmax_warp_forwardIN3c108BFloat16ES2_fLi2ELb1ELb0ELi32EEEvPT0_PKT_iiiPKbib
    .private_segment_fixed_size: 0
    .sgpr_count:     18
    .sgpr_spill_count: 0
    .symbol:         _ZN12_GLOBAL__N_120softmax_warp_forwardIN3c108BFloat16ES2_fLi2ELb1ELb0ELi32EEEvPT0_PKT_iiiPKbib.kd
    .uniform_work_group_size: 1
    .uses_dynamic_stack: false
    .vgpr_count:     13
    .vgpr_spill_count: 0
    .wavefront_size: 32
    .workgroup_processor_mode: 1
  - .args:
      - .address_space:  global
        .offset:         0
        .size:           8
        .value_kind:     global_buffer
      - .address_space:  global
        .offset:         8
        .size:           8
        .value_kind:     global_buffer
      - .offset:         16
        .size:           4
        .value_kind:     by_value
      - .offset:         20
        .size:           4
        .value_kind:     by_value
      - .offset:         24
        .size:           4
        .value_kind:     by_value
      - .address_space:  global
        .offset:         32
        .size:           8
        .value_kind:     global_buffer
      - .offset:         40
        .size:           4
        .value_kind:     by_value
      - .offset:         44
        .size:           1
        .value_kind:     by_value
      - .offset:         48
        .size:           4
        .value_kind:     hidden_block_count_x
      - .offset:         52
        .size:           4
        .value_kind:     hidden_block_count_y
      - .offset:         56
        .size:           4
        .value_kind:     hidden_block_count_z
      - .offset:         60
        .size:           2
        .value_kind:     hidden_group_size_x
      - .offset:         62
        .size:           2
        .value_kind:     hidden_group_size_y
      - .offset:         64
        .size:           2
        .value_kind:     hidden_group_size_z
      - .offset:         66
        .size:           2
        .value_kind:     hidden_remainder_x
      - .offset:         68
        .size:           2
        .value_kind:     hidden_remainder_y
      - .offset:         70
        .size:           2
        .value_kind:     hidden_remainder_z
      - .offset:         88
        .size:           8
        .value_kind:     hidden_global_offset_x
      - .offset:         96
        .size:           8
        .value_kind:     hidden_global_offset_y
      - .offset:         104
        .size:           8
        .value_kind:     hidden_global_offset_z
      - .offset:         112
        .size:           2
        .value_kind:     hidden_grid_dims
    .group_segment_fixed_size: 0
    .kernarg_segment_align: 8
    .kernarg_segment_size: 304
    .language:       OpenCL C
    .language_version:
      - 2
      - 0
    .max_flat_workgroup_size: 1024
    .name:           _ZN12_GLOBAL__N_120softmax_warp_forwardIN3c108BFloat16ES2_fLi3ELb1ELb0ELi64EEEvPT0_PKT_iiiPKbib
    .private_segment_fixed_size: 0
    .sgpr_count:     18
    .sgpr_spill_count: 0
    .symbol:         _ZN12_GLOBAL__N_120softmax_warp_forwardIN3c108BFloat16ES2_fLi3ELb1ELb0ELi64EEEvPT0_PKT_iiiPKbib.kd
    .uniform_work_group_size: 1
    .uses_dynamic_stack: false
    .vgpr_count:     14
    .vgpr_spill_count: 0
    .wavefront_size: 32
    .workgroup_processor_mode: 1
  - .args:
      - .address_space:  global
        .offset:         0
        .size:           8
        .value_kind:     global_buffer
      - .address_space:  global
        .offset:         8
        .size:           8
        .value_kind:     global_buffer
      - .offset:         16
        .size:           4
        .value_kind:     by_value
      - .offset:         20
        .size:           4
        .value_kind:     by_value
      - .offset:         24
        .size:           4
        .value_kind:     by_value
      - .address_space:  global
        .offset:         32
        .size:           8
        .value_kind:     global_buffer
      - .offset:         40
        .size:           4
        .value_kind:     by_value
      - .offset:         44
        .size:           1
        .value_kind:     by_value
      - .offset:         48
        .size:           4
        .value_kind:     hidden_block_count_x
      - .offset:         52
        .size:           4
        .value_kind:     hidden_block_count_y
      - .offset:         56
        .size:           4
        .value_kind:     hidden_block_count_z
      - .offset:         60
        .size:           2
        .value_kind:     hidden_group_size_x
      - .offset:         62
        .size:           2
        .value_kind:     hidden_group_size_y
      - .offset:         64
        .size:           2
        .value_kind:     hidden_group_size_z
      - .offset:         66
        .size:           2
        .value_kind:     hidden_remainder_x
      - .offset:         68
        .size:           2
        .value_kind:     hidden_remainder_y
      - .offset:         70
        .size:           2
        .value_kind:     hidden_remainder_z
      - .offset:         88
        .size:           8
        .value_kind:     hidden_global_offset_x
      - .offset:         96
        .size:           8
        .value_kind:     hidden_global_offset_y
      - .offset:         104
        .size:           8
        .value_kind:     hidden_global_offset_z
      - .offset:         112
        .size:           2
        .value_kind:     hidden_grid_dims
    .group_segment_fixed_size: 0
    .kernarg_segment_align: 8
    .kernarg_segment_size: 304
    .language:       OpenCL C
    .language_version:
      - 2
      - 0
    .max_flat_workgroup_size: 1024
    .name:           _ZN12_GLOBAL__N_120softmax_warp_forwardIN3c108BFloat16ES2_fLi3ELb1ELb0ELi32EEEvPT0_PKT_iiiPKbib
    .private_segment_fixed_size: 0
    .sgpr_count:     18
    .sgpr_spill_count: 0
    .symbol:         _ZN12_GLOBAL__N_120softmax_warp_forwardIN3c108BFloat16ES2_fLi3ELb1ELb0ELi32EEEvPT0_PKT_iiiPKbib.kd
    .uniform_work_group_size: 1
    .uses_dynamic_stack: false
    .vgpr_count:     14
    .vgpr_spill_count: 0
    .wavefront_size: 32
    .workgroup_processor_mode: 1
  - .args:
      - .address_space:  global
        .offset:         0
        .size:           8
        .value_kind:     global_buffer
      - .address_space:  global
        .offset:         8
        .size:           8
        .value_kind:     global_buffer
      - .offset:         16
        .size:           4
        .value_kind:     by_value
      - .offset:         20
        .size:           4
        .value_kind:     by_value
      - .offset:         24
        .size:           4
        .value_kind:     by_value
      - .address_space:  global
        .offset:         32
        .size:           8
        .value_kind:     global_buffer
      - .offset:         40
        .size:           4
        .value_kind:     by_value
      - .offset:         44
        .size:           1
        .value_kind:     by_value
      - .offset:         48
        .size:           4
        .value_kind:     hidden_block_count_x
      - .offset:         52
        .size:           4
        .value_kind:     hidden_block_count_y
      - .offset:         56
        .size:           4
        .value_kind:     hidden_block_count_z
      - .offset:         60
        .size:           2
        .value_kind:     hidden_group_size_x
      - .offset:         62
        .size:           2
        .value_kind:     hidden_group_size_y
      - .offset:         64
        .size:           2
        .value_kind:     hidden_group_size_z
      - .offset:         66
        .size:           2
        .value_kind:     hidden_remainder_x
      - .offset:         68
        .size:           2
        .value_kind:     hidden_remainder_y
      - .offset:         70
        .size:           2
        .value_kind:     hidden_remainder_z
      - .offset:         88
        .size:           8
        .value_kind:     hidden_global_offset_x
      - .offset:         96
        .size:           8
        .value_kind:     hidden_global_offset_y
      - .offset:         104
        .size:           8
        .value_kind:     hidden_global_offset_z
      - .offset:         112
        .size:           2
        .value_kind:     hidden_grid_dims
    .group_segment_fixed_size: 0
    .kernarg_segment_align: 8
    .kernarg_segment_size: 304
    .language:       OpenCL C
    .language_version:
      - 2
      - 0
    .max_flat_workgroup_size: 1024
    .name:           _ZN12_GLOBAL__N_120softmax_warp_forwardIN3c108BFloat16ES2_fLi4ELb1ELb0ELi64EEEvPT0_PKT_iiiPKbib
    .private_segment_fixed_size: 0
    .sgpr_count:     18
    .sgpr_spill_count: 0
    .symbol:         _ZN12_GLOBAL__N_120softmax_warp_forwardIN3c108BFloat16ES2_fLi4ELb1ELb0ELi64EEEvPT0_PKT_iiiPKbib.kd
    .uniform_work_group_size: 1
    .uses_dynamic_stack: false
    .vgpr_count:     15
    .vgpr_spill_count: 0
    .wavefront_size: 32
    .workgroup_processor_mode: 1
  - .args:
      - .address_space:  global
        .offset:         0
        .size:           8
        .value_kind:     global_buffer
      - .address_space:  global
        .offset:         8
        .size:           8
        .value_kind:     global_buffer
      - .offset:         16
        .size:           4
        .value_kind:     by_value
      - .offset:         20
        .size:           4
        .value_kind:     by_value
      - .offset:         24
        .size:           4
        .value_kind:     by_value
      - .address_space:  global
        .offset:         32
        .size:           8
        .value_kind:     global_buffer
      - .offset:         40
        .size:           4
        .value_kind:     by_value
      - .offset:         44
        .size:           1
        .value_kind:     by_value
      - .offset:         48
        .size:           4
        .value_kind:     hidden_block_count_x
      - .offset:         52
        .size:           4
        .value_kind:     hidden_block_count_y
      - .offset:         56
        .size:           4
        .value_kind:     hidden_block_count_z
      - .offset:         60
        .size:           2
        .value_kind:     hidden_group_size_x
      - .offset:         62
        .size:           2
        .value_kind:     hidden_group_size_y
      - .offset:         64
        .size:           2
        .value_kind:     hidden_group_size_z
      - .offset:         66
        .size:           2
        .value_kind:     hidden_remainder_x
      - .offset:         68
        .size:           2
        .value_kind:     hidden_remainder_y
      - .offset:         70
        .size:           2
        .value_kind:     hidden_remainder_z
      - .offset:         88
        .size:           8
        .value_kind:     hidden_global_offset_x
      - .offset:         96
        .size:           8
        .value_kind:     hidden_global_offset_y
      - .offset:         104
        .size:           8
        .value_kind:     hidden_global_offset_z
      - .offset:         112
        .size:           2
        .value_kind:     hidden_grid_dims
    .group_segment_fixed_size: 0
    .kernarg_segment_align: 8
    .kernarg_segment_size: 304
    .language:       OpenCL C
    .language_version:
      - 2
      - 0
    .max_flat_workgroup_size: 1024
    .name:           _ZN12_GLOBAL__N_120softmax_warp_forwardIN3c108BFloat16ES2_fLi4ELb1ELb0ELi32EEEvPT0_PKT_iiiPKbib
    .private_segment_fixed_size: 0
    .sgpr_count:     18
    .sgpr_spill_count: 0
    .symbol:         _ZN12_GLOBAL__N_120softmax_warp_forwardIN3c108BFloat16ES2_fLi4ELb1ELb0ELi32EEEvPT0_PKT_iiiPKbib.kd
    .uniform_work_group_size: 1
    .uses_dynamic_stack: false
    .vgpr_count:     15
    .vgpr_spill_count: 0
    .wavefront_size: 32
    .workgroup_processor_mode: 1
  - .args:
      - .address_space:  global
        .offset:         0
        .size:           8
        .value_kind:     global_buffer
      - .address_space:  global
        .offset:         8
        .size:           8
        .value_kind:     global_buffer
      - .offset:         16
        .size:           4
        .value_kind:     by_value
      - .offset:         20
        .size:           4
        .value_kind:     by_value
      - .offset:         24
        .size:           4
        .value_kind:     by_value
      - .address_space:  global
        .offset:         32
        .size:           8
        .value_kind:     global_buffer
      - .offset:         40
        .size:           4
        .value_kind:     by_value
      - .offset:         44
        .size:           1
        .value_kind:     by_value
      - .offset:         48
        .size:           4
        .value_kind:     hidden_block_count_x
      - .offset:         52
        .size:           4
        .value_kind:     hidden_block_count_y
      - .offset:         56
        .size:           4
        .value_kind:     hidden_block_count_z
      - .offset:         60
        .size:           2
        .value_kind:     hidden_group_size_x
      - .offset:         62
        .size:           2
        .value_kind:     hidden_group_size_y
      - .offset:         64
        .size:           2
        .value_kind:     hidden_group_size_z
      - .offset:         66
        .size:           2
        .value_kind:     hidden_remainder_x
      - .offset:         68
        .size:           2
        .value_kind:     hidden_remainder_y
      - .offset:         70
        .size:           2
        .value_kind:     hidden_remainder_z
      - .offset:         88
        .size:           8
        .value_kind:     hidden_global_offset_x
      - .offset:         96
        .size:           8
        .value_kind:     hidden_global_offset_y
      - .offset:         104
        .size:           8
        .value_kind:     hidden_global_offset_z
      - .offset:         112
        .size:           2
        .value_kind:     hidden_grid_dims
    .group_segment_fixed_size: 0
    .kernarg_segment_align: 8
    .kernarg_segment_size: 304
    .language:       OpenCL C
    .language_version:
      - 2
      - 0
    .max_flat_workgroup_size: 1024
    .name:           _ZN12_GLOBAL__N_120softmax_warp_forwardIN3c108BFloat16ES2_fLi5ELb1ELb0ELi64EEEvPT0_PKT_iiiPKbib
    .private_segment_fixed_size: 0
    .sgpr_count:     18
    .sgpr_spill_count: 0
    .symbol:         _ZN12_GLOBAL__N_120softmax_warp_forwardIN3c108BFloat16ES2_fLi5ELb1ELb0ELi64EEEvPT0_PKT_iiiPKbib.kd
    .uniform_work_group_size: 1
    .uses_dynamic_stack: false
    .vgpr_count:     16
    .vgpr_spill_count: 0
    .wavefront_size: 32
    .workgroup_processor_mode: 1
  - .args:
      - .address_space:  global
        .offset:         0
        .size:           8
        .value_kind:     global_buffer
      - .address_space:  global
        .offset:         8
        .size:           8
        .value_kind:     global_buffer
      - .offset:         16
        .size:           4
        .value_kind:     by_value
      - .offset:         20
        .size:           4
        .value_kind:     by_value
      - .offset:         24
        .size:           4
        .value_kind:     by_value
      - .address_space:  global
        .offset:         32
        .size:           8
        .value_kind:     global_buffer
      - .offset:         40
        .size:           4
        .value_kind:     by_value
      - .offset:         44
        .size:           1
        .value_kind:     by_value
      - .offset:         48
        .size:           4
        .value_kind:     hidden_block_count_x
      - .offset:         52
        .size:           4
        .value_kind:     hidden_block_count_y
      - .offset:         56
        .size:           4
        .value_kind:     hidden_block_count_z
      - .offset:         60
        .size:           2
        .value_kind:     hidden_group_size_x
      - .offset:         62
        .size:           2
        .value_kind:     hidden_group_size_y
      - .offset:         64
        .size:           2
        .value_kind:     hidden_group_size_z
      - .offset:         66
        .size:           2
        .value_kind:     hidden_remainder_x
      - .offset:         68
        .size:           2
        .value_kind:     hidden_remainder_y
      - .offset:         70
        .size:           2
        .value_kind:     hidden_remainder_z
      - .offset:         88
        .size:           8
        .value_kind:     hidden_global_offset_x
      - .offset:         96
        .size:           8
        .value_kind:     hidden_global_offset_y
      - .offset:         104
        .size:           8
        .value_kind:     hidden_global_offset_z
      - .offset:         112
        .size:           2
        .value_kind:     hidden_grid_dims
    .group_segment_fixed_size: 0
    .kernarg_segment_align: 8
    .kernarg_segment_size: 304
    .language:       OpenCL C
    .language_version:
      - 2
      - 0
    .max_flat_workgroup_size: 1024
    .name:           _ZN12_GLOBAL__N_120softmax_warp_forwardIN3c108BFloat16ES2_fLi5ELb1ELb0ELi32EEEvPT0_PKT_iiiPKbib
    .private_segment_fixed_size: 0
    .sgpr_count:     18
    .sgpr_spill_count: 0
    .symbol:         _ZN12_GLOBAL__N_120softmax_warp_forwardIN3c108BFloat16ES2_fLi5ELb1ELb0ELi32EEEvPT0_PKT_iiiPKbib.kd
    .uniform_work_group_size: 1
    .uses_dynamic_stack: false
    .vgpr_count:     16
    .vgpr_spill_count: 0
    .wavefront_size: 32
    .workgroup_processor_mode: 1
  - .args:
      - .address_space:  global
        .offset:         0
        .size:           8
        .value_kind:     global_buffer
      - .address_space:  global
        .offset:         8
        .size:           8
        .value_kind:     global_buffer
      - .offset:         16
        .size:           4
        .value_kind:     by_value
      - .offset:         20
        .size:           4
        .value_kind:     by_value
      - .offset:         24
        .size:           4
        .value_kind:     by_value
      - .address_space:  global
        .offset:         32
        .size:           8
        .value_kind:     global_buffer
      - .offset:         40
        .size:           4
        .value_kind:     by_value
      - .offset:         44
        .size:           1
        .value_kind:     by_value
      - .offset:         48
        .size:           4
        .value_kind:     hidden_block_count_x
      - .offset:         52
        .size:           4
        .value_kind:     hidden_block_count_y
      - .offset:         56
        .size:           4
        .value_kind:     hidden_block_count_z
      - .offset:         60
        .size:           2
        .value_kind:     hidden_group_size_x
      - .offset:         62
        .size:           2
        .value_kind:     hidden_group_size_y
      - .offset:         64
        .size:           2
        .value_kind:     hidden_group_size_z
      - .offset:         66
        .size:           2
        .value_kind:     hidden_remainder_x
      - .offset:         68
        .size:           2
        .value_kind:     hidden_remainder_y
      - .offset:         70
        .size:           2
        .value_kind:     hidden_remainder_z
      - .offset:         88
        .size:           8
        .value_kind:     hidden_global_offset_x
      - .offset:         96
        .size:           8
        .value_kind:     hidden_global_offset_y
      - .offset:         104
        .size:           8
        .value_kind:     hidden_global_offset_z
      - .offset:         112
        .size:           2
        .value_kind:     hidden_grid_dims
    .group_segment_fixed_size: 0
    .kernarg_segment_align: 8
    .kernarg_segment_size: 304
    .language:       OpenCL C
    .language_version:
      - 2
      - 0
    .max_flat_workgroup_size: 1024
    .name:           _ZN12_GLOBAL__N_120softmax_warp_forwardIN3c108BFloat16ES2_fLi6ELb1ELb0ELi64EEEvPT0_PKT_iiiPKbib
    .private_segment_fixed_size: 0
    .sgpr_count:     18
    .sgpr_spill_count: 0
    .symbol:         _ZN12_GLOBAL__N_120softmax_warp_forwardIN3c108BFloat16ES2_fLi6ELb1ELb0ELi64EEEvPT0_PKT_iiiPKbib.kd
    .uniform_work_group_size: 1
    .uses_dynamic_stack: false
    .vgpr_count:     17
    .vgpr_spill_count: 0
    .wavefront_size: 32
    .workgroup_processor_mode: 1
  - .args:
      - .address_space:  global
        .offset:         0
        .size:           8
        .value_kind:     global_buffer
      - .address_space:  global
        .offset:         8
        .size:           8
        .value_kind:     global_buffer
      - .offset:         16
        .size:           4
        .value_kind:     by_value
      - .offset:         20
        .size:           4
        .value_kind:     by_value
      - .offset:         24
        .size:           4
        .value_kind:     by_value
      - .address_space:  global
        .offset:         32
        .size:           8
        .value_kind:     global_buffer
      - .offset:         40
        .size:           4
        .value_kind:     by_value
      - .offset:         44
        .size:           1
        .value_kind:     by_value
      - .offset:         48
        .size:           4
        .value_kind:     hidden_block_count_x
      - .offset:         52
        .size:           4
        .value_kind:     hidden_block_count_y
      - .offset:         56
        .size:           4
        .value_kind:     hidden_block_count_z
      - .offset:         60
        .size:           2
        .value_kind:     hidden_group_size_x
      - .offset:         62
        .size:           2
        .value_kind:     hidden_group_size_y
      - .offset:         64
        .size:           2
        .value_kind:     hidden_group_size_z
      - .offset:         66
        .size:           2
        .value_kind:     hidden_remainder_x
      - .offset:         68
        .size:           2
        .value_kind:     hidden_remainder_y
      - .offset:         70
        .size:           2
        .value_kind:     hidden_remainder_z
      - .offset:         88
        .size:           8
        .value_kind:     hidden_global_offset_x
      - .offset:         96
        .size:           8
        .value_kind:     hidden_global_offset_y
      - .offset:         104
        .size:           8
        .value_kind:     hidden_global_offset_z
      - .offset:         112
        .size:           2
        .value_kind:     hidden_grid_dims
    .group_segment_fixed_size: 0
    .kernarg_segment_align: 8
    .kernarg_segment_size: 304
    .language:       OpenCL C
    .language_version:
      - 2
      - 0
    .max_flat_workgroup_size: 1024
    .name:           _ZN12_GLOBAL__N_120softmax_warp_forwardIN3c108BFloat16ES2_fLi6ELb1ELb0ELi32EEEvPT0_PKT_iiiPKbib
    .private_segment_fixed_size: 0
    .sgpr_count:     18
    .sgpr_spill_count: 0
    .symbol:         _ZN12_GLOBAL__N_120softmax_warp_forwardIN3c108BFloat16ES2_fLi6ELb1ELb0ELi32EEEvPT0_PKT_iiiPKbib.kd
    .uniform_work_group_size: 1
    .uses_dynamic_stack: false
    .vgpr_count:     24
    .vgpr_spill_count: 0
    .wavefront_size: 32
    .workgroup_processor_mode: 1
  - .args:
      - .address_space:  global
        .offset:         0
        .size:           8
        .value_kind:     global_buffer
      - .address_space:  global
        .offset:         8
        .size:           8
        .value_kind:     global_buffer
      - .offset:         16
        .size:           4
        .value_kind:     by_value
      - .offset:         20
        .size:           4
        .value_kind:     by_value
      - .offset:         24
        .size:           4
        .value_kind:     by_value
      - .address_space:  global
        .offset:         32
        .size:           8
        .value_kind:     global_buffer
      - .offset:         40
        .size:           4
        .value_kind:     by_value
      - .offset:         44
        .size:           1
        .value_kind:     by_value
      - .offset:         48
        .size:           4
        .value_kind:     hidden_block_count_x
      - .offset:         52
        .size:           4
        .value_kind:     hidden_block_count_y
      - .offset:         56
        .size:           4
        .value_kind:     hidden_block_count_z
      - .offset:         60
        .size:           2
        .value_kind:     hidden_group_size_x
      - .offset:         62
        .size:           2
        .value_kind:     hidden_group_size_y
      - .offset:         64
        .size:           2
        .value_kind:     hidden_group_size_z
      - .offset:         66
        .size:           2
        .value_kind:     hidden_remainder_x
      - .offset:         68
        .size:           2
        .value_kind:     hidden_remainder_y
      - .offset:         70
        .size:           2
        .value_kind:     hidden_remainder_z
      - .offset:         88
        .size:           8
        .value_kind:     hidden_global_offset_x
      - .offset:         96
        .size:           8
        .value_kind:     hidden_global_offset_y
      - .offset:         104
        .size:           8
        .value_kind:     hidden_global_offset_z
      - .offset:         112
        .size:           2
        .value_kind:     hidden_grid_dims
    .group_segment_fixed_size: 0
    .kernarg_segment_align: 8
    .kernarg_segment_size: 304
    .language:       OpenCL C
    .language_version:
      - 2
      - 0
    .max_flat_workgroup_size: 1024
    .name:           _ZN12_GLOBAL__N_120softmax_warp_forwardIN3c108BFloat16ES2_fLi7ELb1ELb0ELi64EEEvPT0_PKT_iiiPKbib
    .private_segment_fixed_size: 0
    .sgpr_count:     18
    .sgpr_spill_count: 0
    .symbol:         _ZN12_GLOBAL__N_120softmax_warp_forwardIN3c108BFloat16ES2_fLi7ELb1ELb0ELi64EEEvPT0_PKT_iiiPKbib.kd
    .uniform_work_group_size: 1
    .uses_dynamic_stack: false
    .vgpr_count:     25
    .vgpr_spill_count: 0
    .wavefront_size: 32
    .workgroup_processor_mode: 1
  - .args:
      - .address_space:  global
        .offset:         0
        .size:           8
        .value_kind:     global_buffer
      - .address_space:  global
        .offset:         8
        .size:           8
        .value_kind:     global_buffer
      - .offset:         16
        .size:           4
        .value_kind:     by_value
      - .offset:         20
        .size:           4
        .value_kind:     by_value
      - .offset:         24
        .size:           4
        .value_kind:     by_value
      - .address_space:  global
        .offset:         32
        .size:           8
        .value_kind:     global_buffer
      - .offset:         40
        .size:           4
        .value_kind:     by_value
      - .offset:         44
        .size:           1
        .value_kind:     by_value
      - .offset:         48
        .size:           4
        .value_kind:     hidden_block_count_x
      - .offset:         52
        .size:           4
        .value_kind:     hidden_block_count_y
      - .offset:         56
        .size:           4
        .value_kind:     hidden_block_count_z
      - .offset:         60
        .size:           2
        .value_kind:     hidden_group_size_x
      - .offset:         62
        .size:           2
        .value_kind:     hidden_group_size_y
      - .offset:         64
        .size:           2
        .value_kind:     hidden_group_size_z
      - .offset:         66
        .size:           2
        .value_kind:     hidden_remainder_x
      - .offset:         68
        .size:           2
        .value_kind:     hidden_remainder_y
      - .offset:         70
        .size:           2
        .value_kind:     hidden_remainder_z
      - .offset:         88
        .size:           8
        .value_kind:     hidden_global_offset_x
      - .offset:         96
        .size:           8
        .value_kind:     hidden_global_offset_y
      - .offset:         104
        .size:           8
        .value_kind:     hidden_global_offset_z
      - .offset:         112
        .size:           2
        .value_kind:     hidden_grid_dims
    .group_segment_fixed_size: 0
    .kernarg_segment_align: 8
    .kernarg_segment_size: 304
    .language:       OpenCL C
    .language_version:
      - 2
      - 0
    .max_flat_workgroup_size: 1024
    .name:           _ZN12_GLOBAL__N_120softmax_warp_forwardIN3c108BFloat16ES2_fLi7ELb1ELb0ELi32EEEvPT0_PKT_iiiPKbib
    .private_segment_fixed_size: 0
    .sgpr_count:     18
    .sgpr_spill_count: 0
    .symbol:         _ZN12_GLOBAL__N_120softmax_warp_forwardIN3c108BFloat16ES2_fLi7ELb1ELb0ELi32EEEvPT0_PKT_iiiPKbib.kd
    .uniform_work_group_size: 1
    .uses_dynamic_stack: false
    .vgpr_count:     40
    .vgpr_spill_count: 0
    .wavefront_size: 32
    .workgroup_processor_mode: 1
  - .args:
      - .address_space:  global
        .offset:         0
        .size:           8
        .value_kind:     global_buffer
      - .address_space:  global
        .offset:         8
        .size:           8
        .value_kind:     global_buffer
      - .offset:         16
        .size:           4
        .value_kind:     by_value
      - .offset:         20
        .size:           4
        .value_kind:     by_value
      - .offset:         24
        .size:           4
        .value_kind:     by_value
      - .address_space:  global
        .offset:         32
        .size:           8
        .value_kind:     global_buffer
      - .offset:         40
        .size:           4
        .value_kind:     by_value
      - .offset:         44
        .size:           1
        .value_kind:     by_value
      - .offset:         48
        .size:           4
        .value_kind:     hidden_block_count_x
      - .offset:         52
        .size:           4
        .value_kind:     hidden_block_count_y
      - .offset:         56
        .size:           4
        .value_kind:     hidden_block_count_z
      - .offset:         60
        .size:           2
        .value_kind:     hidden_group_size_x
      - .offset:         62
        .size:           2
        .value_kind:     hidden_group_size_y
      - .offset:         64
        .size:           2
        .value_kind:     hidden_group_size_z
      - .offset:         66
        .size:           2
        .value_kind:     hidden_remainder_x
      - .offset:         68
        .size:           2
        .value_kind:     hidden_remainder_y
      - .offset:         70
        .size:           2
        .value_kind:     hidden_remainder_z
      - .offset:         88
        .size:           8
        .value_kind:     hidden_global_offset_x
      - .offset:         96
        .size:           8
        .value_kind:     hidden_global_offset_y
      - .offset:         104
        .size:           8
        .value_kind:     hidden_global_offset_z
      - .offset:         112
        .size:           2
        .value_kind:     hidden_grid_dims
    .group_segment_fixed_size: 0
    .kernarg_segment_align: 8
    .kernarg_segment_size: 304
    .language:       OpenCL C
    .language_version:
      - 2
      - 0
    .max_flat_workgroup_size: 1024
    .name:           _ZN12_GLOBAL__N_120softmax_warp_forwardIN3c108BFloat16ES2_fLi8ELb1ELb0ELi64EEEvPT0_PKT_iiiPKbib
    .private_segment_fixed_size: 0
    .sgpr_count:     18
    .sgpr_spill_count: 0
    .symbol:         _ZN12_GLOBAL__N_120softmax_warp_forwardIN3c108BFloat16ES2_fLi8ELb1ELb0ELi64EEEvPT0_PKT_iiiPKbib.kd
    .uniform_work_group_size: 1
    .uses_dynamic_stack: false
    .vgpr_count:     24
    .vgpr_spill_count: 0
    .wavefront_size: 32
    .workgroup_processor_mode: 1
  - .args:
      - .address_space:  global
        .offset:         0
        .size:           8
        .value_kind:     global_buffer
      - .address_space:  global
        .offset:         8
        .size:           8
        .value_kind:     global_buffer
      - .offset:         16
        .size:           4
        .value_kind:     by_value
      - .offset:         20
        .size:           4
        .value_kind:     by_value
      - .offset:         24
        .size:           4
        .value_kind:     by_value
      - .address_space:  global
        .offset:         32
        .size:           8
        .value_kind:     global_buffer
      - .offset:         40
        .size:           4
        .value_kind:     by_value
      - .offset:         44
        .size:           1
        .value_kind:     by_value
      - .offset:         48
        .size:           4
        .value_kind:     hidden_block_count_x
      - .offset:         52
        .size:           4
        .value_kind:     hidden_block_count_y
      - .offset:         56
        .size:           4
        .value_kind:     hidden_block_count_z
      - .offset:         60
        .size:           2
        .value_kind:     hidden_group_size_x
      - .offset:         62
        .size:           2
        .value_kind:     hidden_group_size_y
      - .offset:         64
        .size:           2
        .value_kind:     hidden_group_size_z
      - .offset:         66
        .size:           2
        .value_kind:     hidden_remainder_x
      - .offset:         68
        .size:           2
        .value_kind:     hidden_remainder_y
      - .offset:         70
        .size:           2
        .value_kind:     hidden_remainder_z
      - .offset:         88
        .size:           8
        .value_kind:     hidden_global_offset_x
      - .offset:         96
        .size:           8
        .value_kind:     hidden_global_offset_y
      - .offset:         104
        .size:           8
        .value_kind:     hidden_global_offset_z
      - .offset:         112
        .size:           2
        .value_kind:     hidden_grid_dims
    .group_segment_fixed_size: 0
    .kernarg_segment_align: 8
    .kernarg_segment_size: 304
    .language:       OpenCL C
    .language_version:
      - 2
      - 0
    .max_flat_workgroup_size: 1024
    .name:           _ZN12_GLOBAL__N_120softmax_warp_forwardIN3c108BFloat16ES2_fLi8ELb1ELb0ELi32EEEvPT0_PKT_iiiPKbib
    .private_segment_fixed_size: 0
    .sgpr_count:     18
    .sgpr_spill_count: 0
    .symbol:         _ZN12_GLOBAL__N_120softmax_warp_forwardIN3c108BFloat16ES2_fLi8ELb1ELb0ELi32EEEvPT0_PKT_iiiPKbib.kd
    .uniform_work_group_size: 1
    .uses_dynamic_stack: false
    .vgpr_count:     40
    .vgpr_spill_count: 0
    .wavefront_size: 32
    .workgroup_processor_mode: 1
  - .args:
      - .address_space:  global
        .offset:         0
        .size:           8
        .value_kind:     global_buffer
      - .address_space:  global
        .offset:         8
        .size:           8
        .value_kind:     global_buffer
      - .offset:         16
        .size:           4
        .value_kind:     by_value
      - .offset:         20
        .size:           4
        .value_kind:     by_value
      - .offset:         24
        .size:           4
        .value_kind:     by_value
      - .address_space:  global
        .offset:         32
        .size:           8
        .value_kind:     global_buffer
      - .offset:         40
        .size:           4
        .value_kind:     by_value
      - .offset:         44
        .size:           1
        .value_kind:     by_value
      - .offset:         48
        .size:           4
        .value_kind:     hidden_block_count_x
      - .offset:         52
        .size:           4
        .value_kind:     hidden_block_count_y
      - .offset:         56
        .size:           4
        .value_kind:     hidden_block_count_z
      - .offset:         60
        .size:           2
        .value_kind:     hidden_group_size_x
      - .offset:         62
        .size:           2
        .value_kind:     hidden_group_size_y
      - .offset:         64
        .size:           2
        .value_kind:     hidden_group_size_z
      - .offset:         66
        .size:           2
        .value_kind:     hidden_remainder_x
      - .offset:         68
        .size:           2
        .value_kind:     hidden_remainder_y
      - .offset:         70
        .size:           2
        .value_kind:     hidden_remainder_z
      - .offset:         88
        .size:           8
        .value_kind:     hidden_global_offset_x
      - .offset:         96
        .size:           8
        .value_kind:     hidden_global_offset_y
      - .offset:         104
        .size:           8
        .value_kind:     hidden_global_offset_z
      - .offset:         112
        .size:           2
        .value_kind:     hidden_grid_dims
    .group_segment_fixed_size: 0
    .kernarg_segment_align: 8
    .kernarg_segment_size: 304
    .language:       OpenCL C
    .language_version:
      - 2
      - 0
    .max_flat_workgroup_size: 1024
    .name:           _ZN12_GLOBAL__N_120softmax_warp_forwardIN3c108BFloat16ES2_fLi9ELb1ELb0ELi64EEEvPT0_PKT_iiiPKbib
    .private_segment_fixed_size: 0
    .sgpr_count:     18
    .sgpr_spill_count: 0
    .symbol:         _ZN12_GLOBAL__N_120softmax_warp_forwardIN3c108BFloat16ES2_fLi9ELb1ELb0ELi64EEEvPT0_PKT_iiiPKbib.kd
    .uniform_work_group_size: 1
    .uses_dynamic_stack: false
    .vgpr_count:     41
    .vgpr_spill_count: 0
    .wavefront_size: 32
    .workgroup_processor_mode: 1
  - .args:
      - .address_space:  global
        .offset:         0
        .size:           8
        .value_kind:     global_buffer
      - .address_space:  global
        .offset:         8
        .size:           8
        .value_kind:     global_buffer
      - .offset:         16
        .size:           4
        .value_kind:     by_value
      - .offset:         20
        .size:           4
        .value_kind:     by_value
      - .offset:         24
        .size:           4
        .value_kind:     by_value
      - .address_space:  global
        .offset:         32
        .size:           8
        .value_kind:     global_buffer
      - .offset:         40
        .size:           4
        .value_kind:     by_value
      - .offset:         44
        .size:           1
        .value_kind:     by_value
      - .offset:         48
        .size:           4
        .value_kind:     hidden_block_count_x
      - .offset:         52
        .size:           4
        .value_kind:     hidden_block_count_y
      - .offset:         56
        .size:           4
        .value_kind:     hidden_block_count_z
      - .offset:         60
        .size:           2
        .value_kind:     hidden_group_size_x
      - .offset:         62
        .size:           2
        .value_kind:     hidden_group_size_y
      - .offset:         64
        .size:           2
        .value_kind:     hidden_group_size_z
      - .offset:         66
        .size:           2
        .value_kind:     hidden_remainder_x
      - .offset:         68
        .size:           2
        .value_kind:     hidden_remainder_y
      - .offset:         70
        .size:           2
        .value_kind:     hidden_remainder_z
      - .offset:         88
        .size:           8
        .value_kind:     hidden_global_offset_x
      - .offset:         96
        .size:           8
        .value_kind:     hidden_global_offset_y
      - .offset:         104
        .size:           8
        .value_kind:     hidden_global_offset_z
      - .offset:         112
        .size:           2
        .value_kind:     hidden_grid_dims
    .group_segment_fixed_size: 0
    .kernarg_segment_align: 8
    .kernarg_segment_size: 304
    .language:       OpenCL C
    .language_version:
      - 2
      - 0
    .max_flat_workgroup_size: 1024
    .name:           _ZN12_GLOBAL__N_120softmax_warp_forwardIN3c108BFloat16ES2_fLi9ELb1ELb0ELi32EEEvPT0_PKT_iiiPKbib
    .private_segment_fixed_size: 0
    .sgpr_count:     26
    .sgpr_spill_count: 0
    .symbol:         _ZN12_GLOBAL__N_120softmax_warp_forwardIN3c108BFloat16ES2_fLi9ELb1ELb0ELi32EEEvPT0_PKT_iiiPKbib.kd
    .uniform_work_group_size: 1
    .uses_dynamic_stack: false
    .vgpr_count:     62
    .vgpr_spill_count: 0
    .wavefront_size: 32
    .workgroup_processor_mode: 1
  - .args:
      - .address_space:  global
        .offset:         0
        .size:           8
        .value_kind:     global_buffer
      - .address_space:  global
        .offset:         8
        .size:           8
        .value_kind:     global_buffer
      - .offset:         16
        .size:           4
        .value_kind:     by_value
      - .offset:         20
        .size:           4
        .value_kind:     by_value
      - .offset:         24
        .size:           4
        .value_kind:     by_value
      - .address_space:  global
        .offset:         32
        .size:           8
        .value_kind:     global_buffer
      - .offset:         40
        .size:           4
        .value_kind:     by_value
      - .offset:         44
        .size:           1
        .value_kind:     by_value
      - .offset:         48
        .size:           4
        .value_kind:     hidden_block_count_x
      - .offset:         52
        .size:           4
        .value_kind:     hidden_block_count_y
      - .offset:         56
        .size:           4
        .value_kind:     hidden_block_count_z
      - .offset:         60
        .size:           2
        .value_kind:     hidden_group_size_x
      - .offset:         62
        .size:           2
        .value_kind:     hidden_group_size_y
      - .offset:         64
        .size:           2
        .value_kind:     hidden_group_size_z
      - .offset:         66
        .size:           2
        .value_kind:     hidden_remainder_x
      - .offset:         68
        .size:           2
        .value_kind:     hidden_remainder_y
      - .offset:         70
        .size:           2
        .value_kind:     hidden_remainder_z
      - .offset:         88
        .size:           8
        .value_kind:     hidden_global_offset_x
      - .offset:         96
        .size:           8
        .value_kind:     hidden_global_offset_y
      - .offset:         104
        .size:           8
        .value_kind:     hidden_global_offset_z
      - .offset:         112
        .size:           2
        .value_kind:     hidden_grid_dims
    .group_segment_fixed_size: 0
    .kernarg_segment_align: 8
    .kernarg_segment_size: 304
    .language:       OpenCL C
    .language_version:
      - 2
      - 0
    .max_flat_workgroup_size: 1024
    .name:           _ZN12_GLOBAL__N_120softmax_warp_forwardIN3c108BFloat16ES2_fLi10ELb1ELb0ELi64EEEvPT0_PKT_iiiPKbib
    .private_segment_fixed_size: 0
    .sgpr_count:     26
    .sgpr_spill_count: 0
    .symbol:         _ZN12_GLOBAL__N_120softmax_warp_forwardIN3c108BFloat16ES2_fLi10ELb1ELb0ELi64EEEvPT0_PKT_iiiPKbib.kd
    .uniform_work_group_size: 1
    .uses_dynamic_stack: false
    .vgpr_count:     62
    .vgpr_spill_count: 0
    .wavefront_size: 32
    .workgroup_processor_mode: 1
  - .args:
      - .address_space:  global
        .offset:         0
        .size:           8
        .value_kind:     global_buffer
      - .address_space:  global
        .offset:         8
        .size:           8
        .value_kind:     global_buffer
      - .offset:         16
        .size:           4
        .value_kind:     by_value
      - .offset:         20
        .size:           4
        .value_kind:     by_value
      - .offset:         24
        .size:           4
        .value_kind:     by_value
      - .address_space:  global
        .offset:         32
        .size:           8
        .value_kind:     global_buffer
      - .offset:         40
        .size:           4
        .value_kind:     by_value
      - .offset:         44
        .size:           1
        .value_kind:     by_value
      - .offset:         48
        .size:           4
        .value_kind:     hidden_block_count_x
      - .offset:         52
        .size:           4
        .value_kind:     hidden_block_count_y
      - .offset:         56
        .size:           4
        .value_kind:     hidden_block_count_z
      - .offset:         60
        .size:           2
        .value_kind:     hidden_group_size_x
      - .offset:         62
        .size:           2
        .value_kind:     hidden_group_size_y
      - .offset:         64
        .size:           2
        .value_kind:     hidden_group_size_z
      - .offset:         66
        .size:           2
        .value_kind:     hidden_remainder_x
      - .offset:         68
        .size:           2
        .value_kind:     hidden_remainder_y
      - .offset:         70
        .size:           2
        .value_kind:     hidden_remainder_z
      - .offset:         88
        .size:           8
        .value_kind:     hidden_global_offset_x
      - .offset:         96
        .size:           8
        .value_kind:     hidden_global_offset_y
      - .offset:         104
        .size:           8
        .value_kind:     hidden_global_offset_z
      - .offset:         112
        .size:           2
        .value_kind:     hidden_grid_dims
    .group_segment_fixed_size: 0
    .kernarg_segment_align: 8
    .kernarg_segment_size: 304
    .language:       OpenCL C
    .language_version:
      - 2
      - 0
    .max_flat_workgroup_size: 1024
    .name:           _ZN12_GLOBAL__N_120softmax_warp_forwardIN3c108BFloat16ES2_fLi10ELb1ELb0ELi32EEEvPT0_PKT_iiiPKbib
    .private_segment_fixed_size: 0
    .sgpr_count:     46
    .sgpr_spill_count: 0
    .symbol:         _ZN12_GLOBAL__N_120softmax_warp_forwardIN3c108BFloat16ES2_fLi10ELb1ELb0ELi32EEEvPT0_PKT_iiiPKbib.kd
    .uniform_work_group_size: 1
    .uses_dynamic_stack: false
    .vgpr_count:     45
    .vgpr_spill_count: 0
    .wavefront_size: 32
    .workgroup_processor_mode: 1
  - .args:
      - .address_space:  global
        .offset:         0
        .size:           8
        .value_kind:     global_buffer
      - .address_space:  global
        .offset:         8
        .size:           8
        .value_kind:     global_buffer
      - .offset:         16
        .size:           4
        .value_kind:     by_value
      - .offset:         20
        .size:           4
        .value_kind:     by_value
      - .offset:         24
        .size:           4
        .value_kind:     by_value
      - .address_space:  global
        .offset:         32
        .size:           8
        .value_kind:     global_buffer
      - .offset:         40
        .size:           4
        .value_kind:     by_value
      - .offset:         44
        .size:           1
        .value_kind:     by_value
      - .offset:         48
        .size:           4
        .value_kind:     hidden_block_count_x
      - .offset:         52
        .size:           4
        .value_kind:     hidden_block_count_y
      - .offset:         56
        .size:           4
        .value_kind:     hidden_block_count_z
      - .offset:         60
        .size:           2
        .value_kind:     hidden_group_size_x
      - .offset:         62
        .size:           2
        .value_kind:     hidden_group_size_y
      - .offset:         64
        .size:           2
        .value_kind:     hidden_group_size_z
      - .offset:         66
        .size:           2
        .value_kind:     hidden_remainder_x
      - .offset:         68
        .size:           2
        .value_kind:     hidden_remainder_y
      - .offset:         70
        .size:           2
        .value_kind:     hidden_remainder_z
      - .offset:         88
        .size:           8
        .value_kind:     hidden_global_offset_x
      - .offset:         96
        .size:           8
        .value_kind:     hidden_global_offset_y
      - .offset:         104
        .size:           8
        .value_kind:     hidden_global_offset_z
      - .offset:         112
        .size:           2
        .value_kind:     hidden_grid_dims
    .group_segment_fixed_size: 0
    .kernarg_segment_align: 8
    .kernarg_segment_size: 304
    .language:       OpenCL C
    .language_version:
      - 2
      - 0
    .max_flat_workgroup_size: 1024
    .name:           _ZN12_GLOBAL__N_120softmax_warp_forwardIN3c108BFloat16ES2_fLi11ELb1ELb0ELi64EEEvPT0_PKT_iiiPKbib
    .private_segment_fixed_size: 0
    .sgpr_count:     46
    .sgpr_spill_count: 0
    .symbol:         _ZN12_GLOBAL__N_120softmax_warp_forwardIN3c108BFloat16ES2_fLi11ELb1ELb0ELi64EEEvPT0_PKT_iiiPKbib.kd
    .uniform_work_group_size: 1
    .uses_dynamic_stack: false
    .vgpr_count:     46
    .vgpr_spill_count: 0
    .wavefront_size: 32
    .workgroup_processor_mode: 1
  - .args:
      - .address_space:  global
        .offset:         0
        .size:           8
        .value_kind:     global_buffer
      - .address_space:  global
        .offset:         8
        .size:           8
        .value_kind:     global_buffer
      - .offset:         16
        .size:           4
        .value_kind:     by_value
      - .offset:         20
        .size:           4
        .value_kind:     by_value
      - .offset:         24
        .size:           4
        .value_kind:     by_value
      - .address_space:  global
        .offset:         32
        .size:           8
        .value_kind:     global_buffer
      - .offset:         40
        .size:           4
        .value_kind:     by_value
      - .offset:         44
        .size:           1
        .value_kind:     by_value
      - .offset:         48
        .size:           4
        .value_kind:     hidden_block_count_x
      - .offset:         52
        .size:           4
        .value_kind:     hidden_block_count_y
      - .offset:         56
        .size:           4
        .value_kind:     hidden_block_count_z
      - .offset:         60
        .size:           2
        .value_kind:     hidden_group_size_x
      - .offset:         62
        .size:           2
        .value_kind:     hidden_group_size_y
      - .offset:         64
        .size:           2
        .value_kind:     hidden_group_size_z
      - .offset:         66
        .size:           2
        .value_kind:     hidden_remainder_x
      - .offset:         68
        .size:           2
        .value_kind:     hidden_remainder_y
      - .offset:         70
        .size:           2
        .value_kind:     hidden_remainder_z
      - .offset:         88
        .size:           8
        .value_kind:     hidden_global_offset_x
      - .offset:         96
        .size:           8
        .value_kind:     hidden_global_offset_y
      - .offset:         104
        .size:           8
        .value_kind:     hidden_global_offset_z
      - .offset:         112
        .size:           2
        .value_kind:     hidden_grid_dims
    .group_segment_fixed_size: 0
    .kernarg_segment_align: 8
    .kernarg_segment_size: 304
    .language:       OpenCL C
    .language_version:
      - 2
      - 0
    .max_flat_workgroup_size: 1024
    .name:           _ZN12_GLOBAL__N_120softmax_warp_forwardIN3c108BFloat16ES2_fLi11ELb1ELb0ELi32EEEvPT0_PKT_iiiPKbib
    .private_segment_fixed_size: 0
    .sgpr_count:     78
    .sgpr_spill_count: 0
    .symbol:         _ZN12_GLOBAL__N_120softmax_warp_forwardIN3c108BFloat16ES2_fLi11ELb1ELb0ELi32EEEvPT0_PKT_iiiPKbib.kd
    .uniform_work_group_size: 1
    .uses_dynamic_stack: false
    .vgpr_count:     77
    .vgpr_spill_count: 0
    .wavefront_size: 32
    .workgroup_processor_mode: 1
  - .args:
      - .address_space:  global
        .offset:         0
        .size:           8
        .value_kind:     global_buffer
      - .address_space:  global
        .offset:         8
        .size:           8
        .value_kind:     global_buffer
      - .offset:         16
        .size:           8
        .value_kind:     by_value
      - .offset:         24
        .size:           4
        .value_kind:     hidden_block_count_x
      - .offset:         28
        .size:           4
        .value_kind:     hidden_block_count_y
      - .offset:         32
        .size:           4
        .value_kind:     hidden_block_count_z
      - .offset:         36
        .size:           2
        .value_kind:     hidden_group_size_x
      - .offset:         38
        .size:           2
        .value_kind:     hidden_group_size_y
      - .offset:         40
        .size:           2
        .value_kind:     hidden_group_size_z
      - .offset:         42
        .size:           2
        .value_kind:     hidden_remainder_x
      - .offset:         44
        .size:           2
        .value_kind:     hidden_remainder_y
      - .offset:         46
        .size:           2
        .value_kind:     hidden_remainder_z
      - .offset:         64
        .size:           8
        .value_kind:     hidden_global_offset_x
      - .offset:         72
        .size:           8
        .value_kind:     hidden_global_offset_y
      - .offset:         80
        .size:           8
        .value_kind:     hidden_global_offset_z
      - .offset:         88
        .size:           2
        .value_kind:     hidden_grid_dims
      - .offset:         144
        .size:           4
        .value_kind:     hidden_dynamic_lds_size
    .group_segment_fixed_size: 0
    .kernarg_segment_align: 8
    .kernarg_segment_size: 280
    .language:       OpenCL C
    .language_version:
      - 2
      - 0
    .max_flat_workgroup_size: 1024
    .name:           _ZN2at6native12_GLOBAL__N_122cunn_SoftMaxForwardRegIN3c108BFloat16EfS4_NS1_25LogSoftMaxForwardEpilogueElLi1EEEvPT1_PKT_T3_
    .private_segment_fixed_size: 0
    .sgpr_count:     14
    .sgpr_spill_count: 0
    .symbol:         _ZN2at6native12_GLOBAL__N_122cunn_SoftMaxForwardRegIN3c108BFloat16EfS4_NS1_25LogSoftMaxForwardEpilogueElLi1EEEvPT1_PKT_T3_.kd
    .uniform_work_group_size: 1
    .uses_dynamic_stack: false
    .vgpr_count:     13
    .vgpr_spill_count: 0
    .wavefront_size: 32
    .workgroup_processor_mode: 1
  - .args:
      - .address_space:  global
        .offset:         0
        .size:           8
        .value_kind:     global_buffer
      - .address_space:  global
        .offset:         8
        .size:           8
        .value_kind:     global_buffer
      - .offset:         16
        .size:           8
        .value_kind:     by_value
      - .offset:         24
        .size:           4
        .value_kind:     hidden_block_count_x
      - .offset:         28
        .size:           4
        .value_kind:     hidden_block_count_y
      - .offset:         32
        .size:           4
        .value_kind:     hidden_block_count_z
      - .offset:         36
        .size:           2
        .value_kind:     hidden_group_size_x
      - .offset:         38
        .size:           2
        .value_kind:     hidden_group_size_y
      - .offset:         40
        .size:           2
        .value_kind:     hidden_group_size_z
      - .offset:         42
        .size:           2
        .value_kind:     hidden_remainder_x
      - .offset:         44
        .size:           2
        .value_kind:     hidden_remainder_y
      - .offset:         46
        .size:           2
        .value_kind:     hidden_remainder_z
      - .offset:         64
        .size:           8
        .value_kind:     hidden_global_offset_x
      - .offset:         72
        .size:           8
        .value_kind:     hidden_global_offset_y
      - .offset:         80
        .size:           8
        .value_kind:     hidden_global_offset_z
      - .offset:         88
        .size:           2
        .value_kind:     hidden_grid_dims
      - .offset:         144
        .size:           4
        .value_kind:     hidden_dynamic_lds_size
    .group_segment_fixed_size: 0
    .kernarg_segment_align: 8
    .kernarg_segment_size: 280
    .language:       OpenCL C
    .language_version:
      - 2
      - 0
    .max_flat_workgroup_size: 1024
    .name:           _ZN2at6native12_GLOBAL__N_122cunn_SoftMaxForwardRegIN3c108BFloat16EfS4_NS1_25LogSoftMaxForwardEpilogueElLi2EEEvPT1_PKT_T3_
    .private_segment_fixed_size: 0
    .sgpr_count:     14
    .sgpr_spill_count: 0
    .symbol:         _ZN2at6native12_GLOBAL__N_122cunn_SoftMaxForwardRegIN3c108BFloat16EfS4_NS1_25LogSoftMaxForwardEpilogueElLi2EEEvPT1_PKT_T3_.kd
    .uniform_work_group_size: 1
    .uses_dynamic_stack: false
    .vgpr_count:     18
    .vgpr_spill_count: 0
    .wavefront_size: 32
    .workgroup_processor_mode: 1
  - .args:
      - .address_space:  global
        .offset:         0
        .size:           8
        .value_kind:     global_buffer
      - .address_space:  global
        .offset:         8
        .size:           8
        .value_kind:     global_buffer
      - .offset:         16
        .size:           8
        .value_kind:     by_value
      - .offset:         24
        .size:           4
        .value_kind:     hidden_block_count_x
      - .offset:         28
        .size:           4
        .value_kind:     hidden_block_count_y
      - .offset:         32
        .size:           4
        .value_kind:     hidden_block_count_z
      - .offset:         36
        .size:           2
        .value_kind:     hidden_group_size_x
      - .offset:         38
        .size:           2
        .value_kind:     hidden_group_size_y
      - .offset:         40
        .size:           2
        .value_kind:     hidden_group_size_z
      - .offset:         42
        .size:           2
        .value_kind:     hidden_remainder_x
      - .offset:         44
        .size:           2
        .value_kind:     hidden_remainder_y
      - .offset:         46
        .size:           2
        .value_kind:     hidden_remainder_z
      - .offset:         64
        .size:           8
        .value_kind:     hidden_global_offset_x
      - .offset:         72
        .size:           8
        .value_kind:     hidden_global_offset_y
      - .offset:         80
        .size:           8
        .value_kind:     hidden_global_offset_z
      - .offset:         88
        .size:           2
        .value_kind:     hidden_grid_dims
      - .offset:         144
        .size:           4
        .value_kind:     hidden_dynamic_lds_size
    .group_segment_fixed_size: 0
    .kernarg_segment_align: 8
    .kernarg_segment_size: 280
    .language:       OpenCL C
    .language_version:
      - 2
      - 0
    .max_flat_workgroup_size: 1024
    .name:           _ZN2at6native12_GLOBAL__N_122cunn_SoftMaxForwardRegIN3c108BFloat16EfS4_NS1_25LogSoftMaxForwardEpilogueElLi3EEEvPT1_PKT_T3_
    .private_segment_fixed_size: 0
    .sgpr_count:     16
    .sgpr_spill_count: 0
    .symbol:         _ZN2at6native12_GLOBAL__N_122cunn_SoftMaxForwardRegIN3c108BFloat16EfS4_NS1_25LogSoftMaxForwardEpilogueElLi3EEEvPT1_PKT_T3_.kd
    .uniform_work_group_size: 1
    .uses_dynamic_stack: false
    .vgpr_count:     21
    .vgpr_spill_count: 0
    .wavefront_size: 32
    .workgroup_processor_mode: 1
  - .args:
      - .address_space:  global
        .offset:         0
        .size:           8
        .value_kind:     global_buffer
      - .address_space:  global
        .offset:         8
        .size:           8
        .value_kind:     global_buffer
      - .offset:         16
        .size:           8
        .value_kind:     by_value
      - .offset:         24
        .size:           4
        .value_kind:     hidden_block_count_x
      - .offset:         28
        .size:           4
        .value_kind:     hidden_block_count_y
      - .offset:         32
        .size:           4
        .value_kind:     hidden_block_count_z
      - .offset:         36
        .size:           2
        .value_kind:     hidden_group_size_x
      - .offset:         38
        .size:           2
        .value_kind:     hidden_group_size_y
      - .offset:         40
        .size:           2
        .value_kind:     hidden_group_size_z
      - .offset:         42
        .size:           2
        .value_kind:     hidden_remainder_x
      - .offset:         44
        .size:           2
        .value_kind:     hidden_remainder_y
      - .offset:         46
        .size:           2
        .value_kind:     hidden_remainder_z
      - .offset:         64
        .size:           8
        .value_kind:     hidden_global_offset_x
      - .offset:         72
        .size:           8
        .value_kind:     hidden_global_offset_y
      - .offset:         80
        .size:           8
        .value_kind:     hidden_global_offset_z
      - .offset:         88
        .size:           2
        .value_kind:     hidden_grid_dims
      - .offset:         144
        .size:           4
        .value_kind:     hidden_dynamic_lds_size
    .group_segment_fixed_size: 0
    .kernarg_segment_align: 8
    .kernarg_segment_size: 280
    .language:       OpenCL C
    .language_version:
      - 2
      - 0
    .max_flat_workgroup_size: 1024
    .name:           _ZN2at6native12_GLOBAL__N_122cunn_SoftMaxForwardRegIN3c108BFloat16EfS4_NS1_25LogSoftMaxForwardEpilogueElLi4EEEvPT1_PKT_T3_
    .private_segment_fixed_size: 0
    .sgpr_count:     16
    .sgpr_spill_count: 0
    .symbol:         _ZN2at6native12_GLOBAL__N_122cunn_SoftMaxForwardRegIN3c108BFloat16EfS4_NS1_25LogSoftMaxForwardEpilogueElLi4EEEvPT1_PKT_T3_.kd
    .uniform_work_group_size: 1
    .uses_dynamic_stack: false
    .vgpr_count:     26
    .vgpr_spill_count: 0
    .wavefront_size: 32
    .workgroup_processor_mode: 1
  - .args:
      - .address_space:  global
        .offset:         0
        .size:           8
        .value_kind:     global_buffer
      - .address_space:  global
        .offset:         8
        .size:           8
        .value_kind:     global_buffer
      - .offset:         16
        .size:           8
        .value_kind:     by_value
      - .offset:         24
        .size:           4
        .value_kind:     hidden_block_count_x
      - .offset:         28
        .size:           4
        .value_kind:     hidden_block_count_y
      - .offset:         32
        .size:           4
        .value_kind:     hidden_block_count_z
      - .offset:         36
        .size:           2
        .value_kind:     hidden_group_size_x
      - .offset:         38
        .size:           2
        .value_kind:     hidden_group_size_y
      - .offset:         40
        .size:           2
        .value_kind:     hidden_group_size_z
      - .offset:         42
        .size:           2
        .value_kind:     hidden_remainder_x
      - .offset:         44
        .size:           2
        .value_kind:     hidden_remainder_y
      - .offset:         46
        .size:           2
        .value_kind:     hidden_remainder_z
      - .offset:         64
        .size:           8
        .value_kind:     hidden_global_offset_x
      - .offset:         72
        .size:           8
        .value_kind:     hidden_global_offset_y
      - .offset:         80
        .size:           8
        .value_kind:     hidden_global_offset_z
      - .offset:         88
        .size:           2
        .value_kind:     hidden_grid_dims
      - .offset:         144
        .size:           4
        .value_kind:     hidden_dynamic_lds_size
    .group_segment_fixed_size: 0
    .kernarg_segment_align: 8
    .kernarg_segment_size: 280
    .language:       OpenCL C
    .language_version:
      - 2
      - 0
    .max_flat_workgroup_size: 1024
    .name:           _ZN2at6native12_GLOBAL__N_122cunn_SoftMaxForwardRegIN3c108BFloat16EfS4_NS1_25LogSoftMaxForwardEpilogueElLi5EEEvPT1_PKT_T3_
    .private_segment_fixed_size: 0
    .sgpr_count:     18
    .sgpr_spill_count: 0
    .symbol:         _ZN2at6native12_GLOBAL__N_122cunn_SoftMaxForwardRegIN3c108BFloat16EfS4_NS1_25LogSoftMaxForwardEpilogueElLi5EEEvPT1_PKT_T3_.kd
    .uniform_work_group_size: 1
    .uses_dynamic_stack: false
    .vgpr_count:     31
    .vgpr_spill_count: 0
    .wavefront_size: 32
    .workgroup_processor_mode: 1
  - .args:
      - .address_space:  global
        .offset:         0
        .size:           8
        .value_kind:     global_buffer
      - .address_space:  global
        .offset:         8
        .size:           8
        .value_kind:     global_buffer
      - .offset:         16
        .size:           8
        .value_kind:     by_value
      - .offset:         24
        .size:           4
        .value_kind:     hidden_block_count_x
      - .offset:         28
        .size:           4
        .value_kind:     hidden_block_count_y
      - .offset:         32
        .size:           4
        .value_kind:     hidden_block_count_z
      - .offset:         36
        .size:           2
        .value_kind:     hidden_group_size_x
      - .offset:         38
        .size:           2
        .value_kind:     hidden_group_size_y
      - .offset:         40
        .size:           2
        .value_kind:     hidden_group_size_z
      - .offset:         42
        .size:           2
        .value_kind:     hidden_remainder_x
      - .offset:         44
        .size:           2
        .value_kind:     hidden_remainder_y
      - .offset:         46
        .size:           2
        .value_kind:     hidden_remainder_z
      - .offset:         64
        .size:           8
        .value_kind:     hidden_global_offset_x
      - .offset:         72
        .size:           8
        .value_kind:     hidden_global_offset_y
      - .offset:         80
        .size:           8
        .value_kind:     hidden_global_offset_z
      - .offset:         88
        .size:           2
        .value_kind:     hidden_grid_dims
      - .offset:         144
        .size:           4
        .value_kind:     hidden_dynamic_lds_size
    .group_segment_fixed_size: 0
    .kernarg_segment_align: 8
    .kernarg_segment_size: 280
    .language:       OpenCL C
    .language_version:
      - 2
      - 0
    .max_flat_workgroup_size: 1024
    .name:           _ZN2at6native12_GLOBAL__N_122cunn_SoftMaxForwardRegIN3c108BFloat16EfS4_NS1_25LogSoftMaxForwardEpilogueElLi6EEEvPT1_PKT_T3_
    .private_segment_fixed_size: 0
    .sgpr_count:     18
    .sgpr_spill_count: 0
    .symbol:         _ZN2at6native12_GLOBAL__N_122cunn_SoftMaxForwardRegIN3c108BFloat16EfS4_NS1_25LogSoftMaxForwardEpilogueElLi6EEEvPT1_PKT_T3_.kd
    .uniform_work_group_size: 1
    .uses_dynamic_stack: false
    .vgpr_count:     37
    .vgpr_spill_count: 0
    .wavefront_size: 32
    .workgroup_processor_mode: 1
  - .args:
      - .address_space:  global
        .offset:         0
        .size:           8
        .value_kind:     global_buffer
      - .address_space:  global
        .offset:         8
        .size:           8
        .value_kind:     global_buffer
      - .offset:         16
        .size:           8
        .value_kind:     by_value
      - .offset:         24
        .size:           4
        .value_kind:     hidden_block_count_x
      - .offset:         28
        .size:           4
        .value_kind:     hidden_block_count_y
      - .offset:         32
        .size:           4
        .value_kind:     hidden_block_count_z
      - .offset:         36
        .size:           2
        .value_kind:     hidden_group_size_x
      - .offset:         38
        .size:           2
        .value_kind:     hidden_group_size_y
      - .offset:         40
        .size:           2
        .value_kind:     hidden_group_size_z
      - .offset:         42
        .size:           2
        .value_kind:     hidden_remainder_x
      - .offset:         44
        .size:           2
        .value_kind:     hidden_remainder_y
      - .offset:         46
        .size:           2
        .value_kind:     hidden_remainder_z
      - .offset:         64
        .size:           8
        .value_kind:     hidden_global_offset_x
      - .offset:         72
        .size:           8
        .value_kind:     hidden_global_offset_y
      - .offset:         80
        .size:           8
        .value_kind:     hidden_global_offset_z
      - .offset:         88
        .size:           2
        .value_kind:     hidden_grid_dims
      - .offset:         144
        .size:           4
        .value_kind:     hidden_dynamic_lds_size
    .group_segment_fixed_size: 0
    .kernarg_segment_align: 8
    .kernarg_segment_size: 280
    .language:       OpenCL C
    .language_version:
      - 2
      - 0
    .max_flat_workgroup_size: 1024
    .name:           _ZN2at6native12_GLOBAL__N_122cunn_SoftMaxForwardRegIN3c108BFloat16EfS4_NS1_25LogSoftMaxForwardEpilogueElLi7EEEvPT1_PKT_T3_
    .private_segment_fixed_size: 0
    .sgpr_count:     20
    .sgpr_spill_count: 0
    .symbol:         _ZN2at6native12_GLOBAL__N_122cunn_SoftMaxForwardRegIN3c108BFloat16EfS4_NS1_25LogSoftMaxForwardEpilogueElLi7EEEvPT1_PKT_T3_.kd
    .uniform_work_group_size: 1
    .uses_dynamic_stack: false
    .vgpr_count:     43
    .vgpr_spill_count: 0
    .wavefront_size: 32
    .workgroup_processor_mode: 1
  - .args:
      - .address_space:  global
        .offset:         0
        .size:           8
        .value_kind:     global_buffer
      - .address_space:  global
        .offset:         8
        .size:           8
        .value_kind:     global_buffer
      - .offset:         16
        .size:           8
        .value_kind:     by_value
      - .offset:         24
        .size:           4
        .value_kind:     hidden_block_count_x
      - .offset:         28
        .size:           4
        .value_kind:     hidden_block_count_y
      - .offset:         32
        .size:           4
        .value_kind:     hidden_block_count_z
      - .offset:         36
        .size:           2
        .value_kind:     hidden_group_size_x
      - .offset:         38
        .size:           2
        .value_kind:     hidden_group_size_y
      - .offset:         40
        .size:           2
        .value_kind:     hidden_group_size_z
      - .offset:         42
        .size:           2
        .value_kind:     hidden_remainder_x
      - .offset:         44
        .size:           2
        .value_kind:     hidden_remainder_y
      - .offset:         46
        .size:           2
        .value_kind:     hidden_remainder_z
      - .offset:         64
        .size:           8
        .value_kind:     hidden_global_offset_x
      - .offset:         72
        .size:           8
        .value_kind:     hidden_global_offset_y
      - .offset:         80
        .size:           8
        .value_kind:     hidden_global_offset_z
      - .offset:         88
        .size:           2
        .value_kind:     hidden_grid_dims
      - .offset:         144
        .size:           4
        .value_kind:     hidden_dynamic_lds_size
    .group_segment_fixed_size: 0
    .kernarg_segment_align: 8
    .kernarg_segment_size: 280
    .language:       OpenCL C
    .language_version:
      - 2
      - 0
    .max_flat_workgroup_size: 1024
    .name:           _ZN2at6native12_GLOBAL__N_122cunn_SoftMaxForwardRegIN3c108BFloat16EfS4_NS1_25LogSoftMaxForwardEpilogueElLi8EEEvPT1_PKT_T3_
    .private_segment_fixed_size: 0
    .sgpr_count:     20
    .sgpr_spill_count: 0
    .symbol:         _ZN2at6native12_GLOBAL__N_122cunn_SoftMaxForwardRegIN3c108BFloat16EfS4_NS1_25LogSoftMaxForwardEpilogueElLi8EEEvPT1_PKT_T3_.kd
    .uniform_work_group_size: 1
    .uses_dynamic_stack: false
    .vgpr_count:     48
    .vgpr_spill_count: 0
    .wavefront_size: 32
    .workgroup_processor_mode: 1
  - .args:
      - .address_space:  global
        .offset:         0
        .size:           8
        .value_kind:     global_buffer
      - .address_space:  global
        .offset:         8
        .size:           8
        .value_kind:     global_buffer
      - .offset:         16
        .size:           8
        .value_kind:     by_value
      - .offset:         24
        .size:           4
        .value_kind:     hidden_block_count_x
      - .offset:         28
        .size:           4
        .value_kind:     hidden_block_count_y
      - .offset:         32
        .size:           4
        .value_kind:     hidden_block_count_z
      - .offset:         36
        .size:           2
        .value_kind:     hidden_group_size_x
      - .offset:         38
        .size:           2
        .value_kind:     hidden_group_size_y
      - .offset:         40
        .size:           2
        .value_kind:     hidden_group_size_z
      - .offset:         42
        .size:           2
        .value_kind:     hidden_remainder_x
      - .offset:         44
        .size:           2
        .value_kind:     hidden_remainder_y
      - .offset:         46
        .size:           2
        .value_kind:     hidden_remainder_z
      - .offset:         64
        .size:           8
        .value_kind:     hidden_global_offset_x
      - .offset:         72
        .size:           8
        .value_kind:     hidden_global_offset_y
      - .offset:         80
        .size:           8
        .value_kind:     hidden_global_offset_z
      - .offset:         88
        .size:           2
        .value_kind:     hidden_grid_dims
      - .offset:         144
        .size:           4
        .value_kind:     hidden_dynamic_lds_size
    .group_segment_fixed_size: 0
    .kernarg_segment_align: 8
    .kernarg_segment_size: 280
    .language:       OpenCL C
    .language_version:
      - 2
      - 0
    .max_flat_workgroup_size: 1024
    .name:           _ZN2at6native12_GLOBAL__N_122cunn_SoftMaxForwardRegIN3c108BFloat16EfS4_NS1_25LogSoftMaxForwardEpilogueElLi9EEEvPT1_PKT_T3_
    .private_segment_fixed_size: 0
    .sgpr_count:     22
    .sgpr_spill_count: 0
    .symbol:         _ZN2at6native12_GLOBAL__N_122cunn_SoftMaxForwardRegIN3c108BFloat16EfS4_NS1_25LogSoftMaxForwardEpilogueElLi9EEEvPT1_PKT_T3_.kd
    .uniform_work_group_size: 1
    .uses_dynamic_stack: false
    .vgpr_count:     52
    .vgpr_spill_count: 0
    .wavefront_size: 32
    .workgroup_processor_mode: 1
  - .args:
      - .address_space:  global
        .offset:         0
        .size:           8
        .value_kind:     global_buffer
      - .address_space:  global
        .offset:         8
        .size:           8
        .value_kind:     global_buffer
      - .offset:         16
        .size:           8
        .value_kind:     by_value
      - .offset:         24
        .size:           4
        .value_kind:     hidden_block_count_x
      - .offset:         28
        .size:           4
        .value_kind:     hidden_block_count_y
      - .offset:         32
        .size:           4
        .value_kind:     hidden_block_count_z
      - .offset:         36
        .size:           2
        .value_kind:     hidden_group_size_x
      - .offset:         38
        .size:           2
        .value_kind:     hidden_group_size_y
      - .offset:         40
        .size:           2
        .value_kind:     hidden_group_size_z
      - .offset:         42
        .size:           2
        .value_kind:     hidden_remainder_x
      - .offset:         44
        .size:           2
        .value_kind:     hidden_remainder_y
      - .offset:         46
        .size:           2
        .value_kind:     hidden_remainder_z
      - .offset:         64
        .size:           8
        .value_kind:     hidden_global_offset_x
      - .offset:         72
        .size:           8
        .value_kind:     hidden_global_offset_y
      - .offset:         80
        .size:           8
        .value_kind:     hidden_global_offset_z
      - .offset:         88
        .size:           2
        .value_kind:     hidden_grid_dims
      - .offset:         144
        .size:           4
        .value_kind:     hidden_dynamic_lds_size
    .group_segment_fixed_size: 0
    .kernarg_segment_align: 8
    .kernarg_segment_size: 280
    .language:       OpenCL C
    .language_version:
      - 2
      - 0
    .max_flat_workgroup_size: 1024
    .name:           _ZN2at6native12_GLOBAL__N_123cunn_SoftMaxForwardSmemILi8EN3c108BFloat16EfS4_NS1_25LogSoftMaxForwardEpilogueElEEvPT2_PKT0_T4_
    .private_segment_fixed_size: 0
    .sgpr_count:     19
    .sgpr_spill_count: 0
    .symbol:         _ZN2at6native12_GLOBAL__N_123cunn_SoftMaxForwardSmemILi8EN3c108BFloat16EfS4_NS1_25LogSoftMaxForwardEpilogueElEEvPT2_PKT0_T4_.kd
    .uniform_work_group_size: 1
    .uses_dynamic_stack: false
    .vgpr_count:     49
    .vgpr_spill_count: 0
    .wavefront_size: 32
    .workgroup_processor_mode: 1
  - .args:
      - .address_space:  global
        .offset:         0
        .size:           8
        .value_kind:     global_buffer
      - .address_space:  global
        .offset:         8
        .size:           8
        .value_kind:     global_buffer
      - .offset:         16
        .size:           4
        .value_kind:     by_value
      - .offset:         24
        .size:           4
        .value_kind:     hidden_block_count_x
      - .offset:         28
        .size:           4
        .value_kind:     hidden_block_count_y
      - .offset:         32
        .size:           4
        .value_kind:     hidden_block_count_z
      - .offset:         36
        .size:           2
        .value_kind:     hidden_group_size_x
      - .offset:         38
        .size:           2
        .value_kind:     hidden_group_size_y
      - .offset:         40
        .size:           2
        .value_kind:     hidden_group_size_z
      - .offset:         42
        .size:           2
        .value_kind:     hidden_remainder_x
      - .offset:         44
        .size:           2
        .value_kind:     hidden_remainder_y
      - .offset:         46
        .size:           2
        .value_kind:     hidden_remainder_z
      - .offset:         64
        .size:           8
        .value_kind:     hidden_global_offset_x
      - .offset:         72
        .size:           8
        .value_kind:     hidden_global_offset_y
      - .offset:         80
        .size:           8
        .value_kind:     hidden_global_offset_z
      - .offset:         88
        .size:           2
        .value_kind:     hidden_grid_dims
      - .offset:         144
        .size:           4
        .value_kind:     hidden_dynamic_lds_size
    .group_segment_fixed_size: 0
    .kernarg_segment_align: 8
    .kernarg_segment_size: 280
    .language:       OpenCL C
    .language_version:
      - 2
      - 0
    .max_flat_workgroup_size: 1024
    .name:           _ZN2at6native12_GLOBAL__N_119cunn_SoftMaxForwardILi8EN3c108BFloat16EfS4_NS1_25LogSoftMaxForwardEpilogueEEEvPT2_PKT0_i
    .private_segment_fixed_size: 0
    .sgpr_count:     23
    .sgpr_spill_count: 0
    .symbol:         _ZN2at6native12_GLOBAL__N_119cunn_SoftMaxForwardILi8EN3c108BFloat16EfS4_NS1_25LogSoftMaxForwardEpilogueEEEvPT2_PKT0_i.kd
    .uniform_work_group_size: 1
    .uses_dynamic_stack: false
    .vgpr_count:     46
    .vgpr_spill_count: 0
    .wavefront_size: 32
    .workgroup_processor_mode: 1
  - .args:
      - .address_space:  global
        .offset:         0
        .size:           8
        .value_kind:     global_buffer
      - .address_space:  global
        .offset:         8
        .size:           8
        .value_kind:     global_buffer
      - .offset:         16
        .size:           4
        .value_kind:     by_value
      - .offset:         20
        .size:           4
        .value_kind:     by_value
      - .offset:         24
        .size:           4
        .value_kind:     by_value
      - .address_space:  global
        .offset:         32
        .size:           8
        .value_kind:     global_buffer
      - .offset:         40
        .size:           4
        .value_kind:     by_value
      - .offset:         44
        .size:           1
        .value_kind:     by_value
      - .offset:         48
        .size:           4
        .value_kind:     hidden_block_count_x
      - .offset:         52
        .size:           4
        .value_kind:     hidden_block_count_y
      - .offset:         56
        .size:           4
        .value_kind:     hidden_block_count_z
      - .offset:         60
        .size:           2
        .value_kind:     hidden_group_size_x
      - .offset:         62
        .size:           2
        .value_kind:     hidden_group_size_y
      - .offset:         64
        .size:           2
        .value_kind:     hidden_group_size_z
      - .offset:         66
        .size:           2
        .value_kind:     hidden_remainder_x
      - .offset:         68
        .size:           2
        .value_kind:     hidden_remainder_y
      - .offset:         70
        .size:           2
        .value_kind:     hidden_remainder_z
      - .offset:         88
        .size:           8
        .value_kind:     hidden_global_offset_x
      - .offset:         96
        .size:           8
        .value_kind:     hidden_global_offset_y
      - .offset:         104
        .size:           8
        .value_kind:     hidden_global_offset_z
      - .offset:         112
        .size:           2
        .value_kind:     hidden_grid_dims
    .group_segment_fixed_size: 0
    .kernarg_segment_align: 8
    .kernarg_segment_size: 304
    .language:       OpenCL C
    .language_version:
      - 2
      - 0
    .max_flat_workgroup_size: 1024
    .name:           _ZN12_GLOBAL__N_120softmax_warp_forwardIN3c108BFloat16EffLi0ELb1ELb0ELi64EEEvPT0_PKT_iiiPKbib
    .private_segment_fixed_size: 0
    .sgpr_count:     18
    .sgpr_spill_count: 0
    .symbol:         _ZN12_GLOBAL__N_120softmax_warp_forwardIN3c108BFloat16EffLi0ELb1ELb0ELi64EEEvPT0_PKT_iiiPKbib.kd
    .uniform_work_group_size: 1
    .uses_dynamic_stack: false
    .vgpr_count:     8
    .vgpr_spill_count: 0
    .wavefront_size: 32
    .workgroup_processor_mode: 1
  - .args:
      - .address_space:  global
        .offset:         0
        .size:           8
        .value_kind:     global_buffer
      - .address_space:  global
        .offset:         8
        .size:           8
        .value_kind:     global_buffer
      - .offset:         16
        .size:           4
        .value_kind:     by_value
      - .offset:         20
        .size:           4
        .value_kind:     by_value
      - .offset:         24
        .size:           4
        .value_kind:     by_value
      - .address_space:  global
        .offset:         32
        .size:           8
        .value_kind:     global_buffer
      - .offset:         40
        .size:           4
        .value_kind:     by_value
      - .offset:         44
        .size:           1
        .value_kind:     by_value
      - .offset:         48
        .size:           4
        .value_kind:     hidden_block_count_x
      - .offset:         52
        .size:           4
        .value_kind:     hidden_block_count_y
      - .offset:         56
        .size:           4
        .value_kind:     hidden_block_count_z
      - .offset:         60
        .size:           2
        .value_kind:     hidden_group_size_x
      - .offset:         62
        .size:           2
        .value_kind:     hidden_group_size_y
      - .offset:         64
        .size:           2
        .value_kind:     hidden_group_size_z
      - .offset:         66
        .size:           2
        .value_kind:     hidden_remainder_x
      - .offset:         68
        .size:           2
        .value_kind:     hidden_remainder_y
      - .offset:         70
        .size:           2
        .value_kind:     hidden_remainder_z
      - .offset:         88
        .size:           8
        .value_kind:     hidden_global_offset_x
      - .offset:         96
        .size:           8
        .value_kind:     hidden_global_offset_y
      - .offset:         104
        .size:           8
        .value_kind:     hidden_global_offset_z
      - .offset:         112
        .size:           2
        .value_kind:     hidden_grid_dims
    .group_segment_fixed_size: 0
    .kernarg_segment_align: 8
    .kernarg_segment_size: 304
    .language:       OpenCL C
    .language_version:
      - 2
      - 0
    .max_flat_workgroup_size: 1024
    .name:           _ZN12_GLOBAL__N_120softmax_warp_forwardIN3c108BFloat16EffLi0ELb1ELb0ELi32EEEvPT0_PKT_iiiPKbib
    .private_segment_fixed_size: 0
    .sgpr_count:     18
    .sgpr_spill_count: 0
    .symbol:         _ZN12_GLOBAL__N_120softmax_warp_forwardIN3c108BFloat16EffLi0ELb1ELb0ELi32EEEvPT0_PKT_iiiPKbib.kd
    .uniform_work_group_size: 1
    .uses_dynamic_stack: false
    .vgpr_count:     8
    .vgpr_spill_count: 0
    .wavefront_size: 32
    .workgroup_processor_mode: 1
  - .args:
      - .address_space:  global
        .offset:         0
        .size:           8
        .value_kind:     global_buffer
      - .address_space:  global
        .offset:         8
        .size:           8
        .value_kind:     global_buffer
      - .offset:         16
        .size:           4
        .value_kind:     by_value
      - .offset:         20
        .size:           4
        .value_kind:     by_value
      - .offset:         24
        .size:           4
        .value_kind:     by_value
      - .address_space:  global
        .offset:         32
        .size:           8
        .value_kind:     global_buffer
      - .offset:         40
        .size:           4
        .value_kind:     by_value
      - .offset:         44
        .size:           1
        .value_kind:     by_value
      - .offset:         48
        .size:           4
        .value_kind:     hidden_block_count_x
      - .offset:         52
        .size:           4
        .value_kind:     hidden_block_count_y
      - .offset:         56
        .size:           4
        .value_kind:     hidden_block_count_z
      - .offset:         60
        .size:           2
        .value_kind:     hidden_group_size_x
      - .offset:         62
        .size:           2
        .value_kind:     hidden_group_size_y
      - .offset:         64
        .size:           2
        .value_kind:     hidden_group_size_z
      - .offset:         66
        .size:           2
        .value_kind:     hidden_remainder_x
      - .offset:         68
        .size:           2
        .value_kind:     hidden_remainder_y
      - .offset:         70
        .size:           2
        .value_kind:     hidden_remainder_z
      - .offset:         88
        .size:           8
        .value_kind:     hidden_global_offset_x
      - .offset:         96
        .size:           8
        .value_kind:     hidden_global_offset_y
      - .offset:         104
        .size:           8
        .value_kind:     hidden_global_offset_z
      - .offset:         112
        .size:           2
        .value_kind:     hidden_grid_dims
    .group_segment_fixed_size: 0
    .kernarg_segment_align: 8
    .kernarg_segment_size: 304
    .language:       OpenCL C
    .language_version:
      - 2
      - 0
    .max_flat_workgroup_size: 1024
    .name:           _ZN12_GLOBAL__N_120softmax_warp_forwardIN3c108BFloat16EffLi1ELb1ELb0ELi64EEEvPT0_PKT_iiiPKbib
    .private_segment_fixed_size: 0
    .sgpr_count:     18
    .sgpr_spill_count: 0
    .symbol:         _ZN12_GLOBAL__N_120softmax_warp_forwardIN3c108BFloat16EffLi1ELb1ELb0ELi64EEEvPT0_PKT_iiiPKbib.kd
    .uniform_work_group_size: 1
    .uses_dynamic_stack: false
    .vgpr_count:     12
    .vgpr_spill_count: 0
    .wavefront_size: 32
    .workgroup_processor_mode: 1
  - .args:
      - .address_space:  global
        .offset:         0
        .size:           8
        .value_kind:     global_buffer
      - .address_space:  global
        .offset:         8
        .size:           8
        .value_kind:     global_buffer
      - .offset:         16
        .size:           4
        .value_kind:     by_value
      - .offset:         20
        .size:           4
        .value_kind:     by_value
      - .offset:         24
        .size:           4
        .value_kind:     by_value
      - .address_space:  global
        .offset:         32
        .size:           8
        .value_kind:     global_buffer
      - .offset:         40
        .size:           4
        .value_kind:     by_value
      - .offset:         44
        .size:           1
        .value_kind:     by_value
      - .offset:         48
        .size:           4
        .value_kind:     hidden_block_count_x
      - .offset:         52
        .size:           4
        .value_kind:     hidden_block_count_y
      - .offset:         56
        .size:           4
        .value_kind:     hidden_block_count_z
      - .offset:         60
        .size:           2
        .value_kind:     hidden_group_size_x
      - .offset:         62
        .size:           2
        .value_kind:     hidden_group_size_y
      - .offset:         64
        .size:           2
        .value_kind:     hidden_group_size_z
      - .offset:         66
        .size:           2
        .value_kind:     hidden_remainder_x
      - .offset:         68
        .size:           2
        .value_kind:     hidden_remainder_y
      - .offset:         70
        .size:           2
        .value_kind:     hidden_remainder_z
      - .offset:         88
        .size:           8
        .value_kind:     hidden_global_offset_x
      - .offset:         96
        .size:           8
        .value_kind:     hidden_global_offset_y
      - .offset:         104
        .size:           8
        .value_kind:     hidden_global_offset_z
      - .offset:         112
        .size:           2
        .value_kind:     hidden_grid_dims
    .group_segment_fixed_size: 0
    .kernarg_segment_align: 8
    .kernarg_segment_size: 304
    .language:       OpenCL C
    .language_version:
      - 2
      - 0
    .max_flat_workgroup_size: 1024
    .name:           _ZN12_GLOBAL__N_120softmax_warp_forwardIN3c108BFloat16EffLi1ELb1ELb0ELi32EEEvPT0_PKT_iiiPKbib
    .private_segment_fixed_size: 0
    .sgpr_count:     18
    .sgpr_spill_count: 0
    .symbol:         _ZN12_GLOBAL__N_120softmax_warp_forwardIN3c108BFloat16EffLi1ELb1ELb0ELi32EEEvPT0_PKT_iiiPKbib.kd
    .uniform_work_group_size: 1
    .uses_dynamic_stack: false
    .vgpr_count:     12
    .vgpr_spill_count: 0
    .wavefront_size: 32
    .workgroup_processor_mode: 1
  - .args:
      - .address_space:  global
        .offset:         0
        .size:           8
        .value_kind:     global_buffer
      - .address_space:  global
        .offset:         8
        .size:           8
        .value_kind:     global_buffer
      - .offset:         16
        .size:           4
        .value_kind:     by_value
      - .offset:         20
        .size:           4
        .value_kind:     by_value
      - .offset:         24
        .size:           4
        .value_kind:     by_value
      - .address_space:  global
        .offset:         32
        .size:           8
        .value_kind:     global_buffer
      - .offset:         40
        .size:           4
        .value_kind:     by_value
      - .offset:         44
        .size:           1
        .value_kind:     by_value
      - .offset:         48
        .size:           4
        .value_kind:     hidden_block_count_x
      - .offset:         52
        .size:           4
        .value_kind:     hidden_block_count_y
      - .offset:         56
        .size:           4
        .value_kind:     hidden_block_count_z
      - .offset:         60
        .size:           2
        .value_kind:     hidden_group_size_x
      - .offset:         62
        .size:           2
        .value_kind:     hidden_group_size_y
      - .offset:         64
        .size:           2
        .value_kind:     hidden_group_size_z
      - .offset:         66
        .size:           2
        .value_kind:     hidden_remainder_x
      - .offset:         68
        .size:           2
        .value_kind:     hidden_remainder_y
      - .offset:         70
        .size:           2
        .value_kind:     hidden_remainder_z
      - .offset:         88
        .size:           8
        .value_kind:     hidden_global_offset_x
      - .offset:         96
        .size:           8
        .value_kind:     hidden_global_offset_y
      - .offset:         104
        .size:           8
        .value_kind:     hidden_global_offset_z
      - .offset:         112
        .size:           2
        .value_kind:     hidden_grid_dims
    .group_segment_fixed_size: 0
    .kernarg_segment_align: 8
    .kernarg_segment_size: 304
    .language:       OpenCL C
    .language_version:
      - 2
      - 0
    .max_flat_workgroup_size: 1024
    .name:           _ZN12_GLOBAL__N_120softmax_warp_forwardIN3c108BFloat16EffLi2ELb1ELb0ELi64EEEvPT0_PKT_iiiPKbib
    .private_segment_fixed_size: 0
    .sgpr_count:     18
    .sgpr_spill_count: 0
    .symbol:         _ZN12_GLOBAL__N_120softmax_warp_forwardIN3c108BFloat16EffLi2ELb1ELb0ELi64EEEvPT0_PKT_iiiPKbib.kd
    .uniform_work_group_size: 1
    .uses_dynamic_stack: false
    .vgpr_count:     13
    .vgpr_spill_count: 0
    .wavefront_size: 32
    .workgroup_processor_mode: 1
  - .args:
      - .address_space:  global
        .offset:         0
        .size:           8
        .value_kind:     global_buffer
      - .address_space:  global
        .offset:         8
        .size:           8
        .value_kind:     global_buffer
      - .offset:         16
        .size:           4
        .value_kind:     by_value
      - .offset:         20
        .size:           4
        .value_kind:     by_value
      - .offset:         24
        .size:           4
        .value_kind:     by_value
      - .address_space:  global
        .offset:         32
        .size:           8
        .value_kind:     global_buffer
      - .offset:         40
        .size:           4
        .value_kind:     by_value
      - .offset:         44
        .size:           1
        .value_kind:     by_value
      - .offset:         48
        .size:           4
        .value_kind:     hidden_block_count_x
      - .offset:         52
        .size:           4
        .value_kind:     hidden_block_count_y
      - .offset:         56
        .size:           4
        .value_kind:     hidden_block_count_z
      - .offset:         60
        .size:           2
        .value_kind:     hidden_group_size_x
      - .offset:         62
        .size:           2
        .value_kind:     hidden_group_size_y
      - .offset:         64
        .size:           2
        .value_kind:     hidden_group_size_z
      - .offset:         66
        .size:           2
        .value_kind:     hidden_remainder_x
      - .offset:         68
        .size:           2
        .value_kind:     hidden_remainder_y
      - .offset:         70
        .size:           2
        .value_kind:     hidden_remainder_z
      - .offset:         88
        .size:           8
        .value_kind:     hidden_global_offset_x
      - .offset:         96
        .size:           8
        .value_kind:     hidden_global_offset_y
      - .offset:         104
        .size:           8
        .value_kind:     hidden_global_offset_z
      - .offset:         112
        .size:           2
        .value_kind:     hidden_grid_dims
    .group_segment_fixed_size: 0
    .kernarg_segment_align: 8
    .kernarg_segment_size: 304
    .language:       OpenCL C
    .language_version:
      - 2
      - 0
    .max_flat_workgroup_size: 1024
    .name:           _ZN12_GLOBAL__N_120softmax_warp_forwardIN3c108BFloat16EffLi2ELb1ELb0ELi32EEEvPT0_PKT_iiiPKbib
    .private_segment_fixed_size: 0
    .sgpr_count:     18
    .sgpr_spill_count: 0
    .symbol:         _ZN12_GLOBAL__N_120softmax_warp_forwardIN3c108BFloat16EffLi2ELb1ELb0ELi32EEEvPT0_PKT_iiiPKbib.kd
    .uniform_work_group_size: 1
    .uses_dynamic_stack: false
    .vgpr_count:     13
    .vgpr_spill_count: 0
    .wavefront_size: 32
    .workgroup_processor_mode: 1
  - .args:
      - .address_space:  global
        .offset:         0
        .size:           8
        .value_kind:     global_buffer
      - .address_space:  global
        .offset:         8
        .size:           8
        .value_kind:     global_buffer
      - .offset:         16
        .size:           4
        .value_kind:     by_value
      - .offset:         20
        .size:           4
        .value_kind:     by_value
      - .offset:         24
        .size:           4
        .value_kind:     by_value
      - .address_space:  global
        .offset:         32
        .size:           8
        .value_kind:     global_buffer
      - .offset:         40
        .size:           4
        .value_kind:     by_value
      - .offset:         44
        .size:           1
        .value_kind:     by_value
      - .offset:         48
        .size:           4
        .value_kind:     hidden_block_count_x
      - .offset:         52
        .size:           4
        .value_kind:     hidden_block_count_y
      - .offset:         56
        .size:           4
        .value_kind:     hidden_block_count_z
      - .offset:         60
        .size:           2
        .value_kind:     hidden_group_size_x
      - .offset:         62
        .size:           2
        .value_kind:     hidden_group_size_y
      - .offset:         64
        .size:           2
        .value_kind:     hidden_group_size_z
      - .offset:         66
        .size:           2
        .value_kind:     hidden_remainder_x
      - .offset:         68
        .size:           2
        .value_kind:     hidden_remainder_y
      - .offset:         70
        .size:           2
        .value_kind:     hidden_remainder_z
      - .offset:         88
        .size:           8
        .value_kind:     hidden_global_offset_x
      - .offset:         96
        .size:           8
        .value_kind:     hidden_global_offset_y
      - .offset:         104
        .size:           8
        .value_kind:     hidden_global_offset_z
      - .offset:         112
        .size:           2
        .value_kind:     hidden_grid_dims
    .group_segment_fixed_size: 0
    .kernarg_segment_align: 8
    .kernarg_segment_size: 304
    .language:       OpenCL C
    .language_version:
      - 2
      - 0
    .max_flat_workgroup_size: 1024
    .name:           _ZN12_GLOBAL__N_120softmax_warp_forwardIN3c108BFloat16EffLi3ELb1ELb0ELi64EEEvPT0_PKT_iiiPKbib
    .private_segment_fixed_size: 0
    .sgpr_count:     18
    .sgpr_spill_count: 0
    .symbol:         _ZN12_GLOBAL__N_120softmax_warp_forwardIN3c108BFloat16EffLi3ELb1ELb0ELi64EEEvPT0_PKT_iiiPKbib.kd
    .uniform_work_group_size: 1
    .uses_dynamic_stack: false
    .vgpr_count:     14
    .vgpr_spill_count: 0
    .wavefront_size: 32
    .workgroup_processor_mode: 1
  - .args:
      - .address_space:  global
        .offset:         0
        .size:           8
        .value_kind:     global_buffer
      - .address_space:  global
        .offset:         8
        .size:           8
        .value_kind:     global_buffer
      - .offset:         16
        .size:           4
        .value_kind:     by_value
      - .offset:         20
        .size:           4
        .value_kind:     by_value
      - .offset:         24
        .size:           4
        .value_kind:     by_value
      - .address_space:  global
        .offset:         32
        .size:           8
        .value_kind:     global_buffer
      - .offset:         40
        .size:           4
        .value_kind:     by_value
      - .offset:         44
        .size:           1
        .value_kind:     by_value
      - .offset:         48
        .size:           4
        .value_kind:     hidden_block_count_x
      - .offset:         52
        .size:           4
        .value_kind:     hidden_block_count_y
      - .offset:         56
        .size:           4
        .value_kind:     hidden_block_count_z
      - .offset:         60
        .size:           2
        .value_kind:     hidden_group_size_x
      - .offset:         62
        .size:           2
        .value_kind:     hidden_group_size_y
      - .offset:         64
        .size:           2
        .value_kind:     hidden_group_size_z
      - .offset:         66
        .size:           2
        .value_kind:     hidden_remainder_x
      - .offset:         68
        .size:           2
        .value_kind:     hidden_remainder_y
      - .offset:         70
        .size:           2
        .value_kind:     hidden_remainder_z
      - .offset:         88
        .size:           8
        .value_kind:     hidden_global_offset_x
      - .offset:         96
        .size:           8
        .value_kind:     hidden_global_offset_y
      - .offset:         104
        .size:           8
        .value_kind:     hidden_global_offset_z
      - .offset:         112
        .size:           2
        .value_kind:     hidden_grid_dims
    .group_segment_fixed_size: 0
    .kernarg_segment_align: 8
    .kernarg_segment_size: 304
    .language:       OpenCL C
    .language_version:
      - 2
      - 0
    .max_flat_workgroup_size: 1024
    .name:           _ZN12_GLOBAL__N_120softmax_warp_forwardIN3c108BFloat16EffLi3ELb1ELb0ELi32EEEvPT0_PKT_iiiPKbib
    .private_segment_fixed_size: 0
    .sgpr_count:     18
    .sgpr_spill_count: 0
    .symbol:         _ZN12_GLOBAL__N_120softmax_warp_forwardIN3c108BFloat16EffLi3ELb1ELb0ELi32EEEvPT0_PKT_iiiPKbib.kd
    .uniform_work_group_size: 1
    .uses_dynamic_stack: false
    .vgpr_count:     14
    .vgpr_spill_count: 0
    .wavefront_size: 32
    .workgroup_processor_mode: 1
  - .args:
      - .address_space:  global
        .offset:         0
        .size:           8
        .value_kind:     global_buffer
      - .address_space:  global
        .offset:         8
        .size:           8
        .value_kind:     global_buffer
      - .offset:         16
        .size:           4
        .value_kind:     by_value
      - .offset:         20
        .size:           4
        .value_kind:     by_value
      - .offset:         24
        .size:           4
        .value_kind:     by_value
      - .address_space:  global
        .offset:         32
        .size:           8
        .value_kind:     global_buffer
      - .offset:         40
        .size:           4
        .value_kind:     by_value
      - .offset:         44
        .size:           1
        .value_kind:     by_value
      - .offset:         48
        .size:           4
        .value_kind:     hidden_block_count_x
      - .offset:         52
        .size:           4
        .value_kind:     hidden_block_count_y
      - .offset:         56
        .size:           4
        .value_kind:     hidden_block_count_z
      - .offset:         60
        .size:           2
        .value_kind:     hidden_group_size_x
      - .offset:         62
        .size:           2
        .value_kind:     hidden_group_size_y
      - .offset:         64
        .size:           2
        .value_kind:     hidden_group_size_z
      - .offset:         66
        .size:           2
        .value_kind:     hidden_remainder_x
      - .offset:         68
        .size:           2
        .value_kind:     hidden_remainder_y
      - .offset:         70
        .size:           2
        .value_kind:     hidden_remainder_z
      - .offset:         88
        .size:           8
        .value_kind:     hidden_global_offset_x
      - .offset:         96
        .size:           8
        .value_kind:     hidden_global_offset_y
      - .offset:         104
        .size:           8
        .value_kind:     hidden_global_offset_z
      - .offset:         112
        .size:           2
        .value_kind:     hidden_grid_dims
    .group_segment_fixed_size: 0
    .kernarg_segment_align: 8
    .kernarg_segment_size: 304
    .language:       OpenCL C
    .language_version:
      - 2
      - 0
    .max_flat_workgroup_size: 1024
    .name:           _ZN12_GLOBAL__N_120softmax_warp_forwardIN3c108BFloat16EffLi4ELb1ELb0ELi64EEEvPT0_PKT_iiiPKbib
    .private_segment_fixed_size: 0
    .sgpr_count:     18
    .sgpr_spill_count: 0
    .symbol:         _ZN12_GLOBAL__N_120softmax_warp_forwardIN3c108BFloat16EffLi4ELb1ELb0ELi64EEEvPT0_PKT_iiiPKbib.kd
    .uniform_work_group_size: 1
    .uses_dynamic_stack: false
    .vgpr_count:     15
    .vgpr_spill_count: 0
    .wavefront_size: 32
    .workgroup_processor_mode: 1
  - .args:
      - .address_space:  global
        .offset:         0
        .size:           8
        .value_kind:     global_buffer
      - .address_space:  global
        .offset:         8
        .size:           8
        .value_kind:     global_buffer
      - .offset:         16
        .size:           4
        .value_kind:     by_value
      - .offset:         20
        .size:           4
        .value_kind:     by_value
      - .offset:         24
        .size:           4
        .value_kind:     by_value
      - .address_space:  global
        .offset:         32
        .size:           8
        .value_kind:     global_buffer
      - .offset:         40
        .size:           4
        .value_kind:     by_value
      - .offset:         44
        .size:           1
        .value_kind:     by_value
      - .offset:         48
        .size:           4
        .value_kind:     hidden_block_count_x
      - .offset:         52
        .size:           4
        .value_kind:     hidden_block_count_y
      - .offset:         56
        .size:           4
        .value_kind:     hidden_block_count_z
      - .offset:         60
        .size:           2
        .value_kind:     hidden_group_size_x
      - .offset:         62
        .size:           2
        .value_kind:     hidden_group_size_y
      - .offset:         64
        .size:           2
        .value_kind:     hidden_group_size_z
      - .offset:         66
        .size:           2
        .value_kind:     hidden_remainder_x
      - .offset:         68
        .size:           2
        .value_kind:     hidden_remainder_y
      - .offset:         70
        .size:           2
        .value_kind:     hidden_remainder_z
      - .offset:         88
        .size:           8
        .value_kind:     hidden_global_offset_x
      - .offset:         96
        .size:           8
        .value_kind:     hidden_global_offset_y
      - .offset:         104
        .size:           8
        .value_kind:     hidden_global_offset_z
      - .offset:         112
        .size:           2
        .value_kind:     hidden_grid_dims
    .group_segment_fixed_size: 0
    .kernarg_segment_align: 8
    .kernarg_segment_size: 304
    .language:       OpenCL C
    .language_version:
      - 2
      - 0
    .max_flat_workgroup_size: 1024
    .name:           _ZN12_GLOBAL__N_120softmax_warp_forwardIN3c108BFloat16EffLi4ELb1ELb0ELi32EEEvPT0_PKT_iiiPKbib
    .private_segment_fixed_size: 0
    .sgpr_count:     18
    .sgpr_spill_count: 0
    .symbol:         _ZN12_GLOBAL__N_120softmax_warp_forwardIN3c108BFloat16EffLi4ELb1ELb0ELi32EEEvPT0_PKT_iiiPKbib.kd
    .uniform_work_group_size: 1
    .uses_dynamic_stack: false
    .vgpr_count:     15
    .vgpr_spill_count: 0
    .wavefront_size: 32
    .workgroup_processor_mode: 1
  - .args:
      - .address_space:  global
        .offset:         0
        .size:           8
        .value_kind:     global_buffer
      - .address_space:  global
        .offset:         8
        .size:           8
        .value_kind:     global_buffer
      - .offset:         16
        .size:           4
        .value_kind:     by_value
      - .offset:         20
        .size:           4
        .value_kind:     by_value
      - .offset:         24
        .size:           4
        .value_kind:     by_value
      - .address_space:  global
        .offset:         32
        .size:           8
        .value_kind:     global_buffer
      - .offset:         40
        .size:           4
        .value_kind:     by_value
      - .offset:         44
        .size:           1
        .value_kind:     by_value
      - .offset:         48
        .size:           4
        .value_kind:     hidden_block_count_x
      - .offset:         52
        .size:           4
        .value_kind:     hidden_block_count_y
      - .offset:         56
        .size:           4
        .value_kind:     hidden_block_count_z
      - .offset:         60
        .size:           2
        .value_kind:     hidden_group_size_x
      - .offset:         62
        .size:           2
        .value_kind:     hidden_group_size_y
      - .offset:         64
        .size:           2
        .value_kind:     hidden_group_size_z
      - .offset:         66
        .size:           2
        .value_kind:     hidden_remainder_x
      - .offset:         68
        .size:           2
        .value_kind:     hidden_remainder_y
      - .offset:         70
        .size:           2
        .value_kind:     hidden_remainder_z
      - .offset:         88
        .size:           8
        .value_kind:     hidden_global_offset_x
      - .offset:         96
        .size:           8
        .value_kind:     hidden_global_offset_y
      - .offset:         104
        .size:           8
        .value_kind:     hidden_global_offset_z
      - .offset:         112
        .size:           2
        .value_kind:     hidden_grid_dims
    .group_segment_fixed_size: 0
    .kernarg_segment_align: 8
    .kernarg_segment_size: 304
    .language:       OpenCL C
    .language_version:
      - 2
      - 0
    .max_flat_workgroup_size: 1024
    .name:           _ZN12_GLOBAL__N_120softmax_warp_forwardIN3c108BFloat16EffLi5ELb1ELb0ELi64EEEvPT0_PKT_iiiPKbib
    .private_segment_fixed_size: 0
    .sgpr_count:     18
    .sgpr_spill_count: 0
    .symbol:         _ZN12_GLOBAL__N_120softmax_warp_forwardIN3c108BFloat16EffLi5ELb1ELb0ELi64EEEvPT0_PKT_iiiPKbib.kd
    .uniform_work_group_size: 1
    .uses_dynamic_stack: false
    .vgpr_count:     16
    .vgpr_spill_count: 0
    .wavefront_size: 32
    .workgroup_processor_mode: 1
  - .args:
      - .address_space:  global
        .offset:         0
        .size:           8
        .value_kind:     global_buffer
      - .address_space:  global
        .offset:         8
        .size:           8
        .value_kind:     global_buffer
      - .offset:         16
        .size:           4
        .value_kind:     by_value
      - .offset:         20
        .size:           4
        .value_kind:     by_value
      - .offset:         24
        .size:           4
        .value_kind:     by_value
      - .address_space:  global
        .offset:         32
        .size:           8
        .value_kind:     global_buffer
      - .offset:         40
        .size:           4
        .value_kind:     by_value
      - .offset:         44
        .size:           1
        .value_kind:     by_value
      - .offset:         48
        .size:           4
        .value_kind:     hidden_block_count_x
      - .offset:         52
        .size:           4
        .value_kind:     hidden_block_count_y
      - .offset:         56
        .size:           4
        .value_kind:     hidden_block_count_z
      - .offset:         60
        .size:           2
        .value_kind:     hidden_group_size_x
      - .offset:         62
        .size:           2
        .value_kind:     hidden_group_size_y
      - .offset:         64
        .size:           2
        .value_kind:     hidden_group_size_z
      - .offset:         66
        .size:           2
        .value_kind:     hidden_remainder_x
      - .offset:         68
        .size:           2
        .value_kind:     hidden_remainder_y
      - .offset:         70
        .size:           2
        .value_kind:     hidden_remainder_z
      - .offset:         88
        .size:           8
        .value_kind:     hidden_global_offset_x
      - .offset:         96
        .size:           8
        .value_kind:     hidden_global_offset_y
      - .offset:         104
        .size:           8
        .value_kind:     hidden_global_offset_z
      - .offset:         112
        .size:           2
        .value_kind:     hidden_grid_dims
    .group_segment_fixed_size: 0
    .kernarg_segment_align: 8
    .kernarg_segment_size: 304
    .language:       OpenCL C
    .language_version:
      - 2
      - 0
    .max_flat_workgroup_size: 1024
    .name:           _ZN12_GLOBAL__N_120softmax_warp_forwardIN3c108BFloat16EffLi5ELb1ELb0ELi32EEEvPT0_PKT_iiiPKbib
    .private_segment_fixed_size: 0
    .sgpr_count:     18
    .sgpr_spill_count: 0
    .symbol:         _ZN12_GLOBAL__N_120softmax_warp_forwardIN3c108BFloat16EffLi5ELb1ELb0ELi32EEEvPT0_PKT_iiiPKbib.kd
    .uniform_work_group_size: 1
    .uses_dynamic_stack: false
    .vgpr_count:     16
    .vgpr_spill_count: 0
    .wavefront_size: 32
    .workgroup_processor_mode: 1
  - .args:
      - .address_space:  global
        .offset:         0
        .size:           8
        .value_kind:     global_buffer
      - .address_space:  global
        .offset:         8
        .size:           8
        .value_kind:     global_buffer
      - .offset:         16
        .size:           4
        .value_kind:     by_value
      - .offset:         20
        .size:           4
        .value_kind:     by_value
      - .offset:         24
        .size:           4
        .value_kind:     by_value
      - .address_space:  global
        .offset:         32
        .size:           8
        .value_kind:     global_buffer
      - .offset:         40
        .size:           4
        .value_kind:     by_value
      - .offset:         44
        .size:           1
        .value_kind:     by_value
      - .offset:         48
        .size:           4
        .value_kind:     hidden_block_count_x
      - .offset:         52
        .size:           4
        .value_kind:     hidden_block_count_y
      - .offset:         56
        .size:           4
        .value_kind:     hidden_block_count_z
      - .offset:         60
        .size:           2
        .value_kind:     hidden_group_size_x
      - .offset:         62
        .size:           2
        .value_kind:     hidden_group_size_y
      - .offset:         64
        .size:           2
        .value_kind:     hidden_group_size_z
      - .offset:         66
        .size:           2
        .value_kind:     hidden_remainder_x
      - .offset:         68
        .size:           2
        .value_kind:     hidden_remainder_y
      - .offset:         70
        .size:           2
        .value_kind:     hidden_remainder_z
      - .offset:         88
        .size:           8
        .value_kind:     hidden_global_offset_x
      - .offset:         96
        .size:           8
        .value_kind:     hidden_global_offset_y
      - .offset:         104
        .size:           8
        .value_kind:     hidden_global_offset_z
      - .offset:         112
        .size:           2
        .value_kind:     hidden_grid_dims
    .group_segment_fixed_size: 0
    .kernarg_segment_align: 8
    .kernarg_segment_size: 304
    .language:       OpenCL C
    .language_version:
      - 2
      - 0
    .max_flat_workgroup_size: 1024
    .name:           _ZN12_GLOBAL__N_120softmax_warp_forwardIN3c108BFloat16EffLi6ELb1ELb0ELi64EEEvPT0_PKT_iiiPKbib
    .private_segment_fixed_size: 0
    .sgpr_count:     18
    .sgpr_spill_count: 0
    .symbol:         _ZN12_GLOBAL__N_120softmax_warp_forwardIN3c108BFloat16EffLi6ELb1ELb0ELi64EEEvPT0_PKT_iiiPKbib.kd
    .uniform_work_group_size: 1
    .uses_dynamic_stack: false
    .vgpr_count:     17
    .vgpr_spill_count: 0
    .wavefront_size: 32
    .workgroup_processor_mode: 1
  - .args:
      - .address_space:  global
        .offset:         0
        .size:           8
        .value_kind:     global_buffer
      - .address_space:  global
        .offset:         8
        .size:           8
        .value_kind:     global_buffer
      - .offset:         16
        .size:           4
        .value_kind:     by_value
      - .offset:         20
        .size:           4
        .value_kind:     by_value
      - .offset:         24
        .size:           4
        .value_kind:     by_value
      - .address_space:  global
        .offset:         32
        .size:           8
        .value_kind:     global_buffer
      - .offset:         40
        .size:           4
        .value_kind:     by_value
      - .offset:         44
        .size:           1
        .value_kind:     by_value
      - .offset:         48
        .size:           4
        .value_kind:     hidden_block_count_x
      - .offset:         52
        .size:           4
        .value_kind:     hidden_block_count_y
      - .offset:         56
        .size:           4
        .value_kind:     hidden_block_count_z
      - .offset:         60
        .size:           2
        .value_kind:     hidden_group_size_x
      - .offset:         62
        .size:           2
        .value_kind:     hidden_group_size_y
      - .offset:         64
        .size:           2
        .value_kind:     hidden_group_size_z
      - .offset:         66
        .size:           2
        .value_kind:     hidden_remainder_x
      - .offset:         68
        .size:           2
        .value_kind:     hidden_remainder_y
      - .offset:         70
        .size:           2
        .value_kind:     hidden_remainder_z
      - .offset:         88
        .size:           8
        .value_kind:     hidden_global_offset_x
      - .offset:         96
        .size:           8
        .value_kind:     hidden_global_offset_y
      - .offset:         104
        .size:           8
        .value_kind:     hidden_global_offset_z
      - .offset:         112
        .size:           2
        .value_kind:     hidden_grid_dims
    .group_segment_fixed_size: 0
    .kernarg_segment_align: 8
    .kernarg_segment_size: 304
    .language:       OpenCL C
    .language_version:
      - 2
      - 0
    .max_flat_workgroup_size: 1024
    .name:           _ZN12_GLOBAL__N_120softmax_warp_forwardIN3c108BFloat16EffLi6ELb1ELb0ELi32EEEvPT0_PKT_iiiPKbib
    .private_segment_fixed_size: 0
    .sgpr_count:     18
    .sgpr_spill_count: 0
    .symbol:         _ZN12_GLOBAL__N_120softmax_warp_forwardIN3c108BFloat16EffLi6ELb1ELb0ELi32EEEvPT0_PKT_iiiPKbib.kd
    .uniform_work_group_size: 1
    .uses_dynamic_stack: false
    .vgpr_count:     24
    .vgpr_spill_count: 0
    .wavefront_size: 32
    .workgroup_processor_mode: 1
  - .args:
      - .address_space:  global
        .offset:         0
        .size:           8
        .value_kind:     global_buffer
      - .address_space:  global
        .offset:         8
        .size:           8
        .value_kind:     global_buffer
      - .offset:         16
        .size:           4
        .value_kind:     by_value
      - .offset:         20
        .size:           4
        .value_kind:     by_value
      - .offset:         24
        .size:           4
        .value_kind:     by_value
      - .address_space:  global
        .offset:         32
        .size:           8
        .value_kind:     global_buffer
      - .offset:         40
        .size:           4
        .value_kind:     by_value
      - .offset:         44
        .size:           1
        .value_kind:     by_value
      - .offset:         48
        .size:           4
        .value_kind:     hidden_block_count_x
      - .offset:         52
        .size:           4
        .value_kind:     hidden_block_count_y
      - .offset:         56
        .size:           4
        .value_kind:     hidden_block_count_z
      - .offset:         60
        .size:           2
        .value_kind:     hidden_group_size_x
      - .offset:         62
        .size:           2
        .value_kind:     hidden_group_size_y
      - .offset:         64
        .size:           2
        .value_kind:     hidden_group_size_z
      - .offset:         66
        .size:           2
        .value_kind:     hidden_remainder_x
      - .offset:         68
        .size:           2
        .value_kind:     hidden_remainder_y
      - .offset:         70
        .size:           2
        .value_kind:     hidden_remainder_z
      - .offset:         88
        .size:           8
        .value_kind:     hidden_global_offset_x
      - .offset:         96
        .size:           8
        .value_kind:     hidden_global_offset_y
      - .offset:         104
        .size:           8
        .value_kind:     hidden_global_offset_z
      - .offset:         112
        .size:           2
        .value_kind:     hidden_grid_dims
    .group_segment_fixed_size: 0
    .kernarg_segment_align: 8
    .kernarg_segment_size: 304
    .language:       OpenCL C
    .language_version:
      - 2
      - 0
    .max_flat_workgroup_size: 1024
    .name:           _ZN12_GLOBAL__N_120softmax_warp_forwardIN3c108BFloat16EffLi7ELb1ELb0ELi64EEEvPT0_PKT_iiiPKbib
    .private_segment_fixed_size: 0
    .sgpr_count:     18
    .sgpr_spill_count: 0
    .symbol:         _ZN12_GLOBAL__N_120softmax_warp_forwardIN3c108BFloat16EffLi7ELb1ELb0ELi64EEEvPT0_PKT_iiiPKbib.kd
    .uniform_work_group_size: 1
    .uses_dynamic_stack: false
    .vgpr_count:     25
    .vgpr_spill_count: 0
    .wavefront_size: 32
    .workgroup_processor_mode: 1
  - .args:
      - .address_space:  global
        .offset:         0
        .size:           8
        .value_kind:     global_buffer
      - .address_space:  global
        .offset:         8
        .size:           8
        .value_kind:     global_buffer
      - .offset:         16
        .size:           4
        .value_kind:     by_value
      - .offset:         20
        .size:           4
        .value_kind:     by_value
      - .offset:         24
        .size:           4
        .value_kind:     by_value
      - .address_space:  global
        .offset:         32
        .size:           8
        .value_kind:     global_buffer
      - .offset:         40
        .size:           4
        .value_kind:     by_value
      - .offset:         44
        .size:           1
        .value_kind:     by_value
      - .offset:         48
        .size:           4
        .value_kind:     hidden_block_count_x
      - .offset:         52
        .size:           4
        .value_kind:     hidden_block_count_y
      - .offset:         56
        .size:           4
        .value_kind:     hidden_block_count_z
      - .offset:         60
        .size:           2
        .value_kind:     hidden_group_size_x
      - .offset:         62
        .size:           2
        .value_kind:     hidden_group_size_y
      - .offset:         64
        .size:           2
        .value_kind:     hidden_group_size_z
      - .offset:         66
        .size:           2
        .value_kind:     hidden_remainder_x
      - .offset:         68
        .size:           2
        .value_kind:     hidden_remainder_y
      - .offset:         70
        .size:           2
        .value_kind:     hidden_remainder_z
      - .offset:         88
        .size:           8
        .value_kind:     hidden_global_offset_x
      - .offset:         96
        .size:           8
        .value_kind:     hidden_global_offset_y
      - .offset:         104
        .size:           8
        .value_kind:     hidden_global_offset_z
      - .offset:         112
        .size:           2
        .value_kind:     hidden_grid_dims
    .group_segment_fixed_size: 0
    .kernarg_segment_align: 8
    .kernarg_segment_size: 304
    .language:       OpenCL C
    .language_version:
      - 2
      - 0
    .max_flat_workgroup_size: 1024
    .name:           _ZN12_GLOBAL__N_120softmax_warp_forwardIN3c108BFloat16EffLi7ELb1ELb0ELi32EEEvPT0_PKT_iiiPKbib
    .private_segment_fixed_size: 0
    .sgpr_count:     18
    .sgpr_spill_count: 0
    .symbol:         _ZN12_GLOBAL__N_120softmax_warp_forwardIN3c108BFloat16EffLi7ELb1ELb0ELi32EEEvPT0_PKT_iiiPKbib.kd
    .uniform_work_group_size: 1
    .uses_dynamic_stack: false
    .vgpr_count:     40
    .vgpr_spill_count: 0
    .wavefront_size: 32
    .workgroup_processor_mode: 1
  - .args:
      - .address_space:  global
        .offset:         0
        .size:           8
        .value_kind:     global_buffer
      - .address_space:  global
        .offset:         8
        .size:           8
        .value_kind:     global_buffer
      - .offset:         16
        .size:           4
        .value_kind:     by_value
      - .offset:         20
        .size:           4
        .value_kind:     by_value
      - .offset:         24
        .size:           4
        .value_kind:     by_value
      - .address_space:  global
        .offset:         32
        .size:           8
        .value_kind:     global_buffer
      - .offset:         40
        .size:           4
        .value_kind:     by_value
      - .offset:         44
        .size:           1
        .value_kind:     by_value
      - .offset:         48
        .size:           4
        .value_kind:     hidden_block_count_x
      - .offset:         52
        .size:           4
        .value_kind:     hidden_block_count_y
      - .offset:         56
        .size:           4
        .value_kind:     hidden_block_count_z
      - .offset:         60
        .size:           2
        .value_kind:     hidden_group_size_x
      - .offset:         62
        .size:           2
        .value_kind:     hidden_group_size_y
      - .offset:         64
        .size:           2
        .value_kind:     hidden_group_size_z
      - .offset:         66
        .size:           2
        .value_kind:     hidden_remainder_x
      - .offset:         68
        .size:           2
        .value_kind:     hidden_remainder_y
      - .offset:         70
        .size:           2
        .value_kind:     hidden_remainder_z
      - .offset:         88
        .size:           8
        .value_kind:     hidden_global_offset_x
      - .offset:         96
        .size:           8
        .value_kind:     hidden_global_offset_y
      - .offset:         104
        .size:           8
        .value_kind:     hidden_global_offset_z
      - .offset:         112
        .size:           2
        .value_kind:     hidden_grid_dims
    .group_segment_fixed_size: 0
    .kernarg_segment_align: 8
    .kernarg_segment_size: 304
    .language:       OpenCL C
    .language_version:
      - 2
      - 0
    .max_flat_workgroup_size: 1024
    .name:           _ZN12_GLOBAL__N_120softmax_warp_forwardIN3c108BFloat16EffLi8ELb1ELb0ELi64EEEvPT0_PKT_iiiPKbib
    .private_segment_fixed_size: 0
    .sgpr_count:     18
    .sgpr_spill_count: 0
    .symbol:         _ZN12_GLOBAL__N_120softmax_warp_forwardIN3c108BFloat16EffLi8ELb1ELb0ELi64EEEvPT0_PKT_iiiPKbib.kd
    .uniform_work_group_size: 1
    .uses_dynamic_stack: false
    .vgpr_count:     24
    .vgpr_spill_count: 0
    .wavefront_size: 32
    .workgroup_processor_mode: 1
  - .args:
      - .address_space:  global
        .offset:         0
        .size:           8
        .value_kind:     global_buffer
      - .address_space:  global
        .offset:         8
        .size:           8
        .value_kind:     global_buffer
      - .offset:         16
        .size:           4
        .value_kind:     by_value
      - .offset:         20
        .size:           4
        .value_kind:     by_value
      - .offset:         24
        .size:           4
        .value_kind:     by_value
      - .address_space:  global
        .offset:         32
        .size:           8
        .value_kind:     global_buffer
      - .offset:         40
        .size:           4
        .value_kind:     by_value
      - .offset:         44
        .size:           1
        .value_kind:     by_value
      - .offset:         48
        .size:           4
        .value_kind:     hidden_block_count_x
      - .offset:         52
        .size:           4
        .value_kind:     hidden_block_count_y
      - .offset:         56
        .size:           4
        .value_kind:     hidden_block_count_z
      - .offset:         60
        .size:           2
        .value_kind:     hidden_group_size_x
      - .offset:         62
        .size:           2
        .value_kind:     hidden_group_size_y
      - .offset:         64
        .size:           2
        .value_kind:     hidden_group_size_z
      - .offset:         66
        .size:           2
        .value_kind:     hidden_remainder_x
      - .offset:         68
        .size:           2
        .value_kind:     hidden_remainder_y
      - .offset:         70
        .size:           2
        .value_kind:     hidden_remainder_z
      - .offset:         88
        .size:           8
        .value_kind:     hidden_global_offset_x
      - .offset:         96
        .size:           8
        .value_kind:     hidden_global_offset_y
      - .offset:         104
        .size:           8
        .value_kind:     hidden_global_offset_z
      - .offset:         112
        .size:           2
        .value_kind:     hidden_grid_dims
    .group_segment_fixed_size: 0
    .kernarg_segment_align: 8
    .kernarg_segment_size: 304
    .language:       OpenCL C
    .language_version:
      - 2
      - 0
    .max_flat_workgroup_size: 1024
    .name:           _ZN12_GLOBAL__N_120softmax_warp_forwardIN3c108BFloat16EffLi8ELb1ELb0ELi32EEEvPT0_PKT_iiiPKbib
    .private_segment_fixed_size: 0
    .sgpr_count:     18
    .sgpr_spill_count: 0
    .symbol:         _ZN12_GLOBAL__N_120softmax_warp_forwardIN3c108BFloat16EffLi8ELb1ELb0ELi32EEEvPT0_PKT_iiiPKbib.kd
    .uniform_work_group_size: 1
    .uses_dynamic_stack: false
    .vgpr_count:     40
    .vgpr_spill_count: 0
    .wavefront_size: 32
    .workgroup_processor_mode: 1
  - .args:
      - .address_space:  global
        .offset:         0
        .size:           8
        .value_kind:     global_buffer
      - .address_space:  global
        .offset:         8
        .size:           8
        .value_kind:     global_buffer
      - .offset:         16
        .size:           4
        .value_kind:     by_value
      - .offset:         20
        .size:           4
        .value_kind:     by_value
      - .offset:         24
        .size:           4
        .value_kind:     by_value
      - .address_space:  global
        .offset:         32
        .size:           8
        .value_kind:     global_buffer
      - .offset:         40
        .size:           4
        .value_kind:     by_value
      - .offset:         44
        .size:           1
        .value_kind:     by_value
      - .offset:         48
        .size:           4
        .value_kind:     hidden_block_count_x
      - .offset:         52
        .size:           4
        .value_kind:     hidden_block_count_y
      - .offset:         56
        .size:           4
        .value_kind:     hidden_block_count_z
      - .offset:         60
        .size:           2
        .value_kind:     hidden_group_size_x
      - .offset:         62
        .size:           2
        .value_kind:     hidden_group_size_y
      - .offset:         64
        .size:           2
        .value_kind:     hidden_group_size_z
      - .offset:         66
        .size:           2
        .value_kind:     hidden_remainder_x
      - .offset:         68
        .size:           2
        .value_kind:     hidden_remainder_y
      - .offset:         70
        .size:           2
        .value_kind:     hidden_remainder_z
      - .offset:         88
        .size:           8
        .value_kind:     hidden_global_offset_x
      - .offset:         96
        .size:           8
        .value_kind:     hidden_global_offset_y
      - .offset:         104
        .size:           8
        .value_kind:     hidden_global_offset_z
      - .offset:         112
        .size:           2
        .value_kind:     hidden_grid_dims
    .group_segment_fixed_size: 0
    .kernarg_segment_align: 8
    .kernarg_segment_size: 304
    .language:       OpenCL C
    .language_version:
      - 2
      - 0
    .max_flat_workgroup_size: 1024
    .name:           _ZN12_GLOBAL__N_120softmax_warp_forwardIN3c108BFloat16EffLi9ELb1ELb0ELi64EEEvPT0_PKT_iiiPKbib
    .private_segment_fixed_size: 0
    .sgpr_count:     18
    .sgpr_spill_count: 0
    .symbol:         _ZN12_GLOBAL__N_120softmax_warp_forwardIN3c108BFloat16EffLi9ELb1ELb0ELi64EEEvPT0_PKT_iiiPKbib.kd
    .uniform_work_group_size: 1
    .uses_dynamic_stack: false
    .vgpr_count:     41
    .vgpr_spill_count: 0
    .wavefront_size: 32
    .workgroup_processor_mode: 1
  - .args:
      - .address_space:  global
        .offset:         0
        .size:           8
        .value_kind:     global_buffer
      - .address_space:  global
        .offset:         8
        .size:           8
        .value_kind:     global_buffer
      - .offset:         16
        .size:           4
        .value_kind:     by_value
      - .offset:         20
        .size:           4
        .value_kind:     by_value
      - .offset:         24
        .size:           4
        .value_kind:     by_value
      - .address_space:  global
        .offset:         32
        .size:           8
        .value_kind:     global_buffer
      - .offset:         40
        .size:           4
        .value_kind:     by_value
      - .offset:         44
        .size:           1
        .value_kind:     by_value
      - .offset:         48
        .size:           4
        .value_kind:     hidden_block_count_x
      - .offset:         52
        .size:           4
        .value_kind:     hidden_block_count_y
      - .offset:         56
        .size:           4
        .value_kind:     hidden_block_count_z
      - .offset:         60
        .size:           2
        .value_kind:     hidden_group_size_x
      - .offset:         62
        .size:           2
        .value_kind:     hidden_group_size_y
      - .offset:         64
        .size:           2
        .value_kind:     hidden_group_size_z
      - .offset:         66
        .size:           2
        .value_kind:     hidden_remainder_x
      - .offset:         68
        .size:           2
        .value_kind:     hidden_remainder_y
      - .offset:         70
        .size:           2
        .value_kind:     hidden_remainder_z
      - .offset:         88
        .size:           8
        .value_kind:     hidden_global_offset_x
      - .offset:         96
        .size:           8
        .value_kind:     hidden_global_offset_y
      - .offset:         104
        .size:           8
        .value_kind:     hidden_global_offset_z
      - .offset:         112
        .size:           2
        .value_kind:     hidden_grid_dims
    .group_segment_fixed_size: 0
    .kernarg_segment_align: 8
    .kernarg_segment_size: 304
    .language:       OpenCL C
    .language_version:
      - 2
      - 0
    .max_flat_workgroup_size: 1024
    .name:           _ZN12_GLOBAL__N_120softmax_warp_forwardIN3c108BFloat16EffLi9ELb1ELb0ELi32EEEvPT0_PKT_iiiPKbib
    .private_segment_fixed_size: 0
    .sgpr_count:     26
    .sgpr_spill_count: 0
    .symbol:         _ZN12_GLOBAL__N_120softmax_warp_forwardIN3c108BFloat16EffLi9ELb1ELb0ELi32EEEvPT0_PKT_iiiPKbib.kd
    .uniform_work_group_size: 1
    .uses_dynamic_stack: false
    .vgpr_count:     62
    .vgpr_spill_count: 0
    .wavefront_size: 32
    .workgroup_processor_mode: 1
  - .args:
      - .address_space:  global
        .offset:         0
        .size:           8
        .value_kind:     global_buffer
      - .address_space:  global
        .offset:         8
        .size:           8
        .value_kind:     global_buffer
      - .offset:         16
        .size:           4
        .value_kind:     by_value
      - .offset:         20
        .size:           4
        .value_kind:     by_value
      - .offset:         24
        .size:           4
        .value_kind:     by_value
      - .address_space:  global
        .offset:         32
        .size:           8
        .value_kind:     global_buffer
      - .offset:         40
        .size:           4
        .value_kind:     by_value
      - .offset:         44
        .size:           1
        .value_kind:     by_value
      - .offset:         48
        .size:           4
        .value_kind:     hidden_block_count_x
      - .offset:         52
        .size:           4
        .value_kind:     hidden_block_count_y
      - .offset:         56
        .size:           4
        .value_kind:     hidden_block_count_z
      - .offset:         60
        .size:           2
        .value_kind:     hidden_group_size_x
      - .offset:         62
        .size:           2
        .value_kind:     hidden_group_size_y
      - .offset:         64
        .size:           2
        .value_kind:     hidden_group_size_z
      - .offset:         66
        .size:           2
        .value_kind:     hidden_remainder_x
      - .offset:         68
        .size:           2
        .value_kind:     hidden_remainder_y
      - .offset:         70
        .size:           2
        .value_kind:     hidden_remainder_z
      - .offset:         88
        .size:           8
        .value_kind:     hidden_global_offset_x
      - .offset:         96
        .size:           8
        .value_kind:     hidden_global_offset_y
      - .offset:         104
        .size:           8
        .value_kind:     hidden_global_offset_z
      - .offset:         112
        .size:           2
        .value_kind:     hidden_grid_dims
    .group_segment_fixed_size: 0
    .kernarg_segment_align: 8
    .kernarg_segment_size: 304
    .language:       OpenCL C
    .language_version:
      - 2
      - 0
    .max_flat_workgroup_size: 1024
    .name:           _ZN12_GLOBAL__N_120softmax_warp_forwardIN3c108BFloat16EffLi10ELb1ELb0ELi64EEEvPT0_PKT_iiiPKbib
    .private_segment_fixed_size: 0
    .sgpr_count:     26
    .sgpr_spill_count: 0
    .symbol:         _ZN12_GLOBAL__N_120softmax_warp_forwardIN3c108BFloat16EffLi10ELb1ELb0ELi64EEEvPT0_PKT_iiiPKbib.kd
    .uniform_work_group_size: 1
    .uses_dynamic_stack: false
    .vgpr_count:     62
    .vgpr_spill_count: 0
    .wavefront_size: 32
    .workgroup_processor_mode: 1
  - .args:
      - .address_space:  global
        .offset:         0
        .size:           8
        .value_kind:     global_buffer
      - .address_space:  global
        .offset:         8
        .size:           8
        .value_kind:     global_buffer
      - .offset:         16
        .size:           4
        .value_kind:     by_value
      - .offset:         20
        .size:           4
        .value_kind:     by_value
      - .offset:         24
        .size:           4
        .value_kind:     by_value
      - .address_space:  global
        .offset:         32
        .size:           8
        .value_kind:     global_buffer
      - .offset:         40
        .size:           4
        .value_kind:     by_value
      - .offset:         44
        .size:           1
        .value_kind:     by_value
      - .offset:         48
        .size:           4
        .value_kind:     hidden_block_count_x
      - .offset:         52
        .size:           4
        .value_kind:     hidden_block_count_y
      - .offset:         56
        .size:           4
        .value_kind:     hidden_block_count_z
      - .offset:         60
        .size:           2
        .value_kind:     hidden_group_size_x
      - .offset:         62
        .size:           2
        .value_kind:     hidden_group_size_y
      - .offset:         64
        .size:           2
        .value_kind:     hidden_group_size_z
      - .offset:         66
        .size:           2
        .value_kind:     hidden_remainder_x
      - .offset:         68
        .size:           2
        .value_kind:     hidden_remainder_y
      - .offset:         70
        .size:           2
        .value_kind:     hidden_remainder_z
      - .offset:         88
        .size:           8
        .value_kind:     hidden_global_offset_x
      - .offset:         96
        .size:           8
        .value_kind:     hidden_global_offset_y
      - .offset:         104
        .size:           8
        .value_kind:     hidden_global_offset_z
      - .offset:         112
        .size:           2
        .value_kind:     hidden_grid_dims
    .group_segment_fixed_size: 0
    .kernarg_segment_align: 8
    .kernarg_segment_size: 304
    .language:       OpenCL C
    .language_version:
      - 2
      - 0
    .max_flat_workgroup_size: 1024
    .name:           _ZN12_GLOBAL__N_120softmax_warp_forwardIN3c108BFloat16EffLi10ELb1ELb0ELi32EEEvPT0_PKT_iiiPKbib
    .private_segment_fixed_size: 0
    .sgpr_count:     46
    .sgpr_spill_count: 0
    .symbol:         _ZN12_GLOBAL__N_120softmax_warp_forwardIN3c108BFloat16EffLi10ELb1ELb0ELi32EEEvPT0_PKT_iiiPKbib.kd
    .uniform_work_group_size: 1
    .uses_dynamic_stack: false
    .vgpr_count:     45
    .vgpr_spill_count: 0
    .wavefront_size: 32
    .workgroup_processor_mode: 1
  - .args:
      - .address_space:  global
        .offset:         0
        .size:           8
        .value_kind:     global_buffer
      - .address_space:  global
        .offset:         8
        .size:           8
        .value_kind:     global_buffer
      - .offset:         16
        .size:           4
        .value_kind:     by_value
      - .offset:         20
        .size:           4
        .value_kind:     by_value
      - .offset:         24
        .size:           4
        .value_kind:     by_value
      - .address_space:  global
        .offset:         32
        .size:           8
        .value_kind:     global_buffer
      - .offset:         40
        .size:           4
        .value_kind:     by_value
      - .offset:         44
        .size:           1
        .value_kind:     by_value
      - .offset:         48
        .size:           4
        .value_kind:     hidden_block_count_x
      - .offset:         52
        .size:           4
        .value_kind:     hidden_block_count_y
      - .offset:         56
        .size:           4
        .value_kind:     hidden_block_count_z
      - .offset:         60
        .size:           2
        .value_kind:     hidden_group_size_x
      - .offset:         62
        .size:           2
        .value_kind:     hidden_group_size_y
      - .offset:         64
        .size:           2
        .value_kind:     hidden_group_size_z
      - .offset:         66
        .size:           2
        .value_kind:     hidden_remainder_x
      - .offset:         68
        .size:           2
        .value_kind:     hidden_remainder_y
      - .offset:         70
        .size:           2
        .value_kind:     hidden_remainder_z
      - .offset:         88
        .size:           8
        .value_kind:     hidden_global_offset_x
      - .offset:         96
        .size:           8
        .value_kind:     hidden_global_offset_y
      - .offset:         104
        .size:           8
        .value_kind:     hidden_global_offset_z
      - .offset:         112
        .size:           2
        .value_kind:     hidden_grid_dims
    .group_segment_fixed_size: 0
    .kernarg_segment_align: 8
    .kernarg_segment_size: 304
    .language:       OpenCL C
    .language_version:
      - 2
      - 0
    .max_flat_workgroup_size: 1024
    .name:           _ZN12_GLOBAL__N_120softmax_warp_forwardIN3c108BFloat16EffLi11ELb1ELb0ELi64EEEvPT0_PKT_iiiPKbib
    .private_segment_fixed_size: 0
    .sgpr_count:     46
    .sgpr_spill_count: 0
    .symbol:         _ZN12_GLOBAL__N_120softmax_warp_forwardIN3c108BFloat16EffLi11ELb1ELb0ELi64EEEvPT0_PKT_iiiPKbib.kd
    .uniform_work_group_size: 1
    .uses_dynamic_stack: false
    .vgpr_count:     46
    .vgpr_spill_count: 0
    .wavefront_size: 32
    .workgroup_processor_mode: 1
  - .args:
      - .address_space:  global
        .offset:         0
        .size:           8
        .value_kind:     global_buffer
      - .address_space:  global
        .offset:         8
        .size:           8
        .value_kind:     global_buffer
      - .offset:         16
        .size:           4
        .value_kind:     by_value
      - .offset:         20
        .size:           4
        .value_kind:     by_value
      - .offset:         24
        .size:           4
        .value_kind:     by_value
      - .address_space:  global
        .offset:         32
        .size:           8
        .value_kind:     global_buffer
      - .offset:         40
        .size:           4
        .value_kind:     by_value
      - .offset:         44
        .size:           1
        .value_kind:     by_value
      - .offset:         48
        .size:           4
        .value_kind:     hidden_block_count_x
      - .offset:         52
        .size:           4
        .value_kind:     hidden_block_count_y
      - .offset:         56
        .size:           4
        .value_kind:     hidden_block_count_z
      - .offset:         60
        .size:           2
        .value_kind:     hidden_group_size_x
      - .offset:         62
        .size:           2
        .value_kind:     hidden_group_size_y
      - .offset:         64
        .size:           2
        .value_kind:     hidden_group_size_z
      - .offset:         66
        .size:           2
        .value_kind:     hidden_remainder_x
      - .offset:         68
        .size:           2
        .value_kind:     hidden_remainder_y
      - .offset:         70
        .size:           2
        .value_kind:     hidden_remainder_z
      - .offset:         88
        .size:           8
        .value_kind:     hidden_global_offset_x
      - .offset:         96
        .size:           8
        .value_kind:     hidden_global_offset_y
      - .offset:         104
        .size:           8
        .value_kind:     hidden_global_offset_z
      - .offset:         112
        .size:           2
        .value_kind:     hidden_grid_dims
    .group_segment_fixed_size: 0
    .kernarg_segment_align: 8
    .kernarg_segment_size: 304
    .language:       OpenCL C
    .language_version:
      - 2
      - 0
    .max_flat_workgroup_size: 1024
    .name:           _ZN12_GLOBAL__N_120softmax_warp_forwardIN3c108BFloat16EffLi11ELb1ELb0ELi32EEEvPT0_PKT_iiiPKbib
    .private_segment_fixed_size: 0
    .sgpr_count:     78
    .sgpr_spill_count: 0
    .symbol:         _ZN12_GLOBAL__N_120softmax_warp_forwardIN3c108BFloat16EffLi11ELb1ELb0ELi32EEEvPT0_PKT_iiiPKbib.kd
    .uniform_work_group_size: 1
    .uses_dynamic_stack: false
    .vgpr_count:     77
    .vgpr_spill_count: 0
    .wavefront_size: 32
    .workgroup_processor_mode: 1
  - .args:
      - .address_space:  global
        .offset:         0
        .size:           8
        .value_kind:     global_buffer
      - .address_space:  global
        .offset:         8
        .size:           8
        .value_kind:     global_buffer
      - .offset:         16
        .size:           8
        .value_kind:     by_value
      - .offset:         24
        .size:           4
        .value_kind:     hidden_block_count_x
      - .offset:         28
        .size:           4
        .value_kind:     hidden_block_count_y
      - .offset:         32
        .size:           4
        .value_kind:     hidden_block_count_z
      - .offset:         36
        .size:           2
        .value_kind:     hidden_group_size_x
      - .offset:         38
        .size:           2
        .value_kind:     hidden_group_size_y
      - .offset:         40
        .size:           2
        .value_kind:     hidden_group_size_z
      - .offset:         42
        .size:           2
        .value_kind:     hidden_remainder_x
      - .offset:         44
        .size:           2
        .value_kind:     hidden_remainder_y
      - .offset:         46
        .size:           2
        .value_kind:     hidden_remainder_z
      - .offset:         64
        .size:           8
        .value_kind:     hidden_global_offset_x
      - .offset:         72
        .size:           8
        .value_kind:     hidden_global_offset_y
      - .offset:         80
        .size:           8
        .value_kind:     hidden_global_offset_z
      - .offset:         88
        .size:           2
        .value_kind:     hidden_grid_dims
      - .offset:         144
        .size:           4
        .value_kind:     hidden_dynamic_lds_size
    .group_segment_fixed_size: 0
    .kernarg_segment_align: 8
    .kernarg_segment_size: 280
    .language:       OpenCL C
    .language_version:
      - 2
      - 0
    .max_flat_workgroup_size: 1024
    .name:           _ZN2at6native12_GLOBAL__N_123cunn_SoftMaxForwardSmemILi8EN3c108BFloat16EffNS1_25LogSoftMaxForwardEpilogueElEEvPT2_PKT0_T4_
    .private_segment_fixed_size: 0
    .sgpr_count:     19
    .sgpr_spill_count: 0
    .symbol:         _ZN2at6native12_GLOBAL__N_123cunn_SoftMaxForwardSmemILi8EN3c108BFloat16EffNS1_25LogSoftMaxForwardEpilogueElEEvPT2_PKT0_T4_.kd
    .uniform_work_group_size: 1
    .uses_dynamic_stack: false
    .vgpr_count:     49
    .vgpr_spill_count: 0
    .wavefront_size: 32
    .workgroup_processor_mode: 1
  - .args:
      - .address_space:  global
        .offset:         0
        .size:           8
        .value_kind:     global_buffer
      - .address_space:  global
        .offset:         8
        .size:           8
        .value_kind:     global_buffer
      - .offset:         16
        .size:           4
        .value_kind:     by_value
      - .offset:         24
        .size:           4
        .value_kind:     hidden_block_count_x
      - .offset:         28
        .size:           4
        .value_kind:     hidden_block_count_y
      - .offset:         32
        .size:           4
        .value_kind:     hidden_block_count_z
      - .offset:         36
        .size:           2
        .value_kind:     hidden_group_size_x
      - .offset:         38
        .size:           2
        .value_kind:     hidden_group_size_y
      - .offset:         40
        .size:           2
        .value_kind:     hidden_group_size_z
      - .offset:         42
        .size:           2
        .value_kind:     hidden_remainder_x
      - .offset:         44
        .size:           2
        .value_kind:     hidden_remainder_y
      - .offset:         46
        .size:           2
        .value_kind:     hidden_remainder_z
      - .offset:         64
        .size:           8
        .value_kind:     hidden_global_offset_x
      - .offset:         72
        .size:           8
        .value_kind:     hidden_global_offset_y
      - .offset:         80
        .size:           8
        .value_kind:     hidden_global_offset_z
      - .offset:         88
        .size:           2
        .value_kind:     hidden_grid_dims
      - .offset:         144
        .size:           4
        .value_kind:     hidden_dynamic_lds_size
    .group_segment_fixed_size: 0
    .kernarg_segment_align: 8
    .kernarg_segment_size: 280
    .language:       OpenCL C
    .language_version:
      - 2
      - 0
    .max_flat_workgroup_size: 1024
    .name:           _ZN2at6native12_GLOBAL__N_119cunn_SoftMaxForwardILi8EN3c108BFloat16EffNS1_25LogSoftMaxForwardEpilogueEEEvPT2_PKT0_i
    .private_segment_fixed_size: 0
    .sgpr_count:     23
    .sgpr_spill_count: 0
    .symbol:         _ZN2at6native12_GLOBAL__N_119cunn_SoftMaxForwardILi8EN3c108BFloat16EffNS1_25LogSoftMaxForwardEpilogueEEEvPT2_PKT0_i.kd
    .uniform_work_group_size: 1
    .uses_dynamic_stack: false
    .vgpr_count:     46
    .vgpr_spill_count: 0
    .wavefront_size: 32
    .workgroup_processor_mode: 1
  - .args:
      - .address_space:  global
        .offset:         0
        .size:           8
        .value_kind:     global_buffer
      - .address_space:  global
        .offset:         8
        .size:           8
        .value_kind:     global_buffer
      - .offset:         16
        .size:           4
        .value_kind:     by_value
      - .offset:         20
        .size:           4
        .value_kind:     by_value
      - .offset:         24
        .size:           4
        .value_kind:     by_value
      - .offset:         32
        .size:           4
        .value_kind:     hidden_block_count_x
      - .offset:         36
        .size:           4
        .value_kind:     hidden_block_count_y
      - .offset:         40
        .size:           4
        .value_kind:     hidden_block_count_z
      - .offset:         44
        .size:           2
        .value_kind:     hidden_group_size_x
      - .offset:         46
        .size:           2
        .value_kind:     hidden_group_size_y
      - .offset:         48
        .size:           2
        .value_kind:     hidden_group_size_z
      - .offset:         50
        .size:           2
        .value_kind:     hidden_remainder_x
      - .offset:         52
        .size:           2
        .value_kind:     hidden_remainder_y
      - .offset:         54
        .size:           2
        .value_kind:     hidden_remainder_z
      - .offset:         72
        .size:           8
        .value_kind:     hidden_global_offset_x
      - .offset:         80
        .size:           8
        .value_kind:     hidden_global_offset_y
      - .offset:         88
        .size:           8
        .value_kind:     hidden_global_offset_z
      - .offset:         96
        .size:           2
        .value_kind:     hidden_grid_dims
      - .offset:         152
        .size:           4
        .value_kind:     hidden_dynamic_lds_size
    .group_segment_fixed_size: 0
    .kernarg_segment_align: 8
    .kernarg_segment_size: 288
    .language:       OpenCL C
    .language_version:
      - 2
      - 0
    .max_flat_workgroup_size: 1024
    .name:           _ZN2at6native12_GLOBAL__N_126cunn_SpatialSoftMaxForwardIdddiNS1_25LogSoftMaxForwardEpilogueEEEvPT1_PKT_T2_S9_S9_
    .private_segment_fixed_size: 0
    .sgpr_count:     70
    .sgpr_spill_count: 0
    .symbol:         _ZN2at6native12_GLOBAL__N_126cunn_SpatialSoftMaxForwardIdddiNS1_25LogSoftMaxForwardEpilogueEEEvPT1_PKT_T2_S9_S9_.kd
    .uniform_work_group_size: 1
    .uses_dynamic_stack: false
    .vgpr_count:     34
    .vgpr_spill_count: 0
    .wavefront_size: 32
    .workgroup_processor_mode: 1
  - .args:
      - .address_space:  global
        .offset:         0
        .size:           8
        .value_kind:     global_buffer
      - .address_space:  global
        .offset:         8
        .size:           8
        .value_kind:     global_buffer
      - .offset:         16
        .size:           8
        .value_kind:     by_value
      - .offset:         24
        .size:           8
        .value_kind:     by_value
      - .offset:         32
        .size:           8
        .value_kind:     by_value
      - .offset:         40
        .size:           4
        .value_kind:     hidden_block_count_x
      - .offset:         44
        .size:           4
        .value_kind:     hidden_block_count_y
      - .offset:         48
        .size:           4
        .value_kind:     hidden_block_count_z
      - .offset:         52
        .size:           2
        .value_kind:     hidden_group_size_x
      - .offset:         54
        .size:           2
        .value_kind:     hidden_group_size_y
      - .offset:         56
        .size:           2
        .value_kind:     hidden_group_size_z
      - .offset:         58
        .size:           2
        .value_kind:     hidden_remainder_x
      - .offset:         60
        .size:           2
        .value_kind:     hidden_remainder_y
      - .offset:         62
        .size:           2
        .value_kind:     hidden_remainder_z
      - .offset:         80
        .size:           8
        .value_kind:     hidden_global_offset_x
      - .offset:         88
        .size:           8
        .value_kind:     hidden_global_offset_y
      - .offset:         96
        .size:           8
        .value_kind:     hidden_global_offset_z
      - .offset:         104
        .size:           2
        .value_kind:     hidden_grid_dims
      - .offset:         160
        .size:           4
        .value_kind:     hidden_dynamic_lds_size
    .group_segment_fixed_size: 0
    .kernarg_segment_align: 8
    .kernarg_segment_size: 296
    .language:       OpenCL C
    .language_version:
      - 2
      - 0
    .max_flat_workgroup_size: 1024
    .name:           _ZN2at6native12_GLOBAL__N_126cunn_SpatialSoftMaxForwardIdddlNS1_25LogSoftMaxForwardEpilogueEEEvPT1_PKT_T2_S9_S9_
    .private_segment_fixed_size: 0
    .sgpr_count:     79
    .sgpr_spill_count: 0
    .symbol:         _ZN2at6native12_GLOBAL__N_126cunn_SpatialSoftMaxForwardIdddlNS1_25LogSoftMaxForwardEpilogueEEEvPT1_PKT_T2_S9_S9_.kd
    .uniform_work_group_size: 1
    .uses_dynamic_stack: false
    .vgpr_count:     47
    .vgpr_spill_count: 0
    .wavefront_size: 32
    .workgroup_processor_mode: 1
  - .args:
      - .address_space:  global
        .offset:         0
        .size:           8
        .value_kind:     global_buffer
      - .address_space:  global
        .offset:         8
        .size:           8
        .value_kind:     global_buffer
      - .offset:         16
        .size:           4
        .value_kind:     by_value
      - .offset:         20
        .size:           4
        .value_kind:     by_value
      - .offset:         24
        .size:           4
        .value_kind:     by_value
      - .offset:         32
        .size:           4
        .value_kind:     hidden_block_count_x
      - .offset:         36
        .size:           4
        .value_kind:     hidden_block_count_y
      - .offset:         40
        .size:           4
        .value_kind:     hidden_block_count_z
      - .offset:         44
        .size:           2
        .value_kind:     hidden_group_size_x
      - .offset:         46
        .size:           2
        .value_kind:     hidden_group_size_y
      - .offset:         48
        .size:           2
        .value_kind:     hidden_group_size_z
      - .offset:         50
        .size:           2
        .value_kind:     hidden_remainder_x
      - .offset:         52
        .size:           2
        .value_kind:     hidden_remainder_y
      - .offset:         54
        .size:           2
        .value_kind:     hidden_remainder_z
      - .offset:         72
        .size:           8
        .value_kind:     hidden_global_offset_x
      - .offset:         80
        .size:           8
        .value_kind:     hidden_global_offset_y
      - .offset:         88
        .size:           8
        .value_kind:     hidden_global_offset_z
      - .offset:         96
        .size:           2
        .value_kind:     hidden_grid_dims
      - .offset:         152
        .size:           4
        .value_kind:     hidden_dynamic_lds_size
    .group_segment_fixed_size: 0
    .kernarg_segment_align: 8
    .kernarg_segment_size: 288
    .language:       OpenCL C
    .language_version:
      - 2
      - 0
    .max_flat_workgroup_size: 1024
    .name:           _ZN2at6native12_GLOBAL__N_126cunn_SpatialSoftMaxForwardIfffiNS1_25LogSoftMaxForwardEpilogueEEEvPT1_PKT_T2_S9_S9_
    .private_segment_fixed_size: 0
    .sgpr_count:     25
    .sgpr_spill_count: 0
    .symbol:         _ZN2at6native12_GLOBAL__N_126cunn_SpatialSoftMaxForwardIfffiNS1_25LogSoftMaxForwardEpilogueEEEvPT1_PKT_T2_S9_S9_.kd
    .uniform_work_group_size: 1
    .uses_dynamic_stack: false
    .vgpr_count:     17
    .vgpr_spill_count: 0
    .wavefront_size: 32
    .workgroup_processor_mode: 1
  - .args:
      - .address_space:  global
        .offset:         0
        .size:           8
        .value_kind:     global_buffer
      - .address_space:  global
        .offset:         8
        .size:           8
        .value_kind:     global_buffer
      - .offset:         16
        .size:           8
        .value_kind:     by_value
      - .offset:         24
        .size:           8
        .value_kind:     by_value
      - .offset:         32
        .size:           8
        .value_kind:     by_value
      - .offset:         40
        .size:           4
        .value_kind:     hidden_block_count_x
      - .offset:         44
        .size:           4
        .value_kind:     hidden_block_count_y
      - .offset:         48
        .size:           4
        .value_kind:     hidden_block_count_z
      - .offset:         52
        .size:           2
        .value_kind:     hidden_group_size_x
      - .offset:         54
        .size:           2
        .value_kind:     hidden_group_size_y
      - .offset:         56
        .size:           2
        .value_kind:     hidden_group_size_z
      - .offset:         58
        .size:           2
        .value_kind:     hidden_remainder_x
      - .offset:         60
        .size:           2
        .value_kind:     hidden_remainder_y
      - .offset:         62
        .size:           2
        .value_kind:     hidden_remainder_z
      - .offset:         80
        .size:           8
        .value_kind:     hidden_global_offset_x
      - .offset:         88
        .size:           8
        .value_kind:     hidden_global_offset_y
      - .offset:         96
        .size:           8
        .value_kind:     hidden_global_offset_z
      - .offset:         104
        .size:           2
        .value_kind:     hidden_grid_dims
      - .offset:         160
        .size:           4
        .value_kind:     hidden_dynamic_lds_size
    .group_segment_fixed_size: 0
    .kernarg_segment_align: 8
    .kernarg_segment_size: 296
    .language:       OpenCL C
    .language_version:
      - 2
      - 0
    .max_flat_workgroup_size: 1024
    .name:           _ZN2at6native12_GLOBAL__N_126cunn_SpatialSoftMaxForwardIffflNS1_25LogSoftMaxForwardEpilogueEEEvPT1_PKT_T2_S9_S9_
    .private_segment_fixed_size: 0
    .sgpr_count:     33
    .sgpr_spill_count: 0
    .symbol:         _ZN2at6native12_GLOBAL__N_126cunn_SpatialSoftMaxForwardIffflNS1_25LogSoftMaxForwardEpilogueEEEvPT1_PKT_T2_S9_S9_.kd
    .uniform_work_group_size: 1
    .uses_dynamic_stack: false
    .vgpr_count:     31
    .vgpr_spill_count: 0
    .wavefront_size: 32
    .workgroup_processor_mode: 1
  - .args:
      - .address_space:  global
        .offset:         0
        .size:           8
        .value_kind:     global_buffer
      - .address_space:  global
        .offset:         8
        .size:           8
        .value_kind:     global_buffer
      - .offset:         16
        .size:           4
        .value_kind:     by_value
      - .offset:         20
        .size:           4
        .value_kind:     by_value
      - .offset:         24
        .size:           4
        .value_kind:     by_value
      - .offset:         32
        .size:           4
        .value_kind:     hidden_block_count_x
      - .offset:         36
        .size:           4
        .value_kind:     hidden_block_count_y
      - .offset:         40
        .size:           4
        .value_kind:     hidden_block_count_z
      - .offset:         44
        .size:           2
        .value_kind:     hidden_group_size_x
      - .offset:         46
        .size:           2
        .value_kind:     hidden_group_size_y
      - .offset:         48
        .size:           2
        .value_kind:     hidden_group_size_z
      - .offset:         50
        .size:           2
        .value_kind:     hidden_remainder_x
      - .offset:         52
        .size:           2
        .value_kind:     hidden_remainder_y
      - .offset:         54
        .size:           2
        .value_kind:     hidden_remainder_z
      - .offset:         72
        .size:           8
        .value_kind:     hidden_global_offset_x
      - .offset:         80
        .size:           8
        .value_kind:     hidden_global_offset_y
      - .offset:         88
        .size:           8
        .value_kind:     hidden_global_offset_z
      - .offset:         96
        .size:           2
        .value_kind:     hidden_grid_dims
      - .offset:         152
        .size:           4
        .value_kind:     hidden_dynamic_lds_size
    .group_segment_fixed_size: 0
    .kernarg_segment_align: 8
    .kernarg_segment_size: 288
    .language:       OpenCL C
    .language_version:
      - 2
      - 0
    .max_flat_workgroup_size: 1024
    .name:           _ZN2at6native12_GLOBAL__N_126cunn_SpatialSoftMaxForwardIN3c104HalfEfS4_iNS1_25LogSoftMaxForwardEpilogueEEEvPT1_PKT_T2_SB_SB_
    .private_segment_fixed_size: 0
    .sgpr_count:     25
    .sgpr_spill_count: 0
    .symbol:         _ZN2at6native12_GLOBAL__N_126cunn_SpatialSoftMaxForwardIN3c104HalfEfS4_iNS1_25LogSoftMaxForwardEpilogueEEEvPT1_PKT_T2_SB_SB_.kd
    .uniform_work_group_size: 1
    .uses_dynamic_stack: false
    .vgpr_count:     17
    .vgpr_spill_count: 0
    .wavefront_size: 32
    .workgroup_processor_mode: 1
  - .args:
      - .address_space:  global
        .offset:         0
        .size:           8
        .value_kind:     global_buffer
      - .address_space:  global
        .offset:         8
        .size:           8
        .value_kind:     global_buffer
      - .offset:         16
        .size:           4
        .value_kind:     by_value
      - .offset:         20
        .size:           4
        .value_kind:     by_value
      - .offset:         24
        .size:           4
        .value_kind:     by_value
      - .offset:         32
        .size:           4
        .value_kind:     hidden_block_count_x
      - .offset:         36
        .size:           4
        .value_kind:     hidden_block_count_y
      - .offset:         40
        .size:           4
        .value_kind:     hidden_block_count_z
      - .offset:         44
        .size:           2
        .value_kind:     hidden_group_size_x
      - .offset:         46
        .size:           2
        .value_kind:     hidden_group_size_y
      - .offset:         48
        .size:           2
        .value_kind:     hidden_group_size_z
      - .offset:         50
        .size:           2
        .value_kind:     hidden_remainder_x
      - .offset:         52
        .size:           2
        .value_kind:     hidden_remainder_y
      - .offset:         54
        .size:           2
        .value_kind:     hidden_remainder_z
      - .offset:         72
        .size:           8
        .value_kind:     hidden_global_offset_x
      - .offset:         80
        .size:           8
        .value_kind:     hidden_global_offset_y
      - .offset:         88
        .size:           8
        .value_kind:     hidden_global_offset_z
      - .offset:         96
        .size:           2
        .value_kind:     hidden_grid_dims
      - .offset:         152
        .size:           4
        .value_kind:     hidden_dynamic_lds_size
    .group_segment_fixed_size: 0
    .kernarg_segment_align: 8
    .kernarg_segment_size: 288
    .language:       OpenCL C
    .language_version:
      - 2
      - 0
    .max_flat_workgroup_size: 1024
    .name:           _ZN2at6native12_GLOBAL__N_126cunn_SpatialSoftMaxForwardIN3c104HalfEffiNS1_25LogSoftMaxForwardEpilogueEEEvPT1_PKT_T2_SB_SB_
    .private_segment_fixed_size: 0
    .sgpr_count:     25
    .sgpr_spill_count: 0
    .symbol:         _ZN2at6native12_GLOBAL__N_126cunn_SpatialSoftMaxForwardIN3c104HalfEffiNS1_25LogSoftMaxForwardEpilogueEEEvPT1_PKT_T2_SB_SB_.kd
    .uniform_work_group_size: 1
    .uses_dynamic_stack: false
    .vgpr_count:     16
    .vgpr_spill_count: 0
    .wavefront_size: 32
    .workgroup_processor_mode: 1
  - .args:
      - .address_space:  global
        .offset:         0
        .size:           8
        .value_kind:     global_buffer
      - .address_space:  global
        .offset:         8
        .size:           8
        .value_kind:     global_buffer
      - .offset:         16
        .size:           8
        .value_kind:     by_value
      - .offset:         24
        .size:           8
        .value_kind:     by_value
      - .offset:         32
        .size:           8
        .value_kind:     by_value
      - .offset:         40
        .size:           4
        .value_kind:     hidden_block_count_x
      - .offset:         44
        .size:           4
        .value_kind:     hidden_block_count_y
      - .offset:         48
        .size:           4
        .value_kind:     hidden_block_count_z
      - .offset:         52
        .size:           2
        .value_kind:     hidden_group_size_x
      - .offset:         54
        .size:           2
        .value_kind:     hidden_group_size_y
      - .offset:         56
        .size:           2
        .value_kind:     hidden_group_size_z
      - .offset:         58
        .size:           2
        .value_kind:     hidden_remainder_x
      - .offset:         60
        .size:           2
        .value_kind:     hidden_remainder_y
      - .offset:         62
        .size:           2
        .value_kind:     hidden_remainder_z
      - .offset:         80
        .size:           8
        .value_kind:     hidden_global_offset_x
      - .offset:         88
        .size:           8
        .value_kind:     hidden_global_offset_y
      - .offset:         96
        .size:           8
        .value_kind:     hidden_global_offset_z
      - .offset:         104
        .size:           2
        .value_kind:     hidden_grid_dims
      - .offset:         160
        .size:           4
        .value_kind:     hidden_dynamic_lds_size
    .group_segment_fixed_size: 0
    .kernarg_segment_align: 8
    .kernarg_segment_size: 296
    .language:       OpenCL C
    .language_version:
      - 2
      - 0
    .max_flat_workgroup_size: 1024
    .name:           _ZN2at6native12_GLOBAL__N_126cunn_SpatialSoftMaxForwardIN3c104HalfEfS4_lNS1_25LogSoftMaxForwardEpilogueEEEvPT1_PKT_T2_SB_SB_
    .private_segment_fixed_size: 0
    .sgpr_count:     33
    .sgpr_spill_count: 0
    .symbol:         _ZN2at6native12_GLOBAL__N_126cunn_SpatialSoftMaxForwardIN3c104HalfEfS4_lNS1_25LogSoftMaxForwardEpilogueEEEvPT1_PKT_T2_SB_SB_.kd
    .uniform_work_group_size: 1
    .uses_dynamic_stack: false
    .vgpr_count:     31
    .vgpr_spill_count: 0
    .wavefront_size: 32
    .workgroup_processor_mode: 1
  - .args:
      - .address_space:  global
        .offset:         0
        .size:           8
        .value_kind:     global_buffer
      - .address_space:  global
        .offset:         8
        .size:           8
        .value_kind:     global_buffer
      - .offset:         16
        .size:           8
        .value_kind:     by_value
      - .offset:         24
        .size:           8
        .value_kind:     by_value
      - .offset:         32
        .size:           8
        .value_kind:     by_value
      - .offset:         40
        .size:           4
        .value_kind:     hidden_block_count_x
      - .offset:         44
        .size:           4
        .value_kind:     hidden_block_count_y
      - .offset:         48
        .size:           4
        .value_kind:     hidden_block_count_z
      - .offset:         52
        .size:           2
        .value_kind:     hidden_group_size_x
      - .offset:         54
        .size:           2
        .value_kind:     hidden_group_size_y
      - .offset:         56
        .size:           2
        .value_kind:     hidden_group_size_z
      - .offset:         58
        .size:           2
        .value_kind:     hidden_remainder_x
      - .offset:         60
        .size:           2
        .value_kind:     hidden_remainder_y
      - .offset:         62
        .size:           2
        .value_kind:     hidden_remainder_z
      - .offset:         80
        .size:           8
        .value_kind:     hidden_global_offset_x
      - .offset:         88
        .size:           8
        .value_kind:     hidden_global_offset_y
      - .offset:         96
        .size:           8
        .value_kind:     hidden_global_offset_z
      - .offset:         104
        .size:           2
        .value_kind:     hidden_grid_dims
      - .offset:         160
        .size:           4
        .value_kind:     hidden_dynamic_lds_size
    .group_segment_fixed_size: 0
    .kernarg_segment_align: 8
    .kernarg_segment_size: 296
    .language:       OpenCL C
    .language_version:
      - 2
      - 0
    .max_flat_workgroup_size: 1024
    .name:           _ZN2at6native12_GLOBAL__N_126cunn_SpatialSoftMaxForwardIN3c104HalfEfflNS1_25LogSoftMaxForwardEpilogueEEEvPT1_PKT_T2_SB_SB_
    .private_segment_fixed_size: 0
    .sgpr_count:     40
    .sgpr_spill_count: 0
    .symbol:         _ZN2at6native12_GLOBAL__N_126cunn_SpatialSoftMaxForwardIN3c104HalfEfflNS1_25LogSoftMaxForwardEpilogueEEEvPT1_PKT_T2_SB_SB_.kd
    .uniform_work_group_size: 1
    .uses_dynamic_stack: false
    .vgpr_count:     31
    .vgpr_spill_count: 0
    .wavefront_size: 32
    .workgroup_processor_mode: 1
  - .args:
      - .address_space:  global
        .offset:         0
        .size:           8
        .value_kind:     global_buffer
      - .address_space:  global
        .offset:         8
        .size:           8
        .value_kind:     global_buffer
      - .offset:         16
        .size:           4
        .value_kind:     by_value
      - .offset:         20
        .size:           4
        .value_kind:     by_value
      - .offset:         24
        .size:           4
        .value_kind:     by_value
      - .offset:         32
        .size:           4
        .value_kind:     hidden_block_count_x
      - .offset:         36
        .size:           4
        .value_kind:     hidden_block_count_y
      - .offset:         40
        .size:           4
        .value_kind:     hidden_block_count_z
      - .offset:         44
        .size:           2
        .value_kind:     hidden_group_size_x
      - .offset:         46
        .size:           2
        .value_kind:     hidden_group_size_y
      - .offset:         48
        .size:           2
        .value_kind:     hidden_group_size_z
      - .offset:         50
        .size:           2
        .value_kind:     hidden_remainder_x
      - .offset:         52
        .size:           2
        .value_kind:     hidden_remainder_y
      - .offset:         54
        .size:           2
        .value_kind:     hidden_remainder_z
      - .offset:         72
        .size:           8
        .value_kind:     hidden_global_offset_x
      - .offset:         80
        .size:           8
        .value_kind:     hidden_global_offset_y
      - .offset:         88
        .size:           8
        .value_kind:     hidden_global_offset_z
      - .offset:         96
        .size:           2
        .value_kind:     hidden_grid_dims
      - .offset:         152
        .size:           4
        .value_kind:     hidden_dynamic_lds_size
    .group_segment_fixed_size: 0
    .kernarg_segment_align: 8
    .kernarg_segment_size: 288
    .language:       OpenCL C
    .language_version:
      - 2
      - 0
    .max_flat_workgroup_size: 1024
    .name:           _ZN2at6native12_GLOBAL__N_126cunn_SpatialSoftMaxForwardIN3c108BFloat16EfS4_iNS1_25LogSoftMaxForwardEpilogueEEEvPT1_PKT_T2_SB_SB_
    .private_segment_fixed_size: 0
    .sgpr_count:     25
    .sgpr_spill_count: 0
    .symbol:         _ZN2at6native12_GLOBAL__N_126cunn_SpatialSoftMaxForwardIN3c108BFloat16EfS4_iNS1_25LogSoftMaxForwardEpilogueEEEvPT1_PKT_T2_SB_SB_.kd
    .uniform_work_group_size: 1
    .uses_dynamic_stack: false
    .vgpr_count:     17
    .vgpr_spill_count: 0
    .wavefront_size: 32
    .workgroup_processor_mode: 1
  - .args:
      - .address_space:  global
        .offset:         0
        .size:           8
        .value_kind:     global_buffer
      - .address_space:  global
        .offset:         8
        .size:           8
        .value_kind:     global_buffer
      - .offset:         16
        .size:           4
        .value_kind:     by_value
      - .offset:         20
        .size:           4
        .value_kind:     by_value
      - .offset:         24
        .size:           4
        .value_kind:     by_value
      - .offset:         32
        .size:           4
        .value_kind:     hidden_block_count_x
      - .offset:         36
        .size:           4
        .value_kind:     hidden_block_count_y
      - .offset:         40
        .size:           4
        .value_kind:     hidden_block_count_z
      - .offset:         44
        .size:           2
        .value_kind:     hidden_group_size_x
      - .offset:         46
        .size:           2
        .value_kind:     hidden_group_size_y
      - .offset:         48
        .size:           2
        .value_kind:     hidden_group_size_z
      - .offset:         50
        .size:           2
        .value_kind:     hidden_remainder_x
      - .offset:         52
        .size:           2
        .value_kind:     hidden_remainder_y
      - .offset:         54
        .size:           2
        .value_kind:     hidden_remainder_z
      - .offset:         72
        .size:           8
        .value_kind:     hidden_global_offset_x
      - .offset:         80
        .size:           8
        .value_kind:     hidden_global_offset_y
      - .offset:         88
        .size:           8
        .value_kind:     hidden_global_offset_z
      - .offset:         96
        .size:           2
        .value_kind:     hidden_grid_dims
      - .offset:         152
        .size:           4
        .value_kind:     hidden_dynamic_lds_size
    .group_segment_fixed_size: 0
    .kernarg_segment_align: 8
    .kernarg_segment_size: 288
    .language:       OpenCL C
    .language_version:
      - 2
      - 0
    .max_flat_workgroup_size: 1024
    .name:           _ZN2at6native12_GLOBAL__N_126cunn_SpatialSoftMaxForwardIN3c108BFloat16EffiNS1_25LogSoftMaxForwardEpilogueEEEvPT1_PKT_T2_SB_SB_
    .private_segment_fixed_size: 0
    .sgpr_count:     25
    .sgpr_spill_count: 0
    .symbol:         _ZN2at6native12_GLOBAL__N_126cunn_SpatialSoftMaxForwardIN3c108BFloat16EffiNS1_25LogSoftMaxForwardEpilogueEEEvPT1_PKT_T2_SB_SB_.kd
    .uniform_work_group_size: 1
    .uses_dynamic_stack: false
    .vgpr_count:     16
    .vgpr_spill_count: 0
    .wavefront_size: 32
    .workgroup_processor_mode: 1
  - .args:
      - .address_space:  global
        .offset:         0
        .size:           8
        .value_kind:     global_buffer
      - .address_space:  global
        .offset:         8
        .size:           8
        .value_kind:     global_buffer
      - .offset:         16
        .size:           8
        .value_kind:     by_value
      - .offset:         24
        .size:           8
        .value_kind:     by_value
      - .offset:         32
        .size:           8
        .value_kind:     by_value
      - .offset:         40
        .size:           4
        .value_kind:     hidden_block_count_x
      - .offset:         44
        .size:           4
        .value_kind:     hidden_block_count_y
      - .offset:         48
        .size:           4
        .value_kind:     hidden_block_count_z
      - .offset:         52
        .size:           2
        .value_kind:     hidden_group_size_x
      - .offset:         54
        .size:           2
        .value_kind:     hidden_group_size_y
      - .offset:         56
        .size:           2
        .value_kind:     hidden_group_size_z
      - .offset:         58
        .size:           2
        .value_kind:     hidden_remainder_x
      - .offset:         60
        .size:           2
        .value_kind:     hidden_remainder_y
      - .offset:         62
        .size:           2
        .value_kind:     hidden_remainder_z
      - .offset:         80
        .size:           8
        .value_kind:     hidden_global_offset_x
      - .offset:         88
        .size:           8
        .value_kind:     hidden_global_offset_y
      - .offset:         96
        .size:           8
        .value_kind:     hidden_global_offset_z
      - .offset:         104
        .size:           2
        .value_kind:     hidden_grid_dims
      - .offset:         160
        .size:           4
        .value_kind:     hidden_dynamic_lds_size
    .group_segment_fixed_size: 0
    .kernarg_segment_align: 8
    .kernarg_segment_size: 296
    .language:       OpenCL C
    .language_version:
      - 2
      - 0
    .max_flat_workgroup_size: 1024
    .name:           _ZN2at6native12_GLOBAL__N_126cunn_SpatialSoftMaxForwardIN3c108BFloat16EfS4_lNS1_25LogSoftMaxForwardEpilogueEEEvPT1_PKT_T2_SB_SB_
    .private_segment_fixed_size: 0
    .sgpr_count:     33
    .sgpr_spill_count: 0
    .symbol:         _ZN2at6native12_GLOBAL__N_126cunn_SpatialSoftMaxForwardIN3c108BFloat16EfS4_lNS1_25LogSoftMaxForwardEpilogueEEEvPT1_PKT_T2_SB_SB_.kd
    .uniform_work_group_size: 1
    .uses_dynamic_stack: false
    .vgpr_count:     31
    .vgpr_spill_count: 0
    .wavefront_size: 32
    .workgroup_processor_mode: 1
  - .args:
      - .address_space:  global
        .offset:         0
        .size:           8
        .value_kind:     global_buffer
      - .address_space:  global
        .offset:         8
        .size:           8
        .value_kind:     global_buffer
      - .offset:         16
        .size:           8
        .value_kind:     by_value
      - .offset:         24
        .size:           8
        .value_kind:     by_value
      - .offset:         32
        .size:           8
        .value_kind:     by_value
      - .offset:         40
        .size:           4
        .value_kind:     hidden_block_count_x
      - .offset:         44
        .size:           4
        .value_kind:     hidden_block_count_y
      - .offset:         48
        .size:           4
        .value_kind:     hidden_block_count_z
      - .offset:         52
        .size:           2
        .value_kind:     hidden_group_size_x
      - .offset:         54
        .size:           2
        .value_kind:     hidden_group_size_y
      - .offset:         56
        .size:           2
        .value_kind:     hidden_group_size_z
      - .offset:         58
        .size:           2
        .value_kind:     hidden_remainder_x
      - .offset:         60
        .size:           2
        .value_kind:     hidden_remainder_y
      - .offset:         62
        .size:           2
        .value_kind:     hidden_remainder_z
      - .offset:         80
        .size:           8
        .value_kind:     hidden_global_offset_x
      - .offset:         88
        .size:           8
        .value_kind:     hidden_global_offset_y
      - .offset:         96
        .size:           8
        .value_kind:     hidden_global_offset_z
      - .offset:         104
        .size:           2
        .value_kind:     hidden_grid_dims
      - .offset:         160
        .size:           4
        .value_kind:     hidden_dynamic_lds_size
    .group_segment_fixed_size: 0
    .kernarg_segment_align: 8
    .kernarg_segment_size: 296
    .language:       OpenCL C
    .language_version:
      - 2
      - 0
    .max_flat_workgroup_size: 1024
    .name:           _ZN2at6native12_GLOBAL__N_126cunn_SpatialSoftMaxForwardIN3c108BFloat16EfflNS1_25LogSoftMaxForwardEpilogueEEEvPT1_PKT_T2_SB_SB_
    .private_segment_fixed_size: 0
    .sgpr_count:     40
    .sgpr_spill_count: 0
    .symbol:         _ZN2at6native12_GLOBAL__N_126cunn_SpatialSoftMaxForwardIN3c108BFloat16EfflNS1_25LogSoftMaxForwardEpilogueEEEvPT1_PKT_T2_SB_SB_.kd
    .uniform_work_group_size: 1
    .uses_dynamic_stack: false
    .vgpr_count:     31
    .vgpr_spill_count: 0
    .wavefront_size: 32
    .workgroup_processor_mode: 1
  - .args:
      - .address_space:  global
        .offset:         0
        .size:           8
        .value_kind:     global_buffer
      - .address_space:  global
        .offset:         8
        .size:           8
        .value_kind:     global_buffer
      - .address_space:  global
        .offset:         16
        .size:           8
        .value_kind:     global_buffer
      - .offset:         24
        .size:           4
        .value_kind:     by_value
      - .offset:         28
        .size:           4
        .value_kind:     by_value
      - .offset:         32
        .size:           4
        .value_kind:     by_value
      - .address_space:  global
        .offset:         40
        .size:           8
        .value_kind:     global_buffer
      - .offset:         48
        .size:           4
        .value_kind:     hidden_block_count_x
      - .offset:         52
        .size:           4
        .value_kind:     hidden_block_count_y
      - .offset:         56
        .size:           4
        .value_kind:     hidden_block_count_z
      - .offset:         60
        .size:           2
        .value_kind:     hidden_group_size_x
      - .offset:         62
        .size:           2
        .value_kind:     hidden_group_size_y
      - .offset:         64
        .size:           2
        .value_kind:     hidden_group_size_z
      - .offset:         66
        .size:           2
        .value_kind:     hidden_remainder_x
      - .offset:         68
        .size:           2
        .value_kind:     hidden_remainder_y
      - .offset:         70
        .size:           2
        .value_kind:     hidden_remainder_z
      - .offset:         88
        .size:           8
        .value_kind:     hidden_global_offset_x
      - .offset:         96
        .size:           8
        .value_kind:     hidden_global_offset_y
      - .offset:         104
        .size:           8
        .value_kind:     hidden_global_offset_z
      - .offset:         112
        .size:           2
        .value_kind:     hidden_grid_dims
    .group_segment_fixed_size: 0
    .kernarg_segment_align: 8
    .kernarg_segment_size: 304
    .language:       OpenCL C
    .language_version:
      - 2
      - 0
    .max_flat_workgroup_size: 1024
    .name:           _ZN12_GLOBAL__N_121softmax_warp_backwardIdddLi0ELb1ELb0ELi64EEEvPT0_PKT_S5_iiiPKb
    .private_segment_fixed_size: 0
    .sgpr_count:     14
    .sgpr_spill_count: 0
    .symbol:         _ZN12_GLOBAL__N_121softmax_warp_backwardIdddLi0ELb1ELb0ELi64EEEvPT0_PKT_S5_iiiPKb.kd
    .uniform_work_group_size: 1
    .uses_dynamic_stack: false
    .vgpr_count:     18
    .vgpr_spill_count: 0
    .wavefront_size: 32
    .workgroup_processor_mode: 1
  - .args:
      - .address_space:  global
        .offset:         0
        .size:           8
        .value_kind:     global_buffer
      - .address_space:  global
        .offset:         8
        .size:           8
        .value_kind:     global_buffer
      - .address_space:  global
        .offset:         16
        .size:           8
        .value_kind:     global_buffer
      - .offset:         24
        .size:           4
        .value_kind:     by_value
      - .offset:         28
        .size:           4
        .value_kind:     by_value
      - .offset:         32
        .size:           4
        .value_kind:     by_value
      - .address_space:  global
        .offset:         40
        .size:           8
        .value_kind:     global_buffer
      - .offset:         48
        .size:           4
        .value_kind:     hidden_block_count_x
      - .offset:         52
        .size:           4
        .value_kind:     hidden_block_count_y
      - .offset:         56
        .size:           4
        .value_kind:     hidden_block_count_z
      - .offset:         60
        .size:           2
        .value_kind:     hidden_group_size_x
      - .offset:         62
        .size:           2
        .value_kind:     hidden_group_size_y
      - .offset:         64
        .size:           2
        .value_kind:     hidden_group_size_z
      - .offset:         66
        .size:           2
        .value_kind:     hidden_remainder_x
      - .offset:         68
        .size:           2
        .value_kind:     hidden_remainder_y
      - .offset:         70
        .size:           2
        .value_kind:     hidden_remainder_z
      - .offset:         88
        .size:           8
        .value_kind:     hidden_global_offset_x
      - .offset:         96
        .size:           8
        .value_kind:     hidden_global_offset_y
      - .offset:         104
        .size:           8
        .value_kind:     hidden_global_offset_z
      - .offset:         112
        .size:           2
        .value_kind:     hidden_grid_dims
    .group_segment_fixed_size: 0
    .kernarg_segment_align: 8
    .kernarg_segment_size: 304
    .language:       OpenCL C
    .language_version:
      - 2
      - 0
    .max_flat_workgroup_size: 1024
    .name:           _ZN12_GLOBAL__N_121softmax_warp_backwardIdddLi0ELb1ELb0ELi32EEEvPT0_PKT_S5_iiiPKb
    .private_segment_fixed_size: 0
    .sgpr_count:     14
    .sgpr_spill_count: 0
    .symbol:         _ZN12_GLOBAL__N_121softmax_warp_backwardIdddLi0ELb1ELb0ELi32EEEvPT0_PKT_S5_iiiPKb.kd
    .uniform_work_group_size: 1
    .uses_dynamic_stack: false
    .vgpr_count:     18
    .vgpr_spill_count: 0
    .wavefront_size: 32
    .workgroup_processor_mode: 1
  - .args:
      - .address_space:  global
        .offset:         0
        .size:           8
        .value_kind:     global_buffer
      - .address_space:  global
        .offset:         8
        .size:           8
        .value_kind:     global_buffer
      - .address_space:  global
        .offset:         16
        .size:           8
        .value_kind:     global_buffer
      - .offset:         24
        .size:           4
        .value_kind:     by_value
      - .offset:         28
        .size:           4
        .value_kind:     by_value
      - .offset:         32
        .size:           4
        .value_kind:     by_value
      - .address_space:  global
        .offset:         40
        .size:           8
        .value_kind:     global_buffer
      - .offset:         48
        .size:           4
        .value_kind:     hidden_block_count_x
      - .offset:         52
        .size:           4
        .value_kind:     hidden_block_count_y
      - .offset:         56
        .size:           4
        .value_kind:     hidden_block_count_z
      - .offset:         60
        .size:           2
        .value_kind:     hidden_group_size_x
      - .offset:         62
        .size:           2
        .value_kind:     hidden_group_size_y
      - .offset:         64
        .size:           2
        .value_kind:     hidden_group_size_z
      - .offset:         66
        .size:           2
        .value_kind:     hidden_remainder_x
      - .offset:         68
        .size:           2
        .value_kind:     hidden_remainder_y
      - .offset:         70
        .size:           2
        .value_kind:     hidden_remainder_z
      - .offset:         88
        .size:           8
        .value_kind:     hidden_global_offset_x
      - .offset:         96
        .size:           8
        .value_kind:     hidden_global_offset_y
      - .offset:         104
        .size:           8
        .value_kind:     hidden_global_offset_z
      - .offset:         112
        .size:           2
        .value_kind:     hidden_grid_dims
    .group_segment_fixed_size: 0
    .kernarg_segment_align: 8
    .kernarg_segment_size: 304
    .language:       OpenCL C
    .language_version:
      - 2
      - 0
    .max_flat_workgroup_size: 1024
    .name:           _ZN12_GLOBAL__N_121softmax_warp_backwardIdddLi1ELb1ELb0ELi64EEEvPT0_PKT_S5_iiiPKb
    .private_segment_fixed_size: 0
    .sgpr_count:     14
    .sgpr_spill_count: 0
    .symbol:         _ZN12_GLOBAL__N_121softmax_warp_backwardIdddLi1ELb1ELb0ELi64EEEvPT0_PKT_S5_iiiPKb.kd
    .uniform_work_group_size: 1
    .uses_dynamic_stack: false
    .vgpr_count:     26
    .vgpr_spill_count: 0
    .wavefront_size: 32
    .workgroup_processor_mode: 1
  - .args:
      - .address_space:  global
        .offset:         0
        .size:           8
        .value_kind:     global_buffer
      - .address_space:  global
        .offset:         8
        .size:           8
        .value_kind:     global_buffer
      - .address_space:  global
        .offset:         16
        .size:           8
        .value_kind:     global_buffer
      - .offset:         24
        .size:           4
        .value_kind:     by_value
      - .offset:         28
        .size:           4
        .value_kind:     by_value
      - .offset:         32
        .size:           4
        .value_kind:     by_value
      - .address_space:  global
        .offset:         40
        .size:           8
        .value_kind:     global_buffer
      - .offset:         48
        .size:           4
        .value_kind:     hidden_block_count_x
      - .offset:         52
        .size:           4
        .value_kind:     hidden_block_count_y
      - .offset:         56
        .size:           4
        .value_kind:     hidden_block_count_z
      - .offset:         60
        .size:           2
        .value_kind:     hidden_group_size_x
      - .offset:         62
        .size:           2
        .value_kind:     hidden_group_size_y
      - .offset:         64
        .size:           2
        .value_kind:     hidden_group_size_z
      - .offset:         66
        .size:           2
        .value_kind:     hidden_remainder_x
      - .offset:         68
        .size:           2
        .value_kind:     hidden_remainder_y
      - .offset:         70
        .size:           2
        .value_kind:     hidden_remainder_z
      - .offset:         88
        .size:           8
        .value_kind:     hidden_global_offset_x
      - .offset:         96
        .size:           8
        .value_kind:     hidden_global_offset_y
      - .offset:         104
        .size:           8
        .value_kind:     hidden_global_offset_z
      - .offset:         112
        .size:           2
        .value_kind:     hidden_grid_dims
    .group_segment_fixed_size: 0
    .kernarg_segment_align: 8
    .kernarg_segment_size: 304
    .language:       OpenCL C
    .language_version:
      - 2
      - 0
    .max_flat_workgroup_size: 1024
    .name:           _ZN12_GLOBAL__N_121softmax_warp_backwardIdddLi1ELb1ELb0ELi32EEEvPT0_PKT_S5_iiiPKb
    .private_segment_fixed_size: 0
    .sgpr_count:     14
    .sgpr_spill_count: 0
    .symbol:         _ZN12_GLOBAL__N_121softmax_warp_backwardIdddLi1ELb1ELb0ELi32EEEvPT0_PKT_S5_iiiPKb.kd
    .uniform_work_group_size: 1
    .uses_dynamic_stack: false
    .vgpr_count:     26
    .vgpr_spill_count: 0
    .wavefront_size: 32
    .workgroup_processor_mode: 1
  - .args:
      - .address_space:  global
        .offset:         0
        .size:           8
        .value_kind:     global_buffer
      - .address_space:  global
        .offset:         8
        .size:           8
        .value_kind:     global_buffer
      - .address_space:  global
        .offset:         16
        .size:           8
        .value_kind:     global_buffer
      - .offset:         24
        .size:           4
        .value_kind:     by_value
      - .offset:         28
        .size:           4
        .value_kind:     by_value
      - .offset:         32
        .size:           4
        .value_kind:     by_value
      - .address_space:  global
        .offset:         40
        .size:           8
        .value_kind:     global_buffer
      - .offset:         48
        .size:           4
        .value_kind:     hidden_block_count_x
      - .offset:         52
        .size:           4
        .value_kind:     hidden_block_count_y
      - .offset:         56
        .size:           4
        .value_kind:     hidden_block_count_z
      - .offset:         60
        .size:           2
        .value_kind:     hidden_group_size_x
      - .offset:         62
        .size:           2
        .value_kind:     hidden_group_size_y
      - .offset:         64
        .size:           2
        .value_kind:     hidden_group_size_z
      - .offset:         66
        .size:           2
        .value_kind:     hidden_remainder_x
      - .offset:         68
        .size:           2
        .value_kind:     hidden_remainder_y
      - .offset:         70
        .size:           2
        .value_kind:     hidden_remainder_z
      - .offset:         88
        .size:           8
        .value_kind:     hidden_global_offset_x
      - .offset:         96
        .size:           8
        .value_kind:     hidden_global_offset_y
      - .offset:         104
        .size:           8
        .value_kind:     hidden_global_offset_z
      - .offset:         112
        .size:           2
        .value_kind:     hidden_grid_dims
    .group_segment_fixed_size: 0
    .kernarg_segment_align: 8
    .kernarg_segment_size: 304
    .language:       OpenCL C
    .language_version:
      - 2
      - 0
    .max_flat_workgroup_size: 1024
    .name:           _ZN12_GLOBAL__N_121softmax_warp_backwardIdddLi2ELb1ELb0ELi64EEEvPT0_PKT_S5_iiiPKb
    .private_segment_fixed_size: 0
    .sgpr_count:     14
    .sgpr_spill_count: 0
    .symbol:         _ZN12_GLOBAL__N_121softmax_warp_backwardIdddLi2ELb1ELb0ELi64EEEvPT0_PKT_S5_iiiPKb.kd
    .uniform_work_group_size: 1
    .uses_dynamic_stack: false
    .vgpr_count:     26
    .vgpr_spill_count: 0
    .wavefront_size: 32
    .workgroup_processor_mode: 1
  - .args:
      - .address_space:  global
        .offset:         0
        .size:           8
        .value_kind:     global_buffer
      - .address_space:  global
        .offset:         8
        .size:           8
        .value_kind:     global_buffer
      - .address_space:  global
        .offset:         16
        .size:           8
        .value_kind:     global_buffer
      - .offset:         24
        .size:           4
        .value_kind:     by_value
      - .offset:         28
        .size:           4
        .value_kind:     by_value
      - .offset:         32
        .size:           4
        .value_kind:     by_value
      - .address_space:  global
        .offset:         40
        .size:           8
        .value_kind:     global_buffer
      - .offset:         48
        .size:           4
        .value_kind:     hidden_block_count_x
      - .offset:         52
        .size:           4
        .value_kind:     hidden_block_count_y
      - .offset:         56
        .size:           4
        .value_kind:     hidden_block_count_z
      - .offset:         60
        .size:           2
        .value_kind:     hidden_group_size_x
      - .offset:         62
        .size:           2
        .value_kind:     hidden_group_size_y
      - .offset:         64
        .size:           2
        .value_kind:     hidden_group_size_z
      - .offset:         66
        .size:           2
        .value_kind:     hidden_remainder_x
      - .offset:         68
        .size:           2
        .value_kind:     hidden_remainder_y
      - .offset:         70
        .size:           2
        .value_kind:     hidden_remainder_z
      - .offset:         88
        .size:           8
        .value_kind:     hidden_global_offset_x
      - .offset:         96
        .size:           8
        .value_kind:     hidden_global_offset_y
      - .offset:         104
        .size:           8
        .value_kind:     hidden_global_offset_z
      - .offset:         112
        .size:           2
        .value_kind:     hidden_grid_dims
    .group_segment_fixed_size: 0
    .kernarg_segment_align: 8
    .kernarg_segment_size: 304
    .language:       OpenCL C
    .language_version:
      - 2
      - 0
    .max_flat_workgroup_size: 1024
    .name:           _ZN12_GLOBAL__N_121softmax_warp_backwardIdddLi2ELb1ELb0ELi32EEEvPT0_PKT_S5_iiiPKb
    .private_segment_fixed_size: 0
    .sgpr_count:     14
    .sgpr_spill_count: 0
    .symbol:         _ZN12_GLOBAL__N_121softmax_warp_backwardIdddLi2ELb1ELb0ELi32EEEvPT0_PKT_S5_iiiPKb.kd
    .uniform_work_group_size: 1
    .uses_dynamic_stack: false
    .vgpr_count:     26
    .vgpr_spill_count: 0
    .wavefront_size: 32
    .workgroup_processor_mode: 1
  - .args:
      - .address_space:  global
        .offset:         0
        .size:           8
        .value_kind:     global_buffer
      - .address_space:  global
        .offset:         8
        .size:           8
        .value_kind:     global_buffer
      - .address_space:  global
        .offset:         16
        .size:           8
        .value_kind:     global_buffer
      - .offset:         24
        .size:           4
        .value_kind:     by_value
      - .offset:         28
        .size:           4
        .value_kind:     by_value
      - .offset:         32
        .size:           4
        .value_kind:     by_value
      - .address_space:  global
        .offset:         40
        .size:           8
        .value_kind:     global_buffer
      - .offset:         48
        .size:           4
        .value_kind:     hidden_block_count_x
      - .offset:         52
        .size:           4
        .value_kind:     hidden_block_count_y
      - .offset:         56
        .size:           4
        .value_kind:     hidden_block_count_z
      - .offset:         60
        .size:           2
        .value_kind:     hidden_group_size_x
      - .offset:         62
        .size:           2
        .value_kind:     hidden_group_size_y
      - .offset:         64
        .size:           2
        .value_kind:     hidden_group_size_z
      - .offset:         66
        .size:           2
        .value_kind:     hidden_remainder_x
      - .offset:         68
        .size:           2
        .value_kind:     hidden_remainder_y
      - .offset:         70
        .size:           2
        .value_kind:     hidden_remainder_z
      - .offset:         88
        .size:           8
        .value_kind:     hidden_global_offset_x
      - .offset:         96
        .size:           8
        .value_kind:     hidden_global_offset_y
      - .offset:         104
        .size:           8
        .value_kind:     hidden_global_offset_z
      - .offset:         112
        .size:           2
        .value_kind:     hidden_grid_dims
    .group_segment_fixed_size: 0
    .kernarg_segment_align: 8
    .kernarg_segment_size: 304
    .language:       OpenCL C
    .language_version:
      - 2
      - 0
    .max_flat_workgroup_size: 1024
    .name:           _ZN12_GLOBAL__N_121softmax_warp_backwardIdddLi3ELb1ELb0ELi64EEEvPT0_PKT_S5_iiiPKb
    .private_segment_fixed_size: 0
    .sgpr_count:     14
    .sgpr_spill_count: 0
    .symbol:         _ZN12_GLOBAL__N_121softmax_warp_backwardIdddLi3ELb1ELb0ELi64EEEvPT0_PKT_S5_iiiPKb.kd
    .uniform_work_group_size: 1
    .uses_dynamic_stack: false
    .vgpr_count:     26
    .vgpr_spill_count: 0
    .wavefront_size: 32
    .workgroup_processor_mode: 1
  - .args:
      - .address_space:  global
        .offset:         0
        .size:           8
        .value_kind:     global_buffer
      - .address_space:  global
        .offset:         8
        .size:           8
        .value_kind:     global_buffer
      - .address_space:  global
        .offset:         16
        .size:           8
        .value_kind:     global_buffer
      - .offset:         24
        .size:           4
        .value_kind:     by_value
      - .offset:         28
        .size:           4
        .value_kind:     by_value
      - .offset:         32
        .size:           4
        .value_kind:     by_value
      - .address_space:  global
        .offset:         40
        .size:           8
        .value_kind:     global_buffer
      - .offset:         48
        .size:           4
        .value_kind:     hidden_block_count_x
      - .offset:         52
        .size:           4
        .value_kind:     hidden_block_count_y
      - .offset:         56
        .size:           4
        .value_kind:     hidden_block_count_z
      - .offset:         60
        .size:           2
        .value_kind:     hidden_group_size_x
      - .offset:         62
        .size:           2
        .value_kind:     hidden_group_size_y
      - .offset:         64
        .size:           2
        .value_kind:     hidden_group_size_z
      - .offset:         66
        .size:           2
        .value_kind:     hidden_remainder_x
      - .offset:         68
        .size:           2
        .value_kind:     hidden_remainder_y
      - .offset:         70
        .size:           2
        .value_kind:     hidden_remainder_z
      - .offset:         88
        .size:           8
        .value_kind:     hidden_global_offset_x
      - .offset:         96
        .size:           8
        .value_kind:     hidden_global_offset_y
      - .offset:         104
        .size:           8
        .value_kind:     hidden_global_offset_z
      - .offset:         112
        .size:           2
        .value_kind:     hidden_grid_dims
    .group_segment_fixed_size: 0
    .kernarg_segment_align: 8
    .kernarg_segment_size: 304
    .language:       OpenCL C
    .language_version:
      - 2
      - 0
    .max_flat_workgroup_size: 1024
    .name:           _ZN12_GLOBAL__N_121softmax_warp_backwardIdddLi3ELb1ELb0ELi32EEEvPT0_PKT_S5_iiiPKb
    .private_segment_fixed_size: 0
    .sgpr_count:     14
    .sgpr_spill_count: 0
    .symbol:         _ZN12_GLOBAL__N_121softmax_warp_backwardIdddLi3ELb1ELb0ELi32EEEvPT0_PKT_S5_iiiPKb.kd
    .uniform_work_group_size: 1
    .uses_dynamic_stack: false
    .vgpr_count:     26
    .vgpr_spill_count: 0
    .wavefront_size: 32
    .workgroup_processor_mode: 1
  - .args:
      - .address_space:  global
        .offset:         0
        .size:           8
        .value_kind:     global_buffer
      - .address_space:  global
        .offset:         8
        .size:           8
        .value_kind:     global_buffer
      - .address_space:  global
        .offset:         16
        .size:           8
        .value_kind:     global_buffer
      - .offset:         24
        .size:           4
        .value_kind:     by_value
      - .offset:         28
        .size:           4
        .value_kind:     by_value
      - .offset:         32
        .size:           4
        .value_kind:     by_value
      - .address_space:  global
        .offset:         40
        .size:           8
        .value_kind:     global_buffer
      - .offset:         48
        .size:           4
        .value_kind:     hidden_block_count_x
      - .offset:         52
        .size:           4
        .value_kind:     hidden_block_count_y
      - .offset:         56
        .size:           4
        .value_kind:     hidden_block_count_z
      - .offset:         60
        .size:           2
        .value_kind:     hidden_group_size_x
      - .offset:         62
        .size:           2
        .value_kind:     hidden_group_size_y
      - .offset:         64
        .size:           2
        .value_kind:     hidden_group_size_z
      - .offset:         66
        .size:           2
        .value_kind:     hidden_remainder_x
      - .offset:         68
        .size:           2
        .value_kind:     hidden_remainder_y
      - .offset:         70
        .size:           2
        .value_kind:     hidden_remainder_z
      - .offset:         88
        .size:           8
        .value_kind:     hidden_global_offset_x
      - .offset:         96
        .size:           8
        .value_kind:     hidden_global_offset_y
      - .offset:         104
        .size:           8
        .value_kind:     hidden_global_offset_z
      - .offset:         112
        .size:           2
        .value_kind:     hidden_grid_dims
    .group_segment_fixed_size: 0
    .kernarg_segment_align: 8
    .kernarg_segment_size: 304
    .language:       OpenCL C
    .language_version:
      - 2
      - 0
    .max_flat_workgroup_size: 1024
    .name:           _ZN12_GLOBAL__N_121softmax_warp_backwardIdddLi4ELb1ELb0ELi64EEEvPT0_PKT_S5_iiiPKb
    .private_segment_fixed_size: 0
    .sgpr_count:     14
    .sgpr_spill_count: 0
    .symbol:         _ZN12_GLOBAL__N_121softmax_warp_backwardIdddLi4ELb1ELb0ELi64EEEvPT0_PKT_S5_iiiPKb.kd
    .uniform_work_group_size: 1
    .uses_dynamic_stack: false
    .vgpr_count:     26
    .vgpr_spill_count: 0
    .wavefront_size: 32
    .workgroup_processor_mode: 1
  - .args:
      - .address_space:  global
        .offset:         0
        .size:           8
        .value_kind:     global_buffer
      - .address_space:  global
        .offset:         8
        .size:           8
        .value_kind:     global_buffer
      - .address_space:  global
        .offset:         16
        .size:           8
        .value_kind:     global_buffer
      - .offset:         24
        .size:           4
        .value_kind:     by_value
      - .offset:         28
        .size:           4
        .value_kind:     by_value
      - .offset:         32
        .size:           4
        .value_kind:     by_value
      - .address_space:  global
        .offset:         40
        .size:           8
        .value_kind:     global_buffer
      - .offset:         48
        .size:           4
        .value_kind:     hidden_block_count_x
      - .offset:         52
        .size:           4
        .value_kind:     hidden_block_count_y
      - .offset:         56
        .size:           4
        .value_kind:     hidden_block_count_z
      - .offset:         60
        .size:           2
        .value_kind:     hidden_group_size_x
      - .offset:         62
        .size:           2
        .value_kind:     hidden_group_size_y
      - .offset:         64
        .size:           2
        .value_kind:     hidden_group_size_z
      - .offset:         66
        .size:           2
        .value_kind:     hidden_remainder_x
      - .offset:         68
        .size:           2
        .value_kind:     hidden_remainder_y
      - .offset:         70
        .size:           2
        .value_kind:     hidden_remainder_z
      - .offset:         88
        .size:           8
        .value_kind:     hidden_global_offset_x
      - .offset:         96
        .size:           8
        .value_kind:     hidden_global_offset_y
      - .offset:         104
        .size:           8
        .value_kind:     hidden_global_offset_z
      - .offset:         112
        .size:           2
        .value_kind:     hidden_grid_dims
    .group_segment_fixed_size: 0
    .kernarg_segment_align: 8
    .kernarg_segment_size: 304
    .language:       OpenCL C
    .language_version:
      - 2
      - 0
    .max_flat_workgroup_size: 1024
    .name:           _ZN12_GLOBAL__N_121softmax_warp_backwardIdddLi4ELb1ELb0ELi32EEEvPT0_PKT_S5_iiiPKb
    .private_segment_fixed_size: 0
    .sgpr_count:     14
    .sgpr_spill_count: 0
    .symbol:         _ZN12_GLOBAL__N_121softmax_warp_backwardIdddLi4ELb1ELb0ELi32EEEvPT0_PKT_S5_iiiPKb.kd
    .uniform_work_group_size: 1
    .uses_dynamic_stack: false
    .vgpr_count:     26
    .vgpr_spill_count: 0
    .wavefront_size: 32
    .workgroup_processor_mode: 1
  - .args:
      - .address_space:  global
        .offset:         0
        .size:           8
        .value_kind:     global_buffer
      - .address_space:  global
        .offset:         8
        .size:           8
        .value_kind:     global_buffer
      - .address_space:  global
        .offset:         16
        .size:           8
        .value_kind:     global_buffer
      - .offset:         24
        .size:           4
        .value_kind:     by_value
      - .offset:         28
        .size:           4
        .value_kind:     by_value
      - .offset:         32
        .size:           4
        .value_kind:     by_value
      - .address_space:  global
        .offset:         40
        .size:           8
        .value_kind:     global_buffer
      - .offset:         48
        .size:           4
        .value_kind:     hidden_block_count_x
      - .offset:         52
        .size:           4
        .value_kind:     hidden_block_count_y
      - .offset:         56
        .size:           4
        .value_kind:     hidden_block_count_z
      - .offset:         60
        .size:           2
        .value_kind:     hidden_group_size_x
      - .offset:         62
        .size:           2
        .value_kind:     hidden_group_size_y
      - .offset:         64
        .size:           2
        .value_kind:     hidden_group_size_z
      - .offset:         66
        .size:           2
        .value_kind:     hidden_remainder_x
      - .offset:         68
        .size:           2
        .value_kind:     hidden_remainder_y
      - .offset:         70
        .size:           2
        .value_kind:     hidden_remainder_z
      - .offset:         88
        .size:           8
        .value_kind:     hidden_global_offset_x
      - .offset:         96
        .size:           8
        .value_kind:     hidden_global_offset_y
      - .offset:         104
        .size:           8
        .value_kind:     hidden_global_offset_z
      - .offset:         112
        .size:           2
        .value_kind:     hidden_grid_dims
    .group_segment_fixed_size: 0
    .kernarg_segment_align: 8
    .kernarg_segment_size: 304
    .language:       OpenCL C
    .language_version:
      - 2
      - 0
    .max_flat_workgroup_size: 1024
    .name:           _ZN12_GLOBAL__N_121softmax_warp_backwardIdddLi5ELb1ELb0ELi64EEEvPT0_PKT_S5_iiiPKb
    .private_segment_fixed_size: 0
    .sgpr_count:     14
    .sgpr_spill_count: 0
    .symbol:         _ZN12_GLOBAL__N_121softmax_warp_backwardIdddLi5ELb1ELb0ELi64EEEvPT0_PKT_S5_iiiPKb.kd
    .uniform_work_group_size: 1
    .uses_dynamic_stack: false
    .vgpr_count:     26
    .vgpr_spill_count: 0
    .wavefront_size: 32
    .workgroup_processor_mode: 1
  - .args:
      - .address_space:  global
        .offset:         0
        .size:           8
        .value_kind:     global_buffer
      - .address_space:  global
        .offset:         8
        .size:           8
        .value_kind:     global_buffer
      - .address_space:  global
        .offset:         16
        .size:           8
        .value_kind:     global_buffer
      - .offset:         24
        .size:           4
        .value_kind:     by_value
      - .offset:         28
        .size:           4
        .value_kind:     by_value
      - .offset:         32
        .size:           4
        .value_kind:     by_value
      - .address_space:  global
        .offset:         40
        .size:           8
        .value_kind:     global_buffer
      - .offset:         48
        .size:           4
        .value_kind:     hidden_block_count_x
      - .offset:         52
        .size:           4
        .value_kind:     hidden_block_count_y
      - .offset:         56
        .size:           4
        .value_kind:     hidden_block_count_z
      - .offset:         60
        .size:           2
        .value_kind:     hidden_group_size_x
      - .offset:         62
        .size:           2
        .value_kind:     hidden_group_size_y
      - .offset:         64
        .size:           2
        .value_kind:     hidden_group_size_z
      - .offset:         66
        .size:           2
        .value_kind:     hidden_remainder_x
      - .offset:         68
        .size:           2
        .value_kind:     hidden_remainder_y
      - .offset:         70
        .size:           2
        .value_kind:     hidden_remainder_z
      - .offset:         88
        .size:           8
        .value_kind:     hidden_global_offset_x
      - .offset:         96
        .size:           8
        .value_kind:     hidden_global_offset_y
      - .offset:         104
        .size:           8
        .value_kind:     hidden_global_offset_z
      - .offset:         112
        .size:           2
        .value_kind:     hidden_grid_dims
    .group_segment_fixed_size: 0
    .kernarg_segment_align: 8
    .kernarg_segment_size: 304
    .language:       OpenCL C
    .language_version:
      - 2
      - 0
    .max_flat_workgroup_size: 1024
    .name:           _ZN12_GLOBAL__N_121softmax_warp_backwardIdddLi5ELb1ELb0ELi32EEEvPT0_PKT_S5_iiiPKb
    .private_segment_fixed_size: 0
    .sgpr_count:     14
    .sgpr_spill_count: 0
    .symbol:         _ZN12_GLOBAL__N_121softmax_warp_backwardIdddLi5ELb1ELb0ELi32EEEvPT0_PKT_S5_iiiPKb.kd
    .uniform_work_group_size: 1
    .uses_dynamic_stack: false
    .vgpr_count:     26
    .vgpr_spill_count: 0
    .wavefront_size: 32
    .workgroup_processor_mode: 1
  - .args:
      - .address_space:  global
        .offset:         0
        .size:           8
        .value_kind:     global_buffer
      - .address_space:  global
        .offset:         8
        .size:           8
        .value_kind:     global_buffer
      - .address_space:  global
        .offset:         16
        .size:           8
        .value_kind:     global_buffer
      - .offset:         24
        .size:           4
        .value_kind:     by_value
      - .offset:         28
        .size:           4
        .value_kind:     by_value
      - .offset:         32
        .size:           4
        .value_kind:     by_value
      - .address_space:  global
        .offset:         40
        .size:           8
        .value_kind:     global_buffer
      - .offset:         48
        .size:           4
        .value_kind:     hidden_block_count_x
      - .offset:         52
        .size:           4
        .value_kind:     hidden_block_count_y
      - .offset:         56
        .size:           4
        .value_kind:     hidden_block_count_z
      - .offset:         60
        .size:           2
        .value_kind:     hidden_group_size_x
      - .offset:         62
        .size:           2
        .value_kind:     hidden_group_size_y
      - .offset:         64
        .size:           2
        .value_kind:     hidden_group_size_z
      - .offset:         66
        .size:           2
        .value_kind:     hidden_remainder_x
      - .offset:         68
        .size:           2
        .value_kind:     hidden_remainder_y
      - .offset:         70
        .size:           2
        .value_kind:     hidden_remainder_z
      - .offset:         88
        .size:           8
        .value_kind:     hidden_global_offset_x
      - .offset:         96
        .size:           8
        .value_kind:     hidden_global_offset_y
      - .offset:         104
        .size:           8
        .value_kind:     hidden_global_offset_z
      - .offset:         112
        .size:           2
        .value_kind:     hidden_grid_dims
    .group_segment_fixed_size: 0
    .kernarg_segment_align: 8
    .kernarg_segment_size: 304
    .language:       OpenCL C
    .language_version:
      - 2
      - 0
    .max_flat_workgroup_size: 1024
    .name:           _ZN12_GLOBAL__N_121softmax_warp_backwardIdddLi6ELb1ELb0ELi64EEEvPT0_PKT_S5_iiiPKb
    .private_segment_fixed_size: 0
    .sgpr_count:     14
    .sgpr_spill_count: 0
    .symbol:         _ZN12_GLOBAL__N_121softmax_warp_backwardIdddLi6ELb1ELb0ELi64EEEvPT0_PKT_S5_iiiPKb.kd
    .uniform_work_group_size: 1
    .uses_dynamic_stack: false
    .vgpr_count:     26
    .vgpr_spill_count: 0
    .wavefront_size: 32
    .workgroup_processor_mode: 1
  - .args:
      - .address_space:  global
        .offset:         0
        .size:           8
        .value_kind:     global_buffer
      - .address_space:  global
        .offset:         8
        .size:           8
        .value_kind:     global_buffer
      - .address_space:  global
        .offset:         16
        .size:           8
        .value_kind:     global_buffer
      - .offset:         24
        .size:           4
        .value_kind:     by_value
      - .offset:         28
        .size:           4
        .value_kind:     by_value
      - .offset:         32
        .size:           4
        .value_kind:     by_value
      - .address_space:  global
        .offset:         40
        .size:           8
        .value_kind:     global_buffer
      - .offset:         48
        .size:           4
        .value_kind:     hidden_block_count_x
      - .offset:         52
        .size:           4
        .value_kind:     hidden_block_count_y
      - .offset:         56
        .size:           4
        .value_kind:     hidden_block_count_z
      - .offset:         60
        .size:           2
        .value_kind:     hidden_group_size_x
      - .offset:         62
        .size:           2
        .value_kind:     hidden_group_size_y
      - .offset:         64
        .size:           2
        .value_kind:     hidden_group_size_z
      - .offset:         66
        .size:           2
        .value_kind:     hidden_remainder_x
      - .offset:         68
        .size:           2
        .value_kind:     hidden_remainder_y
      - .offset:         70
        .size:           2
        .value_kind:     hidden_remainder_z
      - .offset:         88
        .size:           8
        .value_kind:     hidden_global_offset_x
      - .offset:         96
        .size:           8
        .value_kind:     hidden_global_offset_y
      - .offset:         104
        .size:           8
        .value_kind:     hidden_global_offset_z
      - .offset:         112
        .size:           2
        .value_kind:     hidden_grid_dims
    .group_segment_fixed_size: 0
    .kernarg_segment_align: 8
    .kernarg_segment_size: 304
    .language:       OpenCL C
    .language_version:
      - 2
      - 0
    .max_flat_workgroup_size: 1024
    .name:           _ZN12_GLOBAL__N_121softmax_warp_backwardIdddLi6ELb1ELb0ELi32EEEvPT0_PKT_S5_iiiPKb
    .private_segment_fixed_size: 0
    .sgpr_count:     18
    .sgpr_spill_count: 0
    .symbol:         _ZN12_GLOBAL__N_121softmax_warp_backwardIdddLi6ELb1ELb0ELi32EEEvPT0_PKT_S5_iiiPKb.kd
    .uniform_work_group_size: 1
    .uses_dynamic_stack: false
    .vgpr_count:     32
    .vgpr_spill_count: 0
    .wavefront_size: 32
    .workgroup_processor_mode: 1
  - .args:
      - .address_space:  global
        .offset:         0
        .size:           8
        .value_kind:     global_buffer
      - .address_space:  global
        .offset:         8
        .size:           8
        .value_kind:     global_buffer
      - .address_space:  global
        .offset:         16
        .size:           8
        .value_kind:     global_buffer
      - .offset:         24
        .size:           4
        .value_kind:     by_value
      - .offset:         28
        .size:           4
        .value_kind:     by_value
      - .offset:         32
        .size:           4
        .value_kind:     by_value
      - .address_space:  global
        .offset:         40
        .size:           8
        .value_kind:     global_buffer
      - .offset:         48
        .size:           4
        .value_kind:     hidden_block_count_x
      - .offset:         52
        .size:           4
        .value_kind:     hidden_block_count_y
      - .offset:         56
        .size:           4
        .value_kind:     hidden_block_count_z
      - .offset:         60
        .size:           2
        .value_kind:     hidden_group_size_x
      - .offset:         62
        .size:           2
        .value_kind:     hidden_group_size_y
      - .offset:         64
        .size:           2
        .value_kind:     hidden_group_size_z
      - .offset:         66
        .size:           2
        .value_kind:     hidden_remainder_x
      - .offset:         68
        .size:           2
        .value_kind:     hidden_remainder_y
      - .offset:         70
        .size:           2
        .value_kind:     hidden_remainder_z
      - .offset:         88
        .size:           8
        .value_kind:     hidden_global_offset_x
      - .offset:         96
        .size:           8
        .value_kind:     hidden_global_offset_y
      - .offset:         104
        .size:           8
        .value_kind:     hidden_global_offset_z
      - .offset:         112
        .size:           2
        .value_kind:     hidden_grid_dims
    .group_segment_fixed_size: 0
    .kernarg_segment_align: 8
    .kernarg_segment_size: 304
    .language:       OpenCL C
    .language_version:
      - 2
      - 0
    .max_flat_workgroup_size: 1024
    .name:           _ZN12_GLOBAL__N_121softmax_warp_backwardIdddLi7ELb1ELb0ELi64EEEvPT0_PKT_S5_iiiPKb
    .private_segment_fixed_size: 0
    .sgpr_count:     18
    .sgpr_spill_count: 0
    .symbol:         _ZN12_GLOBAL__N_121softmax_warp_backwardIdddLi7ELb1ELb0ELi64EEEvPT0_PKT_S5_iiiPKb.kd
    .uniform_work_group_size: 1
    .uses_dynamic_stack: false
    .vgpr_count:     32
    .vgpr_spill_count: 0
    .wavefront_size: 32
    .workgroup_processor_mode: 1
  - .args:
      - .address_space:  global
        .offset:         0
        .size:           8
        .value_kind:     global_buffer
      - .address_space:  global
        .offset:         8
        .size:           8
        .value_kind:     global_buffer
      - .address_space:  global
        .offset:         16
        .size:           8
        .value_kind:     global_buffer
      - .offset:         24
        .size:           4
        .value_kind:     by_value
      - .offset:         28
        .size:           4
        .value_kind:     by_value
      - .offset:         32
        .size:           4
        .value_kind:     by_value
      - .address_space:  global
        .offset:         40
        .size:           8
        .value_kind:     global_buffer
      - .offset:         48
        .size:           4
        .value_kind:     hidden_block_count_x
      - .offset:         52
        .size:           4
        .value_kind:     hidden_block_count_y
      - .offset:         56
        .size:           4
        .value_kind:     hidden_block_count_z
      - .offset:         60
        .size:           2
        .value_kind:     hidden_group_size_x
      - .offset:         62
        .size:           2
        .value_kind:     hidden_group_size_y
      - .offset:         64
        .size:           2
        .value_kind:     hidden_group_size_z
      - .offset:         66
        .size:           2
        .value_kind:     hidden_remainder_x
      - .offset:         68
        .size:           2
        .value_kind:     hidden_remainder_y
      - .offset:         70
        .size:           2
        .value_kind:     hidden_remainder_z
      - .offset:         88
        .size:           8
        .value_kind:     hidden_global_offset_x
      - .offset:         96
        .size:           8
        .value_kind:     hidden_global_offset_y
      - .offset:         104
        .size:           8
        .value_kind:     hidden_global_offset_z
      - .offset:         112
        .size:           2
        .value_kind:     hidden_grid_dims
    .group_segment_fixed_size: 0
    .kernarg_segment_align: 8
    .kernarg_segment_size: 304
    .language:       OpenCL C
    .language_version:
      - 2
      - 0
    .max_flat_workgroup_size: 1024
    .name:           _ZN12_GLOBAL__N_121softmax_warp_backwardIdddLi7ELb1ELb0ELi32EEEvPT0_PKT_S5_iiiPKb
    .private_segment_fixed_size: 0
    .sgpr_count:     18
    .sgpr_spill_count: 0
    .symbol:         _ZN12_GLOBAL__N_121softmax_warp_backwardIdddLi7ELb1ELb0ELi32EEEvPT0_PKT_S5_iiiPKb.kd
    .uniform_work_group_size: 1
    .uses_dynamic_stack: false
    .vgpr_count:     48
    .vgpr_spill_count: 0
    .wavefront_size: 32
    .workgroup_processor_mode: 1
  - .args:
      - .address_space:  global
        .offset:         0
        .size:           8
        .value_kind:     global_buffer
      - .address_space:  global
        .offset:         8
        .size:           8
        .value_kind:     global_buffer
      - .address_space:  global
        .offset:         16
        .size:           8
        .value_kind:     global_buffer
      - .offset:         24
        .size:           4
        .value_kind:     by_value
      - .offset:         28
        .size:           4
        .value_kind:     by_value
      - .offset:         32
        .size:           4
        .value_kind:     by_value
      - .address_space:  global
        .offset:         40
        .size:           8
        .value_kind:     global_buffer
      - .offset:         48
        .size:           4
        .value_kind:     hidden_block_count_x
      - .offset:         52
        .size:           4
        .value_kind:     hidden_block_count_y
      - .offset:         56
        .size:           4
        .value_kind:     hidden_block_count_z
      - .offset:         60
        .size:           2
        .value_kind:     hidden_group_size_x
      - .offset:         62
        .size:           2
        .value_kind:     hidden_group_size_y
      - .offset:         64
        .size:           2
        .value_kind:     hidden_group_size_z
      - .offset:         66
        .size:           2
        .value_kind:     hidden_remainder_x
      - .offset:         68
        .size:           2
        .value_kind:     hidden_remainder_y
      - .offset:         70
        .size:           2
        .value_kind:     hidden_remainder_z
      - .offset:         88
        .size:           8
        .value_kind:     hidden_global_offset_x
      - .offset:         96
        .size:           8
        .value_kind:     hidden_global_offset_y
      - .offset:         104
        .size:           8
        .value_kind:     hidden_global_offset_z
      - .offset:         112
        .size:           2
        .value_kind:     hidden_grid_dims
    .group_segment_fixed_size: 0
    .kernarg_segment_align: 8
    .kernarg_segment_size: 304
    .language:       OpenCL C
    .language_version:
      - 2
      - 0
    .max_flat_workgroup_size: 1024
    .name:           _ZN12_GLOBAL__N_121softmax_warp_backwardIdddLi8ELb1ELb0ELi64EEEvPT0_PKT_S5_iiiPKb
    .private_segment_fixed_size: 0
    .sgpr_count:     18
    .sgpr_spill_count: 0
    .symbol:         _ZN12_GLOBAL__N_121softmax_warp_backwardIdddLi8ELb1ELb0ELi64EEEvPT0_PKT_S5_iiiPKb.kd
    .uniform_work_group_size: 1
    .uses_dynamic_stack: false
    .vgpr_count:     27
    .vgpr_spill_count: 0
    .wavefront_size: 32
    .workgroup_processor_mode: 1
  - .args:
      - .address_space:  global
        .offset:         0
        .size:           8
        .value_kind:     global_buffer
      - .address_space:  global
        .offset:         8
        .size:           8
        .value_kind:     global_buffer
      - .address_space:  global
        .offset:         16
        .size:           8
        .value_kind:     global_buffer
      - .offset:         24
        .size:           4
        .value_kind:     by_value
      - .offset:         28
        .size:           4
        .value_kind:     by_value
      - .offset:         32
        .size:           4
        .value_kind:     by_value
      - .address_space:  global
        .offset:         40
        .size:           8
        .value_kind:     global_buffer
      - .offset:         48
        .size:           4
        .value_kind:     hidden_block_count_x
      - .offset:         52
        .size:           4
        .value_kind:     hidden_block_count_y
      - .offset:         56
        .size:           4
        .value_kind:     hidden_block_count_z
      - .offset:         60
        .size:           2
        .value_kind:     hidden_group_size_x
      - .offset:         62
        .size:           2
        .value_kind:     hidden_group_size_y
      - .offset:         64
        .size:           2
        .value_kind:     hidden_group_size_z
      - .offset:         66
        .size:           2
        .value_kind:     hidden_remainder_x
      - .offset:         68
        .size:           2
        .value_kind:     hidden_remainder_y
      - .offset:         70
        .size:           2
        .value_kind:     hidden_remainder_z
      - .offset:         88
        .size:           8
        .value_kind:     hidden_global_offset_x
      - .offset:         96
        .size:           8
        .value_kind:     hidden_global_offset_y
      - .offset:         104
        .size:           8
        .value_kind:     hidden_global_offset_z
      - .offset:         112
        .size:           2
        .value_kind:     hidden_grid_dims
    .group_segment_fixed_size: 0
    .kernarg_segment_align: 8
    .kernarg_segment_size: 304
    .language:       OpenCL C
    .language_version:
      - 2
      - 0
    .max_flat_workgroup_size: 1024
    .name:           _ZN12_GLOBAL__N_121softmax_warp_backwardIdddLi8ELb1ELb0ELi32EEEvPT0_PKT_S5_iiiPKb
    .private_segment_fixed_size: 0
    .sgpr_count:     18
    .sgpr_spill_count: 0
    .symbol:         _ZN12_GLOBAL__N_121softmax_warp_backwardIdddLi8ELb1ELb0ELi32EEEvPT0_PKT_S5_iiiPKb.kd
    .uniform_work_group_size: 1
    .uses_dynamic_stack: false
    .vgpr_count:     43
    .vgpr_spill_count: 0
    .wavefront_size: 32
    .workgroup_processor_mode: 1
  - .args:
      - .address_space:  global
        .offset:         0
        .size:           8
        .value_kind:     global_buffer
      - .address_space:  global
        .offset:         8
        .size:           8
        .value_kind:     global_buffer
      - .address_space:  global
        .offset:         16
        .size:           8
        .value_kind:     global_buffer
      - .offset:         24
        .size:           4
        .value_kind:     by_value
      - .offset:         28
        .size:           4
        .value_kind:     by_value
      - .offset:         32
        .size:           4
        .value_kind:     by_value
      - .address_space:  global
        .offset:         40
        .size:           8
        .value_kind:     global_buffer
      - .offset:         48
        .size:           4
        .value_kind:     hidden_block_count_x
      - .offset:         52
        .size:           4
        .value_kind:     hidden_block_count_y
      - .offset:         56
        .size:           4
        .value_kind:     hidden_block_count_z
      - .offset:         60
        .size:           2
        .value_kind:     hidden_group_size_x
      - .offset:         62
        .size:           2
        .value_kind:     hidden_group_size_y
      - .offset:         64
        .size:           2
        .value_kind:     hidden_group_size_z
      - .offset:         66
        .size:           2
        .value_kind:     hidden_remainder_x
      - .offset:         68
        .size:           2
        .value_kind:     hidden_remainder_y
      - .offset:         70
        .size:           2
        .value_kind:     hidden_remainder_z
      - .offset:         88
        .size:           8
        .value_kind:     hidden_global_offset_x
      - .offset:         96
        .size:           8
        .value_kind:     hidden_global_offset_y
      - .offset:         104
        .size:           8
        .value_kind:     hidden_global_offset_z
      - .offset:         112
        .size:           2
        .value_kind:     hidden_grid_dims
    .group_segment_fixed_size: 0
    .kernarg_segment_align: 8
    .kernarg_segment_size: 304
    .language:       OpenCL C
    .language_version:
      - 2
      - 0
    .max_flat_workgroup_size: 1024
    .name:           _ZN12_GLOBAL__N_121softmax_warp_backwardIdddLi9ELb1ELb0ELi64EEEvPT0_PKT_S5_iiiPKb
    .private_segment_fixed_size: 0
    .sgpr_count:     18
    .sgpr_spill_count: 0
    .symbol:         _ZN12_GLOBAL__N_121softmax_warp_backwardIdddLi9ELb1ELb0ELi64EEEvPT0_PKT_S5_iiiPKb.kd
    .uniform_work_group_size: 1
    .uses_dynamic_stack: false
    .vgpr_count:     43
    .vgpr_spill_count: 0
    .wavefront_size: 32
    .workgroup_processor_mode: 1
  - .args:
      - .address_space:  global
        .offset:         0
        .size:           8
        .value_kind:     global_buffer
      - .address_space:  global
        .offset:         8
        .size:           8
        .value_kind:     global_buffer
      - .address_space:  global
        .offset:         16
        .size:           8
        .value_kind:     global_buffer
      - .offset:         24
        .size:           4
        .value_kind:     by_value
      - .offset:         28
        .size:           4
        .value_kind:     by_value
      - .offset:         32
        .size:           4
        .value_kind:     by_value
      - .address_space:  global
        .offset:         40
        .size:           8
        .value_kind:     global_buffer
      - .offset:         48
        .size:           4
        .value_kind:     hidden_block_count_x
      - .offset:         52
        .size:           4
        .value_kind:     hidden_block_count_y
      - .offset:         56
        .size:           4
        .value_kind:     hidden_block_count_z
      - .offset:         60
        .size:           2
        .value_kind:     hidden_group_size_x
      - .offset:         62
        .size:           2
        .value_kind:     hidden_group_size_y
      - .offset:         64
        .size:           2
        .value_kind:     hidden_group_size_z
      - .offset:         66
        .size:           2
        .value_kind:     hidden_remainder_x
      - .offset:         68
        .size:           2
        .value_kind:     hidden_remainder_y
      - .offset:         70
        .size:           2
        .value_kind:     hidden_remainder_z
      - .offset:         88
        .size:           8
        .value_kind:     hidden_global_offset_x
      - .offset:         96
        .size:           8
        .value_kind:     hidden_global_offset_y
      - .offset:         104
        .size:           8
        .value_kind:     hidden_global_offset_z
      - .offset:         112
        .size:           2
        .value_kind:     hidden_grid_dims
    .group_segment_fixed_size: 0
    .kernarg_segment_align: 8
    .kernarg_segment_size: 304
    .language:       OpenCL C
    .language_version:
      - 2
      - 0
    .max_flat_workgroup_size: 1024
    .name:           _ZN12_GLOBAL__N_121softmax_warp_backwardIdddLi9ELb1ELb0ELi32EEEvPT0_PKT_S5_iiiPKb
    .private_segment_fixed_size: 0
    .sgpr_count:     26
    .sgpr_spill_count: 0
    .symbol:         _ZN12_GLOBAL__N_121softmax_warp_backwardIdddLi9ELb1ELb0ELi32EEEvPT0_PKT_S5_iiiPKb.kd
    .uniform_work_group_size: 1
    .uses_dynamic_stack: false
    .vgpr_count:     75
    .vgpr_spill_count: 0
    .wavefront_size: 32
    .workgroup_processor_mode: 1
  - .args:
      - .address_space:  global
        .offset:         0
        .size:           8
        .value_kind:     global_buffer
      - .address_space:  global
        .offset:         8
        .size:           8
        .value_kind:     global_buffer
      - .address_space:  global
        .offset:         16
        .size:           8
        .value_kind:     global_buffer
      - .offset:         24
        .size:           4
        .value_kind:     by_value
      - .offset:         28
        .size:           4
        .value_kind:     by_value
      - .offset:         32
        .size:           4
        .value_kind:     by_value
      - .address_space:  global
        .offset:         40
        .size:           8
        .value_kind:     global_buffer
      - .offset:         48
        .size:           4
        .value_kind:     hidden_block_count_x
      - .offset:         52
        .size:           4
        .value_kind:     hidden_block_count_y
      - .offset:         56
        .size:           4
        .value_kind:     hidden_block_count_z
      - .offset:         60
        .size:           2
        .value_kind:     hidden_group_size_x
      - .offset:         62
        .size:           2
        .value_kind:     hidden_group_size_y
      - .offset:         64
        .size:           2
        .value_kind:     hidden_group_size_z
      - .offset:         66
        .size:           2
        .value_kind:     hidden_remainder_x
      - .offset:         68
        .size:           2
        .value_kind:     hidden_remainder_y
      - .offset:         70
        .size:           2
        .value_kind:     hidden_remainder_z
      - .offset:         88
        .size:           8
        .value_kind:     hidden_global_offset_x
      - .offset:         96
        .size:           8
        .value_kind:     hidden_global_offset_y
      - .offset:         104
        .size:           8
        .value_kind:     hidden_global_offset_z
      - .offset:         112
        .size:           2
        .value_kind:     hidden_grid_dims
    .group_segment_fixed_size: 0
    .kernarg_segment_align: 8
    .kernarg_segment_size: 304
    .language:       OpenCL C
    .language_version:
      - 2
      - 0
    .max_flat_workgroup_size: 1024
    .name:           _ZN12_GLOBAL__N_121softmax_warp_backwardIdddLi10ELb1ELb0ELi64EEEvPT0_PKT_S5_iiiPKb
    .private_segment_fixed_size: 0
    .sgpr_count:     26
    .sgpr_spill_count: 0
    .symbol:         _ZN12_GLOBAL__N_121softmax_warp_backwardIdddLi10ELb1ELb0ELi64EEEvPT0_PKT_S5_iiiPKb.kd
    .uniform_work_group_size: 1
    .uses_dynamic_stack: false
    .vgpr_count:     75
    .vgpr_spill_count: 0
    .wavefront_size: 32
    .workgroup_processor_mode: 1
  - .args:
      - .address_space:  global
        .offset:         0
        .size:           8
        .value_kind:     global_buffer
      - .address_space:  global
        .offset:         8
        .size:           8
        .value_kind:     global_buffer
      - .address_space:  global
        .offset:         16
        .size:           8
        .value_kind:     global_buffer
      - .offset:         24
        .size:           4
        .value_kind:     by_value
      - .offset:         28
        .size:           4
        .value_kind:     by_value
      - .offset:         32
        .size:           4
        .value_kind:     by_value
      - .address_space:  global
        .offset:         40
        .size:           8
        .value_kind:     global_buffer
      - .offset:         48
        .size:           4
        .value_kind:     hidden_block_count_x
      - .offset:         52
        .size:           4
        .value_kind:     hidden_block_count_y
      - .offset:         56
        .size:           4
        .value_kind:     hidden_block_count_z
      - .offset:         60
        .size:           2
        .value_kind:     hidden_group_size_x
      - .offset:         62
        .size:           2
        .value_kind:     hidden_group_size_y
      - .offset:         64
        .size:           2
        .value_kind:     hidden_group_size_z
      - .offset:         66
        .size:           2
        .value_kind:     hidden_remainder_x
      - .offset:         68
        .size:           2
        .value_kind:     hidden_remainder_y
      - .offset:         70
        .size:           2
        .value_kind:     hidden_remainder_z
      - .offset:         88
        .size:           8
        .value_kind:     hidden_global_offset_x
      - .offset:         96
        .size:           8
        .value_kind:     hidden_global_offset_y
      - .offset:         104
        .size:           8
        .value_kind:     hidden_global_offset_z
      - .offset:         112
        .size:           2
        .value_kind:     hidden_grid_dims
    .group_segment_fixed_size: 0
    .kernarg_segment_align: 8
    .kernarg_segment_size: 304
    .language:       OpenCL C
    .language_version:
      - 2
      - 0
    .max_flat_workgroup_size: 1024
    .name:           _ZN12_GLOBAL__N_121softmax_warp_backwardIdddLi10ELb1ELb0ELi32EEEvPT0_PKT_S5_iiiPKb
    .private_segment_fixed_size: 52
    .sgpr_count:     50
    .sgpr_spill_count: 0
    .symbol:         _ZN12_GLOBAL__N_121softmax_warp_backwardIdddLi10ELb1ELb0ELi32EEEvPT0_PKT_S5_iiiPKb.kd
    .uniform_work_group_size: 1
    .uses_dynamic_stack: false
    .vgpr_count:     128
    .vgpr_spill_count: 22
    .wavefront_size: 32
    .workgroup_processor_mode: 1
  - .args:
      - .address_space:  global
        .offset:         0
        .size:           8
        .value_kind:     global_buffer
      - .address_space:  global
        .offset:         8
        .size:           8
        .value_kind:     global_buffer
      - .address_space:  global
        .offset:         16
        .size:           8
        .value_kind:     global_buffer
      - .offset:         24
        .size:           8
        .value_kind:     by_value
      - .offset:         32
        .size:           4
        .value_kind:     hidden_block_count_x
      - .offset:         36
        .size:           4
        .value_kind:     hidden_block_count_y
      - .offset:         40
        .size:           4
        .value_kind:     hidden_block_count_z
      - .offset:         44
        .size:           2
        .value_kind:     hidden_group_size_x
      - .offset:         46
        .size:           2
        .value_kind:     hidden_group_size_y
      - .offset:         48
        .size:           2
        .value_kind:     hidden_group_size_z
      - .offset:         50
        .size:           2
        .value_kind:     hidden_remainder_x
      - .offset:         52
        .size:           2
        .value_kind:     hidden_remainder_y
      - .offset:         54
        .size:           2
        .value_kind:     hidden_remainder_z
      - .offset:         72
        .size:           8
        .value_kind:     hidden_global_offset_x
      - .offset:         80
        .size:           8
        .value_kind:     hidden_global_offset_y
      - .offset:         88
        .size:           8
        .value_kind:     hidden_global_offset_z
      - .offset:         96
        .size:           2
        .value_kind:     hidden_grid_dims
      - .offset:         152
        .size:           4
        .value_kind:     hidden_dynamic_lds_size
    .group_segment_fixed_size: 0
    .kernarg_segment_align: 8
    .kernarg_segment_size: 288
    .language:       OpenCL C
    .language_version:
      - 2
      - 0
    .max_flat_workgroup_size: 1024
    .name:           _ZN2at6native12_GLOBAL__N_124cunn_SoftMaxBackwardSmemILi2EdddNS1_26LogSoftMaxBackwardEpilogueEEEvPT0_PKT2_S8_l
    .private_segment_fixed_size: 0
    .sgpr_count:     42
    .sgpr_spill_count: 0
    .symbol:         _ZN2at6native12_GLOBAL__N_124cunn_SoftMaxBackwardSmemILi2EdddNS1_26LogSoftMaxBackwardEpilogueEEEvPT0_PKT2_S8_l.kd
    .uniform_work_group_size: 1
    .uses_dynamic_stack: false
    .vgpr_count:     25
    .vgpr_spill_count: 0
    .wavefront_size: 32
    .workgroup_processor_mode: 1
  - .args:
      - .address_space:  global
        .offset:         0
        .size:           8
        .value_kind:     global_buffer
      - .address_space:  global
        .offset:         8
        .size:           8
        .value_kind:     global_buffer
      - .address_space:  global
        .offset:         16
        .size:           8
        .value_kind:     global_buffer
      - .offset:         24
        .size:           8
        .value_kind:     by_value
      - .offset:         32
        .size:           4
        .value_kind:     hidden_block_count_x
      - .offset:         36
        .size:           4
        .value_kind:     hidden_block_count_y
      - .offset:         40
        .size:           4
        .value_kind:     hidden_block_count_z
      - .offset:         44
        .size:           2
        .value_kind:     hidden_group_size_x
      - .offset:         46
        .size:           2
        .value_kind:     hidden_group_size_y
      - .offset:         48
        .size:           2
        .value_kind:     hidden_group_size_z
      - .offset:         50
        .size:           2
        .value_kind:     hidden_remainder_x
      - .offset:         52
        .size:           2
        .value_kind:     hidden_remainder_y
      - .offset:         54
        .size:           2
        .value_kind:     hidden_remainder_z
      - .offset:         72
        .size:           8
        .value_kind:     hidden_global_offset_x
      - .offset:         80
        .size:           8
        .value_kind:     hidden_global_offset_y
      - .offset:         88
        .size:           8
        .value_kind:     hidden_global_offset_z
      - .offset:         96
        .size:           2
        .value_kind:     hidden_grid_dims
      - .offset:         152
        .size:           4
        .value_kind:     hidden_dynamic_lds_size
    .group_segment_fixed_size: 0
    .kernarg_segment_align: 8
    .kernarg_segment_size: 288
    .language:       OpenCL C
    .language_version:
      - 2
      - 0
    .max_flat_workgroup_size: 1024
    .name:           _ZN2at6native12_GLOBAL__N_120cunn_SoftMaxBackwardILi2EdddNS1_26LogSoftMaxBackwardEpilogueEEEvPT0_PKT2_S8_l
    .private_segment_fixed_size: 0
    .sgpr_count:     79
    .sgpr_spill_count: 0
    .symbol:         _ZN2at6native12_GLOBAL__N_120cunn_SoftMaxBackwardILi2EdddNS1_26LogSoftMaxBackwardEpilogueEEEvPT0_PKT2_S8_l.kd
    .uniform_work_group_size: 1
    .uses_dynamic_stack: false
    .vgpr_count:     31
    .vgpr_spill_count: 0
    .wavefront_size: 32
    .workgroup_processor_mode: 1
  - .args:
      - .address_space:  global
        .offset:         0
        .size:           8
        .value_kind:     global_buffer
      - .address_space:  global
        .offset:         8
        .size:           8
        .value_kind:     global_buffer
      - .address_space:  global
        .offset:         16
        .size:           8
        .value_kind:     global_buffer
      - .offset:         24
        .size:           4
        .value_kind:     by_value
      - .offset:         28
        .size:           4
        .value_kind:     by_value
      - .offset:         32
        .size:           4
        .value_kind:     by_value
      - .address_space:  global
        .offset:         40
        .size:           8
        .value_kind:     global_buffer
      - .offset:         48
        .size:           4
        .value_kind:     hidden_block_count_x
      - .offset:         52
        .size:           4
        .value_kind:     hidden_block_count_y
      - .offset:         56
        .size:           4
        .value_kind:     hidden_block_count_z
      - .offset:         60
        .size:           2
        .value_kind:     hidden_group_size_x
      - .offset:         62
        .size:           2
        .value_kind:     hidden_group_size_y
      - .offset:         64
        .size:           2
        .value_kind:     hidden_group_size_z
      - .offset:         66
        .size:           2
        .value_kind:     hidden_remainder_x
      - .offset:         68
        .size:           2
        .value_kind:     hidden_remainder_y
      - .offset:         70
        .size:           2
        .value_kind:     hidden_remainder_z
      - .offset:         88
        .size:           8
        .value_kind:     hidden_global_offset_x
      - .offset:         96
        .size:           8
        .value_kind:     hidden_global_offset_y
      - .offset:         104
        .size:           8
        .value_kind:     hidden_global_offset_z
      - .offset:         112
        .size:           2
        .value_kind:     hidden_grid_dims
    .group_segment_fixed_size: 0
    .kernarg_segment_align: 8
    .kernarg_segment_size: 304
    .language:       OpenCL C
    .language_version:
      - 2
      - 0
    .max_flat_workgroup_size: 1024
    .name:           _ZN12_GLOBAL__N_121softmax_warp_backwardIfffLi0ELb1ELb0ELi64EEEvPT0_PKT_S5_iiiPKb
    .private_segment_fixed_size: 0
    .sgpr_count:     14
    .sgpr_spill_count: 0
    .symbol:         _ZN12_GLOBAL__N_121softmax_warp_backwardIfffLi0ELb1ELb0ELi64EEEvPT0_PKT_S5_iiiPKb.kd
    .uniform_work_group_size: 1
    .uses_dynamic_stack: false
    .vgpr_count:     11
    .vgpr_spill_count: 0
    .wavefront_size: 32
    .workgroup_processor_mode: 1
  - .args:
      - .address_space:  global
        .offset:         0
        .size:           8
        .value_kind:     global_buffer
      - .address_space:  global
        .offset:         8
        .size:           8
        .value_kind:     global_buffer
      - .address_space:  global
        .offset:         16
        .size:           8
        .value_kind:     global_buffer
      - .offset:         24
        .size:           4
        .value_kind:     by_value
      - .offset:         28
        .size:           4
        .value_kind:     by_value
      - .offset:         32
        .size:           4
        .value_kind:     by_value
      - .address_space:  global
        .offset:         40
        .size:           8
        .value_kind:     global_buffer
      - .offset:         48
        .size:           4
        .value_kind:     hidden_block_count_x
      - .offset:         52
        .size:           4
        .value_kind:     hidden_block_count_y
      - .offset:         56
        .size:           4
        .value_kind:     hidden_block_count_z
      - .offset:         60
        .size:           2
        .value_kind:     hidden_group_size_x
      - .offset:         62
        .size:           2
        .value_kind:     hidden_group_size_y
      - .offset:         64
        .size:           2
        .value_kind:     hidden_group_size_z
      - .offset:         66
        .size:           2
        .value_kind:     hidden_remainder_x
      - .offset:         68
        .size:           2
        .value_kind:     hidden_remainder_y
      - .offset:         70
        .size:           2
        .value_kind:     hidden_remainder_z
      - .offset:         88
        .size:           8
        .value_kind:     hidden_global_offset_x
      - .offset:         96
        .size:           8
        .value_kind:     hidden_global_offset_y
      - .offset:         104
        .size:           8
        .value_kind:     hidden_global_offset_z
      - .offset:         112
        .size:           2
        .value_kind:     hidden_grid_dims
    .group_segment_fixed_size: 0
    .kernarg_segment_align: 8
    .kernarg_segment_size: 304
    .language:       OpenCL C
    .language_version:
      - 2
      - 0
    .max_flat_workgroup_size: 1024
    .name:           _ZN12_GLOBAL__N_121softmax_warp_backwardIfffLi0ELb1ELb0ELi32EEEvPT0_PKT_S5_iiiPKb
    .private_segment_fixed_size: 0
    .sgpr_count:     14
    .sgpr_spill_count: 0
    .symbol:         _ZN12_GLOBAL__N_121softmax_warp_backwardIfffLi0ELb1ELb0ELi32EEEvPT0_PKT_S5_iiiPKb.kd
    .uniform_work_group_size: 1
    .uses_dynamic_stack: false
    .vgpr_count:     11
    .vgpr_spill_count: 0
    .wavefront_size: 32
    .workgroup_processor_mode: 1
  - .args:
      - .address_space:  global
        .offset:         0
        .size:           8
        .value_kind:     global_buffer
      - .address_space:  global
        .offset:         8
        .size:           8
        .value_kind:     global_buffer
      - .address_space:  global
        .offset:         16
        .size:           8
        .value_kind:     global_buffer
      - .offset:         24
        .size:           4
        .value_kind:     by_value
      - .offset:         28
        .size:           4
        .value_kind:     by_value
      - .offset:         32
        .size:           4
        .value_kind:     by_value
      - .address_space:  global
        .offset:         40
        .size:           8
        .value_kind:     global_buffer
      - .offset:         48
        .size:           4
        .value_kind:     hidden_block_count_x
      - .offset:         52
        .size:           4
        .value_kind:     hidden_block_count_y
      - .offset:         56
        .size:           4
        .value_kind:     hidden_block_count_z
      - .offset:         60
        .size:           2
        .value_kind:     hidden_group_size_x
      - .offset:         62
        .size:           2
        .value_kind:     hidden_group_size_y
      - .offset:         64
        .size:           2
        .value_kind:     hidden_group_size_z
      - .offset:         66
        .size:           2
        .value_kind:     hidden_remainder_x
      - .offset:         68
        .size:           2
        .value_kind:     hidden_remainder_y
      - .offset:         70
        .size:           2
        .value_kind:     hidden_remainder_z
      - .offset:         88
        .size:           8
        .value_kind:     hidden_global_offset_x
      - .offset:         96
        .size:           8
        .value_kind:     hidden_global_offset_y
      - .offset:         104
        .size:           8
        .value_kind:     hidden_global_offset_z
      - .offset:         112
        .size:           2
        .value_kind:     hidden_grid_dims
    .group_segment_fixed_size: 0
    .kernarg_segment_align: 8
    .kernarg_segment_size: 304
    .language:       OpenCL C
    .language_version:
      - 2
      - 0
    .max_flat_workgroup_size: 1024
    .name:           _ZN12_GLOBAL__N_121softmax_warp_backwardIfffLi1ELb1ELb0ELi64EEEvPT0_PKT_S5_iiiPKb
    .private_segment_fixed_size: 0
    .sgpr_count:     14
    .sgpr_spill_count: 0
    .symbol:         _ZN12_GLOBAL__N_121softmax_warp_backwardIfffLi1ELb1ELb0ELi64EEEvPT0_PKT_S5_iiiPKb.kd
    .uniform_work_group_size: 1
    .uses_dynamic_stack: false
    .vgpr_count:     14
    .vgpr_spill_count: 0
    .wavefront_size: 32
    .workgroup_processor_mode: 1
  - .args:
      - .address_space:  global
        .offset:         0
        .size:           8
        .value_kind:     global_buffer
      - .address_space:  global
        .offset:         8
        .size:           8
        .value_kind:     global_buffer
      - .address_space:  global
        .offset:         16
        .size:           8
        .value_kind:     global_buffer
      - .offset:         24
        .size:           4
        .value_kind:     by_value
      - .offset:         28
        .size:           4
        .value_kind:     by_value
      - .offset:         32
        .size:           4
        .value_kind:     by_value
      - .address_space:  global
        .offset:         40
        .size:           8
        .value_kind:     global_buffer
      - .offset:         48
        .size:           4
        .value_kind:     hidden_block_count_x
      - .offset:         52
        .size:           4
        .value_kind:     hidden_block_count_y
      - .offset:         56
        .size:           4
        .value_kind:     hidden_block_count_z
      - .offset:         60
        .size:           2
        .value_kind:     hidden_group_size_x
      - .offset:         62
        .size:           2
        .value_kind:     hidden_group_size_y
      - .offset:         64
        .size:           2
        .value_kind:     hidden_group_size_z
      - .offset:         66
        .size:           2
        .value_kind:     hidden_remainder_x
      - .offset:         68
        .size:           2
        .value_kind:     hidden_remainder_y
      - .offset:         70
        .size:           2
        .value_kind:     hidden_remainder_z
      - .offset:         88
        .size:           8
        .value_kind:     hidden_global_offset_x
      - .offset:         96
        .size:           8
        .value_kind:     hidden_global_offset_y
      - .offset:         104
        .size:           8
        .value_kind:     hidden_global_offset_z
      - .offset:         112
        .size:           2
        .value_kind:     hidden_grid_dims
    .group_segment_fixed_size: 0
    .kernarg_segment_align: 8
    .kernarg_segment_size: 304
    .language:       OpenCL C
    .language_version:
      - 2
      - 0
    .max_flat_workgroup_size: 1024
    .name:           _ZN12_GLOBAL__N_121softmax_warp_backwardIfffLi1ELb1ELb0ELi32EEEvPT0_PKT_S5_iiiPKb
    .private_segment_fixed_size: 0
    .sgpr_count:     14
    .sgpr_spill_count: 0
    .symbol:         _ZN12_GLOBAL__N_121softmax_warp_backwardIfffLi1ELb1ELb0ELi32EEEvPT0_PKT_S5_iiiPKb.kd
    .uniform_work_group_size: 1
    .uses_dynamic_stack: false
    .vgpr_count:     14
    .vgpr_spill_count: 0
    .wavefront_size: 32
    .workgroup_processor_mode: 1
  - .args:
      - .address_space:  global
        .offset:         0
        .size:           8
        .value_kind:     global_buffer
      - .address_space:  global
        .offset:         8
        .size:           8
        .value_kind:     global_buffer
      - .address_space:  global
        .offset:         16
        .size:           8
        .value_kind:     global_buffer
      - .offset:         24
        .size:           4
        .value_kind:     by_value
      - .offset:         28
        .size:           4
        .value_kind:     by_value
      - .offset:         32
        .size:           4
        .value_kind:     by_value
      - .address_space:  global
        .offset:         40
        .size:           8
        .value_kind:     global_buffer
      - .offset:         48
        .size:           4
        .value_kind:     hidden_block_count_x
      - .offset:         52
        .size:           4
        .value_kind:     hidden_block_count_y
      - .offset:         56
        .size:           4
        .value_kind:     hidden_block_count_z
      - .offset:         60
        .size:           2
        .value_kind:     hidden_group_size_x
      - .offset:         62
        .size:           2
        .value_kind:     hidden_group_size_y
      - .offset:         64
        .size:           2
        .value_kind:     hidden_group_size_z
      - .offset:         66
        .size:           2
        .value_kind:     hidden_remainder_x
      - .offset:         68
        .size:           2
        .value_kind:     hidden_remainder_y
      - .offset:         70
        .size:           2
        .value_kind:     hidden_remainder_z
      - .offset:         88
        .size:           8
        .value_kind:     hidden_global_offset_x
      - .offset:         96
        .size:           8
        .value_kind:     hidden_global_offset_y
      - .offset:         104
        .size:           8
        .value_kind:     hidden_global_offset_z
      - .offset:         112
        .size:           2
        .value_kind:     hidden_grid_dims
    .group_segment_fixed_size: 0
    .kernarg_segment_align: 8
    .kernarg_segment_size: 304
    .language:       OpenCL C
    .language_version:
      - 2
      - 0
    .max_flat_workgroup_size: 1024
    .name:           _ZN12_GLOBAL__N_121softmax_warp_backwardIfffLi2ELb1ELb0ELi64EEEvPT0_PKT_S5_iiiPKb
    .private_segment_fixed_size: 0
    .sgpr_count:     14
    .sgpr_spill_count: 0
    .symbol:         _ZN12_GLOBAL__N_121softmax_warp_backwardIfffLi2ELb1ELb0ELi64EEEvPT0_PKT_S5_iiiPKb.kd
    .uniform_work_group_size: 1
    .uses_dynamic_stack: false
    .vgpr_count:     14
    .vgpr_spill_count: 0
    .wavefront_size: 32
    .workgroup_processor_mode: 1
  - .args:
      - .address_space:  global
        .offset:         0
        .size:           8
        .value_kind:     global_buffer
      - .address_space:  global
        .offset:         8
        .size:           8
        .value_kind:     global_buffer
      - .address_space:  global
        .offset:         16
        .size:           8
        .value_kind:     global_buffer
      - .offset:         24
        .size:           4
        .value_kind:     by_value
      - .offset:         28
        .size:           4
        .value_kind:     by_value
      - .offset:         32
        .size:           4
        .value_kind:     by_value
      - .address_space:  global
        .offset:         40
        .size:           8
        .value_kind:     global_buffer
      - .offset:         48
        .size:           4
        .value_kind:     hidden_block_count_x
      - .offset:         52
        .size:           4
        .value_kind:     hidden_block_count_y
      - .offset:         56
        .size:           4
        .value_kind:     hidden_block_count_z
      - .offset:         60
        .size:           2
        .value_kind:     hidden_group_size_x
      - .offset:         62
        .size:           2
        .value_kind:     hidden_group_size_y
      - .offset:         64
        .size:           2
        .value_kind:     hidden_group_size_z
      - .offset:         66
        .size:           2
        .value_kind:     hidden_remainder_x
      - .offset:         68
        .size:           2
        .value_kind:     hidden_remainder_y
      - .offset:         70
        .size:           2
        .value_kind:     hidden_remainder_z
      - .offset:         88
        .size:           8
        .value_kind:     hidden_global_offset_x
      - .offset:         96
        .size:           8
        .value_kind:     hidden_global_offset_y
      - .offset:         104
        .size:           8
        .value_kind:     hidden_global_offset_z
      - .offset:         112
        .size:           2
        .value_kind:     hidden_grid_dims
    .group_segment_fixed_size: 0
    .kernarg_segment_align: 8
    .kernarg_segment_size: 304
    .language:       OpenCL C
    .language_version:
      - 2
      - 0
    .max_flat_workgroup_size: 1024
    .name:           _ZN12_GLOBAL__N_121softmax_warp_backwardIfffLi2ELb1ELb0ELi32EEEvPT0_PKT_S5_iiiPKb
    .private_segment_fixed_size: 0
    .sgpr_count:     14
    .sgpr_spill_count: 0
    .symbol:         _ZN12_GLOBAL__N_121softmax_warp_backwardIfffLi2ELb1ELb0ELi32EEEvPT0_PKT_S5_iiiPKb.kd
    .uniform_work_group_size: 1
    .uses_dynamic_stack: false
    .vgpr_count:     14
    .vgpr_spill_count: 0
    .wavefront_size: 32
    .workgroup_processor_mode: 1
  - .args:
      - .address_space:  global
        .offset:         0
        .size:           8
        .value_kind:     global_buffer
      - .address_space:  global
        .offset:         8
        .size:           8
        .value_kind:     global_buffer
      - .address_space:  global
        .offset:         16
        .size:           8
        .value_kind:     global_buffer
      - .offset:         24
        .size:           4
        .value_kind:     by_value
      - .offset:         28
        .size:           4
        .value_kind:     by_value
      - .offset:         32
        .size:           4
        .value_kind:     by_value
      - .address_space:  global
        .offset:         40
        .size:           8
        .value_kind:     global_buffer
      - .offset:         48
        .size:           4
        .value_kind:     hidden_block_count_x
      - .offset:         52
        .size:           4
        .value_kind:     hidden_block_count_y
      - .offset:         56
        .size:           4
        .value_kind:     hidden_block_count_z
      - .offset:         60
        .size:           2
        .value_kind:     hidden_group_size_x
      - .offset:         62
        .size:           2
        .value_kind:     hidden_group_size_y
      - .offset:         64
        .size:           2
        .value_kind:     hidden_group_size_z
      - .offset:         66
        .size:           2
        .value_kind:     hidden_remainder_x
      - .offset:         68
        .size:           2
        .value_kind:     hidden_remainder_y
      - .offset:         70
        .size:           2
        .value_kind:     hidden_remainder_z
      - .offset:         88
        .size:           8
        .value_kind:     hidden_global_offset_x
      - .offset:         96
        .size:           8
        .value_kind:     hidden_global_offset_y
      - .offset:         104
        .size:           8
        .value_kind:     hidden_global_offset_z
      - .offset:         112
        .size:           2
        .value_kind:     hidden_grid_dims
    .group_segment_fixed_size: 0
    .kernarg_segment_align: 8
    .kernarg_segment_size: 304
    .language:       OpenCL C
    .language_version:
      - 2
      - 0
    .max_flat_workgroup_size: 1024
    .name:           _ZN12_GLOBAL__N_121softmax_warp_backwardIfffLi3ELb1ELb0ELi64EEEvPT0_PKT_S5_iiiPKb
    .private_segment_fixed_size: 0
    .sgpr_count:     14
    .sgpr_spill_count: 0
    .symbol:         _ZN12_GLOBAL__N_121softmax_warp_backwardIfffLi3ELb1ELb0ELi64EEEvPT0_PKT_S5_iiiPKb.kd
    .uniform_work_group_size: 1
    .uses_dynamic_stack: false
    .vgpr_count:     14
    .vgpr_spill_count: 0
    .wavefront_size: 32
    .workgroup_processor_mode: 1
  - .args:
      - .address_space:  global
        .offset:         0
        .size:           8
        .value_kind:     global_buffer
      - .address_space:  global
        .offset:         8
        .size:           8
        .value_kind:     global_buffer
      - .address_space:  global
        .offset:         16
        .size:           8
        .value_kind:     global_buffer
      - .offset:         24
        .size:           4
        .value_kind:     by_value
      - .offset:         28
        .size:           4
        .value_kind:     by_value
      - .offset:         32
        .size:           4
        .value_kind:     by_value
      - .address_space:  global
        .offset:         40
        .size:           8
        .value_kind:     global_buffer
      - .offset:         48
        .size:           4
        .value_kind:     hidden_block_count_x
      - .offset:         52
        .size:           4
        .value_kind:     hidden_block_count_y
      - .offset:         56
        .size:           4
        .value_kind:     hidden_block_count_z
      - .offset:         60
        .size:           2
        .value_kind:     hidden_group_size_x
      - .offset:         62
        .size:           2
        .value_kind:     hidden_group_size_y
      - .offset:         64
        .size:           2
        .value_kind:     hidden_group_size_z
      - .offset:         66
        .size:           2
        .value_kind:     hidden_remainder_x
      - .offset:         68
        .size:           2
        .value_kind:     hidden_remainder_y
      - .offset:         70
        .size:           2
        .value_kind:     hidden_remainder_z
      - .offset:         88
        .size:           8
        .value_kind:     hidden_global_offset_x
      - .offset:         96
        .size:           8
        .value_kind:     hidden_global_offset_y
      - .offset:         104
        .size:           8
        .value_kind:     hidden_global_offset_z
      - .offset:         112
        .size:           2
        .value_kind:     hidden_grid_dims
    .group_segment_fixed_size: 0
    .kernarg_segment_align: 8
    .kernarg_segment_size: 304
    .language:       OpenCL C
    .language_version:
      - 2
      - 0
    .max_flat_workgroup_size: 1024
    .name:           _ZN12_GLOBAL__N_121softmax_warp_backwardIfffLi3ELb1ELb0ELi32EEEvPT0_PKT_S5_iiiPKb
    .private_segment_fixed_size: 0
    .sgpr_count:     14
    .sgpr_spill_count: 0
    .symbol:         _ZN12_GLOBAL__N_121softmax_warp_backwardIfffLi3ELb1ELb0ELi32EEEvPT0_PKT_S5_iiiPKb.kd
    .uniform_work_group_size: 1
    .uses_dynamic_stack: false
    .vgpr_count:     14
    .vgpr_spill_count: 0
    .wavefront_size: 32
    .workgroup_processor_mode: 1
  - .args:
      - .address_space:  global
        .offset:         0
        .size:           8
        .value_kind:     global_buffer
      - .address_space:  global
        .offset:         8
        .size:           8
        .value_kind:     global_buffer
      - .address_space:  global
        .offset:         16
        .size:           8
        .value_kind:     global_buffer
      - .offset:         24
        .size:           4
        .value_kind:     by_value
      - .offset:         28
        .size:           4
        .value_kind:     by_value
      - .offset:         32
        .size:           4
        .value_kind:     by_value
      - .address_space:  global
        .offset:         40
        .size:           8
        .value_kind:     global_buffer
      - .offset:         48
        .size:           4
        .value_kind:     hidden_block_count_x
      - .offset:         52
        .size:           4
        .value_kind:     hidden_block_count_y
      - .offset:         56
        .size:           4
        .value_kind:     hidden_block_count_z
      - .offset:         60
        .size:           2
        .value_kind:     hidden_group_size_x
      - .offset:         62
        .size:           2
        .value_kind:     hidden_group_size_y
      - .offset:         64
        .size:           2
        .value_kind:     hidden_group_size_z
      - .offset:         66
        .size:           2
        .value_kind:     hidden_remainder_x
      - .offset:         68
        .size:           2
        .value_kind:     hidden_remainder_y
      - .offset:         70
        .size:           2
        .value_kind:     hidden_remainder_z
      - .offset:         88
        .size:           8
        .value_kind:     hidden_global_offset_x
      - .offset:         96
        .size:           8
        .value_kind:     hidden_global_offset_y
      - .offset:         104
        .size:           8
        .value_kind:     hidden_global_offset_z
      - .offset:         112
        .size:           2
        .value_kind:     hidden_grid_dims
    .group_segment_fixed_size: 0
    .kernarg_segment_align: 8
    .kernarg_segment_size: 304
    .language:       OpenCL C
    .language_version:
      - 2
      - 0
    .max_flat_workgroup_size: 1024
    .name:           _ZN12_GLOBAL__N_121softmax_warp_backwardIfffLi4ELb1ELb0ELi64EEEvPT0_PKT_S5_iiiPKb
    .private_segment_fixed_size: 0
    .sgpr_count:     14
    .sgpr_spill_count: 0
    .symbol:         _ZN12_GLOBAL__N_121softmax_warp_backwardIfffLi4ELb1ELb0ELi64EEEvPT0_PKT_S5_iiiPKb.kd
    .uniform_work_group_size: 1
    .uses_dynamic_stack: false
    .vgpr_count:     14
    .vgpr_spill_count: 0
    .wavefront_size: 32
    .workgroup_processor_mode: 1
  - .args:
      - .address_space:  global
        .offset:         0
        .size:           8
        .value_kind:     global_buffer
      - .address_space:  global
        .offset:         8
        .size:           8
        .value_kind:     global_buffer
      - .address_space:  global
        .offset:         16
        .size:           8
        .value_kind:     global_buffer
      - .offset:         24
        .size:           4
        .value_kind:     by_value
      - .offset:         28
        .size:           4
        .value_kind:     by_value
      - .offset:         32
        .size:           4
        .value_kind:     by_value
      - .address_space:  global
        .offset:         40
        .size:           8
        .value_kind:     global_buffer
      - .offset:         48
        .size:           4
        .value_kind:     hidden_block_count_x
      - .offset:         52
        .size:           4
        .value_kind:     hidden_block_count_y
      - .offset:         56
        .size:           4
        .value_kind:     hidden_block_count_z
      - .offset:         60
        .size:           2
        .value_kind:     hidden_group_size_x
      - .offset:         62
        .size:           2
        .value_kind:     hidden_group_size_y
      - .offset:         64
        .size:           2
        .value_kind:     hidden_group_size_z
      - .offset:         66
        .size:           2
        .value_kind:     hidden_remainder_x
      - .offset:         68
        .size:           2
        .value_kind:     hidden_remainder_y
      - .offset:         70
        .size:           2
        .value_kind:     hidden_remainder_z
      - .offset:         88
        .size:           8
        .value_kind:     hidden_global_offset_x
      - .offset:         96
        .size:           8
        .value_kind:     hidden_global_offset_y
      - .offset:         104
        .size:           8
        .value_kind:     hidden_global_offset_z
      - .offset:         112
        .size:           2
        .value_kind:     hidden_grid_dims
    .group_segment_fixed_size: 0
    .kernarg_segment_align: 8
    .kernarg_segment_size: 304
    .language:       OpenCL C
    .language_version:
      - 2
      - 0
    .max_flat_workgroup_size: 1024
    .name:           _ZN12_GLOBAL__N_121softmax_warp_backwardIfffLi4ELb1ELb0ELi32EEEvPT0_PKT_S5_iiiPKb
    .private_segment_fixed_size: 0
    .sgpr_count:     14
    .sgpr_spill_count: 0
    .symbol:         _ZN12_GLOBAL__N_121softmax_warp_backwardIfffLi4ELb1ELb0ELi32EEEvPT0_PKT_S5_iiiPKb.kd
    .uniform_work_group_size: 1
    .uses_dynamic_stack: false
    .vgpr_count:     14
    .vgpr_spill_count: 0
    .wavefront_size: 32
    .workgroup_processor_mode: 1
  - .args:
      - .address_space:  global
        .offset:         0
        .size:           8
        .value_kind:     global_buffer
      - .address_space:  global
        .offset:         8
        .size:           8
        .value_kind:     global_buffer
      - .address_space:  global
        .offset:         16
        .size:           8
        .value_kind:     global_buffer
      - .offset:         24
        .size:           4
        .value_kind:     by_value
      - .offset:         28
        .size:           4
        .value_kind:     by_value
      - .offset:         32
        .size:           4
        .value_kind:     by_value
      - .address_space:  global
        .offset:         40
        .size:           8
        .value_kind:     global_buffer
      - .offset:         48
        .size:           4
        .value_kind:     hidden_block_count_x
      - .offset:         52
        .size:           4
        .value_kind:     hidden_block_count_y
      - .offset:         56
        .size:           4
        .value_kind:     hidden_block_count_z
      - .offset:         60
        .size:           2
        .value_kind:     hidden_group_size_x
      - .offset:         62
        .size:           2
        .value_kind:     hidden_group_size_y
      - .offset:         64
        .size:           2
        .value_kind:     hidden_group_size_z
      - .offset:         66
        .size:           2
        .value_kind:     hidden_remainder_x
      - .offset:         68
        .size:           2
        .value_kind:     hidden_remainder_y
      - .offset:         70
        .size:           2
        .value_kind:     hidden_remainder_z
      - .offset:         88
        .size:           8
        .value_kind:     hidden_global_offset_x
      - .offset:         96
        .size:           8
        .value_kind:     hidden_global_offset_y
      - .offset:         104
        .size:           8
        .value_kind:     hidden_global_offset_z
      - .offset:         112
        .size:           2
        .value_kind:     hidden_grid_dims
    .group_segment_fixed_size: 0
    .kernarg_segment_align: 8
    .kernarg_segment_size: 304
    .language:       OpenCL C
    .language_version:
      - 2
      - 0
    .max_flat_workgroup_size: 1024
    .name:           _ZN12_GLOBAL__N_121softmax_warp_backwardIfffLi5ELb1ELb0ELi64EEEvPT0_PKT_S5_iiiPKb
    .private_segment_fixed_size: 0
    .sgpr_count:     14
    .sgpr_spill_count: 0
    .symbol:         _ZN12_GLOBAL__N_121softmax_warp_backwardIfffLi5ELb1ELb0ELi64EEEvPT0_PKT_S5_iiiPKb.kd
    .uniform_work_group_size: 1
    .uses_dynamic_stack: false
    .vgpr_count:     14
    .vgpr_spill_count: 0
    .wavefront_size: 32
    .workgroup_processor_mode: 1
  - .args:
      - .address_space:  global
        .offset:         0
        .size:           8
        .value_kind:     global_buffer
      - .address_space:  global
        .offset:         8
        .size:           8
        .value_kind:     global_buffer
      - .address_space:  global
        .offset:         16
        .size:           8
        .value_kind:     global_buffer
      - .offset:         24
        .size:           4
        .value_kind:     by_value
      - .offset:         28
        .size:           4
        .value_kind:     by_value
      - .offset:         32
        .size:           4
        .value_kind:     by_value
      - .address_space:  global
        .offset:         40
        .size:           8
        .value_kind:     global_buffer
      - .offset:         48
        .size:           4
        .value_kind:     hidden_block_count_x
      - .offset:         52
        .size:           4
        .value_kind:     hidden_block_count_y
      - .offset:         56
        .size:           4
        .value_kind:     hidden_block_count_z
      - .offset:         60
        .size:           2
        .value_kind:     hidden_group_size_x
      - .offset:         62
        .size:           2
        .value_kind:     hidden_group_size_y
      - .offset:         64
        .size:           2
        .value_kind:     hidden_group_size_z
      - .offset:         66
        .size:           2
        .value_kind:     hidden_remainder_x
      - .offset:         68
        .size:           2
        .value_kind:     hidden_remainder_y
      - .offset:         70
        .size:           2
        .value_kind:     hidden_remainder_z
      - .offset:         88
        .size:           8
        .value_kind:     hidden_global_offset_x
      - .offset:         96
        .size:           8
        .value_kind:     hidden_global_offset_y
      - .offset:         104
        .size:           8
        .value_kind:     hidden_global_offset_z
      - .offset:         112
        .size:           2
        .value_kind:     hidden_grid_dims
    .group_segment_fixed_size: 0
    .kernarg_segment_align: 8
    .kernarg_segment_size: 304
    .language:       OpenCL C
    .language_version:
      - 2
      - 0
    .max_flat_workgroup_size: 1024
    .name:           _ZN12_GLOBAL__N_121softmax_warp_backwardIfffLi5ELb1ELb0ELi32EEEvPT0_PKT_S5_iiiPKb
    .private_segment_fixed_size: 0
    .sgpr_count:     14
    .sgpr_spill_count: 0
    .symbol:         _ZN12_GLOBAL__N_121softmax_warp_backwardIfffLi5ELb1ELb0ELi32EEEvPT0_PKT_S5_iiiPKb.kd
    .uniform_work_group_size: 1
    .uses_dynamic_stack: false
    .vgpr_count:     14
    .vgpr_spill_count: 0
    .wavefront_size: 32
    .workgroup_processor_mode: 1
  - .args:
      - .address_space:  global
        .offset:         0
        .size:           8
        .value_kind:     global_buffer
      - .address_space:  global
        .offset:         8
        .size:           8
        .value_kind:     global_buffer
      - .address_space:  global
        .offset:         16
        .size:           8
        .value_kind:     global_buffer
      - .offset:         24
        .size:           4
        .value_kind:     by_value
      - .offset:         28
        .size:           4
        .value_kind:     by_value
      - .offset:         32
        .size:           4
        .value_kind:     by_value
      - .address_space:  global
        .offset:         40
        .size:           8
        .value_kind:     global_buffer
      - .offset:         48
        .size:           4
        .value_kind:     hidden_block_count_x
      - .offset:         52
        .size:           4
        .value_kind:     hidden_block_count_y
      - .offset:         56
        .size:           4
        .value_kind:     hidden_block_count_z
      - .offset:         60
        .size:           2
        .value_kind:     hidden_group_size_x
      - .offset:         62
        .size:           2
        .value_kind:     hidden_group_size_y
      - .offset:         64
        .size:           2
        .value_kind:     hidden_group_size_z
      - .offset:         66
        .size:           2
        .value_kind:     hidden_remainder_x
      - .offset:         68
        .size:           2
        .value_kind:     hidden_remainder_y
      - .offset:         70
        .size:           2
        .value_kind:     hidden_remainder_z
      - .offset:         88
        .size:           8
        .value_kind:     hidden_global_offset_x
      - .offset:         96
        .size:           8
        .value_kind:     hidden_global_offset_y
      - .offset:         104
        .size:           8
        .value_kind:     hidden_global_offset_z
      - .offset:         112
        .size:           2
        .value_kind:     hidden_grid_dims
    .group_segment_fixed_size: 0
    .kernarg_segment_align: 8
    .kernarg_segment_size: 304
    .language:       OpenCL C
    .language_version:
      - 2
      - 0
    .max_flat_workgroup_size: 1024
    .name:           _ZN12_GLOBAL__N_121softmax_warp_backwardIfffLi6ELb1ELb0ELi64EEEvPT0_PKT_S5_iiiPKb
    .private_segment_fixed_size: 0
    .sgpr_count:     14
    .sgpr_spill_count: 0
    .symbol:         _ZN12_GLOBAL__N_121softmax_warp_backwardIfffLi6ELb1ELb0ELi64EEEvPT0_PKT_S5_iiiPKb.kd
    .uniform_work_group_size: 1
    .uses_dynamic_stack: false
    .vgpr_count:     14
    .vgpr_spill_count: 0
    .wavefront_size: 32
    .workgroup_processor_mode: 1
  - .args:
      - .address_space:  global
        .offset:         0
        .size:           8
        .value_kind:     global_buffer
      - .address_space:  global
        .offset:         8
        .size:           8
        .value_kind:     global_buffer
      - .address_space:  global
        .offset:         16
        .size:           8
        .value_kind:     global_buffer
      - .offset:         24
        .size:           4
        .value_kind:     by_value
      - .offset:         28
        .size:           4
        .value_kind:     by_value
      - .offset:         32
        .size:           4
        .value_kind:     by_value
      - .address_space:  global
        .offset:         40
        .size:           8
        .value_kind:     global_buffer
      - .offset:         48
        .size:           4
        .value_kind:     hidden_block_count_x
      - .offset:         52
        .size:           4
        .value_kind:     hidden_block_count_y
      - .offset:         56
        .size:           4
        .value_kind:     hidden_block_count_z
      - .offset:         60
        .size:           2
        .value_kind:     hidden_group_size_x
      - .offset:         62
        .size:           2
        .value_kind:     hidden_group_size_y
      - .offset:         64
        .size:           2
        .value_kind:     hidden_group_size_z
      - .offset:         66
        .size:           2
        .value_kind:     hidden_remainder_x
      - .offset:         68
        .size:           2
        .value_kind:     hidden_remainder_y
      - .offset:         70
        .size:           2
        .value_kind:     hidden_remainder_z
      - .offset:         88
        .size:           8
        .value_kind:     hidden_global_offset_x
      - .offset:         96
        .size:           8
        .value_kind:     hidden_global_offset_y
      - .offset:         104
        .size:           8
        .value_kind:     hidden_global_offset_z
      - .offset:         112
        .size:           2
        .value_kind:     hidden_grid_dims
    .group_segment_fixed_size: 0
    .kernarg_segment_align: 8
    .kernarg_segment_size: 304
    .language:       OpenCL C
    .language_version:
      - 2
      - 0
    .max_flat_workgroup_size: 1024
    .name:           _ZN12_GLOBAL__N_121softmax_warp_backwardIfffLi6ELb1ELb0ELi32EEEvPT0_PKT_S5_iiiPKb
    .private_segment_fixed_size: 0
    .sgpr_count:     18
    .sgpr_spill_count: 0
    .symbol:         _ZN12_GLOBAL__N_121softmax_warp_backwardIfffLi6ELb1ELb0ELi32EEEvPT0_PKT_S5_iiiPKb.kd
    .uniform_work_group_size: 1
    .uses_dynamic_stack: false
    .vgpr_count:     18
    .vgpr_spill_count: 0
    .wavefront_size: 32
    .workgroup_processor_mode: 1
  - .args:
      - .address_space:  global
        .offset:         0
        .size:           8
        .value_kind:     global_buffer
      - .address_space:  global
        .offset:         8
        .size:           8
        .value_kind:     global_buffer
      - .address_space:  global
        .offset:         16
        .size:           8
        .value_kind:     global_buffer
      - .offset:         24
        .size:           4
        .value_kind:     by_value
      - .offset:         28
        .size:           4
        .value_kind:     by_value
      - .offset:         32
        .size:           4
        .value_kind:     by_value
      - .address_space:  global
        .offset:         40
        .size:           8
        .value_kind:     global_buffer
      - .offset:         48
        .size:           4
        .value_kind:     hidden_block_count_x
      - .offset:         52
        .size:           4
        .value_kind:     hidden_block_count_y
      - .offset:         56
        .size:           4
        .value_kind:     hidden_block_count_z
      - .offset:         60
        .size:           2
        .value_kind:     hidden_group_size_x
      - .offset:         62
        .size:           2
        .value_kind:     hidden_group_size_y
      - .offset:         64
        .size:           2
        .value_kind:     hidden_group_size_z
      - .offset:         66
        .size:           2
        .value_kind:     hidden_remainder_x
      - .offset:         68
        .size:           2
        .value_kind:     hidden_remainder_y
      - .offset:         70
        .size:           2
        .value_kind:     hidden_remainder_z
      - .offset:         88
        .size:           8
        .value_kind:     hidden_global_offset_x
      - .offset:         96
        .size:           8
        .value_kind:     hidden_global_offset_y
      - .offset:         104
        .size:           8
        .value_kind:     hidden_global_offset_z
      - .offset:         112
        .size:           2
        .value_kind:     hidden_grid_dims
    .group_segment_fixed_size: 0
    .kernarg_segment_align: 8
    .kernarg_segment_size: 304
    .language:       OpenCL C
    .language_version:
      - 2
      - 0
    .max_flat_workgroup_size: 1024
    .name:           _ZN12_GLOBAL__N_121softmax_warp_backwardIfffLi7ELb1ELb0ELi64EEEvPT0_PKT_S5_iiiPKb
    .private_segment_fixed_size: 0
    .sgpr_count:     18
    .sgpr_spill_count: 0
    .symbol:         _ZN12_GLOBAL__N_121softmax_warp_backwardIfffLi7ELb1ELb0ELi64EEEvPT0_PKT_S5_iiiPKb.kd
    .uniform_work_group_size: 1
    .uses_dynamic_stack: false
    .vgpr_count:     18
    .vgpr_spill_count: 0
    .wavefront_size: 32
    .workgroup_processor_mode: 1
  - .args:
      - .address_space:  global
        .offset:         0
        .size:           8
        .value_kind:     global_buffer
      - .address_space:  global
        .offset:         8
        .size:           8
        .value_kind:     global_buffer
      - .address_space:  global
        .offset:         16
        .size:           8
        .value_kind:     global_buffer
      - .offset:         24
        .size:           4
        .value_kind:     by_value
      - .offset:         28
        .size:           4
        .value_kind:     by_value
      - .offset:         32
        .size:           4
        .value_kind:     by_value
      - .address_space:  global
        .offset:         40
        .size:           8
        .value_kind:     global_buffer
      - .offset:         48
        .size:           4
        .value_kind:     hidden_block_count_x
      - .offset:         52
        .size:           4
        .value_kind:     hidden_block_count_y
      - .offset:         56
        .size:           4
        .value_kind:     hidden_block_count_z
      - .offset:         60
        .size:           2
        .value_kind:     hidden_group_size_x
      - .offset:         62
        .size:           2
        .value_kind:     hidden_group_size_y
      - .offset:         64
        .size:           2
        .value_kind:     hidden_group_size_z
      - .offset:         66
        .size:           2
        .value_kind:     hidden_remainder_x
      - .offset:         68
        .size:           2
        .value_kind:     hidden_remainder_y
      - .offset:         70
        .size:           2
        .value_kind:     hidden_remainder_z
      - .offset:         88
        .size:           8
        .value_kind:     hidden_global_offset_x
      - .offset:         96
        .size:           8
        .value_kind:     hidden_global_offset_y
      - .offset:         104
        .size:           8
        .value_kind:     hidden_global_offset_z
      - .offset:         112
        .size:           2
        .value_kind:     hidden_grid_dims
    .group_segment_fixed_size: 0
    .kernarg_segment_align: 8
    .kernarg_segment_size: 304
    .language:       OpenCL C
    .language_version:
      - 2
      - 0
    .max_flat_workgroup_size: 1024
    .name:           _ZN12_GLOBAL__N_121softmax_warp_backwardIfffLi7ELb1ELb0ELi32EEEvPT0_PKT_S5_iiiPKb
    .private_segment_fixed_size: 0
    .sgpr_count:     18
    .sgpr_spill_count: 0
    .symbol:         _ZN12_GLOBAL__N_121softmax_warp_backwardIfffLi7ELb1ELb0ELi32EEEvPT0_PKT_S5_iiiPKb.kd
    .uniform_work_group_size: 1
    .uses_dynamic_stack: false
    .vgpr_count:     26
    .vgpr_spill_count: 0
    .wavefront_size: 32
    .workgroup_processor_mode: 1
  - .args:
      - .address_space:  global
        .offset:         0
        .size:           8
        .value_kind:     global_buffer
      - .address_space:  global
        .offset:         8
        .size:           8
        .value_kind:     global_buffer
      - .address_space:  global
        .offset:         16
        .size:           8
        .value_kind:     global_buffer
      - .offset:         24
        .size:           4
        .value_kind:     by_value
      - .offset:         28
        .size:           4
        .value_kind:     by_value
      - .offset:         32
        .size:           4
        .value_kind:     by_value
      - .address_space:  global
        .offset:         40
        .size:           8
        .value_kind:     global_buffer
      - .offset:         48
        .size:           4
        .value_kind:     hidden_block_count_x
      - .offset:         52
        .size:           4
        .value_kind:     hidden_block_count_y
      - .offset:         56
        .size:           4
        .value_kind:     hidden_block_count_z
      - .offset:         60
        .size:           2
        .value_kind:     hidden_group_size_x
      - .offset:         62
        .size:           2
        .value_kind:     hidden_group_size_y
      - .offset:         64
        .size:           2
        .value_kind:     hidden_group_size_z
      - .offset:         66
        .size:           2
        .value_kind:     hidden_remainder_x
      - .offset:         68
        .size:           2
        .value_kind:     hidden_remainder_y
      - .offset:         70
        .size:           2
        .value_kind:     hidden_remainder_z
      - .offset:         88
        .size:           8
        .value_kind:     hidden_global_offset_x
      - .offset:         96
        .size:           8
        .value_kind:     hidden_global_offset_y
      - .offset:         104
        .size:           8
        .value_kind:     hidden_global_offset_z
      - .offset:         112
        .size:           2
        .value_kind:     hidden_grid_dims
    .group_segment_fixed_size: 0
    .kernarg_segment_align: 8
    .kernarg_segment_size: 304
    .language:       OpenCL C
    .language_version:
      - 2
      - 0
    .max_flat_workgroup_size: 1024
    .name:           _ZN12_GLOBAL__N_121softmax_warp_backwardIfffLi8ELb1ELb0ELi64EEEvPT0_PKT_S5_iiiPKb
    .private_segment_fixed_size: 0
    .sgpr_count:     18
    .sgpr_spill_count: 0
    .symbol:         _ZN12_GLOBAL__N_121softmax_warp_backwardIfffLi8ELb1ELb0ELi64EEEvPT0_PKT_S5_iiiPKb.kd
    .uniform_work_group_size: 1
    .uses_dynamic_stack: false
    .vgpr_count:     18
    .vgpr_spill_count: 0
    .wavefront_size: 32
    .workgroup_processor_mode: 1
  - .args:
      - .address_space:  global
        .offset:         0
        .size:           8
        .value_kind:     global_buffer
      - .address_space:  global
        .offset:         8
        .size:           8
        .value_kind:     global_buffer
      - .address_space:  global
        .offset:         16
        .size:           8
        .value_kind:     global_buffer
      - .offset:         24
        .size:           4
        .value_kind:     by_value
      - .offset:         28
        .size:           4
        .value_kind:     by_value
      - .offset:         32
        .size:           4
        .value_kind:     by_value
      - .address_space:  global
        .offset:         40
        .size:           8
        .value_kind:     global_buffer
      - .offset:         48
        .size:           4
        .value_kind:     hidden_block_count_x
      - .offset:         52
        .size:           4
        .value_kind:     hidden_block_count_y
      - .offset:         56
        .size:           4
        .value_kind:     hidden_block_count_z
      - .offset:         60
        .size:           2
        .value_kind:     hidden_group_size_x
      - .offset:         62
        .size:           2
        .value_kind:     hidden_group_size_y
      - .offset:         64
        .size:           2
        .value_kind:     hidden_group_size_z
      - .offset:         66
        .size:           2
        .value_kind:     hidden_remainder_x
      - .offset:         68
        .size:           2
        .value_kind:     hidden_remainder_y
      - .offset:         70
        .size:           2
        .value_kind:     hidden_remainder_z
      - .offset:         88
        .size:           8
        .value_kind:     hidden_global_offset_x
      - .offset:         96
        .size:           8
        .value_kind:     hidden_global_offset_y
      - .offset:         104
        .size:           8
        .value_kind:     hidden_global_offset_z
      - .offset:         112
        .size:           2
        .value_kind:     hidden_grid_dims
    .group_segment_fixed_size: 0
    .kernarg_segment_align: 8
    .kernarg_segment_size: 304
    .language:       OpenCL C
    .language_version:
      - 2
      - 0
    .max_flat_workgroup_size: 1024
    .name:           _ZN12_GLOBAL__N_121softmax_warp_backwardIfffLi8ELb1ELb0ELi32EEEvPT0_PKT_S5_iiiPKb
    .private_segment_fixed_size: 0
    .sgpr_count:     18
    .sgpr_spill_count: 0
    .symbol:         _ZN12_GLOBAL__N_121softmax_warp_backwardIfffLi8ELb1ELb0ELi32EEEvPT0_PKT_S5_iiiPKb.kd
    .uniform_work_group_size: 1
    .uses_dynamic_stack: false
    .vgpr_count:     26
    .vgpr_spill_count: 0
    .wavefront_size: 32
    .workgroup_processor_mode: 1
  - .args:
      - .address_space:  global
        .offset:         0
        .size:           8
        .value_kind:     global_buffer
      - .address_space:  global
        .offset:         8
        .size:           8
        .value_kind:     global_buffer
      - .address_space:  global
        .offset:         16
        .size:           8
        .value_kind:     global_buffer
      - .offset:         24
        .size:           4
        .value_kind:     by_value
      - .offset:         28
        .size:           4
        .value_kind:     by_value
      - .offset:         32
        .size:           4
        .value_kind:     by_value
      - .address_space:  global
        .offset:         40
        .size:           8
        .value_kind:     global_buffer
      - .offset:         48
        .size:           4
        .value_kind:     hidden_block_count_x
      - .offset:         52
        .size:           4
        .value_kind:     hidden_block_count_y
      - .offset:         56
        .size:           4
        .value_kind:     hidden_block_count_z
      - .offset:         60
        .size:           2
        .value_kind:     hidden_group_size_x
      - .offset:         62
        .size:           2
        .value_kind:     hidden_group_size_y
      - .offset:         64
        .size:           2
        .value_kind:     hidden_group_size_z
      - .offset:         66
        .size:           2
        .value_kind:     hidden_remainder_x
      - .offset:         68
        .size:           2
        .value_kind:     hidden_remainder_y
      - .offset:         70
        .size:           2
        .value_kind:     hidden_remainder_z
      - .offset:         88
        .size:           8
        .value_kind:     hidden_global_offset_x
      - .offset:         96
        .size:           8
        .value_kind:     hidden_global_offset_y
      - .offset:         104
        .size:           8
        .value_kind:     hidden_global_offset_z
      - .offset:         112
        .size:           2
        .value_kind:     hidden_grid_dims
    .group_segment_fixed_size: 0
    .kernarg_segment_align: 8
    .kernarg_segment_size: 304
    .language:       OpenCL C
    .language_version:
      - 2
      - 0
    .max_flat_workgroup_size: 1024
    .name:           _ZN12_GLOBAL__N_121softmax_warp_backwardIfffLi9ELb1ELb0ELi64EEEvPT0_PKT_S5_iiiPKb
    .private_segment_fixed_size: 0
    .sgpr_count:     18
    .sgpr_spill_count: 0
    .symbol:         _ZN12_GLOBAL__N_121softmax_warp_backwardIfffLi9ELb1ELb0ELi64EEEvPT0_PKT_S5_iiiPKb.kd
    .uniform_work_group_size: 1
    .uses_dynamic_stack: false
    .vgpr_count:     26
    .vgpr_spill_count: 0
    .wavefront_size: 32
    .workgroup_processor_mode: 1
  - .args:
      - .address_space:  global
        .offset:         0
        .size:           8
        .value_kind:     global_buffer
      - .address_space:  global
        .offset:         8
        .size:           8
        .value_kind:     global_buffer
      - .address_space:  global
        .offset:         16
        .size:           8
        .value_kind:     global_buffer
      - .offset:         24
        .size:           4
        .value_kind:     by_value
      - .offset:         28
        .size:           4
        .value_kind:     by_value
      - .offset:         32
        .size:           4
        .value_kind:     by_value
      - .address_space:  global
        .offset:         40
        .size:           8
        .value_kind:     global_buffer
      - .offset:         48
        .size:           4
        .value_kind:     hidden_block_count_x
      - .offset:         52
        .size:           4
        .value_kind:     hidden_block_count_y
      - .offset:         56
        .size:           4
        .value_kind:     hidden_block_count_z
      - .offset:         60
        .size:           2
        .value_kind:     hidden_group_size_x
      - .offset:         62
        .size:           2
        .value_kind:     hidden_group_size_y
      - .offset:         64
        .size:           2
        .value_kind:     hidden_group_size_z
      - .offset:         66
        .size:           2
        .value_kind:     hidden_remainder_x
      - .offset:         68
        .size:           2
        .value_kind:     hidden_remainder_y
      - .offset:         70
        .size:           2
        .value_kind:     hidden_remainder_z
      - .offset:         88
        .size:           8
        .value_kind:     hidden_global_offset_x
      - .offset:         96
        .size:           8
        .value_kind:     hidden_global_offset_y
      - .offset:         104
        .size:           8
        .value_kind:     hidden_global_offset_z
      - .offset:         112
        .size:           2
        .value_kind:     hidden_grid_dims
    .group_segment_fixed_size: 0
    .kernarg_segment_align: 8
    .kernarg_segment_size: 304
    .language:       OpenCL C
    .language_version:
      - 2
      - 0
    .max_flat_workgroup_size: 1024
    .name:           _ZN12_GLOBAL__N_121softmax_warp_backwardIfffLi9ELb1ELb0ELi32EEEvPT0_PKT_S5_iiiPKb
    .private_segment_fixed_size: 0
    .sgpr_count:     26
    .sgpr_spill_count: 0
    .symbol:         _ZN12_GLOBAL__N_121softmax_warp_backwardIfffLi9ELb1ELb0ELi32EEEvPT0_PKT_S5_iiiPKb.kd
    .uniform_work_group_size: 1
    .uses_dynamic_stack: false
    .vgpr_count:     42
    .vgpr_spill_count: 0
    .wavefront_size: 32
    .workgroup_processor_mode: 1
  - .args:
      - .address_space:  global
        .offset:         0
        .size:           8
        .value_kind:     global_buffer
      - .address_space:  global
        .offset:         8
        .size:           8
        .value_kind:     global_buffer
      - .address_space:  global
        .offset:         16
        .size:           8
        .value_kind:     global_buffer
      - .offset:         24
        .size:           4
        .value_kind:     by_value
      - .offset:         28
        .size:           4
        .value_kind:     by_value
      - .offset:         32
        .size:           4
        .value_kind:     by_value
      - .address_space:  global
        .offset:         40
        .size:           8
        .value_kind:     global_buffer
      - .offset:         48
        .size:           4
        .value_kind:     hidden_block_count_x
      - .offset:         52
        .size:           4
        .value_kind:     hidden_block_count_y
      - .offset:         56
        .size:           4
        .value_kind:     hidden_block_count_z
      - .offset:         60
        .size:           2
        .value_kind:     hidden_group_size_x
      - .offset:         62
        .size:           2
        .value_kind:     hidden_group_size_y
      - .offset:         64
        .size:           2
        .value_kind:     hidden_group_size_z
      - .offset:         66
        .size:           2
        .value_kind:     hidden_remainder_x
      - .offset:         68
        .size:           2
        .value_kind:     hidden_remainder_y
      - .offset:         70
        .size:           2
        .value_kind:     hidden_remainder_z
      - .offset:         88
        .size:           8
        .value_kind:     hidden_global_offset_x
      - .offset:         96
        .size:           8
        .value_kind:     hidden_global_offset_y
      - .offset:         104
        .size:           8
        .value_kind:     hidden_global_offset_z
      - .offset:         112
        .size:           2
        .value_kind:     hidden_grid_dims
    .group_segment_fixed_size: 0
    .kernarg_segment_align: 8
    .kernarg_segment_size: 304
    .language:       OpenCL C
    .language_version:
      - 2
      - 0
    .max_flat_workgroup_size: 1024
    .name:           _ZN12_GLOBAL__N_121softmax_warp_backwardIfffLi10ELb1ELb0ELi64EEEvPT0_PKT_S5_iiiPKb
    .private_segment_fixed_size: 0
    .sgpr_count:     26
    .sgpr_spill_count: 0
    .symbol:         _ZN12_GLOBAL__N_121softmax_warp_backwardIfffLi10ELb1ELb0ELi64EEEvPT0_PKT_S5_iiiPKb.kd
    .uniform_work_group_size: 1
    .uses_dynamic_stack: false
    .vgpr_count:     42
    .vgpr_spill_count: 0
    .wavefront_size: 32
    .workgroup_processor_mode: 1
  - .args:
      - .address_space:  global
        .offset:         0
        .size:           8
        .value_kind:     global_buffer
      - .address_space:  global
        .offset:         8
        .size:           8
        .value_kind:     global_buffer
      - .address_space:  global
        .offset:         16
        .size:           8
        .value_kind:     global_buffer
      - .offset:         24
        .size:           4
        .value_kind:     by_value
      - .offset:         28
        .size:           4
        .value_kind:     by_value
      - .offset:         32
        .size:           4
        .value_kind:     by_value
      - .address_space:  global
        .offset:         40
        .size:           8
        .value_kind:     global_buffer
      - .offset:         48
        .size:           4
        .value_kind:     hidden_block_count_x
      - .offset:         52
        .size:           4
        .value_kind:     hidden_block_count_y
      - .offset:         56
        .size:           4
        .value_kind:     hidden_block_count_z
      - .offset:         60
        .size:           2
        .value_kind:     hidden_group_size_x
      - .offset:         62
        .size:           2
        .value_kind:     hidden_group_size_y
      - .offset:         64
        .size:           2
        .value_kind:     hidden_group_size_z
      - .offset:         66
        .size:           2
        .value_kind:     hidden_remainder_x
      - .offset:         68
        .size:           2
        .value_kind:     hidden_remainder_y
      - .offset:         70
        .size:           2
        .value_kind:     hidden_remainder_z
      - .offset:         88
        .size:           8
        .value_kind:     hidden_global_offset_x
      - .offset:         96
        .size:           8
        .value_kind:     hidden_global_offset_y
      - .offset:         104
        .size:           8
        .value_kind:     hidden_global_offset_z
      - .offset:         112
        .size:           2
        .value_kind:     hidden_grid_dims
    .group_segment_fixed_size: 0
    .kernarg_segment_align: 8
    .kernarg_segment_size: 304
    .language:       OpenCL C
    .language_version:
      - 2
      - 0
    .max_flat_workgroup_size: 1024
    .name:           _ZN12_GLOBAL__N_121softmax_warp_backwardIfffLi10ELb1ELb0ELi32EEEvPT0_PKT_S5_iiiPKb
    .private_segment_fixed_size: 0
    .sgpr_count:     46
    .sgpr_spill_count: 0
    .symbol:         _ZN12_GLOBAL__N_121softmax_warp_backwardIfffLi10ELb1ELb0ELi32EEEvPT0_PKT_S5_iiiPKb.kd
    .uniform_work_group_size: 1
    .uses_dynamic_stack: false
    .vgpr_count:     74
    .vgpr_spill_count: 0
    .wavefront_size: 32
    .workgroup_processor_mode: 1
  - .args:
      - .address_space:  global
        .offset:         0
        .size:           8
        .value_kind:     global_buffer
      - .address_space:  global
        .offset:         8
        .size:           8
        .value_kind:     global_buffer
      - .address_space:  global
        .offset:         16
        .size:           8
        .value_kind:     global_buffer
      - .offset:         24
        .size:           8
        .value_kind:     by_value
      - .offset:         32
        .size:           4
        .value_kind:     hidden_block_count_x
      - .offset:         36
        .size:           4
        .value_kind:     hidden_block_count_y
      - .offset:         40
        .size:           4
        .value_kind:     hidden_block_count_z
      - .offset:         44
        .size:           2
        .value_kind:     hidden_group_size_x
      - .offset:         46
        .size:           2
        .value_kind:     hidden_group_size_y
      - .offset:         48
        .size:           2
        .value_kind:     hidden_group_size_z
      - .offset:         50
        .size:           2
        .value_kind:     hidden_remainder_x
      - .offset:         52
        .size:           2
        .value_kind:     hidden_remainder_y
      - .offset:         54
        .size:           2
        .value_kind:     hidden_remainder_z
      - .offset:         72
        .size:           8
        .value_kind:     hidden_global_offset_x
      - .offset:         80
        .size:           8
        .value_kind:     hidden_global_offset_y
      - .offset:         88
        .size:           8
        .value_kind:     hidden_global_offset_z
      - .offset:         96
        .size:           2
        .value_kind:     hidden_grid_dims
      - .offset:         152
        .size:           4
        .value_kind:     hidden_dynamic_lds_size
    .group_segment_fixed_size: 0
    .kernarg_segment_align: 8
    .kernarg_segment_size: 288
    .language:       OpenCL C
    .language_version:
      - 2
      - 0
    .max_flat_workgroup_size: 1024
    .name:           _ZN2at6native12_GLOBAL__N_124cunn_SoftMaxBackwardSmemILi4EfffNS1_26LogSoftMaxBackwardEpilogueEEEvPT0_PKT2_S8_l
    .private_segment_fixed_size: 0
    .sgpr_count:     20
    .sgpr_spill_count: 0
    .symbol:         _ZN2at6native12_GLOBAL__N_124cunn_SoftMaxBackwardSmemILi4EfffNS1_26LogSoftMaxBackwardEpilogueEEEvPT0_PKT2_S8_l.kd
    .uniform_work_group_size: 1
    .uses_dynamic_stack: false
    .vgpr_count:     26
    .vgpr_spill_count: 0
    .wavefront_size: 32
    .workgroup_processor_mode: 1
  - .args:
      - .address_space:  global
        .offset:         0
        .size:           8
        .value_kind:     global_buffer
      - .address_space:  global
        .offset:         8
        .size:           8
        .value_kind:     global_buffer
      - .address_space:  global
        .offset:         16
        .size:           8
        .value_kind:     global_buffer
      - .offset:         24
        .size:           8
        .value_kind:     by_value
      - .offset:         32
        .size:           4
        .value_kind:     hidden_block_count_x
      - .offset:         36
        .size:           4
        .value_kind:     hidden_block_count_y
      - .offset:         40
        .size:           4
        .value_kind:     hidden_block_count_z
      - .offset:         44
        .size:           2
        .value_kind:     hidden_group_size_x
      - .offset:         46
        .size:           2
        .value_kind:     hidden_group_size_y
      - .offset:         48
        .size:           2
        .value_kind:     hidden_group_size_z
      - .offset:         50
        .size:           2
        .value_kind:     hidden_remainder_x
      - .offset:         52
        .size:           2
        .value_kind:     hidden_remainder_y
      - .offset:         54
        .size:           2
        .value_kind:     hidden_remainder_z
      - .offset:         72
        .size:           8
        .value_kind:     hidden_global_offset_x
      - .offset:         80
        .size:           8
        .value_kind:     hidden_global_offset_y
      - .offset:         88
        .size:           8
        .value_kind:     hidden_global_offset_z
      - .offset:         96
        .size:           2
        .value_kind:     hidden_grid_dims
      - .offset:         152
        .size:           4
        .value_kind:     hidden_dynamic_lds_size
    .group_segment_fixed_size: 0
    .kernarg_segment_align: 8
    .kernarg_segment_size: 288
    .language:       OpenCL C
    .language_version:
      - 2
      - 0
    .max_flat_workgroup_size: 1024
    .name:           _ZN2at6native12_GLOBAL__N_120cunn_SoftMaxBackwardILi4EfffNS1_26LogSoftMaxBackwardEpilogueEEEvPT0_PKT2_S8_l
    .private_segment_fixed_size: 0
    .sgpr_count:     64
    .sgpr_spill_count: 0
    .symbol:         _ZN2at6native12_GLOBAL__N_120cunn_SoftMaxBackwardILi4EfffNS1_26LogSoftMaxBackwardEpilogueEEEvPT0_PKT2_S8_l.kd
    .uniform_work_group_size: 1
    .uses_dynamic_stack: false
    .vgpr_count:     34
    .vgpr_spill_count: 0
    .wavefront_size: 32
    .workgroup_processor_mode: 1
  - .args:
      - .address_space:  global
        .offset:         0
        .size:           8
        .value_kind:     global_buffer
      - .address_space:  global
        .offset:         8
        .size:           8
        .value_kind:     global_buffer
      - .address_space:  global
        .offset:         16
        .size:           8
        .value_kind:     global_buffer
      - .offset:         24
        .size:           4
        .value_kind:     by_value
      - .offset:         28
        .size:           4
        .value_kind:     by_value
      - .offset:         32
        .size:           4
        .value_kind:     by_value
      - .address_space:  global
        .offset:         40
        .size:           8
        .value_kind:     global_buffer
      - .offset:         48
        .size:           4
        .value_kind:     hidden_block_count_x
      - .offset:         52
        .size:           4
        .value_kind:     hidden_block_count_y
      - .offset:         56
        .size:           4
        .value_kind:     hidden_block_count_z
      - .offset:         60
        .size:           2
        .value_kind:     hidden_group_size_x
      - .offset:         62
        .size:           2
        .value_kind:     hidden_group_size_y
      - .offset:         64
        .size:           2
        .value_kind:     hidden_group_size_z
      - .offset:         66
        .size:           2
        .value_kind:     hidden_remainder_x
      - .offset:         68
        .size:           2
        .value_kind:     hidden_remainder_y
      - .offset:         70
        .size:           2
        .value_kind:     hidden_remainder_z
      - .offset:         88
        .size:           8
        .value_kind:     hidden_global_offset_x
      - .offset:         96
        .size:           8
        .value_kind:     hidden_global_offset_y
      - .offset:         104
        .size:           8
        .value_kind:     hidden_global_offset_z
      - .offset:         112
        .size:           2
        .value_kind:     hidden_grid_dims
    .group_segment_fixed_size: 0
    .kernarg_segment_align: 8
    .kernarg_segment_size: 304
    .language:       OpenCL C
    .language_version:
      - 2
      - 0
    .max_flat_workgroup_size: 1024
    .name:           _ZN12_GLOBAL__N_121softmax_warp_backwardIN3c104HalfES2_fLi0ELb1ELb0ELi64EEEvPT0_PKT_S7_iiiPKb
    .private_segment_fixed_size: 0
    .sgpr_count:     14
    .sgpr_spill_count: 0
    .symbol:         _ZN12_GLOBAL__N_121softmax_warp_backwardIN3c104HalfES2_fLi0ELb1ELb0ELi64EEEvPT0_PKT_S7_iiiPKb.kd
    .uniform_work_group_size: 1
    .uses_dynamic_stack: false
    .vgpr_count:     11
    .vgpr_spill_count: 0
    .wavefront_size: 32
    .workgroup_processor_mode: 1
  - .args:
      - .address_space:  global
        .offset:         0
        .size:           8
        .value_kind:     global_buffer
      - .address_space:  global
        .offset:         8
        .size:           8
        .value_kind:     global_buffer
      - .address_space:  global
        .offset:         16
        .size:           8
        .value_kind:     global_buffer
      - .offset:         24
        .size:           4
        .value_kind:     by_value
      - .offset:         28
        .size:           4
        .value_kind:     by_value
      - .offset:         32
        .size:           4
        .value_kind:     by_value
      - .address_space:  global
        .offset:         40
        .size:           8
        .value_kind:     global_buffer
      - .offset:         48
        .size:           4
        .value_kind:     hidden_block_count_x
      - .offset:         52
        .size:           4
        .value_kind:     hidden_block_count_y
      - .offset:         56
        .size:           4
        .value_kind:     hidden_block_count_z
      - .offset:         60
        .size:           2
        .value_kind:     hidden_group_size_x
      - .offset:         62
        .size:           2
        .value_kind:     hidden_group_size_y
      - .offset:         64
        .size:           2
        .value_kind:     hidden_group_size_z
      - .offset:         66
        .size:           2
        .value_kind:     hidden_remainder_x
      - .offset:         68
        .size:           2
        .value_kind:     hidden_remainder_y
      - .offset:         70
        .size:           2
        .value_kind:     hidden_remainder_z
      - .offset:         88
        .size:           8
        .value_kind:     hidden_global_offset_x
      - .offset:         96
        .size:           8
        .value_kind:     hidden_global_offset_y
      - .offset:         104
        .size:           8
        .value_kind:     hidden_global_offset_z
      - .offset:         112
        .size:           2
        .value_kind:     hidden_grid_dims
    .group_segment_fixed_size: 0
    .kernarg_segment_align: 8
    .kernarg_segment_size: 304
    .language:       OpenCL C
    .language_version:
      - 2
      - 0
    .max_flat_workgroup_size: 1024
    .name:           _ZN12_GLOBAL__N_121softmax_warp_backwardIN3c104HalfES2_fLi0ELb1ELb0ELi32EEEvPT0_PKT_S7_iiiPKb
    .private_segment_fixed_size: 0
    .sgpr_count:     14
    .sgpr_spill_count: 0
    .symbol:         _ZN12_GLOBAL__N_121softmax_warp_backwardIN3c104HalfES2_fLi0ELb1ELb0ELi32EEEvPT0_PKT_S7_iiiPKb.kd
    .uniform_work_group_size: 1
    .uses_dynamic_stack: false
    .vgpr_count:     11
    .vgpr_spill_count: 0
    .wavefront_size: 32
    .workgroup_processor_mode: 1
  - .args:
      - .address_space:  global
        .offset:         0
        .size:           8
        .value_kind:     global_buffer
      - .address_space:  global
        .offset:         8
        .size:           8
        .value_kind:     global_buffer
      - .address_space:  global
        .offset:         16
        .size:           8
        .value_kind:     global_buffer
      - .offset:         24
        .size:           4
        .value_kind:     by_value
      - .offset:         28
        .size:           4
        .value_kind:     by_value
      - .offset:         32
        .size:           4
        .value_kind:     by_value
      - .address_space:  global
        .offset:         40
        .size:           8
        .value_kind:     global_buffer
      - .offset:         48
        .size:           4
        .value_kind:     hidden_block_count_x
      - .offset:         52
        .size:           4
        .value_kind:     hidden_block_count_y
      - .offset:         56
        .size:           4
        .value_kind:     hidden_block_count_z
      - .offset:         60
        .size:           2
        .value_kind:     hidden_group_size_x
      - .offset:         62
        .size:           2
        .value_kind:     hidden_group_size_y
      - .offset:         64
        .size:           2
        .value_kind:     hidden_group_size_z
      - .offset:         66
        .size:           2
        .value_kind:     hidden_remainder_x
      - .offset:         68
        .size:           2
        .value_kind:     hidden_remainder_y
      - .offset:         70
        .size:           2
        .value_kind:     hidden_remainder_z
      - .offset:         88
        .size:           8
        .value_kind:     hidden_global_offset_x
      - .offset:         96
        .size:           8
        .value_kind:     hidden_global_offset_y
      - .offset:         104
        .size:           8
        .value_kind:     hidden_global_offset_z
      - .offset:         112
        .size:           2
        .value_kind:     hidden_grid_dims
    .group_segment_fixed_size: 0
    .kernarg_segment_align: 8
    .kernarg_segment_size: 304
    .language:       OpenCL C
    .language_version:
      - 2
      - 0
    .max_flat_workgroup_size: 1024
    .name:           _ZN12_GLOBAL__N_121softmax_warp_backwardIN3c104HalfES2_fLi1ELb1ELb0ELi64EEEvPT0_PKT_S7_iiiPKb
    .private_segment_fixed_size: 0
    .sgpr_count:     14
    .sgpr_spill_count: 0
    .symbol:         _ZN12_GLOBAL__N_121softmax_warp_backwardIN3c104HalfES2_fLi1ELb1ELb0ELi64EEEvPT0_PKT_S7_iiiPKb.kd
    .uniform_work_group_size: 1
    .uses_dynamic_stack: false
    .vgpr_count:     14
    .vgpr_spill_count: 0
    .wavefront_size: 32
    .workgroup_processor_mode: 1
  - .args:
      - .address_space:  global
        .offset:         0
        .size:           8
        .value_kind:     global_buffer
      - .address_space:  global
        .offset:         8
        .size:           8
        .value_kind:     global_buffer
      - .address_space:  global
        .offset:         16
        .size:           8
        .value_kind:     global_buffer
      - .offset:         24
        .size:           4
        .value_kind:     by_value
      - .offset:         28
        .size:           4
        .value_kind:     by_value
      - .offset:         32
        .size:           4
        .value_kind:     by_value
      - .address_space:  global
        .offset:         40
        .size:           8
        .value_kind:     global_buffer
      - .offset:         48
        .size:           4
        .value_kind:     hidden_block_count_x
      - .offset:         52
        .size:           4
        .value_kind:     hidden_block_count_y
      - .offset:         56
        .size:           4
        .value_kind:     hidden_block_count_z
      - .offset:         60
        .size:           2
        .value_kind:     hidden_group_size_x
      - .offset:         62
        .size:           2
        .value_kind:     hidden_group_size_y
      - .offset:         64
        .size:           2
        .value_kind:     hidden_group_size_z
      - .offset:         66
        .size:           2
        .value_kind:     hidden_remainder_x
      - .offset:         68
        .size:           2
        .value_kind:     hidden_remainder_y
      - .offset:         70
        .size:           2
        .value_kind:     hidden_remainder_z
      - .offset:         88
        .size:           8
        .value_kind:     hidden_global_offset_x
      - .offset:         96
        .size:           8
        .value_kind:     hidden_global_offset_y
      - .offset:         104
        .size:           8
        .value_kind:     hidden_global_offset_z
      - .offset:         112
        .size:           2
        .value_kind:     hidden_grid_dims
    .group_segment_fixed_size: 0
    .kernarg_segment_align: 8
    .kernarg_segment_size: 304
    .language:       OpenCL C
    .language_version:
      - 2
      - 0
    .max_flat_workgroup_size: 1024
    .name:           _ZN12_GLOBAL__N_121softmax_warp_backwardIN3c104HalfES2_fLi1ELb1ELb0ELi32EEEvPT0_PKT_S7_iiiPKb
    .private_segment_fixed_size: 0
    .sgpr_count:     14
    .sgpr_spill_count: 0
    .symbol:         _ZN12_GLOBAL__N_121softmax_warp_backwardIN3c104HalfES2_fLi1ELb1ELb0ELi32EEEvPT0_PKT_S7_iiiPKb.kd
    .uniform_work_group_size: 1
    .uses_dynamic_stack: false
    .vgpr_count:     14
    .vgpr_spill_count: 0
    .wavefront_size: 32
    .workgroup_processor_mode: 1
  - .args:
      - .address_space:  global
        .offset:         0
        .size:           8
        .value_kind:     global_buffer
      - .address_space:  global
        .offset:         8
        .size:           8
        .value_kind:     global_buffer
      - .address_space:  global
        .offset:         16
        .size:           8
        .value_kind:     global_buffer
      - .offset:         24
        .size:           4
        .value_kind:     by_value
      - .offset:         28
        .size:           4
        .value_kind:     by_value
      - .offset:         32
        .size:           4
        .value_kind:     by_value
      - .address_space:  global
        .offset:         40
        .size:           8
        .value_kind:     global_buffer
      - .offset:         48
        .size:           4
        .value_kind:     hidden_block_count_x
      - .offset:         52
        .size:           4
        .value_kind:     hidden_block_count_y
      - .offset:         56
        .size:           4
        .value_kind:     hidden_block_count_z
      - .offset:         60
        .size:           2
        .value_kind:     hidden_group_size_x
      - .offset:         62
        .size:           2
        .value_kind:     hidden_group_size_y
      - .offset:         64
        .size:           2
        .value_kind:     hidden_group_size_z
      - .offset:         66
        .size:           2
        .value_kind:     hidden_remainder_x
      - .offset:         68
        .size:           2
        .value_kind:     hidden_remainder_y
      - .offset:         70
        .size:           2
        .value_kind:     hidden_remainder_z
      - .offset:         88
        .size:           8
        .value_kind:     hidden_global_offset_x
      - .offset:         96
        .size:           8
        .value_kind:     hidden_global_offset_y
      - .offset:         104
        .size:           8
        .value_kind:     hidden_global_offset_z
      - .offset:         112
        .size:           2
        .value_kind:     hidden_grid_dims
    .group_segment_fixed_size: 0
    .kernarg_segment_align: 8
    .kernarg_segment_size: 304
    .language:       OpenCL C
    .language_version:
      - 2
      - 0
    .max_flat_workgroup_size: 1024
    .name:           _ZN12_GLOBAL__N_121softmax_warp_backwardIN3c104HalfES2_fLi2ELb1ELb0ELi64EEEvPT0_PKT_S7_iiiPKb
    .private_segment_fixed_size: 0
    .sgpr_count:     14
    .sgpr_spill_count: 0
    .symbol:         _ZN12_GLOBAL__N_121softmax_warp_backwardIN3c104HalfES2_fLi2ELb1ELb0ELi64EEEvPT0_PKT_S7_iiiPKb.kd
    .uniform_work_group_size: 1
    .uses_dynamic_stack: false
    .vgpr_count:     14
    .vgpr_spill_count: 0
    .wavefront_size: 32
    .workgroup_processor_mode: 1
  - .args:
      - .address_space:  global
        .offset:         0
        .size:           8
        .value_kind:     global_buffer
      - .address_space:  global
        .offset:         8
        .size:           8
        .value_kind:     global_buffer
      - .address_space:  global
        .offset:         16
        .size:           8
        .value_kind:     global_buffer
      - .offset:         24
        .size:           4
        .value_kind:     by_value
      - .offset:         28
        .size:           4
        .value_kind:     by_value
      - .offset:         32
        .size:           4
        .value_kind:     by_value
      - .address_space:  global
        .offset:         40
        .size:           8
        .value_kind:     global_buffer
      - .offset:         48
        .size:           4
        .value_kind:     hidden_block_count_x
      - .offset:         52
        .size:           4
        .value_kind:     hidden_block_count_y
      - .offset:         56
        .size:           4
        .value_kind:     hidden_block_count_z
      - .offset:         60
        .size:           2
        .value_kind:     hidden_group_size_x
      - .offset:         62
        .size:           2
        .value_kind:     hidden_group_size_y
      - .offset:         64
        .size:           2
        .value_kind:     hidden_group_size_z
      - .offset:         66
        .size:           2
        .value_kind:     hidden_remainder_x
      - .offset:         68
        .size:           2
        .value_kind:     hidden_remainder_y
      - .offset:         70
        .size:           2
        .value_kind:     hidden_remainder_z
      - .offset:         88
        .size:           8
        .value_kind:     hidden_global_offset_x
      - .offset:         96
        .size:           8
        .value_kind:     hidden_global_offset_y
      - .offset:         104
        .size:           8
        .value_kind:     hidden_global_offset_z
      - .offset:         112
        .size:           2
        .value_kind:     hidden_grid_dims
    .group_segment_fixed_size: 0
    .kernarg_segment_align: 8
    .kernarg_segment_size: 304
    .language:       OpenCL C
    .language_version:
      - 2
      - 0
    .max_flat_workgroup_size: 1024
    .name:           _ZN12_GLOBAL__N_121softmax_warp_backwardIN3c104HalfES2_fLi2ELb1ELb0ELi32EEEvPT0_PKT_S7_iiiPKb
    .private_segment_fixed_size: 0
    .sgpr_count:     14
    .sgpr_spill_count: 0
    .symbol:         _ZN12_GLOBAL__N_121softmax_warp_backwardIN3c104HalfES2_fLi2ELb1ELb0ELi32EEEvPT0_PKT_S7_iiiPKb.kd
    .uniform_work_group_size: 1
    .uses_dynamic_stack: false
    .vgpr_count:     14
    .vgpr_spill_count: 0
    .wavefront_size: 32
    .workgroup_processor_mode: 1
  - .args:
      - .address_space:  global
        .offset:         0
        .size:           8
        .value_kind:     global_buffer
      - .address_space:  global
        .offset:         8
        .size:           8
        .value_kind:     global_buffer
      - .address_space:  global
        .offset:         16
        .size:           8
        .value_kind:     global_buffer
      - .offset:         24
        .size:           4
        .value_kind:     by_value
      - .offset:         28
        .size:           4
        .value_kind:     by_value
      - .offset:         32
        .size:           4
        .value_kind:     by_value
      - .address_space:  global
        .offset:         40
        .size:           8
        .value_kind:     global_buffer
      - .offset:         48
        .size:           4
        .value_kind:     hidden_block_count_x
      - .offset:         52
        .size:           4
        .value_kind:     hidden_block_count_y
      - .offset:         56
        .size:           4
        .value_kind:     hidden_block_count_z
      - .offset:         60
        .size:           2
        .value_kind:     hidden_group_size_x
      - .offset:         62
        .size:           2
        .value_kind:     hidden_group_size_y
      - .offset:         64
        .size:           2
        .value_kind:     hidden_group_size_z
      - .offset:         66
        .size:           2
        .value_kind:     hidden_remainder_x
      - .offset:         68
        .size:           2
        .value_kind:     hidden_remainder_y
      - .offset:         70
        .size:           2
        .value_kind:     hidden_remainder_z
      - .offset:         88
        .size:           8
        .value_kind:     hidden_global_offset_x
      - .offset:         96
        .size:           8
        .value_kind:     hidden_global_offset_y
      - .offset:         104
        .size:           8
        .value_kind:     hidden_global_offset_z
      - .offset:         112
        .size:           2
        .value_kind:     hidden_grid_dims
    .group_segment_fixed_size: 0
    .kernarg_segment_align: 8
    .kernarg_segment_size: 304
    .language:       OpenCL C
    .language_version:
      - 2
      - 0
    .max_flat_workgroup_size: 1024
    .name:           _ZN12_GLOBAL__N_121softmax_warp_backwardIN3c104HalfES2_fLi3ELb1ELb0ELi64EEEvPT0_PKT_S7_iiiPKb
    .private_segment_fixed_size: 0
    .sgpr_count:     14
    .sgpr_spill_count: 0
    .symbol:         _ZN12_GLOBAL__N_121softmax_warp_backwardIN3c104HalfES2_fLi3ELb1ELb0ELi64EEEvPT0_PKT_S7_iiiPKb.kd
    .uniform_work_group_size: 1
    .uses_dynamic_stack: false
    .vgpr_count:     14
    .vgpr_spill_count: 0
    .wavefront_size: 32
    .workgroup_processor_mode: 1
  - .args:
      - .address_space:  global
        .offset:         0
        .size:           8
        .value_kind:     global_buffer
      - .address_space:  global
        .offset:         8
        .size:           8
        .value_kind:     global_buffer
      - .address_space:  global
        .offset:         16
        .size:           8
        .value_kind:     global_buffer
      - .offset:         24
        .size:           4
        .value_kind:     by_value
      - .offset:         28
        .size:           4
        .value_kind:     by_value
      - .offset:         32
        .size:           4
        .value_kind:     by_value
      - .address_space:  global
        .offset:         40
        .size:           8
        .value_kind:     global_buffer
      - .offset:         48
        .size:           4
        .value_kind:     hidden_block_count_x
      - .offset:         52
        .size:           4
        .value_kind:     hidden_block_count_y
      - .offset:         56
        .size:           4
        .value_kind:     hidden_block_count_z
      - .offset:         60
        .size:           2
        .value_kind:     hidden_group_size_x
      - .offset:         62
        .size:           2
        .value_kind:     hidden_group_size_y
      - .offset:         64
        .size:           2
        .value_kind:     hidden_group_size_z
      - .offset:         66
        .size:           2
        .value_kind:     hidden_remainder_x
      - .offset:         68
        .size:           2
        .value_kind:     hidden_remainder_y
      - .offset:         70
        .size:           2
        .value_kind:     hidden_remainder_z
      - .offset:         88
        .size:           8
        .value_kind:     hidden_global_offset_x
      - .offset:         96
        .size:           8
        .value_kind:     hidden_global_offset_y
      - .offset:         104
        .size:           8
        .value_kind:     hidden_global_offset_z
      - .offset:         112
        .size:           2
        .value_kind:     hidden_grid_dims
    .group_segment_fixed_size: 0
    .kernarg_segment_align: 8
    .kernarg_segment_size: 304
    .language:       OpenCL C
    .language_version:
      - 2
      - 0
    .max_flat_workgroup_size: 1024
    .name:           _ZN12_GLOBAL__N_121softmax_warp_backwardIN3c104HalfES2_fLi3ELb1ELb0ELi32EEEvPT0_PKT_S7_iiiPKb
    .private_segment_fixed_size: 0
    .sgpr_count:     14
    .sgpr_spill_count: 0
    .symbol:         _ZN12_GLOBAL__N_121softmax_warp_backwardIN3c104HalfES2_fLi3ELb1ELb0ELi32EEEvPT0_PKT_S7_iiiPKb.kd
    .uniform_work_group_size: 1
    .uses_dynamic_stack: false
    .vgpr_count:     14
    .vgpr_spill_count: 0
    .wavefront_size: 32
    .workgroup_processor_mode: 1
  - .args:
      - .address_space:  global
        .offset:         0
        .size:           8
        .value_kind:     global_buffer
      - .address_space:  global
        .offset:         8
        .size:           8
        .value_kind:     global_buffer
      - .address_space:  global
        .offset:         16
        .size:           8
        .value_kind:     global_buffer
      - .offset:         24
        .size:           4
        .value_kind:     by_value
      - .offset:         28
        .size:           4
        .value_kind:     by_value
      - .offset:         32
        .size:           4
        .value_kind:     by_value
      - .address_space:  global
        .offset:         40
        .size:           8
        .value_kind:     global_buffer
      - .offset:         48
        .size:           4
        .value_kind:     hidden_block_count_x
      - .offset:         52
        .size:           4
        .value_kind:     hidden_block_count_y
      - .offset:         56
        .size:           4
        .value_kind:     hidden_block_count_z
      - .offset:         60
        .size:           2
        .value_kind:     hidden_group_size_x
      - .offset:         62
        .size:           2
        .value_kind:     hidden_group_size_y
      - .offset:         64
        .size:           2
        .value_kind:     hidden_group_size_z
      - .offset:         66
        .size:           2
        .value_kind:     hidden_remainder_x
      - .offset:         68
        .size:           2
        .value_kind:     hidden_remainder_y
      - .offset:         70
        .size:           2
        .value_kind:     hidden_remainder_z
      - .offset:         88
        .size:           8
        .value_kind:     hidden_global_offset_x
      - .offset:         96
        .size:           8
        .value_kind:     hidden_global_offset_y
      - .offset:         104
        .size:           8
        .value_kind:     hidden_global_offset_z
      - .offset:         112
        .size:           2
        .value_kind:     hidden_grid_dims
    .group_segment_fixed_size: 0
    .kernarg_segment_align: 8
    .kernarg_segment_size: 304
    .language:       OpenCL C
    .language_version:
      - 2
      - 0
    .max_flat_workgroup_size: 1024
    .name:           _ZN12_GLOBAL__N_121softmax_warp_backwardIN3c104HalfES2_fLi4ELb1ELb0ELi64EEEvPT0_PKT_S7_iiiPKb
    .private_segment_fixed_size: 0
    .sgpr_count:     14
    .sgpr_spill_count: 0
    .symbol:         _ZN12_GLOBAL__N_121softmax_warp_backwardIN3c104HalfES2_fLi4ELb1ELb0ELi64EEEvPT0_PKT_S7_iiiPKb.kd
    .uniform_work_group_size: 1
    .uses_dynamic_stack: false
    .vgpr_count:     14
    .vgpr_spill_count: 0
    .wavefront_size: 32
    .workgroup_processor_mode: 1
  - .args:
      - .address_space:  global
        .offset:         0
        .size:           8
        .value_kind:     global_buffer
      - .address_space:  global
        .offset:         8
        .size:           8
        .value_kind:     global_buffer
      - .address_space:  global
        .offset:         16
        .size:           8
        .value_kind:     global_buffer
      - .offset:         24
        .size:           4
        .value_kind:     by_value
      - .offset:         28
        .size:           4
        .value_kind:     by_value
      - .offset:         32
        .size:           4
        .value_kind:     by_value
      - .address_space:  global
        .offset:         40
        .size:           8
        .value_kind:     global_buffer
      - .offset:         48
        .size:           4
        .value_kind:     hidden_block_count_x
      - .offset:         52
        .size:           4
        .value_kind:     hidden_block_count_y
      - .offset:         56
        .size:           4
        .value_kind:     hidden_block_count_z
      - .offset:         60
        .size:           2
        .value_kind:     hidden_group_size_x
      - .offset:         62
        .size:           2
        .value_kind:     hidden_group_size_y
      - .offset:         64
        .size:           2
        .value_kind:     hidden_group_size_z
      - .offset:         66
        .size:           2
        .value_kind:     hidden_remainder_x
      - .offset:         68
        .size:           2
        .value_kind:     hidden_remainder_y
      - .offset:         70
        .size:           2
        .value_kind:     hidden_remainder_z
      - .offset:         88
        .size:           8
        .value_kind:     hidden_global_offset_x
      - .offset:         96
        .size:           8
        .value_kind:     hidden_global_offset_y
      - .offset:         104
        .size:           8
        .value_kind:     hidden_global_offset_z
      - .offset:         112
        .size:           2
        .value_kind:     hidden_grid_dims
    .group_segment_fixed_size: 0
    .kernarg_segment_align: 8
    .kernarg_segment_size: 304
    .language:       OpenCL C
    .language_version:
      - 2
      - 0
    .max_flat_workgroup_size: 1024
    .name:           _ZN12_GLOBAL__N_121softmax_warp_backwardIN3c104HalfES2_fLi4ELb1ELb0ELi32EEEvPT0_PKT_S7_iiiPKb
    .private_segment_fixed_size: 0
    .sgpr_count:     14
    .sgpr_spill_count: 0
    .symbol:         _ZN12_GLOBAL__N_121softmax_warp_backwardIN3c104HalfES2_fLi4ELb1ELb0ELi32EEEvPT0_PKT_S7_iiiPKb.kd
    .uniform_work_group_size: 1
    .uses_dynamic_stack: false
    .vgpr_count:     14
    .vgpr_spill_count: 0
    .wavefront_size: 32
    .workgroup_processor_mode: 1
  - .args:
      - .address_space:  global
        .offset:         0
        .size:           8
        .value_kind:     global_buffer
      - .address_space:  global
        .offset:         8
        .size:           8
        .value_kind:     global_buffer
      - .address_space:  global
        .offset:         16
        .size:           8
        .value_kind:     global_buffer
      - .offset:         24
        .size:           4
        .value_kind:     by_value
      - .offset:         28
        .size:           4
        .value_kind:     by_value
      - .offset:         32
        .size:           4
        .value_kind:     by_value
      - .address_space:  global
        .offset:         40
        .size:           8
        .value_kind:     global_buffer
      - .offset:         48
        .size:           4
        .value_kind:     hidden_block_count_x
      - .offset:         52
        .size:           4
        .value_kind:     hidden_block_count_y
      - .offset:         56
        .size:           4
        .value_kind:     hidden_block_count_z
      - .offset:         60
        .size:           2
        .value_kind:     hidden_group_size_x
      - .offset:         62
        .size:           2
        .value_kind:     hidden_group_size_y
      - .offset:         64
        .size:           2
        .value_kind:     hidden_group_size_z
      - .offset:         66
        .size:           2
        .value_kind:     hidden_remainder_x
      - .offset:         68
        .size:           2
        .value_kind:     hidden_remainder_y
      - .offset:         70
        .size:           2
        .value_kind:     hidden_remainder_z
      - .offset:         88
        .size:           8
        .value_kind:     hidden_global_offset_x
      - .offset:         96
        .size:           8
        .value_kind:     hidden_global_offset_y
      - .offset:         104
        .size:           8
        .value_kind:     hidden_global_offset_z
      - .offset:         112
        .size:           2
        .value_kind:     hidden_grid_dims
    .group_segment_fixed_size: 0
    .kernarg_segment_align: 8
    .kernarg_segment_size: 304
    .language:       OpenCL C
    .language_version:
      - 2
      - 0
    .max_flat_workgroup_size: 1024
    .name:           _ZN12_GLOBAL__N_121softmax_warp_backwardIN3c104HalfES2_fLi5ELb1ELb0ELi64EEEvPT0_PKT_S7_iiiPKb
    .private_segment_fixed_size: 0
    .sgpr_count:     14
    .sgpr_spill_count: 0
    .symbol:         _ZN12_GLOBAL__N_121softmax_warp_backwardIN3c104HalfES2_fLi5ELb1ELb0ELi64EEEvPT0_PKT_S7_iiiPKb.kd
    .uniform_work_group_size: 1
    .uses_dynamic_stack: false
    .vgpr_count:     14
    .vgpr_spill_count: 0
    .wavefront_size: 32
    .workgroup_processor_mode: 1
  - .args:
      - .address_space:  global
        .offset:         0
        .size:           8
        .value_kind:     global_buffer
      - .address_space:  global
        .offset:         8
        .size:           8
        .value_kind:     global_buffer
      - .address_space:  global
        .offset:         16
        .size:           8
        .value_kind:     global_buffer
      - .offset:         24
        .size:           4
        .value_kind:     by_value
      - .offset:         28
        .size:           4
        .value_kind:     by_value
      - .offset:         32
        .size:           4
        .value_kind:     by_value
      - .address_space:  global
        .offset:         40
        .size:           8
        .value_kind:     global_buffer
      - .offset:         48
        .size:           4
        .value_kind:     hidden_block_count_x
      - .offset:         52
        .size:           4
        .value_kind:     hidden_block_count_y
      - .offset:         56
        .size:           4
        .value_kind:     hidden_block_count_z
      - .offset:         60
        .size:           2
        .value_kind:     hidden_group_size_x
      - .offset:         62
        .size:           2
        .value_kind:     hidden_group_size_y
      - .offset:         64
        .size:           2
        .value_kind:     hidden_group_size_z
      - .offset:         66
        .size:           2
        .value_kind:     hidden_remainder_x
      - .offset:         68
        .size:           2
        .value_kind:     hidden_remainder_y
      - .offset:         70
        .size:           2
        .value_kind:     hidden_remainder_z
      - .offset:         88
        .size:           8
        .value_kind:     hidden_global_offset_x
      - .offset:         96
        .size:           8
        .value_kind:     hidden_global_offset_y
      - .offset:         104
        .size:           8
        .value_kind:     hidden_global_offset_z
      - .offset:         112
        .size:           2
        .value_kind:     hidden_grid_dims
    .group_segment_fixed_size: 0
    .kernarg_segment_align: 8
    .kernarg_segment_size: 304
    .language:       OpenCL C
    .language_version:
      - 2
      - 0
    .max_flat_workgroup_size: 1024
    .name:           _ZN12_GLOBAL__N_121softmax_warp_backwardIN3c104HalfES2_fLi5ELb1ELb0ELi32EEEvPT0_PKT_S7_iiiPKb
    .private_segment_fixed_size: 0
    .sgpr_count:     14
    .sgpr_spill_count: 0
    .symbol:         _ZN12_GLOBAL__N_121softmax_warp_backwardIN3c104HalfES2_fLi5ELb1ELb0ELi32EEEvPT0_PKT_S7_iiiPKb.kd
    .uniform_work_group_size: 1
    .uses_dynamic_stack: false
    .vgpr_count:     14
    .vgpr_spill_count: 0
    .wavefront_size: 32
    .workgroup_processor_mode: 1
  - .args:
      - .address_space:  global
        .offset:         0
        .size:           8
        .value_kind:     global_buffer
      - .address_space:  global
        .offset:         8
        .size:           8
        .value_kind:     global_buffer
      - .address_space:  global
        .offset:         16
        .size:           8
        .value_kind:     global_buffer
      - .offset:         24
        .size:           4
        .value_kind:     by_value
      - .offset:         28
        .size:           4
        .value_kind:     by_value
      - .offset:         32
        .size:           4
        .value_kind:     by_value
      - .address_space:  global
        .offset:         40
        .size:           8
        .value_kind:     global_buffer
      - .offset:         48
        .size:           4
        .value_kind:     hidden_block_count_x
      - .offset:         52
        .size:           4
        .value_kind:     hidden_block_count_y
      - .offset:         56
        .size:           4
        .value_kind:     hidden_block_count_z
      - .offset:         60
        .size:           2
        .value_kind:     hidden_group_size_x
      - .offset:         62
        .size:           2
        .value_kind:     hidden_group_size_y
      - .offset:         64
        .size:           2
        .value_kind:     hidden_group_size_z
      - .offset:         66
        .size:           2
        .value_kind:     hidden_remainder_x
      - .offset:         68
        .size:           2
        .value_kind:     hidden_remainder_y
      - .offset:         70
        .size:           2
        .value_kind:     hidden_remainder_z
      - .offset:         88
        .size:           8
        .value_kind:     hidden_global_offset_x
      - .offset:         96
        .size:           8
        .value_kind:     hidden_global_offset_y
      - .offset:         104
        .size:           8
        .value_kind:     hidden_global_offset_z
      - .offset:         112
        .size:           2
        .value_kind:     hidden_grid_dims
    .group_segment_fixed_size: 0
    .kernarg_segment_align: 8
    .kernarg_segment_size: 304
    .language:       OpenCL C
    .language_version:
      - 2
      - 0
    .max_flat_workgroup_size: 1024
    .name:           _ZN12_GLOBAL__N_121softmax_warp_backwardIN3c104HalfES2_fLi6ELb1ELb0ELi64EEEvPT0_PKT_S7_iiiPKb
    .private_segment_fixed_size: 0
    .sgpr_count:     14
    .sgpr_spill_count: 0
    .symbol:         _ZN12_GLOBAL__N_121softmax_warp_backwardIN3c104HalfES2_fLi6ELb1ELb0ELi64EEEvPT0_PKT_S7_iiiPKb.kd
    .uniform_work_group_size: 1
    .uses_dynamic_stack: false
    .vgpr_count:     14
    .vgpr_spill_count: 0
    .wavefront_size: 32
    .workgroup_processor_mode: 1
  - .args:
      - .address_space:  global
        .offset:         0
        .size:           8
        .value_kind:     global_buffer
      - .address_space:  global
        .offset:         8
        .size:           8
        .value_kind:     global_buffer
      - .address_space:  global
        .offset:         16
        .size:           8
        .value_kind:     global_buffer
      - .offset:         24
        .size:           4
        .value_kind:     by_value
      - .offset:         28
        .size:           4
        .value_kind:     by_value
      - .offset:         32
        .size:           4
        .value_kind:     by_value
      - .address_space:  global
        .offset:         40
        .size:           8
        .value_kind:     global_buffer
      - .offset:         48
        .size:           4
        .value_kind:     hidden_block_count_x
      - .offset:         52
        .size:           4
        .value_kind:     hidden_block_count_y
      - .offset:         56
        .size:           4
        .value_kind:     hidden_block_count_z
      - .offset:         60
        .size:           2
        .value_kind:     hidden_group_size_x
      - .offset:         62
        .size:           2
        .value_kind:     hidden_group_size_y
      - .offset:         64
        .size:           2
        .value_kind:     hidden_group_size_z
      - .offset:         66
        .size:           2
        .value_kind:     hidden_remainder_x
      - .offset:         68
        .size:           2
        .value_kind:     hidden_remainder_y
      - .offset:         70
        .size:           2
        .value_kind:     hidden_remainder_z
      - .offset:         88
        .size:           8
        .value_kind:     hidden_global_offset_x
      - .offset:         96
        .size:           8
        .value_kind:     hidden_global_offset_y
      - .offset:         104
        .size:           8
        .value_kind:     hidden_global_offset_z
      - .offset:         112
        .size:           2
        .value_kind:     hidden_grid_dims
    .group_segment_fixed_size: 0
    .kernarg_segment_align: 8
    .kernarg_segment_size: 304
    .language:       OpenCL C
    .language_version:
      - 2
      - 0
    .max_flat_workgroup_size: 1024
    .name:           _ZN12_GLOBAL__N_121softmax_warp_backwardIN3c104HalfES2_fLi6ELb1ELb0ELi32EEEvPT0_PKT_S7_iiiPKb
    .private_segment_fixed_size: 0
    .sgpr_count:     18
    .sgpr_spill_count: 0
    .symbol:         _ZN12_GLOBAL__N_121softmax_warp_backwardIN3c104HalfES2_fLi6ELb1ELb0ELi32EEEvPT0_PKT_S7_iiiPKb.kd
    .uniform_work_group_size: 1
    .uses_dynamic_stack: false
    .vgpr_count:     19
    .vgpr_spill_count: 0
    .wavefront_size: 32
    .workgroup_processor_mode: 1
  - .args:
      - .address_space:  global
        .offset:         0
        .size:           8
        .value_kind:     global_buffer
      - .address_space:  global
        .offset:         8
        .size:           8
        .value_kind:     global_buffer
      - .address_space:  global
        .offset:         16
        .size:           8
        .value_kind:     global_buffer
      - .offset:         24
        .size:           4
        .value_kind:     by_value
      - .offset:         28
        .size:           4
        .value_kind:     by_value
      - .offset:         32
        .size:           4
        .value_kind:     by_value
      - .address_space:  global
        .offset:         40
        .size:           8
        .value_kind:     global_buffer
      - .offset:         48
        .size:           4
        .value_kind:     hidden_block_count_x
      - .offset:         52
        .size:           4
        .value_kind:     hidden_block_count_y
      - .offset:         56
        .size:           4
        .value_kind:     hidden_block_count_z
      - .offset:         60
        .size:           2
        .value_kind:     hidden_group_size_x
      - .offset:         62
        .size:           2
        .value_kind:     hidden_group_size_y
      - .offset:         64
        .size:           2
        .value_kind:     hidden_group_size_z
      - .offset:         66
        .size:           2
        .value_kind:     hidden_remainder_x
      - .offset:         68
        .size:           2
        .value_kind:     hidden_remainder_y
      - .offset:         70
        .size:           2
        .value_kind:     hidden_remainder_z
      - .offset:         88
        .size:           8
        .value_kind:     hidden_global_offset_x
      - .offset:         96
        .size:           8
        .value_kind:     hidden_global_offset_y
      - .offset:         104
        .size:           8
        .value_kind:     hidden_global_offset_z
      - .offset:         112
        .size:           2
        .value_kind:     hidden_grid_dims
    .group_segment_fixed_size: 0
    .kernarg_segment_align: 8
    .kernarg_segment_size: 304
    .language:       OpenCL C
    .language_version:
      - 2
      - 0
    .max_flat_workgroup_size: 1024
    .name:           _ZN12_GLOBAL__N_121softmax_warp_backwardIN3c104HalfES2_fLi7ELb1ELb0ELi64EEEvPT0_PKT_S7_iiiPKb
    .private_segment_fixed_size: 0
    .sgpr_count:     18
    .sgpr_spill_count: 0
    .symbol:         _ZN12_GLOBAL__N_121softmax_warp_backwardIN3c104HalfES2_fLi7ELb1ELb0ELi64EEEvPT0_PKT_S7_iiiPKb.kd
    .uniform_work_group_size: 1
    .uses_dynamic_stack: false
    .vgpr_count:     19
    .vgpr_spill_count: 0
    .wavefront_size: 32
    .workgroup_processor_mode: 1
  - .args:
      - .address_space:  global
        .offset:         0
        .size:           8
        .value_kind:     global_buffer
      - .address_space:  global
        .offset:         8
        .size:           8
        .value_kind:     global_buffer
      - .address_space:  global
        .offset:         16
        .size:           8
        .value_kind:     global_buffer
      - .offset:         24
        .size:           4
        .value_kind:     by_value
      - .offset:         28
        .size:           4
        .value_kind:     by_value
      - .offset:         32
        .size:           4
        .value_kind:     by_value
      - .address_space:  global
        .offset:         40
        .size:           8
        .value_kind:     global_buffer
      - .offset:         48
        .size:           4
        .value_kind:     hidden_block_count_x
      - .offset:         52
        .size:           4
        .value_kind:     hidden_block_count_y
      - .offset:         56
        .size:           4
        .value_kind:     hidden_block_count_z
      - .offset:         60
        .size:           2
        .value_kind:     hidden_group_size_x
      - .offset:         62
        .size:           2
        .value_kind:     hidden_group_size_y
      - .offset:         64
        .size:           2
        .value_kind:     hidden_group_size_z
      - .offset:         66
        .size:           2
        .value_kind:     hidden_remainder_x
      - .offset:         68
        .size:           2
        .value_kind:     hidden_remainder_y
      - .offset:         70
        .size:           2
        .value_kind:     hidden_remainder_z
      - .offset:         88
        .size:           8
        .value_kind:     hidden_global_offset_x
      - .offset:         96
        .size:           8
        .value_kind:     hidden_global_offset_y
      - .offset:         104
        .size:           8
        .value_kind:     hidden_global_offset_z
      - .offset:         112
        .size:           2
        .value_kind:     hidden_grid_dims
    .group_segment_fixed_size: 0
    .kernarg_segment_align: 8
    .kernarg_segment_size: 304
    .language:       OpenCL C
    .language_version:
      - 2
      - 0
    .max_flat_workgroup_size: 1024
    .name:           _ZN12_GLOBAL__N_121softmax_warp_backwardIN3c104HalfES2_fLi7ELb1ELb0ELi32EEEvPT0_PKT_S7_iiiPKb
    .private_segment_fixed_size: 0
    .sgpr_count:     18
    .sgpr_spill_count: 0
    .symbol:         _ZN12_GLOBAL__N_121softmax_warp_backwardIN3c104HalfES2_fLi7ELb1ELb0ELi32EEEvPT0_PKT_S7_iiiPKb.kd
    .uniform_work_group_size: 1
    .uses_dynamic_stack: false
    .vgpr_count:     27
    .vgpr_spill_count: 0
    .wavefront_size: 32
    .workgroup_processor_mode: 1
  - .args:
      - .address_space:  global
        .offset:         0
        .size:           8
        .value_kind:     global_buffer
      - .address_space:  global
        .offset:         8
        .size:           8
        .value_kind:     global_buffer
      - .address_space:  global
        .offset:         16
        .size:           8
        .value_kind:     global_buffer
      - .offset:         24
        .size:           4
        .value_kind:     by_value
      - .offset:         28
        .size:           4
        .value_kind:     by_value
      - .offset:         32
        .size:           4
        .value_kind:     by_value
      - .address_space:  global
        .offset:         40
        .size:           8
        .value_kind:     global_buffer
      - .offset:         48
        .size:           4
        .value_kind:     hidden_block_count_x
      - .offset:         52
        .size:           4
        .value_kind:     hidden_block_count_y
      - .offset:         56
        .size:           4
        .value_kind:     hidden_block_count_z
      - .offset:         60
        .size:           2
        .value_kind:     hidden_group_size_x
      - .offset:         62
        .size:           2
        .value_kind:     hidden_group_size_y
      - .offset:         64
        .size:           2
        .value_kind:     hidden_group_size_z
      - .offset:         66
        .size:           2
        .value_kind:     hidden_remainder_x
      - .offset:         68
        .size:           2
        .value_kind:     hidden_remainder_y
      - .offset:         70
        .size:           2
        .value_kind:     hidden_remainder_z
      - .offset:         88
        .size:           8
        .value_kind:     hidden_global_offset_x
      - .offset:         96
        .size:           8
        .value_kind:     hidden_global_offset_y
      - .offset:         104
        .size:           8
        .value_kind:     hidden_global_offset_z
      - .offset:         112
        .size:           2
        .value_kind:     hidden_grid_dims
    .group_segment_fixed_size: 0
    .kernarg_segment_align: 8
    .kernarg_segment_size: 304
    .language:       OpenCL C
    .language_version:
      - 2
      - 0
    .max_flat_workgroup_size: 1024
    .name:           _ZN12_GLOBAL__N_121softmax_warp_backwardIN3c104HalfES2_fLi8ELb1ELb0ELi64EEEvPT0_PKT_S7_iiiPKb
    .private_segment_fixed_size: 0
    .sgpr_count:     18
    .sgpr_spill_count: 0
    .symbol:         _ZN12_GLOBAL__N_121softmax_warp_backwardIN3c104HalfES2_fLi8ELb1ELb0ELi64EEEvPT0_PKT_S7_iiiPKb.kd
    .uniform_work_group_size: 1
    .uses_dynamic_stack: false
    .vgpr_count:     19
    .vgpr_spill_count: 0
    .wavefront_size: 32
    .workgroup_processor_mode: 1
  - .args:
      - .address_space:  global
        .offset:         0
        .size:           8
        .value_kind:     global_buffer
      - .address_space:  global
        .offset:         8
        .size:           8
        .value_kind:     global_buffer
      - .address_space:  global
        .offset:         16
        .size:           8
        .value_kind:     global_buffer
      - .offset:         24
        .size:           4
        .value_kind:     by_value
      - .offset:         28
        .size:           4
        .value_kind:     by_value
      - .offset:         32
        .size:           4
        .value_kind:     by_value
      - .address_space:  global
        .offset:         40
        .size:           8
        .value_kind:     global_buffer
      - .offset:         48
        .size:           4
        .value_kind:     hidden_block_count_x
      - .offset:         52
        .size:           4
        .value_kind:     hidden_block_count_y
      - .offset:         56
        .size:           4
        .value_kind:     hidden_block_count_z
      - .offset:         60
        .size:           2
        .value_kind:     hidden_group_size_x
      - .offset:         62
        .size:           2
        .value_kind:     hidden_group_size_y
      - .offset:         64
        .size:           2
        .value_kind:     hidden_group_size_z
      - .offset:         66
        .size:           2
        .value_kind:     hidden_remainder_x
      - .offset:         68
        .size:           2
        .value_kind:     hidden_remainder_y
      - .offset:         70
        .size:           2
        .value_kind:     hidden_remainder_z
      - .offset:         88
        .size:           8
        .value_kind:     hidden_global_offset_x
      - .offset:         96
        .size:           8
        .value_kind:     hidden_global_offset_y
      - .offset:         104
        .size:           8
        .value_kind:     hidden_global_offset_z
      - .offset:         112
        .size:           2
        .value_kind:     hidden_grid_dims
    .group_segment_fixed_size: 0
    .kernarg_segment_align: 8
    .kernarg_segment_size: 304
    .language:       OpenCL C
    .language_version:
      - 2
      - 0
    .max_flat_workgroup_size: 1024
    .name:           _ZN12_GLOBAL__N_121softmax_warp_backwardIN3c104HalfES2_fLi8ELb1ELb0ELi32EEEvPT0_PKT_S7_iiiPKb
    .private_segment_fixed_size: 0
    .sgpr_count:     18
    .sgpr_spill_count: 0
    .symbol:         _ZN12_GLOBAL__N_121softmax_warp_backwardIN3c104HalfES2_fLi8ELb1ELb0ELi32EEEvPT0_PKT_S7_iiiPKb.kd
    .uniform_work_group_size: 1
    .uses_dynamic_stack: false
    .vgpr_count:     27
    .vgpr_spill_count: 0
    .wavefront_size: 32
    .workgroup_processor_mode: 1
  - .args:
      - .address_space:  global
        .offset:         0
        .size:           8
        .value_kind:     global_buffer
      - .address_space:  global
        .offset:         8
        .size:           8
        .value_kind:     global_buffer
      - .address_space:  global
        .offset:         16
        .size:           8
        .value_kind:     global_buffer
      - .offset:         24
        .size:           4
        .value_kind:     by_value
      - .offset:         28
        .size:           4
        .value_kind:     by_value
      - .offset:         32
        .size:           4
        .value_kind:     by_value
      - .address_space:  global
        .offset:         40
        .size:           8
        .value_kind:     global_buffer
      - .offset:         48
        .size:           4
        .value_kind:     hidden_block_count_x
      - .offset:         52
        .size:           4
        .value_kind:     hidden_block_count_y
      - .offset:         56
        .size:           4
        .value_kind:     hidden_block_count_z
      - .offset:         60
        .size:           2
        .value_kind:     hidden_group_size_x
      - .offset:         62
        .size:           2
        .value_kind:     hidden_group_size_y
      - .offset:         64
        .size:           2
        .value_kind:     hidden_group_size_z
      - .offset:         66
        .size:           2
        .value_kind:     hidden_remainder_x
      - .offset:         68
        .size:           2
        .value_kind:     hidden_remainder_y
      - .offset:         70
        .size:           2
        .value_kind:     hidden_remainder_z
      - .offset:         88
        .size:           8
        .value_kind:     hidden_global_offset_x
      - .offset:         96
        .size:           8
        .value_kind:     hidden_global_offset_y
      - .offset:         104
        .size:           8
        .value_kind:     hidden_global_offset_z
      - .offset:         112
        .size:           2
        .value_kind:     hidden_grid_dims
    .group_segment_fixed_size: 0
    .kernarg_segment_align: 8
    .kernarg_segment_size: 304
    .language:       OpenCL C
    .language_version:
      - 2
      - 0
    .max_flat_workgroup_size: 1024
    .name:           _ZN12_GLOBAL__N_121softmax_warp_backwardIN3c104HalfES2_fLi9ELb1ELb0ELi64EEEvPT0_PKT_S7_iiiPKb
    .private_segment_fixed_size: 0
    .sgpr_count:     18
    .sgpr_spill_count: 0
    .symbol:         _ZN12_GLOBAL__N_121softmax_warp_backwardIN3c104HalfES2_fLi9ELb1ELb0ELi64EEEvPT0_PKT_S7_iiiPKb.kd
    .uniform_work_group_size: 1
    .uses_dynamic_stack: false
    .vgpr_count:     27
    .vgpr_spill_count: 0
    .wavefront_size: 32
    .workgroup_processor_mode: 1
  - .args:
      - .address_space:  global
        .offset:         0
        .size:           8
        .value_kind:     global_buffer
      - .address_space:  global
        .offset:         8
        .size:           8
        .value_kind:     global_buffer
      - .address_space:  global
        .offset:         16
        .size:           8
        .value_kind:     global_buffer
      - .offset:         24
        .size:           4
        .value_kind:     by_value
      - .offset:         28
        .size:           4
        .value_kind:     by_value
      - .offset:         32
        .size:           4
        .value_kind:     by_value
      - .address_space:  global
        .offset:         40
        .size:           8
        .value_kind:     global_buffer
      - .offset:         48
        .size:           4
        .value_kind:     hidden_block_count_x
      - .offset:         52
        .size:           4
        .value_kind:     hidden_block_count_y
      - .offset:         56
        .size:           4
        .value_kind:     hidden_block_count_z
      - .offset:         60
        .size:           2
        .value_kind:     hidden_group_size_x
      - .offset:         62
        .size:           2
        .value_kind:     hidden_group_size_y
      - .offset:         64
        .size:           2
        .value_kind:     hidden_group_size_z
      - .offset:         66
        .size:           2
        .value_kind:     hidden_remainder_x
      - .offset:         68
        .size:           2
        .value_kind:     hidden_remainder_y
      - .offset:         70
        .size:           2
        .value_kind:     hidden_remainder_z
      - .offset:         88
        .size:           8
        .value_kind:     hidden_global_offset_x
      - .offset:         96
        .size:           8
        .value_kind:     hidden_global_offset_y
      - .offset:         104
        .size:           8
        .value_kind:     hidden_global_offset_z
      - .offset:         112
        .size:           2
        .value_kind:     hidden_grid_dims
    .group_segment_fixed_size: 0
    .kernarg_segment_align: 8
    .kernarg_segment_size: 304
    .language:       OpenCL C
    .language_version:
      - 2
      - 0
    .max_flat_workgroup_size: 1024
    .name:           _ZN12_GLOBAL__N_121softmax_warp_backwardIN3c104HalfES2_fLi9ELb1ELb0ELi32EEEvPT0_PKT_S7_iiiPKb
    .private_segment_fixed_size: 0
    .sgpr_count:     26
    .sgpr_spill_count: 0
    .symbol:         _ZN12_GLOBAL__N_121softmax_warp_backwardIN3c104HalfES2_fLi9ELb1ELb0ELi32EEEvPT0_PKT_S7_iiiPKb.kd
    .uniform_work_group_size: 1
    .uses_dynamic_stack: false
    .vgpr_count:     43
    .vgpr_spill_count: 0
    .wavefront_size: 32
    .workgroup_processor_mode: 1
  - .args:
      - .address_space:  global
        .offset:         0
        .size:           8
        .value_kind:     global_buffer
      - .address_space:  global
        .offset:         8
        .size:           8
        .value_kind:     global_buffer
      - .address_space:  global
        .offset:         16
        .size:           8
        .value_kind:     global_buffer
      - .offset:         24
        .size:           4
        .value_kind:     by_value
      - .offset:         28
        .size:           4
        .value_kind:     by_value
      - .offset:         32
        .size:           4
        .value_kind:     by_value
      - .address_space:  global
        .offset:         40
        .size:           8
        .value_kind:     global_buffer
      - .offset:         48
        .size:           4
        .value_kind:     hidden_block_count_x
      - .offset:         52
        .size:           4
        .value_kind:     hidden_block_count_y
      - .offset:         56
        .size:           4
        .value_kind:     hidden_block_count_z
      - .offset:         60
        .size:           2
        .value_kind:     hidden_group_size_x
      - .offset:         62
        .size:           2
        .value_kind:     hidden_group_size_y
      - .offset:         64
        .size:           2
        .value_kind:     hidden_group_size_z
      - .offset:         66
        .size:           2
        .value_kind:     hidden_remainder_x
      - .offset:         68
        .size:           2
        .value_kind:     hidden_remainder_y
      - .offset:         70
        .size:           2
        .value_kind:     hidden_remainder_z
      - .offset:         88
        .size:           8
        .value_kind:     hidden_global_offset_x
      - .offset:         96
        .size:           8
        .value_kind:     hidden_global_offset_y
      - .offset:         104
        .size:           8
        .value_kind:     hidden_global_offset_z
      - .offset:         112
        .size:           2
        .value_kind:     hidden_grid_dims
    .group_segment_fixed_size: 0
    .kernarg_segment_align: 8
    .kernarg_segment_size: 304
    .language:       OpenCL C
    .language_version:
      - 2
      - 0
    .max_flat_workgroup_size: 1024
    .name:           _ZN12_GLOBAL__N_121softmax_warp_backwardIN3c104HalfES2_fLi10ELb1ELb0ELi64EEEvPT0_PKT_S7_iiiPKb
    .private_segment_fixed_size: 0
    .sgpr_count:     26
    .sgpr_spill_count: 0
    .symbol:         _ZN12_GLOBAL__N_121softmax_warp_backwardIN3c104HalfES2_fLi10ELb1ELb0ELi64EEEvPT0_PKT_S7_iiiPKb.kd
    .uniform_work_group_size: 1
    .uses_dynamic_stack: false
    .vgpr_count:     43
    .vgpr_spill_count: 0
    .wavefront_size: 32
    .workgroup_processor_mode: 1
  - .args:
      - .address_space:  global
        .offset:         0
        .size:           8
        .value_kind:     global_buffer
      - .address_space:  global
        .offset:         8
        .size:           8
        .value_kind:     global_buffer
      - .address_space:  global
        .offset:         16
        .size:           8
        .value_kind:     global_buffer
      - .offset:         24
        .size:           4
        .value_kind:     by_value
      - .offset:         28
        .size:           4
        .value_kind:     by_value
      - .offset:         32
        .size:           4
        .value_kind:     by_value
      - .address_space:  global
        .offset:         40
        .size:           8
        .value_kind:     global_buffer
      - .offset:         48
        .size:           4
        .value_kind:     hidden_block_count_x
      - .offset:         52
        .size:           4
        .value_kind:     hidden_block_count_y
      - .offset:         56
        .size:           4
        .value_kind:     hidden_block_count_z
      - .offset:         60
        .size:           2
        .value_kind:     hidden_group_size_x
      - .offset:         62
        .size:           2
        .value_kind:     hidden_group_size_y
      - .offset:         64
        .size:           2
        .value_kind:     hidden_group_size_z
      - .offset:         66
        .size:           2
        .value_kind:     hidden_remainder_x
      - .offset:         68
        .size:           2
        .value_kind:     hidden_remainder_y
      - .offset:         70
        .size:           2
        .value_kind:     hidden_remainder_z
      - .offset:         88
        .size:           8
        .value_kind:     hidden_global_offset_x
      - .offset:         96
        .size:           8
        .value_kind:     hidden_global_offset_y
      - .offset:         104
        .size:           8
        .value_kind:     hidden_global_offset_z
      - .offset:         112
        .size:           2
        .value_kind:     hidden_grid_dims
    .group_segment_fixed_size: 0
    .kernarg_segment_align: 8
    .kernarg_segment_size: 304
    .language:       OpenCL C
    .language_version:
      - 2
      - 0
    .max_flat_workgroup_size: 1024
    .name:           _ZN12_GLOBAL__N_121softmax_warp_backwardIN3c104HalfES2_fLi10ELb1ELb0ELi32EEEvPT0_PKT_S7_iiiPKb
    .private_segment_fixed_size: 0
    .sgpr_count:     46
    .sgpr_spill_count: 0
    .symbol:         _ZN12_GLOBAL__N_121softmax_warp_backwardIN3c104HalfES2_fLi10ELb1ELb0ELi32EEEvPT0_PKT_S7_iiiPKb.kd
    .uniform_work_group_size: 1
    .uses_dynamic_stack: false
    .vgpr_count:     75
    .vgpr_spill_count: 0
    .wavefront_size: 32
    .workgroup_processor_mode: 1
  - .args:
      - .address_space:  global
        .offset:         0
        .size:           8
        .value_kind:     global_buffer
      - .address_space:  global
        .offset:         8
        .size:           8
        .value_kind:     global_buffer
      - .address_space:  global
        .offset:         16
        .size:           8
        .value_kind:     global_buffer
      - .offset:         24
        .size:           8
        .value_kind:     by_value
      - .offset:         32
        .size:           4
        .value_kind:     hidden_block_count_x
      - .offset:         36
        .size:           4
        .value_kind:     hidden_block_count_y
      - .offset:         40
        .size:           4
        .value_kind:     hidden_block_count_z
      - .offset:         44
        .size:           2
        .value_kind:     hidden_group_size_x
      - .offset:         46
        .size:           2
        .value_kind:     hidden_group_size_y
      - .offset:         48
        .size:           2
        .value_kind:     hidden_group_size_z
      - .offset:         50
        .size:           2
        .value_kind:     hidden_remainder_x
      - .offset:         52
        .size:           2
        .value_kind:     hidden_remainder_y
      - .offset:         54
        .size:           2
        .value_kind:     hidden_remainder_z
      - .offset:         72
        .size:           8
        .value_kind:     hidden_global_offset_x
      - .offset:         80
        .size:           8
        .value_kind:     hidden_global_offset_y
      - .offset:         88
        .size:           8
        .value_kind:     hidden_global_offset_z
      - .offset:         96
        .size:           2
        .value_kind:     hidden_grid_dims
      - .offset:         152
        .size:           4
        .value_kind:     hidden_dynamic_lds_size
    .group_segment_fixed_size: 0
    .kernarg_segment_align: 8
    .kernarg_segment_size: 288
    .language:       OpenCL C
    .language_version:
      - 2
      - 0
    .max_flat_workgroup_size: 1024
    .name:           _ZN2at6native12_GLOBAL__N_124cunn_SoftMaxBackwardSmemILi8EN3c104HalfEfS4_NS1_26LogSoftMaxBackwardEpilogueEEEvPT0_PKT2_SA_l
    .private_segment_fixed_size: 0
    .sgpr_count:     23
    .sgpr_spill_count: 0
    .symbol:         _ZN2at6native12_GLOBAL__N_124cunn_SoftMaxBackwardSmemILi8EN3c104HalfEfS4_NS1_26LogSoftMaxBackwardEpilogueEEEvPT0_PKT2_SA_l.kd
    .uniform_work_group_size: 1
    .uses_dynamic_stack: false
    .vgpr_count:     46
    .vgpr_spill_count: 0
    .wavefront_size: 32
    .workgroup_processor_mode: 1
  - .args:
      - .address_space:  global
        .offset:         0
        .size:           8
        .value_kind:     global_buffer
      - .address_space:  global
        .offset:         8
        .size:           8
        .value_kind:     global_buffer
      - .address_space:  global
        .offset:         16
        .size:           8
        .value_kind:     global_buffer
      - .offset:         24
        .size:           8
        .value_kind:     by_value
      - .offset:         32
        .size:           4
        .value_kind:     hidden_block_count_x
      - .offset:         36
        .size:           4
        .value_kind:     hidden_block_count_y
      - .offset:         40
        .size:           4
        .value_kind:     hidden_block_count_z
      - .offset:         44
        .size:           2
        .value_kind:     hidden_group_size_x
      - .offset:         46
        .size:           2
        .value_kind:     hidden_group_size_y
      - .offset:         48
        .size:           2
        .value_kind:     hidden_group_size_z
      - .offset:         50
        .size:           2
        .value_kind:     hidden_remainder_x
      - .offset:         52
        .size:           2
        .value_kind:     hidden_remainder_y
      - .offset:         54
        .size:           2
        .value_kind:     hidden_remainder_z
      - .offset:         72
        .size:           8
        .value_kind:     hidden_global_offset_x
      - .offset:         80
        .size:           8
        .value_kind:     hidden_global_offset_y
      - .offset:         88
        .size:           8
        .value_kind:     hidden_global_offset_z
      - .offset:         96
        .size:           2
        .value_kind:     hidden_grid_dims
      - .offset:         152
        .size:           4
        .value_kind:     hidden_dynamic_lds_size
    .group_segment_fixed_size: 0
    .kernarg_segment_align: 8
    .kernarg_segment_size: 288
    .language:       OpenCL C
    .language_version:
      - 2
      - 0
    .max_flat_workgroup_size: 1024
    .name:           _ZN2at6native12_GLOBAL__N_120cunn_SoftMaxBackwardILi8EN3c104HalfEfS4_NS1_26LogSoftMaxBackwardEpilogueEEEvPT0_PKT2_SA_l
    .private_segment_fixed_size: 0
    .sgpr_count:     44
    .sgpr_spill_count: 0
    .symbol:         _ZN2at6native12_GLOBAL__N_120cunn_SoftMaxBackwardILi8EN3c104HalfEfS4_NS1_26LogSoftMaxBackwardEpilogueEEEvPT0_PKT2_SA_l.kd
    .uniform_work_group_size: 1
    .uses_dynamic_stack: false
    .vgpr_count:     61
    .vgpr_spill_count: 0
    .wavefront_size: 32
    .workgroup_processor_mode: 1
  - .args:
      - .address_space:  global
        .offset:         0
        .size:           8
        .value_kind:     global_buffer
      - .address_space:  global
        .offset:         8
        .size:           8
        .value_kind:     global_buffer
      - .address_space:  global
        .offset:         16
        .size:           8
        .value_kind:     global_buffer
      - .offset:         24
        .size:           4
        .value_kind:     by_value
      - .offset:         28
        .size:           4
        .value_kind:     by_value
      - .offset:         32
        .size:           4
        .value_kind:     by_value
      - .address_space:  global
        .offset:         40
        .size:           8
        .value_kind:     global_buffer
      - .offset:         48
        .size:           4
        .value_kind:     hidden_block_count_x
      - .offset:         52
        .size:           4
        .value_kind:     hidden_block_count_y
      - .offset:         56
        .size:           4
        .value_kind:     hidden_block_count_z
      - .offset:         60
        .size:           2
        .value_kind:     hidden_group_size_x
      - .offset:         62
        .size:           2
        .value_kind:     hidden_group_size_y
      - .offset:         64
        .size:           2
        .value_kind:     hidden_group_size_z
      - .offset:         66
        .size:           2
        .value_kind:     hidden_remainder_x
      - .offset:         68
        .size:           2
        .value_kind:     hidden_remainder_y
      - .offset:         70
        .size:           2
        .value_kind:     hidden_remainder_z
      - .offset:         88
        .size:           8
        .value_kind:     hidden_global_offset_x
      - .offset:         96
        .size:           8
        .value_kind:     hidden_global_offset_y
      - .offset:         104
        .size:           8
        .value_kind:     hidden_global_offset_z
      - .offset:         112
        .size:           2
        .value_kind:     hidden_grid_dims
    .group_segment_fixed_size: 0
    .kernarg_segment_align: 8
    .kernarg_segment_size: 304
    .language:       OpenCL C
    .language_version:
      - 2
      - 0
    .max_flat_workgroup_size: 1024
    .name:           _ZN12_GLOBAL__N_121softmax_warp_backwardIfN3c104HalfEfLi0ELb1ELb0ELi64EEEvPT0_PKT_S7_iiiPKb
    .private_segment_fixed_size: 0
    .sgpr_count:     14
    .sgpr_spill_count: 0
    .symbol:         _ZN12_GLOBAL__N_121softmax_warp_backwardIfN3c104HalfEfLi0ELb1ELb0ELi64EEEvPT0_PKT_S7_iiiPKb.kd
    .uniform_work_group_size: 1
    .uses_dynamic_stack: false
    .vgpr_count:     11
    .vgpr_spill_count: 0
    .wavefront_size: 32
    .workgroup_processor_mode: 1
  - .args:
      - .address_space:  global
        .offset:         0
        .size:           8
        .value_kind:     global_buffer
      - .address_space:  global
        .offset:         8
        .size:           8
        .value_kind:     global_buffer
      - .address_space:  global
        .offset:         16
        .size:           8
        .value_kind:     global_buffer
      - .offset:         24
        .size:           4
        .value_kind:     by_value
      - .offset:         28
        .size:           4
        .value_kind:     by_value
      - .offset:         32
        .size:           4
        .value_kind:     by_value
      - .address_space:  global
        .offset:         40
        .size:           8
        .value_kind:     global_buffer
      - .offset:         48
        .size:           4
        .value_kind:     hidden_block_count_x
      - .offset:         52
        .size:           4
        .value_kind:     hidden_block_count_y
      - .offset:         56
        .size:           4
        .value_kind:     hidden_block_count_z
      - .offset:         60
        .size:           2
        .value_kind:     hidden_group_size_x
      - .offset:         62
        .size:           2
        .value_kind:     hidden_group_size_y
      - .offset:         64
        .size:           2
        .value_kind:     hidden_group_size_z
      - .offset:         66
        .size:           2
        .value_kind:     hidden_remainder_x
      - .offset:         68
        .size:           2
        .value_kind:     hidden_remainder_y
      - .offset:         70
        .size:           2
        .value_kind:     hidden_remainder_z
      - .offset:         88
        .size:           8
        .value_kind:     hidden_global_offset_x
      - .offset:         96
        .size:           8
        .value_kind:     hidden_global_offset_y
      - .offset:         104
        .size:           8
        .value_kind:     hidden_global_offset_z
      - .offset:         112
        .size:           2
        .value_kind:     hidden_grid_dims
    .group_segment_fixed_size: 0
    .kernarg_segment_align: 8
    .kernarg_segment_size: 304
    .language:       OpenCL C
    .language_version:
      - 2
      - 0
    .max_flat_workgroup_size: 1024
    .name:           _ZN12_GLOBAL__N_121softmax_warp_backwardIfN3c104HalfEfLi0ELb1ELb0ELi32EEEvPT0_PKT_S7_iiiPKb
    .private_segment_fixed_size: 0
    .sgpr_count:     14
    .sgpr_spill_count: 0
    .symbol:         _ZN12_GLOBAL__N_121softmax_warp_backwardIfN3c104HalfEfLi0ELb1ELb0ELi32EEEvPT0_PKT_S7_iiiPKb.kd
    .uniform_work_group_size: 1
    .uses_dynamic_stack: false
    .vgpr_count:     11
    .vgpr_spill_count: 0
    .wavefront_size: 32
    .workgroup_processor_mode: 1
  - .args:
      - .address_space:  global
        .offset:         0
        .size:           8
        .value_kind:     global_buffer
      - .address_space:  global
        .offset:         8
        .size:           8
        .value_kind:     global_buffer
      - .address_space:  global
        .offset:         16
        .size:           8
        .value_kind:     global_buffer
      - .offset:         24
        .size:           4
        .value_kind:     by_value
      - .offset:         28
        .size:           4
        .value_kind:     by_value
      - .offset:         32
        .size:           4
        .value_kind:     by_value
      - .address_space:  global
        .offset:         40
        .size:           8
        .value_kind:     global_buffer
      - .offset:         48
        .size:           4
        .value_kind:     hidden_block_count_x
      - .offset:         52
        .size:           4
        .value_kind:     hidden_block_count_y
      - .offset:         56
        .size:           4
        .value_kind:     hidden_block_count_z
      - .offset:         60
        .size:           2
        .value_kind:     hidden_group_size_x
      - .offset:         62
        .size:           2
        .value_kind:     hidden_group_size_y
      - .offset:         64
        .size:           2
        .value_kind:     hidden_group_size_z
      - .offset:         66
        .size:           2
        .value_kind:     hidden_remainder_x
      - .offset:         68
        .size:           2
        .value_kind:     hidden_remainder_y
      - .offset:         70
        .size:           2
        .value_kind:     hidden_remainder_z
      - .offset:         88
        .size:           8
        .value_kind:     hidden_global_offset_x
      - .offset:         96
        .size:           8
        .value_kind:     hidden_global_offset_y
      - .offset:         104
        .size:           8
        .value_kind:     hidden_global_offset_z
      - .offset:         112
        .size:           2
        .value_kind:     hidden_grid_dims
    .group_segment_fixed_size: 0
    .kernarg_segment_align: 8
    .kernarg_segment_size: 304
    .language:       OpenCL C
    .language_version:
      - 2
      - 0
    .max_flat_workgroup_size: 1024
    .name:           _ZN12_GLOBAL__N_121softmax_warp_backwardIfN3c104HalfEfLi1ELb1ELb0ELi64EEEvPT0_PKT_S7_iiiPKb
    .private_segment_fixed_size: 0
    .sgpr_count:     14
    .sgpr_spill_count: 0
    .symbol:         _ZN12_GLOBAL__N_121softmax_warp_backwardIfN3c104HalfEfLi1ELb1ELb0ELi64EEEvPT0_PKT_S7_iiiPKb.kd
    .uniform_work_group_size: 1
    .uses_dynamic_stack: false
    .vgpr_count:     14
    .vgpr_spill_count: 0
    .wavefront_size: 32
    .workgroup_processor_mode: 1
  - .args:
      - .address_space:  global
        .offset:         0
        .size:           8
        .value_kind:     global_buffer
      - .address_space:  global
        .offset:         8
        .size:           8
        .value_kind:     global_buffer
      - .address_space:  global
        .offset:         16
        .size:           8
        .value_kind:     global_buffer
      - .offset:         24
        .size:           4
        .value_kind:     by_value
      - .offset:         28
        .size:           4
        .value_kind:     by_value
      - .offset:         32
        .size:           4
        .value_kind:     by_value
      - .address_space:  global
        .offset:         40
        .size:           8
        .value_kind:     global_buffer
      - .offset:         48
        .size:           4
        .value_kind:     hidden_block_count_x
      - .offset:         52
        .size:           4
        .value_kind:     hidden_block_count_y
      - .offset:         56
        .size:           4
        .value_kind:     hidden_block_count_z
      - .offset:         60
        .size:           2
        .value_kind:     hidden_group_size_x
      - .offset:         62
        .size:           2
        .value_kind:     hidden_group_size_y
      - .offset:         64
        .size:           2
        .value_kind:     hidden_group_size_z
      - .offset:         66
        .size:           2
        .value_kind:     hidden_remainder_x
      - .offset:         68
        .size:           2
        .value_kind:     hidden_remainder_y
      - .offset:         70
        .size:           2
        .value_kind:     hidden_remainder_z
      - .offset:         88
        .size:           8
        .value_kind:     hidden_global_offset_x
      - .offset:         96
        .size:           8
        .value_kind:     hidden_global_offset_y
      - .offset:         104
        .size:           8
        .value_kind:     hidden_global_offset_z
      - .offset:         112
        .size:           2
        .value_kind:     hidden_grid_dims
    .group_segment_fixed_size: 0
    .kernarg_segment_align: 8
    .kernarg_segment_size: 304
    .language:       OpenCL C
    .language_version:
      - 2
      - 0
    .max_flat_workgroup_size: 1024
    .name:           _ZN12_GLOBAL__N_121softmax_warp_backwardIfN3c104HalfEfLi1ELb1ELb0ELi32EEEvPT0_PKT_S7_iiiPKb
    .private_segment_fixed_size: 0
    .sgpr_count:     14
    .sgpr_spill_count: 0
    .symbol:         _ZN12_GLOBAL__N_121softmax_warp_backwardIfN3c104HalfEfLi1ELb1ELb0ELi32EEEvPT0_PKT_S7_iiiPKb.kd
    .uniform_work_group_size: 1
    .uses_dynamic_stack: false
    .vgpr_count:     14
    .vgpr_spill_count: 0
    .wavefront_size: 32
    .workgroup_processor_mode: 1
  - .args:
      - .address_space:  global
        .offset:         0
        .size:           8
        .value_kind:     global_buffer
      - .address_space:  global
        .offset:         8
        .size:           8
        .value_kind:     global_buffer
      - .address_space:  global
        .offset:         16
        .size:           8
        .value_kind:     global_buffer
      - .offset:         24
        .size:           4
        .value_kind:     by_value
      - .offset:         28
        .size:           4
        .value_kind:     by_value
      - .offset:         32
        .size:           4
        .value_kind:     by_value
      - .address_space:  global
        .offset:         40
        .size:           8
        .value_kind:     global_buffer
      - .offset:         48
        .size:           4
        .value_kind:     hidden_block_count_x
      - .offset:         52
        .size:           4
        .value_kind:     hidden_block_count_y
      - .offset:         56
        .size:           4
        .value_kind:     hidden_block_count_z
      - .offset:         60
        .size:           2
        .value_kind:     hidden_group_size_x
      - .offset:         62
        .size:           2
        .value_kind:     hidden_group_size_y
      - .offset:         64
        .size:           2
        .value_kind:     hidden_group_size_z
      - .offset:         66
        .size:           2
        .value_kind:     hidden_remainder_x
      - .offset:         68
        .size:           2
        .value_kind:     hidden_remainder_y
      - .offset:         70
        .size:           2
        .value_kind:     hidden_remainder_z
      - .offset:         88
        .size:           8
        .value_kind:     hidden_global_offset_x
      - .offset:         96
        .size:           8
        .value_kind:     hidden_global_offset_y
      - .offset:         104
        .size:           8
        .value_kind:     hidden_global_offset_z
      - .offset:         112
        .size:           2
        .value_kind:     hidden_grid_dims
    .group_segment_fixed_size: 0
    .kernarg_segment_align: 8
    .kernarg_segment_size: 304
    .language:       OpenCL C
    .language_version:
      - 2
      - 0
    .max_flat_workgroup_size: 1024
    .name:           _ZN12_GLOBAL__N_121softmax_warp_backwardIfN3c104HalfEfLi2ELb1ELb0ELi64EEEvPT0_PKT_S7_iiiPKb
    .private_segment_fixed_size: 0
    .sgpr_count:     14
    .sgpr_spill_count: 0
    .symbol:         _ZN12_GLOBAL__N_121softmax_warp_backwardIfN3c104HalfEfLi2ELb1ELb0ELi64EEEvPT0_PKT_S7_iiiPKb.kd
    .uniform_work_group_size: 1
    .uses_dynamic_stack: false
    .vgpr_count:     14
    .vgpr_spill_count: 0
    .wavefront_size: 32
    .workgroup_processor_mode: 1
  - .args:
      - .address_space:  global
        .offset:         0
        .size:           8
        .value_kind:     global_buffer
      - .address_space:  global
        .offset:         8
        .size:           8
        .value_kind:     global_buffer
      - .address_space:  global
        .offset:         16
        .size:           8
        .value_kind:     global_buffer
      - .offset:         24
        .size:           4
        .value_kind:     by_value
      - .offset:         28
        .size:           4
        .value_kind:     by_value
      - .offset:         32
        .size:           4
        .value_kind:     by_value
      - .address_space:  global
        .offset:         40
        .size:           8
        .value_kind:     global_buffer
      - .offset:         48
        .size:           4
        .value_kind:     hidden_block_count_x
      - .offset:         52
        .size:           4
        .value_kind:     hidden_block_count_y
      - .offset:         56
        .size:           4
        .value_kind:     hidden_block_count_z
      - .offset:         60
        .size:           2
        .value_kind:     hidden_group_size_x
      - .offset:         62
        .size:           2
        .value_kind:     hidden_group_size_y
      - .offset:         64
        .size:           2
        .value_kind:     hidden_group_size_z
      - .offset:         66
        .size:           2
        .value_kind:     hidden_remainder_x
      - .offset:         68
        .size:           2
        .value_kind:     hidden_remainder_y
      - .offset:         70
        .size:           2
        .value_kind:     hidden_remainder_z
      - .offset:         88
        .size:           8
        .value_kind:     hidden_global_offset_x
      - .offset:         96
        .size:           8
        .value_kind:     hidden_global_offset_y
      - .offset:         104
        .size:           8
        .value_kind:     hidden_global_offset_z
      - .offset:         112
        .size:           2
        .value_kind:     hidden_grid_dims
    .group_segment_fixed_size: 0
    .kernarg_segment_align: 8
    .kernarg_segment_size: 304
    .language:       OpenCL C
    .language_version:
      - 2
      - 0
    .max_flat_workgroup_size: 1024
    .name:           _ZN12_GLOBAL__N_121softmax_warp_backwardIfN3c104HalfEfLi2ELb1ELb0ELi32EEEvPT0_PKT_S7_iiiPKb
    .private_segment_fixed_size: 0
    .sgpr_count:     14
    .sgpr_spill_count: 0
    .symbol:         _ZN12_GLOBAL__N_121softmax_warp_backwardIfN3c104HalfEfLi2ELb1ELb0ELi32EEEvPT0_PKT_S7_iiiPKb.kd
    .uniform_work_group_size: 1
    .uses_dynamic_stack: false
    .vgpr_count:     14
    .vgpr_spill_count: 0
    .wavefront_size: 32
    .workgroup_processor_mode: 1
  - .args:
      - .address_space:  global
        .offset:         0
        .size:           8
        .value_kind:     global_buffer
      - .address_space:  global
        .offset:         8
        .size:           8
        .value_kind:     global_buffer
      - .address_space:  global
        .offset:         16
        .size:           8
        .value_kind:     global_buffer
      - .offset:         24
        .size:           4
        .value_kind:     by_value
      - .offset:         28
        .size:           4
        .value_kind:     by_value
      - .offset:         32
        .size:           4
        .value_kind:     by_value
      - .address_space:  global
        .offset:         40
        .size:           8
        .value_kind:     global_buffer
      - .offset:         48
        .size:           4
        .value_kind:     hidden_block_count_x
      - .offset:         52
        .size:           4
        .value_kind:     hidden_block_count_y
      - .offset:         56
        .size:           4
        .value_kind:     hidden_block_count_z
      - .offset:         60
        .size:           2
        .value_kind:     hidden_group_size_x
      - .offset:         62
        .size:           2
        .value_kind:     hidden_group_size_y
      - .offset:         64
        .size:           2
        .value_kind:     hidden_group_size_z
      - .offset:         66
        .size:           2
        .value_kind:     hidden_remainder_x
      - .offset:         68
        .size:           2
        .value_kind:     hidden_remainder_y
      - .offset:         70
        .size:           2
        .value_kind:     hidden_remainder_z
      - .offset:         88
        .size:           8
        .value_kind:     hidden_global_offset_x
      - .offset:         96
        .size:           8
        .value_kind:     hidden_global_offset_y
      - .offset:         104
        .size:           8
        .value_kind:     hidden_global_offset_z
      - .offset:         112
        .size:           2
        .value_kind:     hidden_grid_dims
    .group_segment_fixed_size: 0
    .kernarg_segment_align: 8
    .kernarg_segment_size: 304
    .language:       OpenCL C
    .language_version:
      - 2
      - 0
    .max_flat_workgroup_size: 1024
    .name:           _ZN12_GLOBAL__N_121softmax_warp_backwardIfN3c104HalfEfLi3ELb1ELb0ELi64EEEvPT0_PKT_S7_iiiPKb
    .private_segment_fixed_size: 0
    .sgpr_count:     14
    .sgpr_spill_count: 0
    .symbol:         _ZN12_GLOBAL__N_121softmax_warp_backwardIfN3c104HalfEfLi3ELb1ELb0ELi64EEEvPT0_PKT_S7_iiiPKb.kd
    .uniform_work_group_size: 1
    .uses_dynamic_stack: false
    .vgpr_count:     14
    .vgpr_spill_count: 0
    .wavefront_size: 32
    .workgroup_processor_mode: 1
  - .args:
      - .address_space:  global
        .offset:         0
        .size:           8
        .value_kind:     global_buffer
      - .address_space:  global
        .offset:         8
        .size:           8
        .value_kind:     global_buffer
      - .address_space:  global
        .offset:         16
        .size:           8
        .value_kind:     global_buffer
      - .offset:         24
        .size:           4
        .value_kind:     by_value
      - .offset:         28
        .size:           4
        .value_kind:     by_value
      - .offset:         32
        .size:           4
        .value_kind:     by_value
      - .address_space:  global
        .offset:         40
        .size:           8
        .value_kind:     global_buffer
      - .offset:         48
        .size:           4
        .value_kind:     hidden_block_count_x
      - .offset:         52
        .size:           4
        .value_kind:     hidden_block_count_y
      - .offset:         56
        .size:           4
        .value_kind:     hidden_block_count_z
      - .offset:         60
        .size:           2
        .value_kind:     hidden_group_size_x
      - .offset:         62
        .size:           2
        .value_kind:     hidden_group_size_y
      - .offset:         64
        .size:           2
        .value_kind:     hidden_group_size_z
      - .offset:         66
        .size:           2
        .value_kind:     hidden_remainder_x
      - .offset:         68
        .size:           2
        .value_kind:     hidden_remainder_y
      - .offset:         70
        .size:           2
        .value_kind:     hidden_remainder_z
      - .offset:         88
        .size:           8
        .value_kind:     hidden_global_offset_x
      - .offset:         96
        .size:           8
        .value_kind:     hidden_global_offset_y
      - .offset:         104
        .size:           8
        .value_kind:     hidden_global_offset_z
      - .offset:         112
        .size:           2
        .value_kind:     hidden_grid_dims
    .group_segment_fixed_size: 0
    .kernarg_segment_align: 8
    .kernarg_segment_size: 304
    .language:       OpenCL C
    .language_version:
      - 2
      - 0
    .max_flat_workgroup_size: 1024
    .name:           _ZN12_GLOBAL__N_121softmax_warp_backwardIfN3c104HalfEfLi3ELb1ELb0ELi32EEEvPT0_PKT_S7_iiiPKb
    .private_segment_fixed_size: 0
    .sgpr_count:     14
    .sgpr_spill_count: 0
    .symbol:         _ZN12_GLOBAL__N_121softmax_warp_backwardIfN3c104HalfEfLi3ELb1ELb0ELi32EEEvPT0_PKT_S7_iiiPKb.kd
    .uniform_work_group_size: 1
    .uses_dynamic_stack: false
    .vgpr_count:     14
    .vgpr_spill_count: 0
    .wavefront_size: 32
    .workgroup_processor_mode: 1
  - .args:
      - .address_space:  global
        .offset:         0
        .size:           8
        .value_kind:     global_buffer
      - .address_space:  global
        .offset:         8
        .size:           8
        .value_kind:     global_buffer
      - .address_space:  global
        .offset:         16
        .size:           8
        .value_kind:     global_buffer
      - .offset:         24
        .size:           4
        .value_kind:     by_value
      - .offset:         28
        .size:           4
        .value_kind:     by_value
      - .offset:         32
        .size:           4
        .value_kind:     by_value
      - .address_space:  global
        .offset:         40
        .size:           8
        .value_kind:     global_buffer
      - .offset:         48
        .size:           4
        .value_kind:     hidden_block_count_x
      - .offset:         52
        .size:           4
        .value_kind:     hidden_block_count_y
      - .offset:         56
        .size:           4
        .value_kind:     hidden_block_count_z
      - .offset:         60
        .size:           2
        .value_kind:     hidden_group_size_x
      - .offset:         62
        .size:           2
        .value_kind:     hidden_group_size_y
      - .offset:         64
        .size:           2
        .value_kind:     hidden_group_size_z
      - .offset:         66
        .size:           2
        .value_kind:     hidden_remainder_x
      - .offset:         68
        .size:           2
        .value_kind:     hidden_remainder_y
      - .offset:         70
        .size:           2
        .value_kind:     hidden_remainder_z
      - .offset:         88
        .size:           8
        .value_kind:     hidden_global_offset_x
      - .offset:         96
        .size:           8
        .value_kind:     hidden_global_offset_y
      - .offset:         104
        .size:           8
        .value_kind:     hidden_global_offset_z
      - .offset:         112
        .size:           2
        .value_kind:     hidden_grid_dims
    .group_segment_fixed_size: 0
    .kernarg_segment_align: 8
    .kernarg_segment_size: 304
    .language:       OpenCL C
    .language_version:
      - 2
      - 0
    .max_flat_workgroup_size: 1024
    .name:           _ZN12_GLOBAL__N_121softmax_warp_backwardIfN3c104HalfEfLi4ELb1ELb0ELi64EEEvPT0_PKT_S7_iiiPKb
    .private_segment_fixed_size: 0
    .sgpr_count:     14
    .sgpr_spill_count: 0
    .symbol:         _ZN12_GLOBAL__N_121softmax_warp_backwardIfN3c104HalfEfLi4ELb1ELb0ELi64EEEvPT0_PKT_S7_iiiPKb.kd
    .uniform_work_group_size: 1
    .uses_dynamic_stack: false
    .vgpr_count:     14
    .vgpr_spill_count: 0
    .wavefront_size: 32
    .workgroup_processor_mode: 1
  - .args:
      - .address_space:  global
        .offset:         0
        .size:           8
        .value_kind:     global_buffer
      - .address_space:  global
        .offset:         8
        .size:           8
        .value_kind:     global_buffer
      - .address_space:  global
        .offset:         16
        .size:           8
        .value_kind:     global_buffer
      - .offset:         24
        .size:           4
        .value_kind:     by_value
      - .offset:         28
        .size:           4
        .value_kind:     by_value
      - .offset:         32
        .size:           4
        .value_kind:     by_value
      - .address_space:  global
        .offset:         40
        .size:           8
        .value_kind:     global_buffer
      - .offset:         48
        .size:           4
        .value_kind:     hidden_block_count_x
      - .offset:         52
        .size:           4
        .value_kind:     hidden_block_count_y
      - .offset:         56
        .size:           4
        .value_kind:     hidden_block_count_z
      - .offset:         60
        .size:           2
        .value_kind:     hidden_group_size_x
      - .offset:         62
        .size:           2
        .value_kind:     hidden_group_size_y
      - .offset:         64
        .size:           2
        .value_kind:     hidden_group_size_z
      - .offset:         66
        .size:           2
        .value_kind:     hidden_remainder_x
      - .offset:         68
        .size:           2
        .value_kind:     hidden_remainder_y
      - .offset:         70
        .size:           2
        .value_kind:     hidden_remainder_z
      - .offset:         88
        .size:           8
        .value_kind:     hidden_global_offset_x
      - .offset:         96
        .size:           8
        .value_kind:     hidden_global_offset_y
      - .offset:         104
        .size:           8
        .value_kind:     hidden_global_offset_z
      - .offset:         112
        .size:           2
        .value_kind:     hidden_grid_dims
    .group_segment_fixed_size: 0
    .kernarg_segment_align: 8
    .kernarg_segment_size: 304
    .language:       OpenCL C
    .language_version:
      - 2
      - 0
    .max_flat_workgroup_size: 1024
    .name:           _ZN12_GLOBAL__N_121softmax_warp_backwardIfN3c104HalfEfLi4ELb1ELb0ELi32EEEvPT0_PKT_S7_iiiPKb
    .private_segment_fixed_size: 0
    .sgpr_count:     14
    .sgpr_spill_count: 0
    .symbol:         _ZN12_GLOBAL__N_121softmax_warp_backwardIfN3c104HalfEfLi4ELb1ELb0ELi32EEEvPT0_PKT_S7_iiiPKb.kd
    .uniform_work_group_size: 1
    .uses_dynamic_stack: false
    .vgpr_count:     14
    .vgpr_spill_count: 0
    .wavefront_size: 32
    .workgroup_processor_mode: 1
  - .args:
      - .address_space:  global
        .offset:         0
        .size:           8
        .value_kind:     global_buffer
      - .address_space:  global
        .offset:         8
        .size:           8
        .value_kind:     global_buffer
      - .address_space:  global
        .offset:         16
        .size:           8
        .value_kind:     global_buffer
      - .offset:         24
        .size:           4
        .value_kind:     by_value
      - .offset:         28
        .size:           4
        .value_kind:     by_value
      - .offset:         32
        .size:           4
        .value_kind:     by_value
      - .address_space:  global
        .offset:         40
        .size:           8
        .value_kind:     global_buffer
      - .offset:         48
        .size:           4
        .value_kind:     hidden_block_count_x
      - .offset:         52
        .size:           4
        .value_kind:     hidden_block_count_y
      - .offset:         56
        .size:           4
        .value_kind:     hidden_block_count_z
      - .offset:         60
        .size:           2
        .value_kind:     hidden_group_size_x
      - .offset:         62
        .size:           2
        .value_kind:     hidden_group_size_y
      - .offset:         64
        .size:           2
        .value_kind:     hidden_group_size_z
      - .offset:         66
        .size:           2
        .value_kind:     hidden_remainder_x
      - .offset:         68
        .size:           2
        .value_kind:     hidden_remainder_y
      - .offset:         70
        .size:           2
        .value_kind:     hidden_remainder_z
      - .offset:         88
        .size:           8
        .value_kind:     hidden_global_offset_x
      - .offset:         96
        .size:           8
        .value_kind:     hidden_global_offset_y
      - .offset:         104
        .size:           8
        .value_kind:     hidden_global_offset_z
      - .offset:         112
        .size:           2
        .value_kind:     hidden_grid_dims
    .group_segment_fixed_size: 0
    .kernarg_segment_align: 8
    .kernarg_segment_size: 304
    .language:       OpenCL C
    .language_version:
      - 2
      - 0
    .max_flat_workgroup_size: 1024
    .name:           _ZN12_GLOBAL__N_121softmax_warp_backwardIfN3c104HalfEfLi5ELb1ELb0ELi64EEEvPT0_PKT_S7_iiiPKb
    .private_segment_fixed_size: 0
    .sgpr_count:     14
    .sgpr_spill_count: 0
    .symbol:         _ZN12_GLOBAL__N_121softmax_warp_backwardIfN3c104HalfEfLi5ELb1ELb0ELi64EEEvPT0_PKT_S7_iiiPKb.kd
    .uniform_work_group_size: 1
    .uses_dynamic_stack: false
    .vgpr_count:     14
    .vgpr_spill_count: 0
    .wavefront_size: 32
    .workgroup_processor_mode: 1
  - .args:
      - .address_space:  global
        .offset:         0
        .size:           8
        .value_kind:     global_buffer
      - .address_space:  global
        .offset:         8
        .size:           8
        .value_kind:     global_buffer
      - .address_space:  global
        .offset:         16
        .size:           8
        .value_kind:     global_buffer
      - .offset:         24
        .size:           4
        .value_kind:     by_value
      - .offset:         28
        .size:           4
        .value_kind:     by_value
      - .offset:         32
        .size:           4
        .value_kind:     by_value
      - .address_space:  global
        .offset:         40
        .size:           8
        .value_kind:     global_buffer
      - .offset:         48
        .size:           4
        .value_kind:     hidden_block_count_x
      - .offset:         52
        .size:           4
        .value_kind:     hidden_block_count_y
      - .offset:         56
        .size:           4
        .value_kind:     hidden_block_count_z
      - .offset:         60
        .size:           2
        .value_kind:     hidden_group_size_x
      - .offset:         62
        .size:           2
        .value_kind:     hidden_group_size_y
      - .offset:         64
        .size:           2
        .value_kind:     hidden_group_size_z
      - .offset:         66
        .size:           2
        .value_kind:     hidden_remainder_x
      - .offset:         68
        .size:           2
        .value_kind:     hidden_remainder_y
      - .offset:         70
        .size:           2
        .value_kind:     hidden_remainder_z
      - .offset:         88
        .size:           8
        .value_kind:     hidden_global_offset_x
      - .offset:         96
        .size:           8
        .value_kind:     hidden_global_offset_y
      - .offset:         104
        .size:           8
        .value_kind:     hidden_global_offset_z
      - .offset:         112
        .size:           2
        .value_kind:     hidden_grid_dims
    .group_segment_fixed_size: 0
    .kernarg_segment_align: 8
    .kernarg_segment_size: 304
    .language:       OpenCL C
    .language_version:
      - 2
      - 0
    .max_flat_workgroup_size: 1024
    .name:           _ZN12_GLOBAL__N_121softmax_warp_backwardIfN3c104HalfEfLi5ELb1ELb0ELi32EEEvPT0_PKT_S7_iiiPKb
    .private_segment_fixed_size: 0
    .sgpr_count:     14
    .sgpr_spill_count: 0
    .symbol:         _ZN12_GLOBAL__N_121softmax_warp_backwardIfN3c104HalfEfLi5ELb1ELb0ELi32EEEvPT0_PKT_S7_iiiPKb.kd
    .uniform_work_group_size: 1
    .uses_dynamic_stack: false
    .vgpr_count:     14
    .vgpr_spill_count: 0
    .wavefront_size: 32
    .workgroup_processor_mode: 1
  - .args:
      - .address_space:  global
        .offset:         0
        .size:           8
        .value_kind:     global_buffer
      - .address_space:  global
        .offset:         8
        .size:           8
        .value_kind:     global_buffer
      - .address_space:  global
        .offset:         16
        .size:           8
        .value_kind:     global_buffer
      - .offset:         24
        .size:           4
        .value_kind:     by_value
      - .offset:         28
        .size:           4
        .value_kind:     by_value
      - .offset:         32
        .size:           4
        .value_kind:     by_value
      - .address_space:  global
        .offset:         40
        .size:           8
        .value_kind:     global_buffer
      - .offset:         48
        .size:           4
        .value_kind:     hidden_block_count_x
      - .offset:         52
        .size:           4
        .value_kind:     hidden_block_count_y
      - .offset:         56
        .size:           4
        .value_kind:     hidden_block_count_z
      - .offset:         60
        .size:           2
        .value_kind:     hidden_group_size_x
      - .offset:         62
        .size:           2
        .value_kind:     hidden_group_size_y
      - .offset:         64
        .size:           2
        .value_kind:     hidden_group_size_z
      - .offset:         66
        .size:           2
        .value_kind:     hidden_remainder_x
      - .offset:         68
        .size:           2
        .value_kind:     hidden_remainder_y
      - .offset:         70
        .size:           2
        .value_kind:     hidden_remainder_z
      - .offset:         88
        .size:           8
        .value_kind:     hidden_global_offset_x
      - .offset:         96
        .size:           8
        .value_kind:     hidden_global_offset_y
      - .offset:         104
        .size:           8
        .value_kind:     hidden_global_offset_z
      - .offset:         112
        .size:           2
        .value_kind:     hidden_grid_dims
    .group_segment_fixed_size: 0
    .kernarg_segment_align: 8
    .kernarg_segment_size: 304
    .language:       OpenCL C
    .language_version:
      - 2
      - 0
    .max_flat_workgroup_size: 1024
    .name:           _ZN12_GLOBAL__N_121softmax_warp_backwardIfN3c104HalfEfLi6ELb1ELb0ELi64EEEvPT0_PKT_S7_iiiPKb
    .private_segment_fixed_size: 0
    .sgpr_count:     14
    .sgpr_spill_count: 0
    .symbol:         _ZN12_GLOBAL__N_121softmax_warp_backwardIfN3c104HalfEfLi6ELb1ELb0ELi64EEEvPT0_PKT_S7_iiiPKb.kd
    .uniform_work_group_size: 1
    .uses_dynamic_stack: false
    .vgpr_count:     14
    .vgpr_spill_count: 0
    .wavefront_size: 32
    .workgroup_processor_mode: 1
  - .args:
      - .address_space:  global
        .offset:         0
        .size:           8
        .value_kind:     global_buffer
      - .address_space:  global
        .offset:         8
        .size:           8
        .value_kind:     global_buffer
      - .address_space:  global
        .offset:         16
        .size:           8
        .value_kind:     global_buffer
      - .offset:         24
        .size:           4
        .value_kind:     by_value
      - .offset:         28
        .size:           4
        .value_kind:     by_value
      - .offset:         32
        .size:           4
        .value_kind:     by_value
      - .address_space:  global
        .offset:         40
        .size:           8
        .value_kind:     global_buffer
      - .offset:         48
        .size:           4
        .value_kind:     hidden_block_count_x
      - .offset:         52
        .size:           4
        .value_kind:     hidden_block_count_y
      - .offset:         56
        .size:           4
        .value_kind:     hidden_block_count_z
      - .offset:         60
        .size:           2
        .value_kind:     hidden_group_size_x
      - .offset:         62
        .size:           2
        .value_kind:     hidden_group_size_y
      - .offset:         64
        .size:           2
        .value_kind:     hidden_group_size_z
      - .offset:         66
        .size:           2
        .value_kind:     hidden_remainder_x
      - .offset:         68
        .size:           2
        .value_kind:     hidden_remainder_y
      - .offset:         70
        .size:           2
        .value_kind:     hidden_remainder_z
      - .offset:         88
        .size:           8
        .value_kind:     hidden_global_offset_x
      - .offset:         96
        .size:           8
        .value_kind:     hidden_global_offset_y
      - .offset:         104
        .size:           8
        .value_kind:     hidden_global_offset_z
      - .offset:         112
        .size:           2
        .value_kind:     hidden_grid_dims
    .group_segment_fixed_size: 0
    .kernarg_segment_align: 8
    .kernarg_segment_size: 304
    .language:       OpenCL C
    .language_version:
      - 2
      - 0
    .max_flat_workgroup_size: 1024
    .name:           _ZN12_GLOBAL__N_121softmax_warp_backwardIfN3c104HalfEfLi6ELb1ELb0ELi32EEEvPT0_PKT_S7_iiiPKb
    .private_segment_fixed_size: 0
    .sgpr_count:     18
    .sgpr_spill_count: 0
    .symbol:         _ZN12_GLOBAL__N_121softmax_warp_backwardIfN3c104HalfEfLi6ELb1ELb0ELi32EEEvPT0_PKT_S7_iiiPKb.kd
    .uniform_work_group_size: 1
    .uses_dynamic_stack: false
    .vgpr_count:     18
    .vgpr_spill_count: 0
    .wavefront_size: 32
    .workgroup_processor_mode: 1
  - .args:
      - .address_space:  global
        .offset:         0
        .size:           8
        .value_kind:     global_buffer
      - .address_space:  global
        .offset:         8
        .size:           8
        .value_kind:     global_buffer
      - .address_space:  global
        .offset:         16
        .size:           8
        .value_kind:     global_buffer
      - .offset:         24
        .size:           4
        .value_kind:     by_value
      - .offset:         28
        .size:           4
        .value_kind:     by_value
      - .offset:         32
        .size:           4
        .value_kind:     by_value
      - .address_space:  global
        .offset:         40
        .size:           8
        .value_kind:     global_buffer
      - .offset:         48
        .size:           4
        .value_kind:     hidden_block_count_x
      - .offset:         52
        .size:           4
        .value_kind:     hidden_block_count_y
      - .offset:         56
        .size:           4
        .value_kind:     hidden_block_count_z
      - .offset:         60
        .size:           2
        .value_kind:     hidden_group_size_x
      - .offset:         62
        .size:           2
        .value_kind:     hidden_group_size_y
      - .offset:         64
        .size:           2
        .value_kind:     hidden_group_size_z
      - .offset:         66
        .size:           2
        .value_kind:     hidden_remainder_x
      - .offset:         68
        .size:           2
        .value_kind:     hidden_remainder_y
      - .offset:         70
        .size:           2
        .value_kind:     hidden_remainder_z
      - .offset:         88
        .size:           8
        .value_kind:     hidden_global_offset_x
      - .offset:         96
        .size:           8
        .value_kind:     hidden_global_offset_y
      - .offset:         104
        .size:           8
        .value_kind:     hidden_global_offset_z
      - .offset:         112
        .size:           2
        .value_kind:     hidden_grid_dims
    .group_segment_fixed_size: 0
    .kernarg_segment_align: 8
    .kernarg_segment_size: 304
    .language:       OpenCL C
    .language_version:
      - 2
      - 0
    .max_flat_workgroup_size: 1024
    .name:           _ZN12_GLOBAL__N_121softmax_warp_backwardIfN3c104HalfEfLi7ELb1ELb0ELi64EEEvPT0_PKT_S7_iiiPKb
    .private_segment_fixed_size: 0
    .sgpr_count:     18
    .sgpr_spill_count: 0
    .symbol:         _ZN12_GLOBAL__N_121softmax_warp_backwardIfN3c104HalfEfLi7ELb1ELb0ELi64EEEvPT0_PKT_S7_iiiPKb.kd
    .uniform_work_group_size: 1
    .uses_dynamic_stack: false
    .vgpr_count:     18
    .vgpr_spill_count: 0
    .wavefront_size: 32
    .workgroup_processor_mode: 1
  - .args:
      - .address_space:  global
        .offset:         0
        .size:           8
        .value_kind:     global_buffer
      - .address_space:  global
        .offset:         8
        .size:           8
        .value_kind:     global_buffer
      - .address_space:  global
        .offset:         16
        .size:           8
        .value_kind:     global_buffer
      - .offset:         24
        .size:           4
        .value_kind:     by_value
      - .offset:         28
        .size:           4
        .value_kind:     by_value
      - .offset:         32
        .size:           4
        .value_kind:     by_value
      - .address_space:  global
        .offset:         40
        .size:           8
        .value_kind:     global_buffer
      - .offset:         48
        .size:           4
        .value_kind:     hidden_block_count_x
      - .offset:         52
        .size:           4
        .value_kind:     hidden_block_count_y
      - .offset:         56
        .size:           4
        .value_kind:     hidden_block_count_z
      - .offset:         60
        .size:           2
        .value_kind:     hidden_group_size_x
      - .offset:         62
        .size:           2
        .value_kind:     hidden_group_size_y
      - .offset:         64
        .size:           2
        .value_kind:     hidden_group_size_z
      - .offset:         66
        .size:           2
        .value_kind:     hidden_remainder_x
      - .offset:         68
        .size:           2
        .value_kind:     hidden_remainder_y
      - .offset:         70
        .size:           2
        .value_kind:     hidden_remainder_z
      - .offset:         88
        .size:           8
        .value_kind:     hidden_global_offset_x
      - .offset:         96
        .size:           8
        .value_kind:     hidden_global_offset_y
      - .offset:         104
        .size:           8
        .value_kind:     hidden_global_offset_z
      - .offset:         112
        .size:           2
        .value_kind:     hidden_grid_dims
    .group_segment_fixed_size: 0
    .kernarg_segment_align: 8
    .kernarg_segment_size: 304
    .language:       OpenCL C
    .language_version:
      - 2
      - 0
    .max_flat_workgroup_size: 1024
    .name:           _ZN12_GLOBAL__N_121softmax_warp_backwardIfN3c104HalfEfLi7ELb1ELb0ELi32EEEvPT0_PKT_S7_iiiPKb
    .private_segment_fixed_size: 0
    .sgpr_count:     18
    .sgpr_spill_count: 0
    .symbol:         _ZN12_GLOBAL__N_121softmax_warp_backwardIfN3c104HalfEfLi7ELb1ELb0ELi32EEEvPT0_PKT_S7_iiiPKb.kd
    .uniform_work_group_size: 1
    .uses_dynamic_stack: false
    .vgpr_count:     26
    .vgpr_spill_count: 0
    .wavefront_size: 32
    .workgroup_processor_mode: 1
  - .args:
      - .address_space:  global
        .offset:         0
        .size:           8
        .value_kind:     global_buffer
      - .address_space:  global
        .offset:         8
        .size:           8
        .value_kind:     global_buffer
      - .address_space:  global
        .offset:         16
        .size:           8
        .value_kind:     global_buffer
      - .offset:         24
        .size:           4
        .value_kind:     by_value
      - .offset:         28
        .size:           4
        .value_kind:     by_value
      - .offset:         32
        .size:           4
        .value_kind:     by_value
      - .address_space:  global
        .offset:         40
        .size:           8
        .value_kind:     global_buffer
      - .offset:         48
        .size:           4
        .value_kind:     hidden_block_count_x
      - .offset:         52
        .size:           4
        .value_kind:     hidden_block_count_y
      - .offset:         56
        .size:           4
        .value_kind:     hidden_block_count_z
      - .offset:         60
        .size:           2
        .value_kind:     hidden_group_size_x
      - .offset:         62
        .size:           2
        .value_kind:     hidden_group_size_y
      - .offset:         64
        .size:           2
        .value_kind:     hidden_group_size_z
      - .offset:         66
        .size:           2
        .value_kind:     hidden_remainder_x
      - .offset:         68
        .size:           2
        .value_kind:     hidden_remainder_y
      - .offset:         70
        .size:           2
        .value_kind:     hidden_remainder_z
      - .offset:         88
        .size:           8
        .value_kind:     hidden_global_offset_x
      - .offset:         96
        .size:           8
        .value_kind:     hidden_global_offset_y
      - .offset:         104
        .size:           8
        .value_kind:     hidden_global_offset_z
      - .offset:         112
        .size:           2
        .value_kind:     hidden_grid_dims
    .group_segment_fixed_size: 0
    .kernarg_segment_align: 8
    .kernarg_segment_size: 304
    .language:       OpenCL C
    .language_version:
      - 2
      - 0
    .max_flat_workgroup_size: 1024
    .name:           _ZN12_GLOBAL__N_121softmax_warp_backwardIfN3c104HalfEfLi8ELb1ELb0ELi64EEEvPT0_PKT_S7_iiiPKb
    .private_segment_fixed_size: 0
    .sgpr_count:     18
    .sgpr_spill_count: 0
    .symbol:         _ZN12_GLOBAL__N_121softmax_warp_backwardIfN3c104HalfEfLi8ELb1ELb0ELi64EEEvPT0_PKT_S7_iiiPKb.kd
    .uniform_work_group_size: 1
    .uses_dynamic_stack: false
    .vgpr_count:     18
    .vgpr_spill_count: 0
    .wavefront_size: 32
    .workgroup_processor_mode: 1
  - .args:
      - .address_space:  global
        .offset:         0
        .size:           8
        .value_kind:     global_buffer
      - .address_space:  global
        .offset:         8
        .size:           8
        .value_kind:     global_buffer
      - .address_space:  global
        .offset:         16
        .size:           8
        .value_kind:     global_buffer
      - .offset:         24
        .size:           4
        .value_kind:     by_value
      - .offset:         28
        .size:           4
        .value_kind:     by_value
      - .offset:         32
        .size:           4
        .value_kind:     by_value
      - .address_space:  global
        .offset:         40
        .size:           8
        .value_kind:     global_buffer
      - .offset:         48
        .size:           4
        .value_kind:     hidden_block_count_x
      - .offset:         52
        .size:           4
        .value_kind:     hidden_block_count_y
      - .offset:         56
        .size:           4
        .value_kind:     hidden_block_count_z
      - .offset:         60
        .size:           2
        .value_kind:     hidden_group_size_x
      - .offset:         62
        .size:           2
        .value_kind:     hidden_group_size_y
      - .offset:         64
        .size:           2
        .value_kind:     hidden_group_size_z
      - .offset:         66
        .size:           2
        .value_kind:     hidden_remainder_x
      - .offset:         68
        .size:           2
        .value_kind:     hidden_remainder_y
      - .offset:         70
        .size:           2
        .value_kind:     hidden_remainder_z
      - .offset:         88
        .size:           8
        .value_kind:     hidden_global_offset_x
      - .offset:         96
        .size:           8
        .value_kind:     hidden_global_offset_y
      - .offset:         104
        .size:           8
        .value_kind:     hidden_global_offset_z
      - .offset:         112
        .size:           2
        .value_kind:     hidden_grid_dims
    .group_segment_fixed_size: 0
    .kernarg_segment_align: 8
    .kernarg_segment_size: 304
    .language:       OpenCL C
    .language_version:
      - 2
      - 0
    .max_flat_workgroup_size: 1024
    .name:           _ZN12_GLOBAL__N_121softmax_warp_backwardIfN3c104HalfEfLi8ELb1ELb0ELi32EEEvPT0_PKT_S7_iiiPKb
    .private_segment_fixed_size: 0
    .sgpr_count:     18
    .sgpr_spill_count: 0
    .symbol:         _ZN12_GLOBAL__N_121softmax_warp_backwardIfN3c104HalfEfLi8ELb1ELb0ELi32EEEvPT0_PKT_S7_iiiPKb.kd
    .uniform_work_group_size: 1
    .uses_dynamic_stack: false
    .vgpr_count:     26
    .vgpr_spill_count: 0
    .wavefront_size: 32
    .workgroup_processor_mode: 1
  - .args:
      - .address_space:  global
        .offset:         0
        .size:           8
        .value_kind:     global_buffer
      - .address_space:  global
        .offset:         8
        .size:           8
        .value_kind:     global_buffer
      - .address_space:  global
        .offset:         16
        .size:           8
        .value_kind:     global_buffer
      - .offset:         24
        .size:           4
        .value_kind:     by_value
      - .offset:         28
        .size:           4
        .value_kind:     by_value
      - .offset:         32
        .size:           4
        .value_kind:     by_value
      - .address_space:  global
        .offset:         40
        .size:           8
        .value_kind:     global_buffer
      - .offset:         48
        .size:           4
        .value_kind:     hidden_block_count_x
      - .offset:         52
        .size:           4
        .value_kind:     hidden_block_count_y
      - .offset:         56
        .size:           4
        .value_kind:     hidden_block_count_z
      - .offset:         60
        .size:           2
        .value_kind:     hidden_group_size_x
      - .offset:         62
        .size:           2
        .value_kind:     hidden_group_size_y
      - .offset:         64
        .size:           2
        .value_kind:     hidden_group_size_z
      - .offset:         66
        .size:           2
        .value_kind:     hidden_remainder_x
      - .offset:         68
        .size:           2
        .value_kind:     hidden_remainder_y
      - .offset:         70
        .size:           2
        .value_kind:     hidden_remainder_z
      - .offset:         88
        .size:           8
        .value_kind:     hidden_global_offset_x
      - .offset:         96
        .size:           8
        .value_kind:     hidden_global_offset_y
      - .offset:         104
        .size:           8
        .value_kind:     hidden_global_offset_z
      - .offset:         112
        .size:           2
        .value_kind:     hidden_grid_dims
    .group_segment_fixed_size: 0
    .kernarg_segment_align: 8
    .kernarg_segment_size: 304
    .language:       OpenCL C
    .language_version:
      - 2
      - 0
    .max_flat_workgroup_size: 1024
    .name:           _ZN12_GLOBAL__N_121softmax_warp_backwardIfN3c104HalfEfLi9ELb1ELb0ELi64EEEvPT0_PKT_S7_iiiPKb
    .private_segment_fixed_size: 0
    .sgpr_count:     18
    .sgpr_spill_count: 0
    .symbol:         _ZN12_GLOBAL__N_121softmax_warp_backwardIfN3c104HalfEfLi9ELb1ELb0ELi64EEEvPT0_PKT_S7_iiiPKb.kd
    .uniform_work_group_size: 1
    .uses_dynamic_stack: false
    .vgpr_count:     26
    .vgpr_spill_count: 0
    .wavefront_size: 32
    .workgroup_processor_mode: 1
  - .args:
      - .address_space:  global
        .offset:         0
        .size:           8
        .value_kind:     global_buffer
      - .address_space:  global
        .offset:         8
        .size:           8
        .value_kind:     global_buffer
      - .address_space:  global
        .offset:         16
        .size:           8
        .value_kind:     global_buffer
      - .offset:         24
        .size:           4
        .value_kind:     by_value
      - .offset:         28
        .size:           4
        .value_kind:     by_value
      - .offset:         32
        .size:           4
        .value_kind:     by_value
      - .address_space:  global
        .offset:         40
        .size:           8
        .value_kind:     global_buffer
      - .offset:         48
        .size:           4
        .value_kind:     hidden_block_count_x
      - .offset:         52
        .size:           4
        .value_kind:     hidden_block_count_y
      - .offset:         56
        .size:           4
        .value_kind:     hidden_block_count_z
      - .offset:         60
        .size:           2
        .value_kind:     hidden_group_size_x
      - .offset:         62
        .size:           2
        .value_kind:     hidden_group_size_y
      - .offset:         64
        .size:           2
        .value_kind:     hidden_group_size_z
      - .offset:         66
        .size:           2
        .value_kind:     hidden_remainder_x
      - .offset:         68
        .size:           2
        .value_kind:     hidden_remainder_y
      - .offset:         70
        .size:           2
        .value_kind:     hidden_remainder_z
      - .offset:         88
        .size:           8
        .value_kind:     hidden_global_offset_x
      - .offset:         96
        .size:           8
        .value_kind:     hidden_global_offset_y
      - .offset:         104
        .size:           8
        .value_kind:     hidden_global_offset_z
      - .offset:         112
        .size:           2
        .value_kind:     hidden_grid_dims
    .group_segment_fixed_size: 0
    .kernarg_segment_align: 8
    .kernarg_segment_size: 304
    .language:       OpenCL C
    .language_version:
      - 2
      - 0
    .max_flat_workgroup_size: 1024
    .name:           _ZN12_GLOBAL__N_121softmax_warp_backwardIfN3c104HalfEfLi9ELb1ELb0ELi32EEEvPT0_PKT_S7_iiiPKb
    .private_segment_fixed_size: 0
    .sgpr_count:     26
    .sgpr_spill_count: 0
    .symbol:         _ZN12_GLOBAL__N_121softmax_warp_backwardIfN3c104HalfEfLi9ELb1ELb0ELi32EEEvPT0_PKT_S7_iiiPKb.kd
    .uniform_work_group_size: 1
    .uses_dynamic_stack: false
    .vgpr_count:     42
    .vgpr_spill_count: 0
    .wavefront_size: 32
    .workgroup_processor_mode: 1
  - .args:
      - .address_space:  global
        .offset:         0
        .size:           8
        .value_kind:     global_buffer
      - .address_space:  global
        .offset:         8
        .size:           8
        .value_kind:     global_buffer
      - .address_space:  global
        .offset:         16
        .size:           8
        .value_kind:     global_buffer
      - .offset:         24
        .size:           4
        .value_kind:     by_value
      - .offset:         28
        .size:           4
        .value_kind:     by_value
      - .offset:         32
        .size:           4
        .value_kind:     by_value
      - .address_space:  global
        .offset:         40
        .size:           8
        .value_kind:     global_buffer
      - .offset:         48
        .size:           4
        .value_kind:     hidden_block_count_x
      - .offset:         52
        .size:           4
        .value_kind:     hidden_block_count_y
      - .offset:         56
        .size:           4
        .value_kind:     hidden_block_count_z
      - .offset:         60
        .size:           2
        .value_kind:     hidden_group_size_x
      - .offset:         62
        .size:           2
        .value_kind:     hidden_group_size_y
      - .offset:         64
        .size:           2
        .value_kind:     hidden_group_size_z
      - .offset:         66
        .size:           2
        .value_kind:     hidden_remainder_x
      - .offset:         68
        .size:           2
        .value_kind:     hidden_remainder_y
      - .offset:         70
        .size:           2
        .value_kind:     hidden_remainder_z
      - .offset:         88
        .size:           8
        .value_kind:     hidden_global_offset_x
      - .offset:         96
        .size:           8
        .value_kind:     hidden_global_offset_y
      - .offset:         104
        .size:           8
        .value_kind:     hidden_global_offset_z
      - .offset:         112
        .size:           2
        .value_kind:     hidden_grid_dims
    .group_segment_fixed_size: 0
    .kernarg_segment_align: 8
    .kernarg_segment_size: 304
    .language:       OpenCL C
    .language_version:
      - 2
      - 0
    .max_flat_workgroup_size: 1024
    .name:           _ZN12_GLOBAL__N_121softmax_warp_backwardIfN3c104HalfEfLi10ELb1ELb0ELi64EEEvPT0_PKT_S7_iiiPKb
    .private_segment_fixed_size: 0
    .sgpr_count:     26
    .sgpr_spill_count: 0
    .symbol:         _ZN12_GLOBAL__N_121softmax_warp_backwardIfN3c104HalfEfLi10ELb1ELb0ELi64EEEvPT0_PKT_S7_iiiPKb.kd
    .uniform_work_group_size: 1
    .uses_dynamic_stack: false
    .vgpr_count:     42
    .vgpr_spill_count: 0
    .wavefront_size: 32
    .workgroup_processor_mode: 1
  - .args:
      - .address_space:  global
        .offset:         0
        .size:           8
        .value_kind:     global_buffer
      - .address_space:  global
        .offset:         8
        .size:           8
        .value_kind:     global_buffer
      - .address_space:  global
        .offset:         16
        .size:           8
        .value_kind:     global_buffer
      - .offset:         24
        .size:           4
        .value_kind:     by_value
      - .offset:         28
        .size:           4
        .value_kind:     by_value
      - .offset:         32
        .size:           4
        .value_kind:     by_value
      - .address_space:  global
        .offset:         40
        .size:           8
        .value_kind:     global_buffer
      - .offset:         48
        .size:           4
        .value_kind:     hidden_block_count_x
      - .offset:         52
        .size:           4
        .value_kind:     hidden_block_count_y
      - .offset:         56
        .size:           4
        .value_kind:     hidden_block_count_z
      - .offset:         60
        .size:           2
        .value_kind:     hidden_group_size_x
      - .offset:         62
        .size:           2
        .value_kind:     hidden_group_size_y
      - .offset:         64
        .size:           2
        .value_kind:     hidden_group_size_z
      - .offset:         66
        .size:           2
        .value_kind:     hidden_remainder_x
      - .offset:         68
        .size:           2
        .value_kind:     hidden_remainder_y
      - .offset:         70
        .size:           2
        .value_kind:     hidden_remainder_z
      - .offset:         88
        .size:           8
        .value_kind:     hidden_global_offset_x
      - .offset:         96
        .size:           8
        .value_kind:     hidden_global_offset_y
      - .offset:         104
        .size:           8
        .value_kind:     hidden_global_offset_z
      - .offset:         112
        .size:           2
        .value_kind:     hidden_grid_dims
    .group_segment_fixed_size: 0
    .kernarg_segment_align: 8
    .kernarg_segment_size: 304
    .language:       OpenCL C
    .language_version:
      - 2
      - 0
    .max_flat_workgroup_size: 1024
    .name:           _ZN12_GLOBAL__N_121softmax_warp_backwardIfN3c104HalfEfLi10ELb1ELb0ELi32EEEvPT0_PKT_S7_iiiPKb
    .private_segment_fixed_size: 0
    .sgpr_count:     46
    .sgpr_spill_count: 0
    .symbol:         _ZN12_GLOBAL__N_121softmax_warp_backwardIfN3c104HalfEfLi10ELb1ELb0ELi32EEEvPT0_PKT_S7_iiiPKb.kd
    .uniform_work_group_size: 1
    .uses_dynamic_stack: false
    .vgpr_count:     74
    .vgpr_spill_count: 0
    .wavefront_size: 32
    .workgroup_processor_mode: 1
  - .args:
      - .address_space:  global
        .offset:         0
        .size:           8
        .value_kind:     global_buffer
      - .address_space:  global
        .offset:         8
        .size:           8
        .value_kind:     global_buffer
      - .address_space:  global
        .offset:         16
        .size:           8
        .value_kind:     global_buffer
      - .offset:         24
        .size:           8
        .value_kind:     by_value
      - .offset:         32
        .size:           4
        .value_kind:     hidden_block_count_x
      - .offset:         36
        .size:           4
        .value_kind:     hidden_block_count_y
      - .offset:         40
        .size:           4
        .value_kind:     hidden_block_count_z
      - .offset:         44
        .size:           2
        .value_kind:     hidden_group_size_x
      - .offset:         46
        .size:           2
        .value_kind:     hidden_group_size_y
      - .offset:         48
        .size:           2
        .value_kind:     hidden_group_size_z
      - .offset:         50
        .size:           2
        .value_kind:     hidden_remainder_x
      - .offset:         52
        .size:           2
        .value_kind:     hidden_remainder_y
      - .offset:         54
        .size:           2
        .value_kind:     hidden_remainder_z
      - .offset:         72
        .size:           8
        .value_kind:     hidden_global_offset_x
      - .offset:         80
        .size:           8
        .value_kind:     hidden_global_offset_y
      - .offset:         88
        .size:           8
        .value_kind:     hidden_global_offset_z
      - .offset:         96
        .size:           2
        .value_kind:     hidden_grid_dims
      - .offset:         152
        .size:           4
        .value_kind:     hidden_dynamic_lds_size
    .group_segment_fixed_size: 0
    .kernarg_segment_align: 8
    .kernarg_segment_size: 288
    .language:       OpenCL C
    .language_version:
      - 2
      - 0
    .max_flat_workgroup_size: 1024
    .name:           _ZN2at6native12_GLOBAL__N_124cunn_SoftMaxBackwardSmemILi4EN3c104HalfEffNS1_26LogSoftMaxBackwardEpilogueEEEvPT0_PKT2_SA_l
    .private_segment_fixed_size: 0
    .sgpr_count:     20
    .sgpr_spill_count: 0
    .symbol:         _ZN2at6native12_GLOBAL__N_124cunn_SoftMaxBackwardSmemILi4EN3c104HalfEffNS1_26LogSoftMaxBackwardEpilogueEEEvPT0_PKT2_SA_l.kd
    .uniform_work_group_size: 1
    .uses_dynamic_stack: false
    .vgpr_count:     26
    .vgpr_spill_count: 0
    .wavefront_size: 32
    .workgroup_processor_mode: 1
  - .args:
      - .address_space:  global
        .offset:         0
        .size:           8
        .value_kind:     global_buffer
      - .address_space:  global
        .offset:         8
        .size:           8
        .value_kind:     global_buffer
      - .address_space:  global
        .offset:         16
        .size:           8
        .value_kind:     global_buffer
      - .offset:         24
        .size:           8
        .value_kind:     by_value
      - .offset:         32
        .size:           4
        .value_kind:     hidden_block_count_x
      - .offset:         36
        .size:           4
        .value_kind:     hidden_block_count_y
      - .offset:         40
        .size:           4
        .value_kind:     hidden_block_count_z
      - .offset:         44
        .size:           2
        .value_kind:     hidden_group_size_x
      - .offset:         46
        .size:           2
        .value_kind:     hidden_group_size_y
      - .offset:         48
        .size:           2
        .value_kind:     hidden_group_size_z
      - .offset:         50
        .size:           2
        .value_kind:     hidden_remainder_x
      - .offset:         52
        .size:           2
        .value_kind:     hidden_remainder_y
      - .offset:         54
        .size:           2
        .value_kind:     hidden_remainder_z
      - .offset:         72
        .size:           8
        .value_kind:     hidden_global_offset_x
      - .offset:         80
        .size:           8
        .value_kind:     hidden_global_offset_y
      - .offset:         88
        .size:           8
        .value_kind:     hidden_global_offset_z
      - .offset:         96
        .size:           2
        .value_kind:     hidden_grid_dims
      - .offset:         152
        .size:           4
        .value_kind:     hidden_dynamic_lds_size
    .group_segment_fixed_size: 0
    .kernarg_segment_align: 8
    .kernarg_segment_size: 288
    .language:       OpenCL C
    .language_version:
      - 2
      - 0
    .max_flat_workgroup_size: 1024
    .name:           _ZN2at6native12_GLOBAL__N_120cunn_SoftMaxBackwardILi4EN3c104HalfEffNS1_26LogSoftMaxBackwardEpilogueEEEvPT0_PKT2_SA_l
    .private_segment_fixed_size: 0
    .sgpr_count:     61
    .sgpr_spill_count: 0
    .symbol:         _ZN2at6native12_GLOBAL__N_120cunn_SoftMaxBackwardILi4EN3c104HalfEffNS1_26LogSoftMaxBackwardEpilogueEEEvPT0_PKT2_SA_l.kd
    .uniform_work_group_size: 1
    .uses_dynamic_stack: false
    .vgpr_count:     34
    .vgpr_spill_count: 0
    .wavefront_size: 32
    .workgroup_processor_mode: 1
  - .args:
      - .address_space:  global
        .offset:         0
        .size:           8
        .value_kind:     global_buffer
      - .address_space:  global
        .offset:         8
        .size:           8
        .value_kind:     global_buffer
      - .address_space:  global
        .offset:         16
        .size:           8
        .value_kind:     global_buffer
      - .offset:         24
        .size:           4
        .value_kind:     by_value
      - .offset:         28
        .size:           4
        .value_kind:     by_value
      - .offset:         32
        .size:           4
        .value_kind:     by_value
      - .address_space:  global
        .offset:         40
        .size:           8
        .value_kind:     global_buffer
      - .offset:         48
        .size:           4
        .value_kind:     hidden_block_count_x
      - .offset:         52
        .size:           4
        .value_kind:     hidden_block_count_y
      - .offset:         56
        .size:           4
        .value_kind:     hidden_block_count_z
      - .offset:         60
        .size:           2
        .value_kind:     hidden_group_size_x
      - .offset:         62
        .size:           2
        .value_kind:     hidden_group_size_y
      - .offset:         64
        .size:           2
        .value_kind:     hidden_group_size_z
      - .offset:         66
        .size:           2
        .value_kind:     hidden_remainder_x
      - .offset:         68
        .size:           2
        .value_kind:     hidden_remainder_y
      - .offset:         70
        .size:           2
        .value_kind:     hidden_remainder_z
      - .offset:         88
        .size:           8
        .value_kind:     hidden_global_offset_x
      - .offset:         96
        .size:           8
        .value_kind:     hidden_global_offset_y
      - .offset:         104
        .size:           8
        .value_kind:     hidden_global_offset_z
      - .offset:         112
        .size:           2
        .value_kind:     hidden_grid_dims
    .group_segment_fixed_size: 0
    .kernarg_segment_align: 8
    .kernarg_segment_size: 304
    .language:       OpenCL C
    .language_version:
      - 2
      - 0
    .max_flat_workgroup_size: 1024
    .name:           _ZN12_GLOBAL__N_121softmax_warp_backwardIN3c108BFloat16ES2_fLi0ELb1ELb0ELi64EEEvPT0_PKT_S7_iiiPKb
    .private_segment_fixed_size: 0
    .sgpr_count:     14
    .sgpr_spill_count: 0
    .symbol:         _ZN12_GLOBAL__N_121softmax_warp_backwardIN3c108BFloat16ES2_fLi0ELb1ELb0ELi64EEEvPT0_PKT_S7_iiiPKb.kd
    .uniform_work_group_size: 1
    .uses_dynamic_stack: false
    .vgpr_count:     11
    .vgpr_spill_count: 0
    .wavefront_size: 32
    .workgroup_processor_mode: 1
  - .args:
      - .address_space:  global
        .offset:         0
        .size:           8
        .value_kind:     global_buffer
      - .address_space:  global
        .offset:         8
        .size:           8
        .value_kind:     global_buffer
      - .address_space:  global
        .offset:         16
        .size:           8
        .value_kind:     global_buffer
      - .offset:         24
        .size:           4
        .value_kind:     by_value
      - .offset:         28
        .size:           4
        .value_kind:     by_value
      - .offset:         32
        .size:           4
        .value_kind:     by_value
      - .address_space:  global
        .offset:         40
        .size:           8
        .value_kind:     global_buffer
      - .offset:         48
        .size:           4
        .value_kind:     hidden_block_count_x
      - .offset:         52
        .size:           4
        .value_kind:     hidden_block_count_y
      - .offset:         56
        .size:           4
        .value_kind:     hidden_block_count_z
      - .offset:         60
        .size:           2
        .value_kind:     hidden_group_size_x
      - .offset:         62
        .size:           2
        .value_kind:     hidden_group_size_y
      - .offset:         64
        .size:           2
        .value_kind:     hidden_group_size_z
      - .offset:         66
        .size:           2
        .value_kind:     hidden_remainder_x
      - .offset:         68
        .size:           2
        .value_kind:     hidden_remainder_y
      - .offset:         70
        .size:           2
        .value_kind:     hidden_remainder_z
      - .offset:         88
        .size:           8
        .value_kind:     hidden_global_offset_x
      - .offset:         96
        .size:           8
        .value_kind:     hidden_global_offset_y
      - .offset:         104
        .size:           8
        .value_kind:     hidden_global_offset_z
      - .offset:         112
        .size:           2
        .value_kind:     hidden_grid_dims
    .group_segment_fixed_size: 0
    .kernarg_segment_align: 8
    .kernarg_segment_size: 304
    .language:       OpenCL C
    .language_version:
      - 2
      - 0
    .max_flat_workgroup_size: 1024
    .name:           _ZN12_GLOBAL__N_121softmax_warp_backwardIN3c108BFloat16ES2_fLi0ELb1ELb0ELi32EEEvPT0_PKT_S7_iiiPKb
    .private_segment_fixed_size: 0
    .sgpr_count:     14
    .sgpr_spill_count: 0
    .symbol:         _ZN12_GLOBAL__N_121softmax_warp_backwardIN3c108BFloat16ES2_fLi0ELb1ELb0ELi32EEEvPT0_PKT_S7_iiiPKb.kd
    .uniform_work_group_size: 1
    .uses_dynamic_stack: false
    .vgpr_count:     11
    .vgpr_spill_count: 0
    .wavefront_size: 32
    .workgroup_processor_mode: 1
  - .args:
      - .address_space:  global
        .offset:         0
        .size:           8
        .value_kind:     global_buffer
      - .address_space:  global
        .offset:         8
        .size:           8
        .value_kind:     global_buffer
      - .address_space:  global
        .offset:         16
        .size:           8
        .value_kind:     global_buffer
      - .offset:         24
        .size:           4
        .value_kind:     by_value
      - .offset:         28
        .size:           4
        .value_kind:     by_value
      - .offset:         32
        .size:           4
        .value_kind:     by_value
      - .address_space:  global
        .offset:         40
        .size:           8
        .value_kind:     global_buffer
      - .offset:         48
        .size:           4
        .value_kind:     hidden_block_count_x
      - .offset:         52
        .size:           4
        .value_kind:     hidden_block_count_y
      - .offset:         56
        .size:           4
        .value_kind:     hidden_block_count_z
      - .offset:         60
        .size:           2
        .value_kind:     hidden_group_size_x
      - .offset:         62
        .size:           2
        .value_kind:     hidden_group_size_y
      - .offset:         64
        .size:           2
        .value_kind:     hidden_group_size_z
      - .offset:         66
        .size:           2
        .value_kind:     hidden_remainder_x
      - .offset:         68
        .size:           2
        .value_kind:     hidden_remainder_y
      - .offset:         70
        .size:           2
        .value_kind:     hidden_remainder_z
      - .offset:         88
        .size:           8
        .value_kind:     hidden_global_offset_x
      - .offset:         96
        .size:           8
        .value_kind:     hidden_global_offset_y
      - .offset:         104
        .size:           8
        .value_kind:     hidden_global_offset_z
      - .offset:         112
        .size:           2
        .value_kind:     hidden_grid_dims
    .group_segment_fixed_size: 0
    .kernarg_segment_align: 8
    .kernarg_segment_size: 304
    .language:       OpenCL C
    .language_version:
      - 2
      - 0
    .max_flat_workgroup_size: 1024
    .name:           _ZN12_GLOBAL__N_121softmax_warp_backwardIN3c108BFloat16ES2_fLi1ELb1ELb0ELi64EEEvPT0_PKT_S7_iiiPKb
    .private_segment_fixed_size: 0
    .sgpr_count:     14
    .sgpr_spill_count: 0
    .symbol:         _ZN12_GLOBAL__N_121softmax_warp_backwardIN3c108BFloat16ES2_fLi1ELb1ELb0ELi64EEEvPT0_PKT_S7_iiiPKb.kd
    .uniform_work_group_size: 1
    .uses_dynamic_stack: false
    .vgpr_count:     14
    .vgpr_spill_count: 0
    .wavefront_size: 32
    .workgroup_processor_mode: 1
  - .args:
      - .address_space:  global
        .offset:         0
        .size:           8
        .value_kind:     global_buffer
      - .address_space:  global
        .offset:         8
        .size:           8
        .value_kind:     global_buffer
      - .address_space:  global
        .offset:         16
        .size:           8
        .value_kind:     global_buffer
      - .offset:         24
        .size:           4
        .value_kind:     by_value
      - .offset:         28
        .size:           4
        .value_kind:     by_value
      - .offset:         32
        .size:           4
        .value_kind:     by_value
      - .address_space:  global
        .offset:         40
        .size:           8
        .value_kind:     global_buffer
      - .offset:         48
        .size:           4
        .value_kind:     hidden_block_count_x
      - .offset:         52
        .size:           4
        .value_kind:     hidden_block_count_y
      - .offset:         56
        .size:           4
        .value_kind:     hidden_block_count_z
      - .offset:         60
        .size:           2
        .value_kind:     hidden_group_size_x
      - .offset:         62
        .size:           2
        .value_kind:     hidden_group_size_y
      - .offset:         64
        .size:           2
        .value_kind:     hidden_group_size_z
      - .offset:         66
        .size:           2
        .value_kind:     hidden_remainder_x
      - .offset:         68
        .size:           2
        .value_kind:     hidden_remainder_y
      - .offset:         70
        .size:           2
        .value_kind:     hidden_remainder_z
      - .offset:         88
        .size:           8
        .value_kind:     hidden_global_offset_x
      - .offset:         96
        .size:           8
        .value_kind:     hidden_global_offset_y
      - .offset:         104
        .size:           8
        .value_kind:     hidden_global_offset_z
      - .offset:         112
        .size:           2
        .value_kind:     hidden_grid_dims
    .group_segment_fixed_size: 0
    .kernarg_segment_align: 8
    .kernarg_segment_size: 304
    .language:       OpenCL C
    .language_version:
      - 2
      - 0
    .max_flat_workgroup_size: 1024
    .name:           _ZN12_GLOBAL__N_121softmax_warp_backwardIN3c108BFloat16ES2_fLi1ELb1ELb0ELi32EEEvPT0_PKT_S7_iiiPKb
    .private_segment_fixed_size: 0
    .sgpr_count:     14
    .sgpr_spill_count: 0
    .symbol:         _ZN12_GLOBAL__N_121softmax_warp_backwardIN3c108BFloat16ES2_fLi1ELb1ELb0ELi32EEEvPT0_PKT_S7_iiiPKb.kd
    .uniform_work_group_size: 1
    .uses_dynamic_stack: false
    .vgpr_count:     14
    .vgpr_spill_count: 0
    .wavefront_size: 32
    .workgroup_processor_mode: 1
  - .args:
      - .address_space:  global
        .offset:         0
        .size:           8
        .value_kind:     global_buffer
      - .address_space:  global
        .offset:         8
        .size:           8
        .value_kind:     global_buffer
      - .address_space:  global
        .offset:         16
        .size:           8
        .value_kind:     global_buffer
      - .offset:         24
        .size:           4
        .value_kind:     by_value
      - .offset:         28
        .size:           4
        .value_kind:     by_value
      - .offset:         32
        .size:           4
        .value_kind:     by_value
      - .address_space:  global
        .offset:         40
        .size:           8
        .value_kind:     global_buffer
      - .offset:         48
        .size:           4
        .value_kind:     hidden_block_count_x
      - .offset:         52
        .size:           4
        .value_kind:     hidden_block_count_y
      - .offset:         56
        .size:           4
        .value_kind:     hidden_block_count_z
      - .offset:         60
        .size:           2
        .value_kind:     hidden_group_size_x
      - .offset:         62
        .size:           2
        .value_kind:     hidden_group_size_y
      - .offset:         64
        .size:           2
        .value_kind:     hidden_group_size_z
      - .offset:         66
        .size:           2
        .value_kind:     hidden_remainder_x
      - .offset:         68
        .size:           2
        .value_kind:     hidden_remainder_y
      - .offset:         70
        .size:           2
        .value_kind:     hidden_remainder_z
      - .offset:         88
        .size:           8
        .value_kind:     hidden_global_offset_x
      - .offset:         96
        .size:           8
        .value_kind:     hidden_global_offset_y
      - .offset:         104
        .size:           8
        .value_kind:     hidden_global_offset_z
      - .offset:         112
        .size:           2
        .value_kind:     hidden_grid_dims
    .group_segment_fixed_size: 0
    .kernarg_segment_align: 8
    .kernarg_segment_size: 304
    .language:       OpenCL C
    .language_version:
      - 2
      - 0
    .max_flat_workgroup_size: 1024
    .name:           _ZN12_GLOBAL__N_121softmax_warp_backwardIN3c108BFloat16ES2_fLi2ELb1ELb0ELi64EEEvPT0_PKT_S7_iiiPKb
    .private_segment_fixed_size: 0
    .sgpr_count:     14
    .sgpr_spill_count: 0
    .symbol:         _ZN12_GLOBAL__N_121softmax_warp_backwardIN3c108BFloat16ES2_fLi2ELb1ELb0ELi64EEEvPT0_PKT_S7_iiiPKb.kd
    .uniform_work_group_size: 1
    .uses_dynamic_stack: false
    .vgpr_count:     14
    .vgpr_spill_count: 0
    .wavefront_size: 32
    .workgroup_processor_mode: 1
  - .args:
      - .address_space:  global
        .offset:         0
        .size:           8
        .value_kind:     global_buffer
      - .address_space:  global
        .offset:         8
        .size:           8
        .value_kind:     global_buffer
      - .address_space:  global
        .offset:         16
        .size:           8
        .value_kind:     global_buffer
      - .offset:         24
        .size:           4
        .value_kind:     by_value
      - .offset:         28
        .size:           4
        .value_kind:     by_value
      - .offset:         32
        .size:           4
        .value_kind:     by_value
      - .address_space:  global
        .offset:         40
        .size:           8
        .value_kind:     global_buffer
      - .offset:         48
        .size:           4
        .value_kind:     hidden_block_count_x
      - .offset:         52
        .size:           4
        .value_kind:     hidden_block_count_y
      - .offset:         56
        .size:           4
        .value_kind:     hidden_block_count_z
      - .offset:         60
        .size:           2
        .value_kind:     hidden_group_size_x
      - .offset:         62
        .size:           2
        .value_kind:     hidden_group_size_y
      - .offset:         64
        .size:           2
        .value_kind:     hidden_group_size_z
      - .offset:         66
        .size:           2
        .value_kind:     hidden_remainder_x
      - .offset:         68
        .size:           2
        .value_kind:     hidden_remainder_y
      - .offset:         70
        .size:           2
        .value_kind:     hidden_remainder_z
      - .offset:         88
        .size:           8
        .value_kind:     hidden_global_offset_x
      - .offset:         96
        .size:           8
        .value_kind:     hidden_global_offset_y
      - .offset:         104
        .size:           8
        .value_kind:     hidden_global_offset_z
      - .offset:         112
        .size:           2
        .value_kind:     hidden_grid_dims
    .group_segment_fixed_size: 0
    .kernarg_segment_align: 8
    .kernarg_segment_size: 304
    .language:       OpenCL C
    .language_version:
      - 2
      - 0
    .max_flat_workgroup_size: 1024
    .name:           _ZN12_GLOBAL__N_121softmax_warp_backwardIN3c108BFloat16ES2_fLi2ELb1ELb0ELi32EEEvPT0_PKT_S7_iiiPKb
    .private_segment_fixed_size: 0
    .sgpr_count:     14
    .sgpr_spill_count: 0
    .symbol:         _ZN12_GLOBAL__N_121softmax_warp_backwardIN3c108BFloat16ES2_fLi2ELb1ELb0ELi32EEEvPT0_PKT_S7_iiiPKb.kd
    .uniform_work_group_size: 1
    .uses_dynamic_stack: false
    .vgpr_count:     14
    .vgpr_spill_count: 0
    .wavefront_size: 32
    .workgroup_processor_mode: 1
  - .args:
      - .address_space:  global
        .offset:         0
        .size:           8
        .value_kind:     global_buffer
      - .address_space:  global
        .offset:         8
        .size:           8
        .value_kind:     global_buffer
      - .address_space:  global
        .offset:         16
        .size:           8
        .value_kind:     global_buffer
      - .offset:         24
        .size:           4
        .value_kind:     by_value
      - .offset:         28
        .size:           4
        .value_kind:     by_value
      - .offset:         32
        .size:           4
        .value_kind:     by_value
      - .address_space:  global
        .offset:         40
        .size:           8
        .value_kind:     global_buffer
      - .offset:         48
        .size:           4
        .value_kind:     hidden_block_count_x
      - .offset:         52
        .size:           4
        .value_kind:     hidden_block_count_y
      - .offset:         56
        .size:           4
        .value_kind:     hidden_block_count_z
      - .offset:         60
        .size:           2
        .value_kind:     hidden_group_size_x
      - .offset:         62
        .size:           2
        .value_kind:     hidden_group_size_y
      - .offset:         64
        .size:           2
        .value_kind:     hidden_group_size_z
      - .offset:         66
        .size:           2
        .value_kind:     hidden_remainder_x
      - .offset:         68
        .size:           2
        .value_kind:     hidden_remainder_y
      - .offset:         70
        .size:           2
        .value_kind:     hidden_remainder_z
      - .offset:         88
        .size:           8
        .value_kind:     hidden_global_offset_x
      - .offset:         96
        .size:           8
        .value_kind:     hidden_global_offset_y
      - .offset:         104
        .size:           8
        .value_kind:     hidden_global_offset_z
      - .offset:         112
        .size:           2
        .value_kind:     hidden_grid_dims
    .group_segment_fixed_size: 0
    .kernarg_segment_align: 8
    .kernarg_segment_size: 304
    .language:       OpenCL C
    .language_version:
      - 2
      - 0
    .max_flat_workgroup_size: 1024
    .name:           _ZN12_GLOBAL__N_121softmax_warp_backwardIN3c108BFloat16ES2_fLi3ELb1ELb0ELi64EEEvPT0_PKT_S7_iiiPKb
    .private_segment_fixed_size: 0
    .sgpr_count:     14
    .sgpr_spill_count: 0
    .symbol:         _ZN12_GLOBAL__N_121softmax_warp_backwardIN3c108BFloat16ES2_fLi3ELb1ELb0ELi64EEEvPT0_PKT_S7_iiiPKb.kd
    .uniform_work_group_size: 1
    .uses_dynamic_stack: false
    .vgpr_count:     14
    .vgpr_spill_count: 0
    .wavefront_size: 32
    .workgroup_processor_mode: 1
  - .args:
      - .address_space:  global
        .offset:         0
        .size:           8
        .value_kind:     global_buffer
      - .address_space:  global
        .offset:         8
        .size:           8
        .value_kind:     global_buffer
      - .address_space:  global
        .offset:         16
        .size:           8
        .value_kind:     global_buffer
      - .offset:         24
        .size:           4
        .value_kind:     by_value
      - .offset:         28
        .size:           4
        .value_kind:     by_value
      - .offset:         32
        .size:           4
        .value_kind:     by_value
      - .address_space:  global
        .offset:         40
        .size:           8
        .value_kind:     global_buffer
      - .offset:         48
        .size:           4
        .value_kind:     hidden_block_count_x
      - .offset:         52
        .size:           4
        .value_kind:     hidden_block_count_y
      - .offset:         56
        .size:           4
        .value_kind:     hidden_block_count_z
      - .offset:         60
        .size:           2
        .value_kind:     hidden_group_size_x
      - .offset:         62
        .size:           2
        .value_kind:     hidden_group_size_y
      - .offset:         64
        .size:           2
        .value_kind:     hidden_group_size_z
      - .offset:         66
        .size:           2
        .value_kind:     hidden_remainder_x
      - .offset:         68
        .size:           2
        .value_kind:     hidden_remainder_y
      - .offset:         70
        .size:           2
        .value_kind:     hidden_remainder_z
      - .offset:         88
        .size:           8
        .value_kind:     hidden_global_offset_x
      - .offset:         96
        .size:           8
        .value_kind:     hidden_global_offset_y
      - .offset:         104
        .size:           8
        .value_kind:     hidden_global_offset_z
      - .offset:         112
        .size:           2
        .value_kind:     hidden_grid_dims
    .group_segment_fixed_size: 0
    .kernarg_segment_align: 8
    .kernarg_segment_size: 304
    .language:       OpenCL C
    .language_version:
      - 2
      - 0
    .max_flat_workgroup_size: 1024
    .name:           _ZN12_GLOBAL__N_121softmax_warp_backwardIN3c108BFloat16ES2_fLi3ELb1ELb0ELi32EEEvPT0_PKT_S7_iiiPKb
    .private_segment_fixed_size: 0
    .sgpr_count:     14
    .sgpr_spill_count: 0
    .symbol:         _ZN12_GLOBAL__N_121softmax_warp_backwardIN3c108BFloat16ES2_fLi3ELb1ELb0ELi32EEEvPT0_PKT_S7_iiiPKb.kd
    .uniform_work_group_size: 1
    .uses_dynamic_stack: false
    .vgpr_count:     14
    .vgpr_spill_count: 0
    .wavefront_size: 32
    .workgroup_processor_mode: 1
  - .args:
      - .address_space:  global
        .offset:         0
        .size:           8
        .value_kind:     global_buffer
      - .address_space:  global
        .offset:         8
        .size:           8
        .value_kind:     global_buffer
      - .address_space:  global
        .offset:         16
        .size:           8
        .value_kind:     global_buffer
      - .offset:         24
        .size:           4
        .value_kind:     by_value
      - .offset:         28
        .size:           4
        .value_kind:     by_value
      - .offset:         32
        .size:           4
        .value_kind:     by_value
      - .address_space:  global
        .offset:         40
        .size:           8
        .value_kind:     global_buffer
      - .offset:         48
        .size:           4
        .value_kind:     hidden_block_count_x
      - .offset:         52
        .size:           4
        .value_kind:     hidden_block_count_y
      - .offset:         56
        .size:           4
        .value_kind:     hidden_block_count_z
      - .offset:         60
        .size:           2
        .value_kind:     hidden_group_size_x
      - .offset:         62
        .size:           2
        .value_kind:     hidden_group_size_y
      - .offset:         64
        .size:           2
        .value_kind:     hidden_group_size_z
      - .offset:         66
        .size:           2
        .value_kind:     hidden_remainder_x
      - .offset:         68
        .size:           2
        .value_kind:     hidden_remainder_y
      - .offset:         70
        .size:           2
        .value_kind:     hidden_remainder_z
      - .offset:         88
        .size:           8
        .value_kind:     hidden_global_offset_x
      - .offset:         96
        .size:           8
        .value_kind:     hidden_global_offset_y
      - .offset:         104
        .size:           8
        .value_kind:     hidden_global_offset_z
      - .offset:         112
        .size:           2
        .value_kind:     hidden_grid_dims
    .group_segment_fixed_size: 0
    .kernarg_segment_align: 8
    .kernarg_segment_size: 304
    .language:       OpenCL C
    .language_version:
      - 2
      - 0
    .max_flat_workgroup_size: 1024
    .name:           _ZN12_GLOBAL__N_121softmax_warp_backwardIN3c108BFloat16ES2_fLi4ELb1ELb0ELi64EEEvPT0_PKT_S7_iiiPKb
    .private_segment_fixed_size: 0
    .sgpr_count:     14
    .sgpr_spill_count: 0
    .symbol:         _ZN12_GLOBAL__N_121softmax_warp_backwardIN3c108BFloat16ES2_fLi4ELb1ELb0ELi64EEEvPT0_PKT_S7_iiiPKb.kd
    .uniform_work_group_size: 1
    .uses_dynamic_stack: false
    .vgpr_count:     14
    .vgpr_spill_count: 0
    .wavefront_size: 32
    .workgroup_processor_mode: 1
  - .args:
      - .address_space:  global
        .offset:         0
        .size:           8
        .value_kind:     global_buffer
      - .address_space:  global
        .offset:         8
        .size:           8
        .value_kind:     global_buffer
      - .address_space:  global
        .offset:         16
        .size:           8
        .value_kind:     global_buffer
      - .offset:         24
        .size:           4
        .value_kind:     by_value
      - .offset:         28
        .size:           4
        .value_kind:     by_value
      - .offset:         32
        .size:           4
        .value_kind:     by_value
      - .address_space:  global
        .offset:         40
        .size:           8
        .value_kind:     global_buffer
      - .offset:         48
        .size:           4
        .value_kind:     hidden_block_count_x
      - .offset:         52
        .size:           4
        .value_kind:     hidden_block_count_y
      - .offset:         56
        .size:           4
        .value_kind:     hidden_block_count_z
      - .offset:         60
        .size:           2
        .value_kind:     hidden_group_size_x
      - .offset:         62
        .size:           2
        .value_kind:     hidden_group_size_y
      - .offset:         64
        .size:           2
        .value_kind:     hidden_group_size_z
      - .offset:         66
        .size:           2
        .value_kind:     hidden_remainder_x
      - .offset:         68
        .size:           2
        .value_kind:     hidden_remainder_y
      - .offset:         70
        .size:           2
        .value_kind:     hidden_remainder_z
      - .offset:         88
        .size:           8
        .value_kind:     hidden_global_offset_x
      - .offset:         96
        .size:           8
        .value_kind:     hidden_global_offset_y
      - .offset:         104
        .size:           8
        .value_kind:     hidden_global_offset_z
      - .offset:         112
        .size:           2
        .value_kind:     hidden_grid_dims
    .group_segment_fixed_size: 0
    .kernarg_segment_align: 8
    .kernarg_segment_size: 304
    .language:       OpenCL C
    .language_version:
      - 2
      - 0
    .max_flat_workgroup_size: 1024
    .name:           _ZN12_GLOBAL__N_121softmax_warp_backwardIN3c108BFloat16ES2_fLi4ELb1ELb0ELi32EEEvPT0_PKT_S7_iiiPKb
    .private_segment_fixed_size: 0
    .sgpr_count:     14
    .sgpr_spill_count: 0
    .symbol:         _ZN12_GLOBAL__N_121softmax_warp_backwardIN3c108BFloat16ES2_fLi4ELb1ELb0ELi32EEEvPT0_PKT_S7_iiiPKb.kd
    .uniform_work_group_size: 1
    .uses_dynamic_stack: false
    .vgpr_count:     14
    .vgpr_spill_count: 0
    .wavefront_size: 32
    .workgroup_processor_mode: 1
  - .args:
      - .address_space:  global
        .offset:         0
        .size:           8
        .value_kind:     global_buffer
      - .address_space:  global
        .offset:         8
        .size:           8
        .value_kind:     global_buffer
      - .address_space:  global
        .offset:         16
        .size:           8
        .value_kind:     global_buffer
      - .offset:         24
        .size:           4
        .value_kind:     by_value
      - .offset:         28
        .size:           4
        .value_kind:     by_value
      - .offset:         32
        .size:           4
        .value_kind:     by_value
      - .address_space:  global
        .offset:         40
        .size:           8
        .value_kind:     global_buffer
      - .offset:         48
        .size:           4
        .value_kind:     hidden_block_count_x
      - .offset:         52
        .size:           4
        .value_kind:     hidden_block_count_y
      - .offset:         56
        .size:           4
        .value_kind:     hidden_block_count_z
      - .offset:         60
        .size:           2
        .value_kind:     hidden_group_size_x
      - .offset:         62
        .size:           2
        .value_kind:     hidden_group_size_y
      - .offset:         64
        .size:           2
        .value_kind:     hidden_group_size_z
      - .offset:         66
        .size:           2
        .value_kind:     hidden_remainder_x
      - .offset:         68
        .size:           2
        .value_kind:     hidden_remainder_y
      - .offset:         70
        .size:           2
        .value_kind:     hidden_remainder_z
      - .offset:         88
        .size:           8
        .value_kind:     hidden_global_offset_x
      - .offset:         96
        .size:           8
        .value_kind:     hidden_global_offset_y
      - .offset:         104
        .size:           8
        .value_kind:     hidden_global_offset_z
      - .offset:         112
        .size:           2
        .value_kind:     hidden_grid_dims
    .group_segment_fixed_size: 0
    .kernarg_segment_align: 8
    .kernarg_segment_size: 304
    .language:       OpenCL C
    .language_version:
      - 2
      - 0
    .max_flat_workgroup_size: 1024
    .name:           _ZN12_GLOBAL__N_121softmax_warp_backwardIN3c108BFloat16ES2_fLi5ELb1ELb0ELi64EEEvPT0_PKT_S7_iiiPKb
    .private_segment_fixed_size: 0
    .sgpr_count:     14
    .sgpr_spill_count: 0
    .symbol:         _ZN12_GLOBAL__N_121softmax_warp_backwardIN3c108BFloat16ES2_fLi5ELb1ELb0ELi64EEEvPT0_PKT_S7_iiiPKb.kd
    .uniform_work_group_size: 1
    .uses_dynamic_stack: false
    .vgpr_count:     14
    .vgpr_spill_count: 0
    .wavefront_size: 32
    .workgroup_processor_mode: 1
  - .args:
      - .address_space:  global
        .offset:         0
        .size:           8
        .value_kind:     global_buffer
      - .address_space:  global
        .offset:         8
        .size:           8
        .value_kind:     global_buffer
      - .address_space:  global
        .offset:         16
        .size:           8
        .value_kind:     global_buffer
      - .offset:         24
        .size:           4
        .value_kind:     by_value
      - .offset:         28
        .size:           4
        .value_kind:     by_value
      - .offset:         32
        .size:           4
        .value_kind:     by_value
      - .address_space:  global
        .offset:         40
        .size:           8
        .value_kind:     global_buffer
      - .offset:         48
        .size:           4
        .value_kind:     hidden_block_count_x
      - .offset:         52
        .size:           4
        .value_kind:     hidden_block_count_y
      - .offset:         56
        .size:           4
        .value_kind:     hidden_block_count_z
      - .offset:         60
        .size:           2
        .value_kind:     hidden_group_size_x
      - .offset:         62
        .size:           2
        .value_kind:     hidden_group_size_y
      - .offset:         64
        .size:           2
        .value_kind:     hidden_group_size_z
      - .offset:         66
        .size:           2
        .value_kind:     hidden_remainder_x
      - .offset:         68
        .size:           2
        .value_kind:     hidden_remainder_y
      - .offset:         70
        .size:           2
        .value_kind:     hidden_remainder_z
      - .offset:         88
        .size:           8
        .value_kind:     hidden_global_offset_x
      - .offset:         96
        .size:           8
        .value_kind:     hidden_global_offset_y
      - .offset:         104
        .size:           8
        .value_kind:     hidden_global_offset_z
      - .offset:         112
        .size:           2
        .value_kind:     hidden_grid_dims
    .group_segment_fixed_size: 0
    .kernarg_segment_align: 8
    .kernarg_segment_size: 304
    .language:       OpenCL C
    .language_version:
      - 2
      - 0
    .max_flat_workgroup_size: 1024
    .name:           _ZN12_GLOBAL__N_121softmax_warp_backwardIN3c108BFloat16ES2_fLi5ELb1ELb0ELi32EEEvPT0_PKT_S7_iiiPKb
    .private_segment_fixed_size: 0
    .sgpr_count:     14
    .sgpr_spill_count: 0
    .symbol:         _ZN12_GLOBAL__N_121softmax_warp_backwardIN3c108BFloat16ES2_fLi5ELb1ELb0ELi32EEEvPT0_PKT_S7_iiiPKb.kd
    .uniform_work_group_size: 1
    .uses_dynamic_stack: false
    .vgpr_count:     14
    .vgpr_spill_count: 0
    .wavefront_size: 32
    .workgroup_processor_mode: 1
  - .args:
      - .address_space:  global
        .offset:         0
        .size:           8
        .value_kind:     global_buffer
      - .address_space:  global
        .offset:         8
        .size:           8
        .value_kind:     global_buffer
      - .address_space:  global
        .offset:         16
        .size:           8
        .value_kind:     global_buffer
      - .offset:         24
        .size:           4
        .value_kind:     by_value
      - .offset:         28
        .size:           4
        .value_kind:     by_value
      - .offset:         32
        .size:           4
        .value_kind:     by_value
      - .address_space:  global
        .offset:         40
        .size:           8
        .value_kind:     global_buffer
      - .offset:         48
        .size:           4
        .value_kind:     hidden_block_count_x
      - .offset:         52
        .size:           4
        .value_kind:     hidden_block_count_y
      - .offset:         56
        .size:           4
        .value_kind:     hidden_block_count_z
      - .offset:         60
        .size:           2
        .value_kind:     hidden_group_size_x
      - .offset:         62
        .size:           2
        .value_kind:     hidden_group_size_y
      - .offset:         64
        .size:           2
        .value_kind:     hidden_group_size_z
      - .offset:         66
        .size:           2
        .value_kind:     hidden_remainder_x
      - .offset:         68
        .size:           2
        .value_kind:     hidden_remainder_y
      - .offset:         70
        .size:           2
        .value_kind:     hidden_remainder_z
      - .offset:         88
        .size:           8
        .value_kind:     hidden_global_offset_x
      - .offset:         96
        .size:           8
        .value_kind:     hidden_global_offset_y
      - .offset:         104
        .size:           8
        .value_kind:     hidden_global_offset_z
      - .offset:         112
        .size:           2
        .value_kind:     hidden_grid_dims
    .group_segment_fixed_size: 0
    .kernarg_segment_align: 8
    .kernarg_segment_size: 304
    .language:       OpenCL C
    .language_version:
      - 2
      - 0
    .max_flat_workgroup_size: 1024
    .name:           _ZN12_GLOBAL__N_121softmax_warp_backwardIN3c108BFloat16ES2_fLi6ELb1ELb0ELi64EEEvPT0_PKT_S7_iiiPKb
    .private_segment_fixed_size: 0
    .sgpr_count:     14
    .sgpr_spill_count: 0
    .symbol:         _ZN12_GLOBAL__N_121softmax_warp_backwardIN3c108BFloat16ES2_fLi6ELb1ELb0ELi64EEEvPT0_PKT_S7_iiiPKb.kd
    .uniform_work_group_size: 1
    .uses_dynamic_stack: false
    .vgpr_count:     14
    .vgpr_spill_count: 0
    .wavefront_size: 32
    .workgroup_processor_mode: 1
  - .args:
      - .address_space:  global
        .offset:         0
        .size:           8
        .value_kind:     global_buffer
      - .address_space:  global
        .offset:         8
        .size:           8
        .value_kind:     global_buffer
      - .address_space:  global
        .offset:         16
        .size:           8
        .value_kind:     global_buffer
      - .offset:         24
        .size:           4
        .value_kind:     by_value
      - .offset:         28
        .size:           4
        .value_kind:     by_value
      - .offset:         32
        .size:           4
        .value_kind:     by_value
      - .address_space:  global
        .offset:         40
        .size:           8
        .value_kind:     global_buffer
      - .offset:         48
        .size:           4
        .value_kind:     hidden_block_count_x
      - .offset:         52
        .size:           4
        .value_kind:     hidden_block_count_y
      - .offset:         56
        .size:           4
        .value_kind:     hidden_block_count_z
      - .offset:         60
        .size:           2
        .value_kind:     hidden_group_size_x
      - .offset:         62
        .size:           2
        .value_kind:     hidden_group_size_y
      - .offset:         64
        .size:           2
        .value_kind:     hidden_group_size_z
      - .offset:         66
        .size:           2
        .value_kind:     hidden_remainder_x
      - .offset:         68
        .size:           2
        .value_kind:     hidden_remainder_y
      - .offset:         70
        .size:           2
        .value_kind:     hidden_remainder_z
      - .offset:         88
        .size:           8
        .value_kind:     hidden_global_offset_x
      - .offset:         96
        .size:           8
        .value_kind:     hidden_global_offset_y
      - .offset:         104
        .size:           8
        .value_kind:     hidden_global_offset_z
      - .offset:         112
        .size:           2
        .value_kind:     hidden_grid_dims
    .group_segment_fixed_size: 0
    .kernarg_segment_align: 8
    .kernarg_segment_size: 304
    .language:       OpenCL C
    .language_version:
      - 2
      - 0
    .max_flat_workgroup_size: 1024
    .name:           _ZN12_GLOBAL__N_121softmax_warp_backwardIN3c108BFloat16ES2_fLi6ELb1ELb0ELi32EEEvPT0_PKT_S7_iiiPKb
    .private_segment_fixed_size: 0
    .sgpr_count:     18
    .sgpr_spill_count: 0
    .symbol:         _ZN12_GLOBAL__N_121softmax_warp_backwardIN3c108BFloat16ES2_fLi6ELb1ELb0ELi32EEEvPT0_PKT_S7_iiiPKb.kd
    .uniform_work_group_size: 1
    .uses_dynamic_stack: false
    .vgpr_count:     18
    .vgpr_spill_count: 0
    .wavefront_size: 32
    .workgroup_processor_mode: 1
  - .args:
      - .address_space:  global
        .offset:         0
        .size:           8
        .value_kind:     global_buffer
      - .address_space:  global
        .offset:         8
        .size:           8
        .value_kind:     global_buffer
      - .address_space:  global
        .offset:         16
        .size:           8
        .value_kind:     global_buffer
      - .offset:         24
        .size:           4
        .value_kind:     by_value
      - .offset:         28
        .size:           4
        .value_kind:     by_value
      - .offset:         32
        .size:           4
        .value_kind:     by_value
      - .address_space:  global
        .offset:         40
        .size:           8
        .value_kind:     global_buffer
      - .offset:         48
        .size:           4
        .value_kind:     hidden_block_count_x
      - .offset:         52
        .size:           4
        .value_kind:     hidden_block_count_y
      - .offset:         56
        .size:           4
        .value_kind:     hidden_block_count_z
      - .offset:         60
        .size:           2
        .value_kind:     hidden_group_size_x
      - .offset:         62
        .size:           2
        .value_kind:     hidden_group_size_y
      - .offset:         64
        .size:           2
        .value_kind:     hidden_group_size_z
      - .offset:         66
        .size:           2
        .value_kind:     hidden_remainder_x
      - .offset:         68
        .size:           2
        .value_kind:     hidden_remainder_y
      - .offset:         70
        .size:           2
        .value_kind:     hidden_remainder_z
      - .offset:         88
        .size:           8
        .value_kind:     hidden_global_offset_x
      - .offset:         96
        .size:           8
        .value_kind:     hidden_global_offset_y
      - .offset:         104
        .size:           8
        .value_kind:     hidden_global_offset_z
      - .offset:         112
        .size:           2
        .value_kind:     hidden_grid_dims
    .group_segment_fixed_size: 0
    .kernarg_segment_align: 8
    .kernarg_segment_size: 304
    .language:       OpenCL C
    .language_version:
      - 2
      - 0
    .max_flat_workgroup_size: 1024
    .name:           _ZN12_GLOBAL__N_121softmax_warp_backwardIN3c108BFloat16ES2_fLi7ELb1ELb0ELi64EEEvPT0_PKT_S7_iiiPKb
    .private_segment_fixed_size: 0
    .sgpr_count:     18
    .sgpr_spill_count: 0
    .symbol:         _ZN12_GLOBAL__N_121softmax_warp_backwardIN3c108BFloat16ES2_fLi7ELb1ELb0ELi64EEEvPT0_PKT_S7_iiiPKb.kd
    .uniform_work_group_size: 1
    .uses_dynamic_stack: false
    .vgpr_count:     18
    .vgpr_spill_count: 0
    .wavefront_size: 32
    .workgroup_processor_mode: 1
  - .args:
      - .address_space:  global
        .offset:         0
        .size:           8
        .value_kind:     global_buffer
      - .address_space:  global
        .offset:         8
        .size:           8
        .value_kind:     global_buffer
      - .address_space:  global
        .offset:         16
        .size:           8
        .value_kind:     global_buffer
      - .offset:         24
        .size:           4
        .value_kind:     by_value
      - .offset:         28
        .size:           4
        .value_kind:     by_value
      - .offset:         32
        .size:           4
        .value_kind:     by_value
      - .address_space:  global
        .offset:         40
        .size:           8
        .value_kind:     global_buffer
      - .offset:         48
        .size:           4
        .value_kind:     hidden_block_count_x
      - .offset:         52
        .size:           4
        .value_kind:     hidden_block_count_y
      - .offset:         56
        .size:           4
        .value_kind:     hidden_block_count_z
      - .offset:         60
        .size:           2
        .value_kind:     hidden_group_size_x
      - .offset:         62
        .size:           2
        .value_kind:     hidden_group_size_y
      - .offset:         64
        .size:           2
        .value_kind:     hidden_group_size_z
      - .offset:         66
        .size:           2
        .value_kind:     hidden_remainder_x
      - .offset:         68
        .size:           2
        .value_kind:     hidden_remainder_y
      - .offset:         70
        .size:           2
        .value_kind:     hidden_remainder_z
      - .offset:         88
        .size:           8
        .value_kind:     hidden_global_offset_x
      - .offset:         96
        .size:           8
        .value_kind:     hidden_global_offset_y
      - .offset:         104
        .size:           8
        .value_kind:     hidden_global_offset_z
      - .offset:         112
        .size:           2
        .value_kind:     hidden_grid_dims
    .group_segment_fixed_size: 0
    .kernarg_segment_align: 8
    .kernarg_segment_size: 304
    .language:       OpenCL C
    .language_version:
      - 2
      - 0
    .max_flat_workgroup_size: 1024
    .name:           _ZN12_GLOBAL__N_121softmax_warp_backwardIN3c108BFloat16ES2_fLi7ELb1ELb0ELi32EEEvPT0_PKT_S7_iiiPKb
    .private_segment_fixed_size: 0
    .sgpr_count:     18
    .sgpr_spill_count: 0
    .symbol:         _ZN12_GLOBAL__N_121softmax_warp_backwardIN3c108BFloat16ES2_fLi7ELb1ELb0ELi32EEEvPT0_PKT_S7_iiiPKb.kd
    .uniform_work_group_size: 1
    .uses_dynamic_stack: false
    .vgpr_count:     26
    .vgpr_spill_count: 0
    .wavefront_size: 32
    .workgroup_processor_mode: 1
  - .args:
      - .address_space:  global
        .offset:         0
        .size:           8
        .value_kind:     global_buffer
      - .address_space:  global
        .offset:         8
        .size:           8
        .value_kind:     global_buffer
      - .address_space:  global
        .offset:         16
        .size:           8
        .value_kind:     global_buffer
      - .offset:         24
        .size:           4
        .value_kind:     by_value
      - .offset:         28
        .size:           4
        .value_kind:     by_value
      - .offset:         32
        .size:           4
        .value_kind:     by_value
      - .address_space:  global
        .offset:         40
        .size:           8
        .value_kind:     global_buffer
      - .offset:         48
        .size:           4
        .value_kind:     hidden_block_count_x
      - .offset:         52
        .size:           4
        .value_kind:     hidden_block_count_y
      - .offset:         56
        .size:           4
        .value_kind:     hidden_block_count_z
      - .offset:         60
        .size:           2
        .value_kind:     hidden_group_size_x
      - .offset:         62
        .size:           2
        .value_kind:     hidden_group_size_y
      - .offset:         64
        .size:           2
        .value_kind:     hidden_group_size_z
      - .offset:         66
        .size:           2
        .value_kind:     hidden_remainder_x
      - .offset:         68
        .size:           2
        .value_kind:     hidden_remainder_y
      - .offset:         70
        .size:           2
        .value_kind:     hidden_remainder_z
      - .offset:         88
        .size:           8
        .value_kind:     hidden_global_offset_x
      - .offset:         96
        .size:           8
        .value_kind:     hidden_global_offset_y
      - .offset:         104
        .size:           8
        .value_kind:     hidden_global_offset_z
      - .offset:         112
        .size:           2
        .value_kind:     hidden_grid_dims
    .group_segment_fixed_size: 0
    .kernarg_segment_align: 8
    .kernarg_segment_size: 304
    .language:       OpenCL C
    .language_version:
      - 2
      - 0
    .max_flat_workgroup_size: 1024
    .name:           _ZN12_GLOBAL__N_121softmax_warp_backwardIN3c108BFloat16ES2_fLi8ELb1ELb0ELi64EEEvPT0_PKT_S7_iiiPKb
    .private_segment_fixed_size: 0
    .sgpr_count:     18
    .sgpr_spill_count: 0
    .symbol:         _ZN12_GLOBAL__N_121softmax_warp_backwardIN3c108BFloat16ES2_fLi8ELb1ELb0ELi64EEEvPT0_PKT_S7_iiiPKb.kd
    .uniform_work_group_size: 1
    .uses_dynamic_stack: false
    .vgpr_count:     18
    .vgpr_spill_count: 0
    .wavefront_size: 32
    .workgroup_processor_mode: 1
  - .args:
      - .address_space:  global
        .offset:         0
        .size:           8
        .value_kind:     global_buffer
      - .address_space:  global
        .offset:         8
        .size:           8
        .value_kind:     global_buffer
      - .address_space:  global
        .offset:         16
        .size:           8
        .value_kind:     global_buffer
      - .offset:         24
        .size:           4
        .value_kind:     by_value
      - .offset:         28
        .size:           4
        .value_kind:     by_value
      - .offset:         32
        .size:           4
        .value_kind:     by_value
      - .address_space:  global
        .offset:         40
        .size:           8
        .value_kind:     global_buffer
      - .offset:         48
        .size:           4
        .value_kind:     hidden_block_count_x
      - .offset:         52
        .size:           4
        .value_kind:     hidden_block_count_y
      - .offset:         56
        .size:           4
        .value_kind:     hidden_block_count_z
      - .offset:         60
        .size:           2
        .value_kind:     hidden_group_size_x
      - .offset:         62
        .size:           2
        .value_kind:     hidden_group_size_y
      - .offset:         64
        .size:           2
        .value_kind:     hidden_group_size_z
      - .offset:         66
        .size:           2
        .value_kind:     hidden_remainder_x
      - .offset:         68
        .size:           2
        .value_kind:     hidden_remainder_y
      - .offset:         70
        .size:           2
        .value_kind:     hidden_remainder_z
      - .offset:         88
        .size:           8
        .value_kind:     hidden_global_offset_x
      - .offset:         96
        .size:           8
        .value_kind:     hidden_global_offset_y
      - .offset:         104
        .size:           8
        .value_kind:     hidden_global_offset_z
      - .offset:         112
        .size:           2
        .value_kind:     hidden_grid_dims
    .group_segment_fixed_size: 0
    .kernarg_segment_align: 8
    .kernarg_segment_size: 304
    .language:       OpenCL C
    .language_version:
      - 2
      - 0
    .max_flat_workgroup_size: 1024
    .name:           _ZN12_GLOBAL__N_121softmax_warp_backwardIN3c108BFloat16ES2_fLi8ELb1ELb0ELi32EEEvPT0_PKT_S7_iiiPKb
    .private_segment_fixed_size: 0
    .sgpr_count:     18
    .sgpr_spill_count: 0
    .symbol:         _ZN12_GLOBAL__N_121softmax_warp_backwardIN3c108BFloat16ES2_fLi8ELb1ELb0ELi32EEEvPT0_PKT_S7_iiiPKb.kd
    .uniform_work_group_size: 1
    .uses_dynamic_stack: false
    .vgpr_count:     26
    .vgpr_spill_count: 0
    .wavefront_size: 32
    .workgroup_processor_mode: 1
  - .args:
      - .address_space:  global
        .offset:         0
        .size:           8
        .value_kind:     global_buffer
      - .address_space:  global
        .offset:         8
        .size:           8
        .value_kind:     global_buffer
      - .address_space:  global
        .offset:         16
        .size:           8
        .value_kind:     global_buffer
      - .offset:         24
        .size:           4
        .value_kind:     by_value
      - .offset:         28
        .size:           4
        .value_kind:     by_value
      - .offset:         32
        .size:           4
        .value_kind:     by_value
      - .address_space:  global
        .offset:         40
        .size:           8
        .value_kind:     global_buffer
      - .offset:         48
        .size:           4
        .value_kind:     hidden_block_count_x
      - .offset:         52
        .size:           4
        .value_kind:     hidden_block_count_y
      - .offset:         56
        .size:           4
        .value_kind:     hidden_block_count_z
      - .offset:         60
        .size:           2
        .value_kind:     hidden_group_size_x
      - .offset:         62
        .size:           2
        .value_kind:     hidden_group_size_y
      - .offset:         64
        .size:           2
        .value_kind:     hidden_group_size_z
      - .offset:         66
        .size:           2
        .value_kind:     hidden_remainder_x
      - .offset:         68
        .size:           2
        .value_kind:     hidden_remainder_y
      - .offset:         70
        .size:           2
        .value_kind:     hidden_remainder_z
      - .offset:         88
        .size:           8
        .value_kind:     hidden_global_offset_x
      - .offset:         96
        .size:           8
        .value_kind:     hidden_global_offset_y
      - .offset:         104
        .size:           8
        .value_kind:     hidden_global_offset_z
      - .offset:         112
        .size:           2
        .value_kind:     hidden_grid_dims
    .group_segment_fixed_size: 0
    .kernarg_segment_align: 8
    .kernarg_segment_size: 304
    .language:       OpenCL C
    .language_version:
      - 2
      - 0
    .max_flat_workgroup_size: 1024
    .name:           _ZN12_GLOBAL__N_121softmax_warp_backwardIN3c108BFloat16ES2_fLi9ELb1ELb0ELi64EEEvPT0_PKT_S7_iiiPKb
    .private_segment_fixed_size: 0
    .sgpr_count:     18
    .sgpr_spill_count: 0
    .symbol:         _ZN12_GLOBAL__N_121softmax_warp_backwardIN3c108BFloat16ES2_fLi9ELb1ELb0ELi64EEEvPT0_PKT_S7_iiiPKb.kd
    .uniform_work_group_size: 1
    .uses_dynamic_stack: false
    .vgpr_count:     26
    .vgpr_spill_count: 0
    .wavefront_size: 32
    .workgroup_processor_mode: 1
  - .args:
      - .address_space:  global
        .offset:         0
        .size:           8
        .value_kind:     global_buffer
      - .address_space:  global
        .offset:         8
        .size:           8
        .value_kind:     global_buffer
      - .address_space:  global
        .offset:         16
        .size:           8
        .value_kind:     global_buffer
      - .offset:         24
        .size:           4
        .value_kind:     by_value
      - .offset:         28
        .size:           4
        .value_kind:     by_value
      - .offset:         32
        .size:           4
        .value_kind:     by_value
      - .address_space:  global
        .offset:         40
        .size:           8
        .value_kind:     global_buffer
      - .offset:         48
        .size:           4
        .value_kind:     hidden_block_count_x
      - .offset:         52
        .size:           4
        .value_kind:     hidden_block_count_y
      - .offset:         56
        .size:           4
        .value_kind:     hidden_block_count_z
      - .offset:         60
        .size:           2
        .value_kind:     hidden_group_size_x
      - .offset:         62
        .size:           2
        .value_kind:     hidden_group_size_y
      - .offset:         64
        .size:           2
        .value_kind:     hidden_group_size_z
      - .offset:         66
        .size:           2
        .value_kind:     hidden_remainder_x
      - .offset:         68
        .size:           2
        .value_kind:     hidden_remainder_y
      - .offset:         70
        .size:           2
        .value_kind:     hidden_remainder_z
      - .offset:         88
        .size:           8
        .value_kind:     hidden_global_offset_x
      - .offset:         96
        .size:           8
        .value_kind:     hidden_global_offset_y
      - .offset:         104
        .size:           8
        .value_kind:     hidden_global_offset_z
      - .offset:         112
        .size:           2
        .value_kind:     hidden_grid_dims
    .group_segment_fixed_size: 0
    .kernarg_segment_align: 8
    .kernarg_segment_size: 304
    .language:       OpenCL C
    .language_version:
      - 2
      - 0
    .max_flat_workgroup_size: 1024
    .name:           _ZN12_GLOBAL__N_121softmax_warp_backwardIN3c108BFloat16ES2_fLi9ELb1ELb0ELi32EEEvPT0_PKT_S7_iiiPKb
    .private_segment_fixed_size: 0
    .sgpr_count:     26
    .sgpr_spill_count: 0
    .symbol:         _ZN12_GLOBAL__N_121softmax_warp_backwardIN3c108BFloat16ES2_fLi9ELb1ELb0ELi32EEEvPT0_PKT_S7_iiiPKb.kd
    .uniform_work_group_size: 1
    .uses_dynamic_stack: false
    .vgpr_count:     42
    .vgpr_spill_count: 0
    .wavefront_size: 32
    .workgroup_processor_mode: 1
  - .args:
      - .address_space:  global
        .offset:         0
        .size:           8
        .value_kind:     global_buffer
      - .address_space:  global
        .offset:         8
        .size:           8
        .value_kind:     global_buffer
      - .address_space:  global
        .offset:         16
        .size:           8
        .value_kind:     global_buffer
      - .offset:         24
        .size:           4
        .value_kind:     by_value
      - .offset:         28
        .size:           4
        .value_kind:     by_value
      - .offset:         32
        .size:           4
        .value_kind:     by_value
      - .address_space:  global
        .offset:         40
        .size:           8
        .value_kind:     global_buffer
      - .offset:         48
        .size:           4
        .value_kind:     hidden_block_count_x
      - .offset:         52
        .size:           4
        .value_kind:     hidden_block_count_y
      - .offset:         56
        .size:           4
        .value_kind:     hidden_block_count_z
      - .offset:         60
        .size:           2
        .value_kind:     hidden_group_size_x
      - .offset:         62
        .size:           2
        .value_kind:     hidden_group_size_y
      - .offset:         64
        .size:           2
        .value_kind:     hidden_group_size_z
      - .offset:         66
        .size:           2
        .value_kind:     hidden_remainder_x
      - .offset:         68
        .size:           2
        .value_kind:     hidden_remainder_y
      - .offset:         70
        .size:           2
        .value_kind:     hidden_remainder_z
      - .offset:         88
        .size:           8
        .value_kind:     hidden_global_offset_x
      - .offset:         96
        .size:           8
        .value_kind:     hidden_global_offset_y
      - .offset:         104
        .size:           8
        .value_kind:     hidden_global_offset_z
      - .offset:         112
        .size:           2
        .value_kind:     hidden_grid_dims
    .group_segment_fixed_size: 0
    .kernarg_segment_align: 8
    .kernarg_segment_size: 304
    .language:       OpenCL C
    .language_version:
      - 2
      - 0
    .max_flat_workgroup_size: 1024
    .name:           _ZN12_GLOBAL__N_121softmax_warp_backwardIN3c108BFloat16ES2_fLi10ELb1ELb0ELi64EEEvPT0_PKT_S7_iiiPKb
    .private_segment_fixed_size: 0
    .sgpr_count:     26
    .sgpr_spill_count: 0
    .symbol:         _ZN12_GLOBAL__N_121softmax_warp_backwardIN3c108BFloat16ES2_fLi10ELb1ELb0ELi64EEEvPT0_PKT_S7_iiiPKb.kd
    .uniform_work_group_size: 1
    .uses_dynamic_stack: false
    .vgpr_count:     42
    .vgpr_spill_count: 0
    .wavefront_size: 32
    .workgroup_processor_mode: 1
  - .args:
      - .address_space:  global
        .offset:         0
        .size:           8
        .value_kind:     global_buffer
      - .address_space:  global
        .offset:         8
        .size:           8
        .value_kind:     global_buffer
      - .address_space:  global
        .offset:         16
        .size:           8
        .value_kind:     global_buffer
      - .offset:         24
        .size:           4
        .value_kind:     by_value
      - .offset:         28
        .size:           4
        .value_kind:     by_value
      - .offset:         32
        .size:           4
        .value_kind:     by_value
      - .address_space:  global
        .offset:         40
        .size:           8
        .value_kind:     global_buffer
      - .offset:         48
        .size:           4
        .value_kind:     hidden_block_count_x
      - .offset:         52
        .size:           4
        .value_kind:     hidden_block_count_y
      - .offset:         56
        .size:           4
        .value_kind:     hidden_block_count_z
      - .offset:         60
        .size:           2
        .value_kind:     hidden_group_size_x
      - .offset:         62
        .size:           2
        .value_kind:     hidden_group_size_y
      - .offset:         64
        .size:           2
        .value_kind:     hidden_group_size_z
      - .offset:         66
        .size:           2
        .value_kind:     hidden_remainder_x
      - .offset:         68
        .size:           2
        .value_kind:     hidden_remainder_y
      - .offset:         70
        .size:           2
        .value_kind:     hidden_remainder_z
      - .offset:         88
        .size:           8
        .value_kind:     hidden_global_offset_x
      - .offset:         96
        .size:           8
        .value_kind:     hidden_global_offset_y
      - .offset:         104
        .size:           8
        .value_kind:     hidden_global_offset_z
      - .offset:         112
        .size:           2
        .value_kind:     hidden_grid_dims
    .group_segment_fixed_size: 0
    .kernarg_segment_align: 8
    .kernarg_segment_size: 304
    .language:       OpenCL C
    .language_version:
      - 2
      - 0
    .max_flat_workgroup_size: 1024
    .name:           _ZN12_GLOBAL__N_121softmax_warp_backwardIN3c108BFloat16ES2_fLi10ELb1ELb0ELi32EEEvPT0_PKT_S7_iiiPKb
    .private_segment_fixed_size: 0
    .sgpr_count:     46
    .sgpr_spill_count: 0
    .symbol:         _ZN12_GLOBAL__N_121softmax_warp_backwardIN3c108BFloat16ES2_fLi10ELb1ELb0ELi32EEEvPT0_PKT_S7_iiiPKb.kd
    .uniform_work_group_size: 1
    .uses_dynamic_stack: false
    .vgpr_count:     74
    .vgpr_spill_count: 0
    .wavefront_size: 32
    .workgroup_processor_mode: 1
  - .args:
      - .address_space:  global
        .offset:         0
        .size:           8
        .value_kind:     global_buffer
      - .address_space:  global
        .offset:         8
        .size:           8
        .value_kind:     global_buffer
      - .address_space:  global
        .offset:         16
        .size:           8
        .value_kind:     global_buffer
      - .offset:         24
        .size:           8
        .value_kind:     by_value
      - .offset:         32
        .size:           4
        .value_kind:     hidden_block_count_x
      - .offset:         36
        .size:           4
        .value_kind:     hidden_block_count_y
      - .offset:         40
        .size:           4
        .value_kind:     hidden_block_count_z
      - .offset:         44
        .size:           2
        .value_kind:     hidden_group_size_x
      - .offset:         46
        .size:           2
        .value_kind:     hidden_group_size_y
      - .offset:         48
        .size:           2
        .value_kind:     hidden_group_size_z
      - .offset:         50
        .size:           2
        .value_kind:     hidden_remainder_x
      - .offset:         52
        .size:           2
        .value_kind:     hidden_remainder_y
      - .offset:         54
        .size:           2
        .value_kind:     hidden_remainder_z
      - .offset:         72
        .size:           8
        .value_kind:     hidden_global_offset_x
      - .offset:         80
        .size:           8
        .value_kind:     hidden_global_offset_y
      - .offset:         88
        .size:           8
        .value_kind:     hidden_global_offset_z
      - .offset:         96
        .size:           2
        .value_kind:     hidden_grid_dims
      - .offset:         152
        .size:           4
        .value_kind:     hidden_dynamic_lds_size
    .group_segment_fixed_size: 0
    .kernarg_segment_align: 8
    .kernarg_segment_size: 288
    .language:       OpenCL C
    .language_version:
      - 2
      - 0
    .max_flat_workgroup_size: 1024
    .name:           _ZN2at6native12_GLOBAL__N_124cunn_SoftMaxBackwardSmemILi8EN3c108BFloat16EfS4_NS1_26LogSoftMaxBackwardEpilogueEEEvPT0_PKT2_SA_l
    .private_segment_fixed_size: 0
    .sgpr_count:     21
    .sgpr_spill_count: 0
    .symbol:         _ZN2at6native12_GLOBAL__N_124cunn_SoftMaxBackwardSmemILi8EN3c108BFloat16EfS4_NS1_26LogSoftMaxBackwardEpilogueEEEvPT0_PKT2_SA_l.kd
    .uniform_work_group_size: 1
    .uses_dynamic_stack: false
    .vgpr_count:     47
    .vgpr_spill_count: 0
    .wavefront_size: 32
    .workgroup_processor_mode: 1
  - .args:
      - .address_space:  global
        .offset:         0
        .size:           8
        .value_kind:     global_buffer
      - .address_space:  global
        .offset:         8
        .size:           8
        .value_kind:     global_buffer
      - .address_space:  global
        .offset:         16
        .size:           8
        .value_kind:     global_buffer
      - .offset:         24
        .size:           8
        .value_kind:     by_value
      - .offset:         32
        .size:           4
        .value_kind:     hidden_block_count_x
      - .offset:         36
        .size:           4
        .value_kind:     hidden_block_count_y
      - .offset:         40
        .size:           4
        .value_kind:     hidden_block_count_z
      - .offset:         44
        .size:           2
        .value_kind:     hidden_group_size_x
      - .offset:         46
        .size:           2
        .value_kind:     hidden_group_size_y
      - .offset:         48
        .size:           2
        .value_kind:     hidden_group_size_z
      - .offset:         50
        .size:           2
        .value_kind:     hidden_remainder_x
      - .offset:         52
        .size:           2
        .value_kind:     hidden_remainder_y
      - .offset:         54
        .size:           2
        .value_kind:     hidden_remainder_z
      - .offset:         72
        .size:           8
        .value_kind:     hidden_global_offset_x
      - .offset:         80
        .size:           8
        .value_kind:     hidden_global_offset_y
      - .offset:         88
        .size:           8
        .value_kind:     hidden_global_offset_z
      - .offset:         96
        .size:           2
        .value_kind:     hidden_grid_dims
      - .offset:         152
        .size:           4
        .value_kind:     hidden_dynamic_lds_size
    .group_segment_fixed_size: 0
    .kernarg_segment_align: 8
    .kernarg_segment_size: 288
    .language:       OpenCL C
    .language_version:
      - 2
      - 0
    .max_flat_workgroup_size: 1024
    .name:           _ZN2at6native12_GLOBAL__N_120cunn_SoftMaxBackwardILi8EN3c108BFloat16EfS4_NS1_26LogSoftMaxBackwardEpilogueEEEvPT0_PKT2_SA_l
    .private_segment_fixed_size: 0
    .sgpr_count:     42
    .sgpr_spill_count: 0
    .symbol:         _ZN2at6native12_GLOBAL__N_120cunn_SoftMaxBackwardILi8EN3c108BFloat16EfS4_NS1_26LogSoftMaxBackwardEpilogueEEEvPT0_PKT2_SA_l.kd
    .uniform_work_group_size: 1
    .uses_dynamic_stack: false
    .vgpr_count:     61
    .vgpr_spill_count: 0
    .wavefront_size: 32
    .workgroup_processor_mode: 1
  - .args:
      - .address_space:  global
        .offset:         0
        .size:           8
        .value_kind:     global_buffer
      - .address_space:  global
        .offset:         8
        .size:           8
        .value_kind:     global_buffer
      - .address_space:  global
        .offset:         16
        .size:           8
        .value_kind:     global_buffer
      - .offset:         24
        .size:           4
        .value_kind:     by_value
      - .offset:         28
        .size:           4
        .value_kind:     by_value
      - .offset:         32
        .size:           4
        .value_kind:     by_value
      - .address_space:  global
        .offset:         40
        .size:           8
        .value_kind:     global_buffer
      - .offset:         48
        .size:           4
        .value_kind:     hidden_block_count_x
      - .offset:         52
        .size:           4
        .value_kind:     hidden_block_count_y
      - .offset:         56
        .size:           4
        .value_kind:     hidden_block_count_z
      - .offset:         60
        .size:           2
        .value_kind:     hidden_group_size_x
      - .offset:         62
        .size:           2
        .value_kind:     hidden_group_size_y
      - .offset:         64
        .size:           2
        .value_kind:     hidden_group_size_z
      - .offset:         66
        .size:           2
        .value_kind:     hidden_remainder_x
      - .offset:         68
        .size:           2
        .value_kind:     hidden_remainder_y
      - .offset:         70
        .size:           2
        .value_kind:     hidden_remainder_z
      - .offset:         88
        .size:           8
        .value_kind:     hidden_global_offset_x
      - .offset:         96
        .size:           8
        .value_kind:     hidden_global_offset_y
      - .offset:         104
        .size:           8
        .value_kind:     hidden_global_offset_z
      - .offset:         112
        .size:           2
        .value_kind:     hidden_grid_dims
    .group_segment_fixed_size: 0
    .kernarg_segment_align: 8
    .kernarg_segment_size: 304
    .language:       OpenCL C
    .language_version:
      - 2
      - 0
    .max_flat_workgroup_size: 1024
    .name:           _ZN12_GLOBAL__N_121softmax_warp_backwardIfN3c108BFloat16EfLi0ELb1ELb0ELi64EEEvPT0_PKT_S7_iiiPKb
    .private_segment_fixed_size: 0
    .sgpr_count:     14
    .sgpr_spill_count: 0
    .symbol:         _ZN12_GLOBAL__N_121softmax_warp_backwardIfN3c108BFloat16EfLi0ELb1ELb0ELi64EEEvPT0_PKT_S7_iiiPKb.kd
    .uniform_work_group_size: 1
    .uses_dynamic_stack: false
    .vgpr_count:     11
    .vgpr_spill_count: 0
    .wavefront_size: 32
    .workgroup_processor_mode: 1
  - .args:
      - .address_space:  global
        .offset:         0
        .size:           8
        .value_kind:     global_buffer
      - .address_space:  global
        .offset:         8
        .size:           8
        .value_kind:     global_buffer
      - .address_space:  global
        .offset:         16
        .size:           8
        .value_kind:     global_buffer
      - .offset:         24
        .size:           4
        .value_kind:     by_value
      - .offset:         28
        .size:           4
        .value_kind:     by_value
      - .offset:         32
        .size:           4
        .value_kind:     by_value
      - .address_space:  global
        .offset:         40
        .size:           8
        .value_kind:     global_buffer
      - .offset:         48
        .size:           4
        .value_kind:     hidden_block_count_x
      - .offset:         52
        .size:           4
        .value_kind:     hidden_block_count_y
      - .offset:         56
        .size:           4
        .value_kind:     hidden_block_count_z
      - .offset:         60
        .size:           2
        .value_kind:     hidden_group_size_x
      - .offset:         62
        .size:           2
        .value_kind:     hidden_group_size_y
      - .offset:         64
        .size:           2
        .value_kind:     hidden_group_size_z
      - .offset:         66
        .size:           2
        .value_kind:     hidden_remainder_x
      - .offset:         68
        .size:           2
        .value_kind:     hidden_remainder_y
      - .offset:         70
        .size:           2
        .value_kind:     hidden_remainder_z
      - .offset:         88
        .size:           8
        .value_kind:     hidden_global_offset_x
      - .offset:         96
        .size:           8
        .value_kind:     hidden_global_offset_y
      - .offset:         104
        .size:           8
        .value_kind:     hidden_global_offset_z
      - .offset:         112
        .size:           2
        .value_kind:     hidden_grid_dims
    .group_segment_fixed_size: 0
    .kernarg_segment_align: 8
    .kernarg_segment_size: 304
    .language:       OpenCL C
    .language_version:
      - 2
      - 0
    .max_flat_workgroup_size: 1024
    .name:           _ZN12_GLOBAL__N_121softmax_warp_backwardIfN3c108BFloat16EfLi0ELb1ELb0ELi32EEEvPT0_PKT_S7_iiiPKb
    .private_segment_fixed_size: 0
    .sgpr_count:     14
    .sgpr_spill_count: 0
    .symbol:         _ZN12_GLOBAL__N_121softmax_warp_backwardIfN3c108BFloat16EfLi0ELb1ELb0ELi32EEEvPT0_PKT_S7_iiiPKb.kd
    .uniform_work_group_size: 1
    .uses_dynamic_stack: false
    .vgpr_count:     11
    .vgpr_spill_count: 0
    .wavefront_size: 32
    .workgroup_processor_mode: 1
  - .args:
      - .address_space:  global
        .offset:         0
        .size:           8
        .value_kind:     global_buffer
      - .address_space:  global
        .offset:         8
        .size:           8
        .value_kind:     global_buffer
      - .address_space:  global
        .offset:         16
        .size:           8
        .value_kind:     global_buffer
      - .offset:         24
        .size:           4
        .value_kind:     by_value
      - .offset:         28
        .size:           4
        .value_kind:     by_value
      - .offset:         32
        .size:           4
        .value_kind:     by_value
      - .address_space:  global
        .offset:         40
        .size:           8
        .value_kind:     global_buffer
      - .offset:         48
        .size:           4
        .value_kind:     hidden_block_count_x
      - .offset:         52
        .size:           4
        .value_kind:     hidden_block_count_y
      - .offset:         56
        .size:           4
        .value_kind:     hidden_block_count_z
      - .offset:         60
        .size:           2
        .value_kind:     hidden_group_size_x
      - .offset:         62
        .size:           2
        .value_kind:     hidden_group_size_y
      - .offset:         64
        .size:           2
        .value_kind:     hidden_group_size_z
      - .offset:         66
        .size:           2
        .value_kind:     hidden_remainder_x
      - .offset:         68
        .size:           2
        .value_kind:     hidden_remainder_y
      - .offset:         70
        .size:           2
        .value_kind:     hidden_remainder_z
      - .offset:         88
        .size:           8
        .value_kind:     hidden_global_offset_x
      - .offset:         96
        .size:           8
        .value_kind:     hidden_global_offset_y
      - .offset:         104
        .size:           8
        .value_kind:     hidden_global_offset_z
      - .offset:         112
        .size:           2
        .value_kind:     hidden_grid_dims
    .group_segment_fixed_size: 0
    .kernarg_segment_align: 8
    .kernarg_segment_size: 304
    .language:       OpenCL C
    .language_version:
      - 2
      - 0
    .max_flat_workgroup_size: 1024
    .name:           _ZN12_GLOBAL__N_121softmax_warp_backwardIfN3c108BFloat16EfLi1ELb1ELb0ELi64EEEvPT0_PKT_S7_iiiPKb
    .private_segment_fixed_size: 0
    .sgpr_count:     14
    .sgpr_spill_count: 0
    .symbol:         _ZN12_GLOBAL__N_121softmax_warp_backwardIfN3c108BFloat16EfLi1ELb1ELb0ELi64EEEvPT0_PKT_S7_iiiPKb.kd
    .uniform_work_group_size: 1
    .uses_dynamic_stack: false
    .vgpr_count:     14
    .vgpr_spill_count: 0
    .wavefront_size: 32
    .workgroup_processor_mode: 1
  - .args:
      - .address_space:  global
        .offset:         0
        .size:           8
        .value_kind:     global_buffer
      - .address_space:  global
        .offset:         8
        .size:           8
        .value_kind:     global_buffer
      - .address_space:  global
        .offset:         16
        .size:           8
        .value_kind:     global_buffer
      - .offset:         24
        .size:           4
        .value_kind:     by_value
      - .offset:         28
        .size:           4
        .value_kind:     by_value
      - .offset:         32
        .size:           4
        .value_kind:     by_value
      - .address_space:  global
        .offset:         40
        .size:           8
        .value_kind:     global_buffer
      - .offset:         48
        .size:           4
        .value_kind:     hidden_block_count_x
      - .offset:         52
        .size:           4
        .value_kind:     hidden_block_count_y
      - .offset:         56
        .size:           4
        .value_kind:     hidden_block_count_z
      - .offset:         60
        .size:           2
        .value_kind:     hidden_group_size_x
      - .offset:         62
        .size:           2
        .value_kind:     hidden_group_size_y
      - .offset:         64
        .size:           2
        .value_kind:     hidden_group_size_z
      - .offset:         66
        .size:           2
        .value_kind:     hidden_remainder_x
      - .offset:         68
        .size:           2
        .value_kind:     hidden_remainder_y
      - .offset:         70
        .size:           2
        .value_kind:     hidden_remainder_z
      - .offset:         88
        .size:           8
        .value_kind:     hidden_global_offset_x
      - .offset:         96
        .size:           8
        .value_kind:     hidden_global_offset_y
      - .offset:         104
        .size:           8
        .value_kind:     hidden_global_offset_z
      - .offset:         112
        .size:           2
        .value_kind:     hidden_grid_dims
    .group_segment_fixed_size: 0
    .kernarg_segment_align: 8
    .kernarg_segment_size: 304
    .language:       OpenCL C
    .language_version:
      - 2
      - 0
    .max_flat_workgroup_size: 1024
    .name:           _ZN12_GLOBAL__N_121softmax_warp_backwardIfN3c108BFloat16EfLi1ELb1ELb0ELi32EEEvPT0_PKT_S7_iiiPKb
    .private_segment_fixed_size: 0
    .sgpr_count:     14
    .sgpr_spill_count: 0
    .symbol:         _ZN12_GLOBAL__N_121softmax_warp_backwardIfN3c108BFloat16EfLi1ELb1ELb0ELi32EEEvPT0_PKT_S7_iiiPKb.kd
    .uniform_work_group_size: 1
    .uses_dynamic_stack: false
    .vgpr_count:     14
    .vgpr_spill_count: 0
    .wavefront_size: 32
    .workgroup_processor_mode: 1
  - .args:
      - .address_space:  global
        .offset:         0
        .size:           8
        .value_kind:     global_buffer
      - .address_space:  global
        .offset:         8
        .size:           8
        .value_kind:     global_buffer
      - .address_space:  global
        .offset:         16
        .size:           8
        .value_kind:     global_buffer
      - .offset:         24
        .size:           4
        .value_kind:     by_value
      - .offset:         28
        .size:           4
        .value_kind:     by_value
      - .offset:         32
        .size:           4
        .value_kind:     by_value
      - .address_space:  global
        .offset:         40
        .size:           8
        .value_kind:     global_buffer
      - .offset:         48
        .size:           4
        .value_kind:     hidden_block_count_x
      - .offset:         52
        .size:           4
        .value_kind:     hidden_block_count_y
      - .offset:         56
        .size:           4
        .value_kind:     hidden_block_count_z
      - .offset:         60
        .size:           2
        .value_kind:     hidden_group_size_x
      - .offset:         62
        .size:           2
        .value_kind:     hidden_group_size_y
      - .offset:         64
        .size:           2
        .value_kind:     hidden_group_size_z
      - .offset:         66
        .size:           2
        .value_kind:     hidden_remainder_x
      - .offset:         68
        .size:           2
        .value_kind:     hidden_remainder_y
      - .offset:         70
        .size:           2
        .value_kind:     hidden_remainder_z
      - .offset:         88
        .size:           8
        .value_kind:     hidden_global_offset_x
      - .offset:         96
        .size:           8
        .value_kind:     hidden_global_offset_y
      - .offset:         104
        .size:           8
        .value_kind:     hidden_global_offset_z
      - .offset:         112
        .size:           2
        .value_kind:     hidden_grid_dims
    .group_segment_fixed_size: 0
    .kernarg_segment_align: 8
    .kernarg_segment_size: 304
    .language:       OpenCL C
    .language_version:
      - 2
      - 0
    .max_flat_workgroup_size: 1024
    .name:           _ZN12_GLOBAL__N_121softmax_warp_backwardIfN3c108BFloat16EfLi2ELb1ELb0ELi64EEEvPT0_PKT_S7_iiiPKb
    .private_segment_fixed_size: 0
    .sgpr_count:     14
    .sgpr_spill_count: 0
    .symbol:         _ZN12_GLOBAL__N_121softmax_warp_backwardIfN3c108BFloat16EfLi2ELb1ELb0ELi64EEEvPT0_PKT_S7_iiiPKb.kd
    .uniform_work_group_size: 1
    .uses_dynamic_stack: false
    .vgpr_count:     14
    .vgpr_spill_count: 0
    .wavefront_size: 32
    .workgroup_processor_mode: 1
  - .args:
      - .address_space:  global
        .offset:         0
        .size:           8
        .value_kind:     global_buffer
      - .address_space:  global
        .offset:         8
        .size:           8
        .value_kind:     global_buffer
      - .address_space:  global
        .offset:         16
        .size:           8
        .value_kind:     global_buffer
      - .offset:         24
        .size:           4
        .value_kind:     by_value
      - .offset:         28
        .size:           4
        .value_kind:     by_value
      - .offset:         32
        .size:           4
        .value_kind:     by_value
      - .address_space:  global
        .offset:         40
        .size:           8
        .value_kind:     global_buffer
      - .offset:         48
        .size:           4
        .value_kind:     hidden_block_count_x
      - .offset:         52
        .size:           4
        .value_kind:     hidden_block_count_y
      - .offset:         56
        .size:           4
        .value_kind:     hidden_block_count_z
      - .offset:         60
        .size:           2
        .value_kind:     hidden_group_size_x
      - .offset:         62
        .size:           2
        .value_kind:     hidden_group_size_y
      - .offset:         64
        .size:           2
        .value_kind:     hidden_group_size_z
      - .offset:         66
        .size:           2
        .value_kind:     hidden_remainder_x
      - .offset:         68
        .size:           2
        .value_kind:     hidden_remainder_y
      - .offset:         70
        .size:           2
        .value_kind:     hidden_remainder_z
      - .offset:         88
        .size:           8
        .value_kind:     hidden_global_offset_x
      - .offset:         96
        .size:           8
        .value_kind:     hidden_global_offset_y
      - .offset:         104
        .size:           8
        .value_kind:     hidden_global_offset_z
      - .offset:         112
        .size:           2
        .value_kind:     hidden_grid_dims
    .group_segment_fixed_size: 0
    .kernarg_segment_align: 8
    .kernarg_segment_size: 304
    .language:       OpenCL C
    .language_version:
      - 2
      - 0
    .max_flat_workgroup_size: 1024
    .name:           _ZN12_GLOBAL__N_121softmax_warp_backwardIfN3c108BFloat16EfLi2ELb1ELb0ELi32EEEvPT0_PKT_S7_iiiPKb
    .private_segment_fixed_size: 0
    .sgpr_count:     14
    .sgpr_spill_count: 0
    .symbol:         _ZN12_GLOBAL__N_121softmax_warp_backwardIfN3c108BFloat16EfLi2ELb1ELb0ELi32EEEvPT0_PKT_S7_iiiPKb.kd
    .uniform_work_group_size: 1
    .uses_dynamic_stack: false
    .vgpr_count:     14
    .vgpr_spill_count: 0
    .wavefront_size: 32
    .workgroup_processor_mode: 1
  - .args:
      - .address_space:  global
        .offset:         0
        .size:           8
        .value_kind:     global_buffer
      - .address_space:  global
        .offset:         8
        .size:           8
        .value_kind:     global_buffer
      - .address_space:  global
        .offset:         16
        .size:           8
        .value_kind:     global_buffer
      - .offset:         24
        .size:           4
        .value_kind:     by_value
      - .offset:         28
        .size:           4
        .value_kind:     by_value
      - .offset:         32
        .size:           4
        .value_kind:     by_value
      - .address_space:  global
        .offset:         40
        .size:           8
        .value_kind:     global_buffer
      - .offset:         48
        .size:           4
        .value_kind:     hidden_block_count_x
      - .offset:         52
        .size:           4
        .value_kind:     hidden_block_count_y
      - .offset:         56
        .size:           4
        .value_kind:     hidden_block_count_z
      - .offset:         60
        .size:           2
        .value_kind:     hidden_group_size_x
      - .offset:         62
        .size:           2
        .value_kind:     hidden_group_size_y
      - .offset:         64
        .size:           2
        .value_kind:     hidden_group_size_z
      - .offset:         66
        .size:           2
        .value_kind:     hidden_remainder_x
      - .offset:         68
        .size:           2
        .value_kind:     hidden_remainder_y
      - .offset:         70
        .size:           2
        .value_kind:     hidden_remainder_z
      - .offset:         88
        .size:           8
        .value_kind:     hidden_global_offset_x
      - .offset:         96
        .size:           8
        .value_kind:     hidden_global_offset_y
      - .offset:         104
        .size:           8
        .value_kind:     hidden_global_offset_z
      - .offset:         112
        .size:           2
        .value_kind:     hidden_grid_dims
    .group_segment_fixed_size: 0
    .kernarg_segment_align: 8
    .kernarg_segment_size: 304
    .language:       OpenCL C
    .language_version:
      - 2
      - 0
    .max_flat_workgroup_size: 1024
    .name:           _ZN12_GLOBAL__N_121softmax_warp_backwardIfN3c108BFloat16EfLi3ELb1ELb0ELi64EEEvPT0_PKT_S7_iiiPKb
    .private_segment_fixed_size: 0
    .sgpr_count:     14
    .sgpr_spill_count: 0
    .symbol:         _ZN12_GLOBAL__N_121softmax_warp_backwardIfN3c108BFloat16EfLi3ELb1ELb0ELi64EEEvPT0_PKT_S7_iiiPKb.kd
    .uniform_work_group_size: 1
    .uses_dynamic_stack: false
    .vgpr_count:     14
    .vgpr_spill_count: 0
    .wavefront_size: 32
    .workgroup_processor_mode: 1
  - .args:
      - .address_space:  global
        .offset:         0
        .size:           8
        .value_kind:     global_buffer
      - .address_space:  global
        .offset:         8
        .size:           8
        .value_kind:     global_buffer
      - .address_space:  global
        .offset:         16
        .size:           8
        .value_kind:     global_buffer
      - .offset:         24
        .size:           4
        .value_kind:     by_value
      - .offset:         28
        .size:           4
        .value_kind:     by_value
      - .offset:         32
        .size:           4
        .value_kind:     by_value
      - .address_space:  global
        .offset:         40
        .size:           8
        .value_kind:     global_buffer
      - .offset:         48
        .size:           4
        .value_kind:     hidden_block_count_x
      - .offset:         52
        .size:           4
        .value_kind:     hidden_block_count_y
      - .offset:         56
        .size:           4
        .value_kind:     hidden_block_count_z
      - .offset:         60
        .size:           2
        .value_kind:     hidden_group_size_x
      - .offset:         62
        .size:           2
        .value_kind:     hidden_group_size_y
      - .offset:         64
        .size:           2
        .value_kind:     hidden_group_size_z
      - .offset:         66
        .size:           2
        .value_kind:     hidden_remainder_x
      - .offset:         68
        .size:           2
        .value_kind:     hidden_remainder_y
      - .offset:         70
        .size:           2
        .value_kind:     hidden_remainder_z
      - .offset:         88
        .size:           8
        .value_kind:     hidden_global_offset_x
      - .offset:         96
        .size:           8
        .value_kind:     hidden_global_offset_y
      - .offset:         104
        .size:           8
        .value_kind:     hidden_global_offset_z
      - .offset:         112
        .size:           2
        .value_kind:     hidden_grid_dims
    .group_segment_fixed_size: 0
    .kernarg_segment_align: 8
    .kernarg_segment_size: 304
    .language:       OpenCL C
    .language_version:
      - 2
      - 0
    .max_flat_workgroup_size: 1024
    .name:           _ZN12_GLOBAL__N_121softmax_warp_backwardIfN3c108BFloat16EfLi3ELb1ELb0ELi32EEEvPT0_PKT_S7_iiiPKb
    .private_segment_fixed_size: 0
    .sgpr_count:     14
    .sgpr_spill_count: 0
    .symbol:         _ZN12_GLOBAL__N_121softmax_warp_backwardIfN3c108BFloat16EfLi3ELb1ELb0ELi32EEEvPT0_PKT_S7_iiiPKb.kd
    .uniform_work_group_size: 1
    .uses_dynamic_stack: false
    .vgpr_count:     14
    .vgpr_spill_count: 0
    .wavefront_size: 32
    .workgroup_processor_mode: 1
  - .args:
      - .address_space:  global
        .offset:         0
        .size:           8
        .value_kind:     global_buffer
      - .address_space:  global
        .offset:         8
        .size:           8
        .value_kind:     global_buffer
      - .address_space:  global
        .offset:         16
        .size:           8
        .value_kind:     global_buffer
      - .offset:         24
        .size:           4
        .value_kind:     by_value
      - .offset:         28
        .size:           4
        .value_kind:     by_value
      - .offset:         32
        .size:           4
        .value_kind:     by_value
      - .address_space:  global
        .offset:         40
        .size:           8
        .value_kind:     global_buffer
      - .offset:         48
        .size:           4
        .value_kind:     hidden_block_count_x
      - .offset:         52
        .size:           4
        .value_kind:     hidden_block_count_y
      - .offset:         56
        .size:           4
        .value_kind:     hidden_block_count_z
      - .offset:         60
        .size:           2
        .value_kind:     hidden_group_size_x
      - .offset:         62
        .size:           2
        .value_kind:     hidden_group_size_y
      - .offset:         64
        .size:           2
        .value_kind:     hidden_group_size_z
      - .offset:         66
        .size:           2
        .value_kind:     hidden_remainder_x
      - .offset:         68
        .size:           2
        .value_kind:     hidden_remainder_y
      - .offset:         70
        .size:           2
        .value_kind:     hidden_remainder_z
      - .offset:         88
        .size:           8
        .value_kind:     hidden_global_offset_x
      - .offset:         96
        .size:           8
        .value_kind:     hidden_global_offset_y
      - .offset:         104
        .size:           8
        .value_kind:     hidden_global_offset_z
      - .offset:         112
        .size:           2
        .value_kind:     hidden_grid_dims
    .group_segment_fixed_size: 0
    .kernarg_segment_align: 8
    .kernarg_segment_size: 304
    .language:       OpenCL C
    .language_version:
      - 2
      - 0
    .max_flat_workgroup_size: 1024
    .name:           _ZN12_GLOBAL__N_121softmax_warp_backwardIfN3c108BFloat16EfLi4ELb1ELb0ELi64EEEvPT0_PKT_S7_iiiPKb
    .private_segment_fixed_size: 0
    .sgpr_count:     14
    .sgpr_spill_count: 0
    .symbol:         _ZN12_GLOBAL__N_121softmax_warp_backwardIfN3c108BFloat16EfLi4ELb1ELb0ELi64EEEvPT0_PKT_S7_iiiPKb.kd
    .uniform_work_group_size: 1
    .uses_dynamic_stack: false
    .vgpr_count:     14
    .vgpr_spill_count: 0
    .wavefront_size: 32
    .workgroup_processor_mode: 1
  - .args:
      - .address_space:  global
        .offset:         0
        .size:           8
        .value_kind:     global_buffer
      - .address_space:  global
        .offset:         8
        .size:           8
        .value_kind:     global_buffer
      - .address_space:  global
        .offset:         16
        .size:           8
        .value_kind:     global_buffer
      - .offset:         24
        .size:           4
        .value_kind:     by_value
      - .offset:         28
        .size:           4
        .value_kind:     by_value
      - .offset:         32
        .size:           4
        .value_kind:     by_value
      - .address_space:  global
        .offset:         40
        .size:           8
        .value_kind:     global_buffer
      - .offset:         48
        .size:           4
        .value_kind:     hidden_block_count_x
      - .offset:         52
        .size:           4
        .value_kind:     hidden_block_count_y
      - .offset:         56
        .size:           4
        .value_kind:     hidden_block_count_z
      - .offset:         60
        .size:           2
        .value_kind:     hidden_group_size_x
      - .offset:         62
        .size:           2
        .value_kind:     hidden_group_size_y
      - .offset:         64
        .size:           2
        .value_kind:     hidden_group_size_z
      - .offset:         66
        .size:           2
        .value_kind:     hidden_remainder_x
      - .offset:         68
        .size:           2
        .value_kind:     hidden_remainder_y
      - .offset:         70
        .size:           2
        .value_kind:     hidden_remainder_z
      - .offset:         88
        .size:           8
        .value_kind:     hidden_global_offset_x
      - .offset:         96
        .size:           8
        .value_kind:     hidden_global_offset_y
      - .offset:         104
        .size:           8
        .value_kind:     hidden_global_offset_z
      - .offset:         112
        .size:           2
        .value_kind:     hidden_grid_dims
    .group_segment_fixed_size: 0
    .kernarg_segment_align: 8
    .kernarg_segment_size: 304
    .language:       OpenCL C
    .language_version:
      - 2
      - 0
    .max_flat_workgroup_size: 1024
    .name:           _ZN12_GLOBAL__N_121softmax_warp_backwardIfN3c108BFloat16EfLi4ELb1ELb0ELi32EEEvPT0_PKT_S7_iiiPKb
    .private_segment_fixed_size: 0
    .sgpr_count:     14
    .sgpr_spill_count: 0
    .symbol:         _ZN12_GLOBAL__N_121softmax_warp_backwardIfN3c108BFloat16EfLi4ELb1ELb0ELi32EEEvPT0_PKT_S7_iiiPKb.kd
    .uniform_work_group_size: 1
    .uses_dynamic_stack: false
    .vgpr_count:     14
    .vgpr_spill_count: 0
    .wavefront_size: 32
    .workgroup_processor_mode: 1
  - .args:
      - .address_space:  global
        .offset:         0
        .size:           8
        .value_kind:     global_buffer
      - .address_space:  global
        .offset:         8
        .size:           8
        .value_kind:     global_buffer
      - .address_space:  global
        .offset:         16
        .size:           8
        .value_kind:     global_buffer
      - .offset:         24
        .size:           4
        .value_kind:     by_value
      - .offset:         28
        .size:           4
        .value_kind:     by_value
      - .offset:         32
        .size:           4
        .value_kind:     by_value
      - .address_space:  global
        .offset:         40
        .size:           8
        .value_kind:     global_buffer
      - .offset:         48
        .size:           4
        .value_kind:     hidden_block_count_x
      - .offset:         52
        .size:           4
        .value_kind:     hidden_block_count_y
      - .offset:         56
        .size:           4
        .value_kind:     hidden_block_count_z
      - .offset:         60
        .size:           2
        .value_kind:     hidden_group_size_x
      - .offset:         62
        .size:           2
        .value_kind:     hidden_group_size_y
      - .offset:         64
        .size:           2
        .value_kind:     hidden_group_size_z
      - .offset:         66
        .size:           2
        .value_kind:     hidden_remainder_x
      - .offset:         68
        .size:           2
        .value_kind:     hidden_remainder_y
      - .offset:         70
        .size:           2
        .value_kind:     hidden_remainder_z
      - .offset:         88
        .size:           8
        .value_kind:     hidden_global_offset_x
      - .offset:         96
        .size:           8
        .value_kind:     hidden_global_offset_y
      - .offset:         104
        .size:           8
        .value_kind:     hidden_global_offset_z
      - .offset:         112
        .size:           2
        .value_kind:     hidden_grid_dims
    .group_segment_fixed_size: 0
    .kernarg_segment_align: 8
    .kernarg_segment_size: 304
    .language:       OpenCL C
    .language_version:
      - 2
      - 0
    .max_flat_workgroup_size: 1024
    .name:           _ZN12_GLOBAL__N_121softmax_warp_backwardIfN3c108BFloat16EfLi5ELb1ELb0ELi64EEEvPT0_PKT_S7_iiiPKb
    .private_segment_fixed_size: 0
    .sgpr_count:     14
    .sgpr_spill_count: 0
    .symbol:         _ZN12_GLOBAL__N_121softmax_warp_backwardIfN3c108BFloat16EfLi5ELb1ELb0ELi64EEEvPT0_PKT_S7_iiiPKb.kd
    .uniform_work_group_size: 1
    .uses_dynamic_stack: false
    .vgpr_count:     14
    .vgpr_spill_count: 0
    .wavefront_size: 32
    .workgroup_processor_mode: 1
  - .args:
      - .address_space:  global
        .offset:         0
        .size:           8
        .value_kind:     global_buffer
      - .address_space:  global
        .offset:         8
        .size:           8
        .value_kind:     global_buffer
      - .address_space:  global
        .offset:         16
        .size:           8
        .value_kind:     global_buffer
      - .offset:         24
        .size:           4
        .value_kind:     by_value
      - .offset:         28
        .size:           4
        .value_kind:     by_value
      - .offset:         32
        .size:           4
        .value_kind:     by_value
      - .address_space:  global
        .offset:         40
        .size:           8
        .value_kind:     global_buffer
      - .offset:         48
        .size:           4
        .value_kind:     hidden_block_count_x
      - .offset:         52
        .size:           4
        .value_kind:     hidden_block_count_y
      - .offset:         56
        .size:           4
        .value_kind:     hidden_block_count_z
      - .offset:         60
        .size:           2
        .value_kind:     hidden_group_size_x
      - .offset:         62
        .size:           2
        .value_kind:     hidden_group_size_y
      - .offset:         64
        .size:           2
        .value_kind:     hidden_group_size_z
      - .offset:         66
        .size:           2
        .value_kind:     hidden_remainder_x
      - .offset:         68
        .size:           2
        .value_kind:     hidden_remainder_y
      - .offset:         70
        .size:           2
        .value_kind:     hidden_remainder_z
      - .offset:         88
        .size:           8
        .value_kind:     hidden_global_offset_x
      - .offset:         96
        .size:           8
        .value_kind:     hidden_global_offset_y
      - .offset:         104
        .size:           8
        .value_kind:     hidden_global_offset_z
      - .offset:         112
        .size:           2
        .value_kind:     hidden_grid_dims
    .group_segment_fixed_size: 0
    .kernarg_segment_align: 8
    .kernarg_segment_size: 304
    .language:       OpenCL C
    .language_version:
      - 2
      - 0
    .max_flat_workgroup_size: 1024
    .name:           _ZN12_GLOBAL__N_121softmax_warp_backwardIfN3c108BFloat16EfLi5ELb1ELb0ELi32EEEvPT0_PKT_S7_iiiPKb
    .private_segment_fixed_size: 0
    .sgpr_count:     14
    .sgpr_spill_count: 0
    .symbol:         _ZN12_GLOBAL__N_121softmax_warp_backwardIfN3c108BFloat16EfLi5ELb1ELb0ELi32EEEvPT0_PKT_S7_iiiPKb.kd
    .uniform_work_group_size: 1
    .uses_dynamic_stack: false
    .vgpr_count:     14
    .vgpr_spill_count: 0
    .wavefront_size: 32
    .workgroup_processor_mode: 1
  - .args:
      - .address_space:  global
        .offset:         0
        .size:           8
        .value_kind:     global_buffer
      - .address_space:  global
        .offset:         8
        .size:           8
        .value_kind:     global_buffer
      - .address_space:  global
        .offset:         16
        .size:           8
        .value_kind:     global_buffer
      - .offset:         24
        .size:           4
        .value_kind:     by_value
      - .offset:         28
        .size:           4
        .value_kind:     by_value
      - .offset:         32
        .size:           4
        .value_kind:     by_value
      - .address_space:  global
        .offset:         40
        .size:           8
        .value_kind:     global_buffer
      - .offset:         48
        .size:           4
        .value_kind:     hidden_block_count_x
      - .offset:         52
        .size:           4
        .value_kind:     hidden_block_count_y
      - .offset:         56
        .size:           4
        .value_kind:     hidden_block_count_z
      - .offset:         60
        .size:           2
        .value_kind:     hidden_group_size_x
      - .offset:         62
        .size:           2
        .value_kind:     hidden_group_size_y
      - .offset:         64
        .size:           2
        .value_kind:     hidden_group_size_z
      - .offset:         66
        .size:           2
        .value_kind:     hidden_remainder_x
      - .offset:         68
        .size:           2
        .value_kind:     hidden_remainder_y
      - .offset:         70
        .size:           2
        .value_kind:     hidden_remainder_z
      - .offset:         88
        .size:           8
        .value_kind:     hidden_global_offset_x
      - .offset:         96
        .size:           8
        .value_kind:     hidden_global_offset_y
      - .offset:         104
        .size:           8
        .value_kind:     hidden_global_offset_z
      - .offset:         112
        .size:           2
        .value_kind:     hidden_grid_dims
    .group_segment_fixed_size: 0
    .kernarg_segment_align: 8
    .kernarg_segment_size: 304
    .language:       OpenCL C
    .language_version:
      - 2
      - 0
    .max_flat_workgroup_size: 1024
    .name:           _ZN12_GLOBAL__N_121softmax_warp_backwardIfN3c108BFloat16EfLi6ELb1ELb0ELi64EEEvPT0_PKT_S7_iiiPKb
    .private_segment_fixed_size: 0
    .sgpr_count:     14
    .sgpr_spill_count: 0
    .symbol:         _ZN12_GLOBAL__N_121softmax_warp_backwardIfN3c108BFloat16EfLi6ELb1ELb0ELi64EEEvPT0_PKT_S7_iiiPKb.kd
    .uniform_work_group_size: 1
    .uses_dynamic_stack: false
    .vgpr_count:     14
    .vgpr_spill_count: 0
    .wavefront_size: 32
    .workgroup_processor_mode: 1
  - .args:
      - .address_space:  global
        .offset:         0
        .size:           8
        .value_kind:     global_buffer
      - .address_space:  global
        .offset:         8
        .size:           8
        .value_kind:     global_buffer
      - .address_space:  global
        .offset:         16
        .size:           8
        .value_kind:     global_buffer
      - .offset:         24
        .size:           4
        .value_kind:     by_value
      - .offset:         28
        .size:           4
        .value_kind:     by_value
      - .offset:         32
        .size:           4
        .value_kind:     by_value
      - .address_space:  global
        .offset:         40
        .size:           8
        .value_kind:     global_buffer
      - .offset:         48
        .size:           4
        .value_kind:     hidden_block_count_x
      - .offset:         52
        .size:           4
        .value_kind:     hidden_block_count_y
      - .offset:         56
        .size:           4
        .value_kind:     hidden_block_count_z
      - .offset:         60
        .size:           2
        .value_kind:     hidden_group_size_x
      - .offset:         62
        .size:           2
        .value_kind:     hidden_group_size_y
      - .offset:         64
        .size:           2
        .value_kind:     hidden_group_size_z
      - .offset:         66
        .size:           2
        .value_kind:     hidden_remainder_x
      - .offset:         68
        .size:           2
        .value_kind:     hidden_remainder_y
      - .offset:         70
        .size:           2
        .value_kind:     hidden_remainder_z
      - .offset:         88
        .size:           8
        .value_kind:     hidden_global_offset_x
      - .offset:         96
        .size:           8
        .value_kind:     hidden_global_offset_y
      - .offset:         104
        .size:           8
        .value_kind:     hidden_global_offset_z
      - .offset:         112
        .size:           2
        .value_kind:     hidden_grid_dims
    .group_segment_fixed_size: 0
    .kernarg_segment_align: 8
    .kernarg_segment_size: 304
    .language:       OpenCL C
    .language_version:
      - 2
      - 0
    .max_flat_workgroup_size: 1024
    .name:           _ZN12_GLOBAL__N_121softmax_warp_backwardIfN3c108BFloat16EfLi6ELb1ELb0ELi32EEEvPT0_PKT_S7_iiiPKb
    .private_segment_fixed_size: 0
    .sgpr_count:     18
    .sgpr_spill_count: 0
    .symbol:         _ZN12_GLOBAL__N_121softmax_warp_backwardIfN3c108BFloat16EfLi6ELb1ELb0ELi32EEEvPT0_PKT_S7_iiiPKb.kd
    .uniform_work_group_size: 1
    .uses_dynamic_stack: false
    .vgpr_count:     18
    .vgpr_spill_count: 0
    .wavefront_size: 32
    .workgroup_processor_mode: 1
  - .args:
      - .address_space:  global
        .offset:         0
        .size:           8
        .value_kind:     global_buffer
      - .address_space:  global
        .offset:         8
        .size:           8
        .value_kind:     global_buffer
      - .address_space:  global
        .offset:         16
        .size:           8
        .value_kind:     global_buffer
      - .offset:         24
        .size:           4
        .value_kind:     by_value
      - .offset:         28
        .size:           4
        .value_kind:     by_value
      - .offset:         32
        .size:           4
        .value_kind:     by_value
      - .address_space:  global
        .offset:         40
        .size:           8
        .value_kind:     global_buffer
      - .offset:         48
        .size:           4
        .value_kind:     hidden_block_count_x
      - .offset:         52
        .size:           4
        .value_kind:     hidden_block_count_y
      - .offset:         56
        .size:           4
        .value_kind:     hidden_block_count_z
      - .offset:         60
        .size:           2
        .value_kind:     hidden_group_size_x
      - .offset:         62
        .size:           2
        .value_kind:     hidden_group_size_y
      - .offset:         64
        .size:           2
        .value_kind:     hidden_group_size_z
      - .offset:         66
        .size:           2
        .value_kind:     hidden_remainder_x
      - .offset:         68
        .size:           2
        .value_kind:     hidden_remainder_y
      - .offset:         70
        .size:           2
        .value_kind:     hidden_remainder_z
      - .offset:         88
        .size:           8
        .value_kind:     hidden_global_offset_x
      - .offset:         96
        .size:           8
        .value_kind:     hidden_global_offset_y
      - .offset:         104
        .size:           8
        .value_kind:     hidden_global_offset_z
      - .offset:         112
        .size:           2
        .value_kind:     hidden_grid_dims
    .group_segment_fixed_size: 0
    .kernarg_segment_align: 8
    .kernarg_segment_size: 304
    .language:       OpenCL C
    .language_version:
      - 2
      - 0
    .max_flat_workgroup_size: 1024
    .name:           _ZN12_GLOBAL__N_121softmax_warp_backwardIfN3c108BFloat16EfLi7ELb1ELb0ELi64EEEvPT0_PKT_S7_iiiPKb
    .private_segment_fixed_size: 0
    .sgpr_count:     18
    .sgpr_spill_count: 0
    .symbol:         _ZN12_GLOBAL__N_121softmax_warp_backwardIfN3c108BFloat16EfLi7ELb1ELb0ELi64EEEvPT0_PKT_S7_iiiPKb.kd
    .uniform_work_group_size: 1
    .uses_dynamic_stack: false
    .vgpr_count:     18
    .vgpr_spill_count: 0
    .wavefront_size: 32
    .workgroup_processor_mode: 1
  - .args:
      - .address_space:  global
        .offset:         0
        .size:           8
        .value_kind:     global_buffer
      - .address_space:  global
        .offset:         8
        .size:           8
        .value_kind:     global_buffer
      - .address_space:  global
        .offset:         16
        .size:           8
        .value_kind:     global_buffer
      - .offset:         24
        .size:           4
        .value_kind:     by_value
      - .offset:         28
        .size:           4
        .value_kind:     by_value
      - .offset:         32
        .size:           4
        .value_kind:     by_value
      - .address_space:  global
        .offset:         40
        .size:           8
        .value_kind:     global_buffer
      - .offset:         48
        .size:           4
        .value_kind:     hidden_block_count_x
      - .offset:         52
        .size:           4
        .value_kind:     hidden_block_count_y
      - .offset:         56
        .size:           4
        .value_kind:     hidden_block_count_z
      - .offset:         60
        .size:           2
        .value_kind:     hidden_group_size_x
      - .offset:         62
        .size:           2
        .value_kind:     hidden_group_size_y
      - .offset:         64
        .size:           2
        .value_kind:     hidden_group_size_z
      - .offset:         66
        .size:           2
        .value_kind:     hidden_remainder_x
      - .offset:         68
        .size:           2
        .value_kind:     hidden_remainder_y
      - .offset:         70
        .size:           2
        .value_kind:     hidden_remainder_z
      - .offset:         88
        .size:           8
        .value_kind:     hidden_global_offset_x
      - .offset:         96
        .size:           8
        .value_kind:     hidden_global_offset_y
      - .offset:         104
        .size:           8
        .value_kind:     hidden_global_offset_z
      - .offset:         112
        .size:           2
        .value_kind:     hidden_grid_dims
    .group_segment_fixed_size: 0
    .kernarg_segment_align: 8
    .kernarg_segment_size: 304
    .language:       OpenCL C
    .language_version:
      - 2
      - 0
    .max_flat_workgroup_size: 1024
    .name:           _ZN12_GLOBAL__N_121softmax_warp_backwardIfN3c108BFloat16EfLi7ELb1ELb0ELi32EEEvPT0_PKT_S7_iiiPKb
    .private_segment_fixed_size: 0
    .sgpr_count:     18
    .sgpr_spill_count: 0
    .symbol:         _ZN12_GLOBAL__N_121softmax_warp_backwardIfN3c108BFloat16EfLi7ELb1ELb0ELi32EEEvPT0_PKT_S7_iiiPKb.kd
    .uniform_work_group_size: 1
    .uses_dynamic_stack: false
    .vgpr_count:     26
    .vgpr_spill_count: 0
    .wavefront_size: 32
    .workgroup_processor_mode: 1
  - .args:
      - .address_space:  global
        .offset:         0
        .size:           8
        .value_kind:     global_buffer
      - .address_space:  global
        .offset:         8
        .size:           8
        .value_kind:     global_buffer
      - .address_space:  global
        .offset:         16
        .size:           8
        .value_kind:     global_buffer
      - .offset:         24
        .size:           4
        .value_kind:     by_value
      - .offset:         28
        .size:           4
        .value_kind:     by_value
      - .offset:         32
        .size:           4
        .value_kind:     by_value
      - .address_space:  global
        .offset:         40
        .size:           8
        .value_kind:     global_buffer
      - .offset:         48
        .size:           4
        .value_kind:     hidden_block_count_x
      - .offset:         52
        .size:           4
        .value_kind:     hidden_block_count_y
      - .offset:         56
        .size:           4
        .value_kind:     hidden_block_count_z
      - .offset:         60
        .size:           2
        .value_kind:     hidden_group_size_x
      - .offset:         62
        .size:           2
        .value_kind:     hidden_group_size_y
      - .offset:         64
        .size:           2
        .value_kind:     hidden_group_size_z
      - .offset:         66
        .size:           2
        .value_kind:     hidden_remainder_x
      - .offset:         68
        .size:           2
        .value_kind:     hidden_remainder_y
      - .offset:         70
        .size:           2
        .value_kind:     hidden_remainder_z
      - .offset:         88
        .size:           8
        .value_kind:     hidden_global_offset_x
      - .offset:         96
        .size:           8
        .value_kind:     hidden_global_offset_y
      - .offset:         104
        .size:           8
        .value_kind:     hidden_global_offset_z
      - .offset:         112
        .size:           2
        .value_kind:     hidden_grid_dims
    .group_segment_fixed_size: 0
    .kernarg_segment_align: 8
    .kernarg_segment_size: 304
    .language:       OpenCL C
    .language_version:
      - 2
      - 0
    .max_flat_workgroup_size: 1024
    .name:           _ZN12_GLOBAL__N_121softmax_warp_backwardIfN3c108BFloat16EfLi8ELb1ELb0ELi64EEEvPT0_PKT_S7_iiiPKb
    .private_segment_fixed_size: 0
    .sgpr_count:     18
    .sgpr_spill_count: 0
    .symbol:         _ZN12_GLOBAL__N_121softmax_warp_backwardIfN3c108BFloat16EfLi8ELb1ELb0ELi64EEEvPT0_PKT_S7_iiiPKb.kd
    .uniform_work_group_size: 1
    .uses_dynamic_stack: false
    .vgpr_count:     18
    .vgpr_spill_count: 0
    .wavefront_size: 32
    .workgroup_processor_mode: 1
  - .args:
      - .address_space:  global
        .offset:         0
        .size:           8
        .value_kind:     global_buffer
      - .address_space:  global
        .offset:         8
        .size:           8
        .value_kind:     global_buffer
      - .address_space:  global
        .offset:         16
        .size:           8
        .value_kind:     global_buffer
      - .offset:         24
        .size:           4
        .value_kind:     by_value
      - .offset:         28
        .size:           4
        .value_kind:     by_value
      - .offset:         32
        .size:           4
        .value_kind:     by_value
      - .address_space:  global
        .offset:         40
        .size:           8
        .value_kind:     global_buffer
      - .offset:         48
        .size:           4
        .value_kind:     hidden_block_count_x
      - .offset:         52
        .size:           4
        .value_kind:     hidden_block_count_y
      - .offset:         56
        .size:           4
        .value_kind:     hidden_block_count_z
      - .offset:         60
        .size:           2
        .value_kind:     hidden_group_size_x
      - .offset:         62
        .size:           2
        .value_kind:     hidden_group_size_y
      - .offset:         64
        .size:           2
        .value_kind:     hidden_group_size_z
      - .offset:         66
        .size:           2
        .value_kind:     hidden_remainder_x
      - .offset:         68
        .size:           2
        .value_kind:     hidden_remainder_y
      - .offset:         70
        .size:           2
        .value_kind:     hidden_remainder_z
      - .offset:         88
        .size:           8
        .value_kind:     hidden_global_offset_x
      - .offset:         96
        .size:           8
        .value_kind:     hidden_global_offset_y
      - .offset:         104
        .size:           8
        .value_kind:     hidden_global_offset_z
      - .offset:         112
        .size:           2
        .value_kind:     hidden_grid_dims
    .group_segment_fixed_size: 0
    .kernarg_segment_align: 8
    .kernarg_segment_size: 304
    .language:       OpenCL C
    .language_version:
      - 2
      - 0
    .max_flat_workgroup_size: 1024
    .name:           _ZN12_GLOBAL__N_121softmax_warp_backwardIfN3c108BFloat16EfLi8ELb1ELb0ELi32EEEvPT0_PKT_S7_iiiPKb
    .private_segment_fixed_size: 0
    .sgpr_count:     18
    .sgpr_spill_count: 0
    .symbol:         _ZN12_GLOBAL__N_121softmax_warp_backwardIfN3c108BFloat16EfLi8ELb1ELb0ELi32EEEvPT0_PKT_S7_iiiPKb.kd
    .uniform_work_group_size: 1
    .uses_dynamic_stack: false
    .vgpr_count:     26
    .vgpr_spill_count: 0
    .wavefront_size: 32
    .workgroup_processor_mode: 1
  - .args:
      - .address_space:  global
        .offset:         0
        .size:           8
        .value_kind:     global_buffer
      - .address_space:  global
        .offset:         8
        .size:           8
        .value_kind:     global_buffer
      - .address_space:  global
        .offset:         16
        .size:           8
        .value_kind:     global_buffer
      - .offset:         24
        .size:           4
        .value_kind:     by_value
      - .offset:         28
        .size:           4
        .value_kind:     by_value
      - .offset:         32
        .size:           4
        .value_kind:     by_value
      - .address_space:  global
        .offset:         40
        .size:           8
        .value_kind:     global_buffer
      - .offset:         48
        .size:           4
        .value_kind:     hidden_block_count_x
      - .offset:         52
        .size:           4
        .value_kind:     hidden_block_count_y
      - .offset:         56
        .size:           4
        .value_kind:     hidden_block_count_z
      - .offset:         60
        .size:           2
        .value_kind:     hidden_group_size_x
      - .offset:         62
        .size:           2
        .value_kind:     hidden_group_size_y
      - .offset:         64
        .size:           2
        .value_kind:     hidden_group_size_z
      - .offset:         66
        .size:           2
        .value_kind:     hidden_remainder_x
      - .offset:         68
        .size:           2
        .value_kind:     hidden_remainder_y
      - .offset:         70
        .size:           2
        .value_kind:     hidden_remainder_z
      - .offset:         88
        .size:           8
        .value_kind:     hidden_global_offset_x
      - .offset:         96
        .size:           8
        .value_kind:     hidden_global_offset_y
      - .offset:         104
        .size:           8
        .value_kind:     hidden_global_offset_z
      - .offset:         112
        .size:           2
        .value_kind:     hidden_grid_dims
    .group_segment_fixed_size: 0
    .kernarg_segment_align: 8
    .kernarg_segment_size: 304
    .language:       OpenCL C
    .language_version:
      - 2
      - 0
    .max_flat_workgroup_size: 1024
    .name:           _ZN12_GLOBAL__N_121softmax_warp_backwardIfN3c108BFloat16EfLi9ELb1ELb0ELi64EEEvPT0_PKT_S7_iiiPKb
    .private_segment_fixed_size: 0
    .sgpr_count:     18
    .sgpr_spill_count: 0
    .symbol:         _ZN12_GLOBAL__N_121softmax_warp_backwardIfN3c108BFloat16EfLi9ELb1ELb0ELi64EEEvPT0_PKT_S7_iiiPKb.kd
    .uniform_work_group_size: 1
    .uses_dynamic_stack: false
    .vgpr_count:     26
    .vgpr_spill_count: 0
    .wavefront_size: 32
    .workgroup_processor_mode: 1
  - .args:
      - .address_space:  global
        .offset:         0
        .size:           8
        .value_kind:     global_buffer
      - .address_space:  global
        .offset:         8
        .size:           8
        .value_kind:     global_buffer
      - .address_space:  global
        .offset:         16
        .size:           8
        .value_kind:     global_buffer
      - .offset:         24
        .size:           4
        .value_kind:     by_value
      - .offset:         28
        .size:           4
        .value_kind:     by_value
      - .offset:         32
        .size:           4
        .value_kind:     by_value
      - .address_space:  global
        .offset:         40
        .size:           8
        .value_kind:     global_buffer
      - .offset:         48
        .size:           4
        .value_kind:     hidden_block_count_x
      - .offset:         52
        .size:           4
        .value_kind:     hidden_block_count_y
      - .offset:         56
        .size:           4
        .value_kind:     hidden_block_count_z
      - .offset:         60
        .size:           2
        .value_kind:     hidden_group_size_x
      - .offset:         62
        .size:           2
        .value_kind:     hidden_group_size_y
      - .offset:         64
        .size:           2
        .value_kind:     hidden_group_size_z
      - .offset:         66
        .size:           2
        .value_kind:     hidden_remainder_x
      - .offset:         68
        .size:           2
        .value_kind:     hidden_remainder_y
      - .offset:         70
        .size:           2
        .value_kind:     hidden_remainder_z
      - .offset:         88
        .size:           8
        .value_kind:     hidden_global_offset_x
      - .offset:         96
        .size:           8
        .value_kind:     hidden_global_offset_y
      - .offset:         104
        .size:           8
        .value_kind:     hidden_global_offset_z
      - .offset:         112
        .size:           2
        .value_kind:     hidden_grid_dims
    .group_segment_fixed_size: 0
    .kernarg_segment_align: 8
    .kernarg_segment_size: 304
    .language:       OpenCL C
    .language_version:
      - 2
      - 0
    .max_flat_workgroup_size: 1024
    .name:           _ZN12_GLOBAL__N_121softmax_warp_backwardIfN3c108BFloat16EfLi9ELb1ELb0ELi32EEEvPT0_PKT_S7_iiiPKb
    .private_segment_fixed_size: 0
    .sgpr_count:     26
    .sgpr_spill_count: 0
    .symbol:         _ZN12_GLOBAL__N_121softmax_warp_backwardIfN3c108BFloat16EfLi9ELb1ELb0ELi32EEEvPT0_PKT_S7_iiiPKb.kd
    .uniform_work_group_size: 1
    .uses_dynamic_stack: false
    .vgpr_count:     42
    .vgpr_spill_count: 0
    .wavefront_size: 32
    .workgroup_processor_mode: 1
  - .args:
      - .address_space:  global
        .offset:         0
        .size:           8
        .value_kind:     global_buffer
      - .address_space:  global
        .offset:         8
        .size:           8
        .value_kind:     global_buffer
      - .address_space:  global
        .offset:         16
        .size:           8
        .value_kind:     global_buffer
      - .offset:         24
        .size:           4
        .value_kind:     by_value
      - .offset:         28
        .size:           4
        .value_kind:     by_value
      - .offset:         32
        .size:           4
        .value_kind:     by_value
      - .address_space:  global
        .offset:         40
        .size:           8
        .value_kind:     global_buffer
      - .offset:         48
        .size:           4
        .value_kind:     hidden_block_count_x
      - .offset:         52
        .size:           4
        .value_kind:     hidden_block_count_y
      - .offset:         56
        .size:           4
        .value_kind:     hidden_block_count_z
      - .offset:         60
        .size:           2
        .value_kind:     hidden_group_size_x
      - .offset:         62
        .size:           2
        .value_kind:     hidden_group_size_y
      - .offset:         64
        .size:           2
        .value_kind:     hidden_group_size_z
      - .offset:         66
        .size:           2
        .value_kind:     hidden_remainder_x
      - .offset:         68
        .size:           2
        .value_kind:     hidden_remainder_y
      - .offset:         70
        .size:           2
        .value_kind:     hidden_remainder_z
      - .offset:         88
        .size:           8
        .value_kind:     hidden_global_offset_x
      - .offset:         96
        .size:           8
        .value_kind:     hidden_global_offset_y
      - .offset:         104
        .size:           8
        .value_kind:     hidden_global_offset_z
      - .offset:         112
        .size:           2
        .value_kind:     hidden_grid_dims
    .group_segment_fixed_size: 0
    .kernarg_segment_align: 8
    .kernarg_segment_size: 304
    .language:       OpenCL C
    .language_version:
      - 2
      - 0
    .max_flat_workgroup_size: 1024
    .name:           _ZN12_GLOBAL__N_121softmax_warp_backwardIfN3c108BFloat16EfLi10ELb1ELb0ELi64EEEvPT0_PKT_S7_iiiPKb
    .private_segment_fixed_size: 0
    .sgpr_count:     26
    .sgpr_spill_count: 0
    .symbol:         _ZN12_GLOBAL__N_121softmax_warp_backwardIfN3c108BFloat16EfLi10ELb1ELb0ELi64EEEvPT0_PKT_S7_iiiPKb.kd
    .uniform_work_group_size: 1
    .uses_dynamic_stack: false
    .vgpr_count:     42
    .vgpr_spill_count: 0
    .wavefront_size: 32
    .workgroup_processor_mode: 1
  - .args:
      - .address_space:  global
        .offset:         0
        .size:           8
        .value_kind:     global_buffer
      - .address_space:  global
        .offset:         8
        .size:           8
        .value_kind:     global_buffer
      - .address_space:  global
        .offset:         16
        .size:           8
        .value_kind:     global_buffer
      - .offset:         24
        .size:           4
        .value_kind:     by_value
      - .offset:         28
        .size:           4
        .value_kind:     by_value
      - .offset:         32
        .size:           4
        .value_kind:     by_value
      - .address_space:  global
        .offset:         40
        .size:           8
        .value_kind:     global_buffer
      - .offset:         48
        .size:           4
        .value_kind:     hidden_block_count_x
      - .offset:         52
        .size:           4
        .value_kind:     hidden_block_count_y
      - .offset:         56
        .size:           4
        .value_kind:     hidden_block_count_z
      - .offset:         60
        .size:           2
        .value_kind:     hidden_group_size_x
      - .offset:         62
        .size:           2
        .value_kind:     hidden_group_size_y
      - .offset:         64
        .size:           2
        .value_kind:     hidden_group_size_z
      - .offset:         66
        .size:           2
        .value_kind:     hidden_remainder_x
      - .offset:         68
        .size:           2
        .value_kind:     hidden_remainder_y
      - .offset:         70
        .size:           2
        .value_kind:     hidden_remainder_z
      - .offset:         88
        .size:           8
        .value_kind:     hidden_global_offset_x
      - .offset:         96
        .size:           8
        .value_kind:     hidden_global_offset_y
      - .offset:         104
        .size:           8
        .value_kind:     hidden_global_offset_z
      - .offset:         112
        .size:           2
        .value_kind:     hidden_grid_dims
    .group_segment_fixed_size: 0
    .kernarg_segment_align: 8
    .kernarg_segment_size: 304
    .language:       OpenCL C
    .language_version:
      - 2
      - 0
    .max_flat_workgroup_size: 1024
    .name:           _ZN12_GLOBAL__N_121softmax_warp_backwardIfN3c108BFloat16EfLi10ELb1ELb0ELi32EEEvPT0_PKT_S7_iiiPKb
    .private_segment_fixed_size: 0
    .sgpr_count:     46
    .sgpr_spill_count: 0
    .symbol:         _ZN12_GLOBAL__N_121softmax_warp_backwardIfN3c108BFloat16EfLi10ELb1ELb0ELi32EEEvPT0_PKT_S7_iiiPKb.kd
    .uniform_work_group_size: 1
    .uses_dynamic_stack: false
    .vgpr_count:     74
    .vgpr_spill_count: 0
    .wavefront_size: 32
    .workgroup_processor_mode: 1
  - .args:
      - .address_space:  global
        .offset:         0
        .size:           8
        .value_kind:     global_buffer
      - .address_space:  global
        .offset:         8
        .size:           8
        .value_kind:     global_buffer
      - .address_space:  global
        .offset:         16
        .size:           8
        .value_kind:     global_buffer
      - .offset:         24
        .size:           8
        .value_kind:     by_value
      - .offset:         32
        .size:           4
        .value_kind:     hidden_block_count_x
      - .offset:         36
        .size:           4
        .value_kind:     hidden_block_count_y
      - .offset:         40
        .size:           4
        .value_kind:     hidden_block_count_z
      - .offset:         44
        .size:           2
        .value_kind:     hidden_group_size_x
      - .offset:         46
        .size:           2
        .value_kind:     hidden_group_size_y
      - .offset:         48
        .size:           2
        .value_kind:     hidden_group_size_z
      - .offset:         50
        .size:           2
        .value_kind:     hidden_remainder_x
      - .offset:         52
        .size:           2
        .value_kind:     hidden_remainder_y
      - .offset:         54
        .size:           2
        .value_kind:     hidden_remainder_z
      - .offset:         72
        .size:           8
        .value_kind:     hidden_global_offset_x
      - .offset:         80
        .size:           8
        .value_kind:     hidden_global_offset_y
      - .offset:         88
        .size:           8
        .value_kind:     hidden_global_offset_z
      - .offset:         96
        .size:           2
        .value_kind:     hidden_grid_dims
      - .offset:         152
        .size:           4
        .value_kind:     hidden_dynamic_lds_size
    .group_segment_fixed_size: 0
    .kernarg_segment_align: 8
    .kernarg_segment_size: 288
    .language:       OpenCL C
    .language_version:
      - 2
      - 0
    .max_flat_workgroup_size: 1024
    .name:           _ZN2at6native12_GLOBAL__N_124cunn_SoftMaxBackwardSmemILi4EN3c108BFloat16EffNS1_26LogSoftMaxBackwardEpilogueEEEvPT0_PKT2_SA_l
    .private_segment_fixed_size: 0
    .sgpr_count:     20
    .sgpr_spill_count: 0
    .symbol:         _ZN2at6native12_GLOBAL__N_124cunn_SoftMaxBackwardSmemILi4EN3c108BFloat16EffNS1_26LogSoftMaxBackwardEpilogueEEEvPT0_PKT2_SA_l.kd
    .uniform_work_group_size: 1
    .uses_dynamic_stack: false
    .vgpr_count:     26
    .vgpr_spill_count: 0
    .wavefront_size: 32
    .workgroup_processor_mode: 1
  - .args:
      - .address_space:  global
        .offset:         0
        .size:           8
        .value_kind:     global_buffer
      - .address_space:  global
        .offset:         8
        .size:           8
        .value_kind:     global_buffer
      - .address_space:  global
        .offset:         16
        .size:           8
        .value_kind:     global_buffer
      - .offset:         24
        .size:           8
        .value_kind:     by_value
      - .offset:         32
        .size:           4
        .value_kind:     hidden_block_count_x
      - .offset:         36
        .size:           4
        .value_kind:     hidden_block_count_y
      - .offset:         40
        .size:           4
        .value_kind:     hidden_block_count_z
      - .offset:         44
        .size:           2
        .value_kind:     hidden_group_size_x
      - .offset:         46
        .size:           2
        .value_kind:     hidden_group_size_y
      - .offset:         48
        .size:           2
        .value_kind:     hidden_group_size_z
      - .offset:         50
        .size:           2
        .value_kind:     hidden_remainder_x
      - .offset:         52
        .size:           2
        .value_kind:     hidden_remainder_y
      - .offset:         54
        .size:           2
        .value_kind:     hidden_remainder_z
      - .offset:         72
        .size:           8
        .value_kind:     hidden_global_offset_x
      - .offset:         80
        .size:           8
        .value_kind:     hidden_global_offset_y
      - .offset:         88
        .size:           8
        .value_kind:     hidden_global_offset_z
      - .offset:         96
        .size:           2
        .value_kind:     hidden_grid_dims
      - .offset:         152
        .size:           4
        .value_kind:     hidden_dynamic_lds_size
    .group_segment_fixed_size: 0
    .kernarg_segment_align: 8
    .kernarg_segment_size: 288
    .language:       OpenCL C
    .language_version:
      - 2
      - 0
    .max_flat_workgroup_size: 1024
    .name:           _ZN2at6native12_GLOBAL__N_120cunn_SoftMaxBackwardILi4EN3c108BFloat16EffNS1_26LogSoftMaxBackwardEpilogueEEEvPT0_PKT2_SA_l
    .private_segment_fixed_size: 0
    .sgpr_count:     61
    .sgpr_spill_count: 0
    .symbol:         _ZN2at6native12_GLOBAL__N_120cunn_SoftMaxBackwardILi4EN3c108BFloat16EffNS1_26LogSoftMaxBackwardEpilogueEEEvPT0_PKT2_SA_l.kd
    .uniform_work_group_size: 1
    .uses_dynamic_stack: false
    .vgpr_count:     34
    .vgpr_spill_count: 0
    .wavefront_size: 32
    .workgroup_processor_mode: 1
  - .args:
      - .address_space:  global
        .offset:         0
        .size:           8
        .value_kind:     global_buffer
      - .address_space:  global
        .offset:         8
        .size:           8
        .value_kind:     global_buffer
      - .address_space:  global
        .offset:         16
        .size:           8
        .value_kind:     global_buffer
      - .offset:         24
        .size:           4
        .value_kind:     by_value
      - .offset:         28
        .size:           4
        .value_kind:     by_value
      - .offset:         32
        .size:           4
        .value_kind:     by_value
      - .offset:         40
        .size:           4
        .value_kind:     hidden_block_count_x
      - .offset:         44
        .size:           4
        .value_kind:     hidden_block_count_y
      - .offset:         48
        .size:           4
        .value_kind:     hidden_block_count_z
      - .offset:         52
        .size:           2
        .value_kind:     hidden_group_size_x
      - .offset:         54
        .size:           2
        .value_kind:     hidden_group_size_y
      - .offset:         56
        .size:           2
        .value_kind:     hidden_group_size_z
      - .offset:         58
        .size:           2
        .value_kind:     hidden_remainder_x
      - .offset:         60
        .size:           2
        .value_kind:     hidden_remainder_y
      - .offset:         62
        .size:           2
        .value_kind:     hidden_remainder_z
      - .offset:         80
        .size:           8
        .value_kind:     hidden_global_offset_x
      - .offset:         88
        .size:           8
        .value_kind:     hidden_global_offset_y
      - .offset:         96
        .size:           8
        .value_kind:     hidden_global_offset_z
      - .offset:         104
        .size:           2
        .value_kind:     hidden_grid_dims
      - .offset:         160
        .size:           4
        .value_kind:     hidden_dynamic_lds_size
    .group_segment_fixed_size: 0
    .kernarg_segment_align: 8
    .kernarg_segment_size: 296
    .language:       OpenCL C
    .language_version:
      - 2
      - 0
    .max_flat_workgroup_size: 1024
    .name:           _ZN2at6native12_GLOBAL__N_127cunn_SpatialSoftMaxBackwardIdddNS1_26LogSoftMaxBackwardEpilogueEEEvPT_PKT1_S8_jjj
    .private_segment_fixed_size: 0
    .sgpr_count:     55
    .sgpr_spill_count: 0
    .symbol:         _ZN2at6native12_GLOBAL__N_127cunn_SpatialSoftMaxBackwardIdddNS1_26LogSoftMaxBackwardEpilogueEEEvPT_PKT1_S8_jjj.kd
    .uniform_work_group_size: 1
    .uses_dynamic_stack: false
    .vgpr_count:     28
    .vgpr_spill_count: 0
    .wavefront_size: 32
    .workgroup_processor_mode: 1
  - .args:
      - .address_space:  global
        .offset:         0
        .size:           8
        .value_kind:     global_buffer
      - .address_space:  global
        .offset:         8
        .size:           8
        .value_kind:     global_buffer
      - .address_space:  global
        .offset:         16
        .size:           8
        .value_kind:     global_buffer
      - .offset:         24
        .size:           4
        .value_kind:     by_value
      - .offset:         28
        .size:           4
        .value_kind:     by_value
      - .offset:         32
        .size:           4
        .value_kind:     by_value
      - .offset:         40
        .size:           4
        .value_kind:     hidden_block_count_x
      - .offset:         44
        .size:           4
        .value_kind:     hidden_block_count_y
      - .offset:         48
        .size:           4
        .value_kind:     hidden_block_count_z
      - .offset:         52
        .size:           2
        .value_kind:     hidden_group_size_x
      - .offset:         54
        .size:           2
        .value_kind:     hidden_group_size_y
      - .offset:         56
        .size:           2
        .value_kind:     hidden_group_size_z
      - .offset:         58
        .size:           2
        .value_kind:     hidden_remainder_x
      - .offset:         60
        .size:           2
        .value_kind:     hidden_remainder_y
      - .offset:         62
        .size:           2
        .value_kind:     hidden_remainder_z
      - .offset:         80
        .size:           8
        .value_kind:     hidden_global_offset_x
      - .offset:         88
        .size:           8
        .value_kind:     hidden_global_offset_y
      - .offset:         96
        .size:           8
        .value_kind:     hidden_global_offset_z
      - .offset:         104
        .size:           2
        .value_kind:     hidden_grid_dims
      - .offset:         160
        .size:           4
        .value_kind:     hidden_dynamic_lds_size
    .group_segment_fixed_size: 0
    .kernarg_segment_align: 8
    .kernarg_segment_size: 296
    .language:       OpenCL C
    .language_version:
      - 2
      - 0
    .max_flat_workgroup_size: 1024
    .name:           _ZN2at6native12_GLOBAL__N_127cunn_SpatialSoftMaxBackwardIfffNS1_26LogSoftMaxBackwardEpilogueEEEvPT_PKT1_S8_jjj
    .private_segment_fixed_size: 0
    .sgpr_count:     28
    .sgpr_spill_count: 0
    .symbol:         _ZN2at6native12_GLOBAL__N_127cunn_SpatialSoftMaxBackwardIfffNS1_26LogSoftMaxBackwardEpilogueEEEvPT_PKT1_S8_jjj.kd
    .uniform_work_group_size: 1
    .uses_dynamic_stack: false
    .vgpr_count:     21
    .vgpr_spill_count: 0
    .wavefront_size: 32
    .workgroup_processor_mode: 1
  - .args:
      - .address_space:  global
        .offset:         0
        .size:           8
        .value_kind:     global_buffer
      - .address_space:  global
        .offset:         8
        .size:           8
        .value_kind:     global_buffer
      - .address_space:  global
        .offset:         16
        .size:           8
        .value_kind:     global_buffer
      - .offset:         24
        .size:           4
        .value_kind:     by_value
      - .offset:         28
        .size:           4
        .value_kind:     by_value
      - .offset:         32
        .size:           4
        .value_kind:     by_value
      - .offset:         40
        .size:           4
        .value_kind:     hidden_block_count_x
      - .offset:         44
        .size:           4
        .value_kind:     hidden_block_count_y
      - .offset:         48
        .size:           4
        .value_kind:     hidden_block_count_z
      - .offset:         52
        .size:           2
        .value_kind:     hidden_group_size_x
      - .offset:         54
        .size:           2
        .value_kind:     hidden_group_size_y
      - .offset:         56
        .size:           2
        .value_kind:     hidden_group_size_z
      - .offset:         58
        .size:           2
        .value_kind:     hidden_remainder_x
      - .offset:         60
        .size:           2
        .value_kind:     hidden_remainder_y
      - .offset:         62
        .size:           2
        .value_kind:     hidden_remainder_z
      - .offset:         80
        .size:           8
        .value_kind:     hidden_global_offset_x
      - .offset:         88
        .size:           8
        .value_kind:     hidden_global_offset_y
      - .offset:         96
        .size:           8
        .value_kind:     hidden_global_offset_z
      - .offset:         104
        .size:           2
        .value_kind:     hidden_grid_dims
      - .offset:         160
        .size:           4
        .value_kind:     hidden_dynamic_lds_size
    .group_segment_fixed_size: 0
    .kernarg_segment_align: 8
    .kernarg_segment_size: 296
    .language:       OpenCL C
    .language_version:
      - 2
      - 0
    .max_flat_workgroup_size: 1024
    .name:           _ZN2at6native12_GLOBAL__N_127cunn_SpatialSoftMaxBackwardIN3c104HalfEfS4_NS1_26LogSoftMaxBackwardEpilogueEEEvPT_PKT1_SA_jjj
    .private_segment_fixed_size: 0
    .sgpr_count:     30
    .sgpr_spill_count: 0
    .symbol:         _ZN2at6native12_GLOBAL__N_127cunn_SpatialSoftMaxBackwardIN3c104HalfEfS4_NS1_26LogSoftMaxBackwardEpilogueEEEvPT_PKT1_SA_jjj.kd
    .uniform_work_group_size: 1
    .uses_dynamic_stack: false
    .vgpr_count:     22
    .vgpr_spill_count: 0
    .wavefront_size: 32
    .workgroup_processor_mode: 1
  - .args:
      - .address_space:  global
        .offset:         0
        .size:           8
        .value_kind:     global_buffer
      - .address_space:  global
        .offset:         8
        .size:           8
        .value_kind:     global_buffer
      - .address_space:  global
        .offset:         16
        .size:           8
        .value_kind:     global_buffer
      - .offset:         24
        .size:           4
        .value_kind:     by_value
      - .offset:         28
        .size:           4
        .value_kind:     by_value
      - .offset:         32
        .size:           4
        .value_kind:     by_value
      - .offset:         40
        .size:           4
        .value_kind:     hidden_block_count_x
      - .offset:         44
        .size:           4
        .value_kind:     hidden_block_count_y
      - .offset:         48
        .size:           4
        .value_kind:     hidden_block_count_z
      - .offset:         52
        .size:           2
        .value_kind:     hidden_group_size_x
      - .offset:         54
        .size:           2
        .value_kind:     hidden_group_size_y
      - .offset:         56
        .size:           2
        .value_kind:     hidden_group_size_z
      - .offset:         58
        .size:           2
        .value_kind:     hidden_remainder_x
      - .offset:         60
        .size:           2
        .value_kind:     hidden_remainder_y
      - .offset:         62
        .size:           2
        .value_kind:     hidden_remainder_z
      - .offset:         80
        .size:           8
        .value_kind:     hidden_global_offset_x
      - .offset:         88
        .size:           8
        .value_kind:     hidden_global_offset_y
      - .offset:         96
        .size:           8
        .value_kind:     hidden_global_offset_z
      - .offset:         104
        .size:           2
        .value_kind:     hidden_grid_dims
      - .offset:         160
        .size:           4
        .value_kind:     hidden_dynamic_lds_size
    .group_segment_fixed_size: 0
    .kernarg_segment_align: 8
    .kernarg_segment_size: 296
    .language:       OpenCL C
    .language_version:
      - 2
      - 0
    .max_flat_workgroup_size: 1024
    .name:           _ZN2at6native12_GLOBAL__N_127cunn_SpatialSoftMaxBackwardIN3c104HalfEffNS1_26LogSoftMaxBackwardEpilogueEEEvPT_PKT1_SA_jjj
    .private_segment_fixed_size: 0
    .sgpr_count:     28
    .sgpr_spill_count: 0
    .symbol:         _ZN2at6native12_GLOBAL__N_127cunn_SpatialSoftMaxBackwardIN3c104HalfEffNS1_26LogSoftMaxBackwardEpilogueEEEvPT_PKT1_SA_jjj.kd
    .uniform_work_group_size: 1
    .uses_dynamic_stack: false
    .vgpr_count:     19
    .vgpr_spill_count: 0
    .wavefront_size: 32
    .workgroup_processor_mode: 1
  - .args:
      - .address_space:  global
        .offset:         0
        .size:           8
        .value_kind:     global_buffer
      - .address_space:  global
        .offset:         8
        .size:           8
        .value_kind:     global_buffer
      - .address_space:  global
        .offset:         16
        .size:           8
        .value_kind:     global_buffer
      - .offset:         24
        .size:           4
        .value_kind:     by_value
      - .offset:         28
        .size:           4
        .value_kind:     by_value
      - .offset:         32
        .size:           4
        .value_kind:     by_value
      - .offset:         40
        .size:           4
        .value_kind:     hidden_block_count_x
      - .offset:         44
        .size:           4
        .value_kind:     hidden_block_count_y
      - .offset:         48
        .size:           4
        .value_kind:     hidden_block_count_z
      - .offset:         52
        .size:           2
        .value_kind:     hidden_group_size_x
      - .offset:         54
        .size:           2
        .value_kind:     hidden_group_size_y
      - .offset:         56
        .size:           2
        .value_kind:     hidden_group_size_z
      - .offset:         58
        .size:           2
        .value_kind:     hidden_remainder_x
      - .offset:         60
        .size:           2
        .value_kind:     hidden_remainder_y
      - .offset:         62
        .size:           2
        .value_kind:     hidden_remainder_z
      - .offset:         80
        .size:           8
        .value_kind:     hidden_global_offset_x
      - .offset:         88
        .size:           8
        .value_kind:     hidden_global_offset_y
      - .offset:         96
        .size:           8
        .value_kind:     hidden_global_offset_z
      - .offset:         104
        .size:           2
        .value_kind:     hidden_grid_dims
      - .offset:         160
        .size:           4
        .value_kind:     hidden_dynamic_lds_size
    .group_segment_fixed_size: 0
    .kernarg_segment_align: 8
    .kernarg_segment_size: 296
    .language:       OpenCL C
    .language_version:
      - 2
      - 0
    .max_flat_workgroup_size: 1024
    .name:           _ZN2at6native12_GLOBAL__N_127cunn_SpatialSoftMaxBackwardIN3c108BFloat16EfS4_NS1_26LogSoftMaxBackwardEpilogueEEEvPT_PKT1_SA_jjj
    .private_segment_fixed_size: 0
    .sgpr_count:     28
    .sgpr_spill_count: 0
    .symbol:         _ZN2at6native12_GLOBAL__N_127cunn_SpatialSoftMaxBackwardIN3c108BFloat16EfS4_NS1_26LogSoftMaxBackwardEpilogueEEEvPT_PKT1_SA_jjj.kd
    .uniform_work_group_size: 1
    .uses_dynamic_stack: false
    .vgpr_count:     22
    .vgpr_spill_count: 0
    .wavefront_size: 32
    .workgroup_processor_mode: 1
  - .args:
      - .address_space:  global
        .offset:         0
        .size:           8
        .value_kind:     global_buffer
      - .address_space:  global
        .offset:         8
        .size:           8
        .value_kind:     global_buffer
      - .address_space:  global
        .offset:         16
        .size:           8
        .value_kind:     global_buffer
      - .offset:         24
        .size:           4
        .value_kind:     by_value
      - .offset:         28
        .size:           4
        .value_kind:     by_value
      - .offset:         32
        .size:           4
        .value_kind:     by_value
      - .offset:         40
        .size:           4
        .value_kind:     hidden_block_count_x
      - .offset:         44
        .size:           4
        .value_kind:     hidden_block_count_y
      - .offset:         48
        .size:           4
        .value_kind:     hidden_block_count_z
      - .offset:         52
        .size:           2
        .value_kind:     hidden_group_size_x
      - .offset:         54
        .size:           2
        .value_kind:     hidden_group_size_y
      - .offset:         56
        .size:           2
        .value_kind:     hidden_group_size_z
      - .offset:         58
        .size:           2
        .value_kind:     hidden_remainder_x
      - .offset:         60
        .size:           2
        .value_kind:     hidden_remainder_y
      - .offset:         62
        .size:           2
        .value_kind:     hidden_remainder_z
      - .offset:         80
        .size:           8
        .value_kind:     hidden_global_offset_x
      - .offset:         88
        .size:           8
        .value_kind:     hidden_global_offset_y
      - .offset:         96
        .size:           8
        .value_kind:     hidden_global_offset_z
      - .offset:         104
        .size:           2
        .value_kind:     hidden_grid_dims
      - .offset:         160
        .size:           4
        .value_kind:     hidden_dynamic_lds_size
    .group_segment_fixed_size: 0
    .kernarg_segment_align: 8
    .kernarg_segment_size: 296
    .language:       OpenCL C
    .language_version:
      - 2
      - 0
    .max_flat_workgroup_size: 1024
    .name:           _ZN2at6native12_GLOBAL__N_127cunn_SpatialSoftMaxBackwardIN3c108BFloat16EffNS1_26LogSoftMaxBackwardEpilogueEEEvPT_PKT1_SA_jjj
    .private_segment_fixed_size: 0
    .sgpr_count:     28
    .sgpr_spill_count: 0
    .symbol:         _ZN2at6native12_GLOBAL__N_127cunn_SpatialSoftMaxBackwardIN3c108BFloat16EffNS1_26LogSoftMaxBackwardEpilogueEEEvPT_PKT1_SA_jjj.kd
    .uniform_work_group_size: 1
    .uses_dynamic_stack: false
    .vgpr_count:     19
    .vgpr_spill_count: 0
    .wavefront_size: 32
    .workgroup_processor_mode: 1
  - .args:
      - .address_space:  global
        .offset:         0
        .size:           8
        .value_kind:     global_buffer
      - .address_space:  global
        .offset:         8
        .size:           8
        .value_kind:     global_buffer
      - .offset:         16
        .size:           4
        .value_kind:     by_value
      - .offset:         20
        .size:           4
        .value_kind:     by_value
      - .offset:         24
        .size:           4
        .value_kind:     by_value
      - .address_space:  global
        .offset:         32
        .size:           8
        .value_kind:     global_buffer
      - .offset:         40
        .size:           4
        .value_kind:     by_value
      - .offset:         44
        .size:           1
        .value_kind:     by_value
      - .offset:         48
        .size:           4
        .value_kind:     hidden_block_count_x
      - .offset:         52
        .size:           4
        .value_kind:     hidden_block_count_y
      - .offset:         56
        .size:           4
        .value_kind:     hidden_block_count_z
      - .offset:         60
        .size:           2
        .value_kind:     hidden_group_size_x
      - .offset:         62
        .size:           2
        .value_kind:     hidden_group_size_y
      - .offset:         64
        .size:           2
        .value_kind:     hidden_group_size_z
      - .offset:         66
        .size:           2
        .value_kind:     hidden_remainder_x
      - .offset:         68
        .size:           2
        .value_kind:     hidden_remainder_y
      - .offset:         70
        .size:           2
        .value_kind:     hidden_remainder_z
      - .offset:         88
        .size:           8
        .value_kind:     hidden_global_offset_x
      - .offset:         96
        .size:           8
        .value_kind:     hidden_global_offset_y
      - .offset:         104
        .size:           8
        .value_kind:     hidden_global_offset_z
      - .offset:         112
        .size:           2
        .value_kind:     hidden_grid_dims
    .group_segment_fixed_size: 0
    .kernarg_segment_align: 8
    .kernarg_segment_size: 304
    .language:       OpenCL C
    .language_version:
      - 2
      - 0
    .max_flat_workgroup_size: 1024
    .name:           _ZN12_GLOBAL__N_120softmax_warp_forwardIdddLi0ELb0ELb0ELi64EEEvPT0_PKT_iiiPKbib
    .private_segment_fixed_size: 0
    .sgpr_count:     18
    .sgpr_spill_count: 0
    .symbol:         _ZN12_GLOBAL__N_120softmax_warp_forwardIdddLi0ELb0ELb0ELi64EEEvPT0_PKT_iiiPKbib.kd
    .uniform_work_group_size: 1
    .uses_dynamic_stack: false
    .vgpr_count:     17
    .vgpr_spill_count: 0
    .wavefront_size: 32
    .workgroup_processor_mode: 1
  - .args:
      - .address_space:  global
        .offset:         0
        .size:           8
        .value_kind:     global_buffer
      - .address_space:  global
        .offset:         8
        .size:           8
        .value_kind:     global_buffer
      - .offset:         16
        .size:           4
        .value_kind:     by_value
      - .offset:         20
        .size:           4
        .value_kind:     by_value
      - .offset:         24
        .size:           4
        .value_kind:     by_value
      - .address_space:  global
        .offset:         32
        .size:           8
        .value_kind:     global_buffer
      - .offset:         40
        .size:           4
        .value_kind:     by_value
      - .offset:         44
        .size:           1
        .value_kind:     by_value
      - .offset:         48
        .size:           4
        .value_kind:     hidden_block_count_x
      - .offset:         52
        .size:           4
        .value_kind:     hidden_block_count_y
      - .offset:         56
        .size:           4
        .value_kind:     hidden_block_count_z
      - .offset:         60
        .size:           2
        .value_kind:     hidden_group_size_x
      - .offset:         62
        .size:           2
        .value_kind:     hidden_group_size_y
      - .offset:         64
        .size:           2
        .value_kind:     hidden_group_size_z
      - .offset:         66
        .size:           2
        .value_kind:     hidden_remainder_x
      - .offset:         68
        .size:           2
        .value_kind:     hidden_remainder_y
      - .offset:         70
        .size:           2
        .value_kind:     hidden_remainder_z
      - .offset:         88
        .size:           8
        .value_kind:     hidden_global_offset_x
      - .offset:         96
        .size:           8
        .value_kind:     hidden_global_offset_y
      - .offset:         104
        .size:           8
        .value_kind:     hidden_global_offset_z
      - .offset:         112
        .size:           2
        .value_kind:     hidden_grid_dims
    .group_segment_fixed_size: 0
    .kernarg_segment_align: 8
    .kernarg_segment_size: 304
    .language:       OpenCL C
    .language_version:
      - 2
      - 0
    .max_flat_workgroup_size: 1024
    .name:           _ZN12_GLOBAL__N_120softmax_warp_forwardIdddLi0ELb0ELb0ELi32EEEvPT0_PKT_iiiPKbib
    .private_segment_fixed_size: 0
    .sgpr_count:     18
    .sgpr_spill_count: 0
    .symbol:         _ZN12_GLOBAL__N_120softmax_warp_forwardIdddLi0ELb0ELb0ELi32EEEvPT0_PKT_iiiPKbib.kd
    .uniform_work_group_size: 1
    .uses_dynamic_stack: false
    .vgpr_count:     17
    .vgpr_spill_count: 0
    .wavefront_size: 32
    .workgroup_processor_mode: 1
  - .args:
      - .address_space:  global
        .offset:         0
        .size:           8
        .value_kind:     global_buffer
      - .address_space:  global
        .offset:         8
        .size:           8
        .value_kind:     global_buffer
      - .offset:         16
        .size:           4
        .value_kind:     by_value
      - .offset:         20
        .size:           4
        .value_kind:     by_value
      - .offset:         24
        .size:           4
        .value_kind:     by_value
      - .address_space:  global
        .offset:         32
        .size:           8
        .value_kind:     global_buffer
      - .offset:         40
        .size:           4
        .value_kind:     by_value
      - .offset:         44
        .size:           1
        .value_kind:     by_value
      - .offset:         48
        .size:           4
        .value_kind:     hidden_block_count_x
      - .offset:         52
        .size:           4
        .value_kind:     hidden_block_count_y
      - .offset:         56
        .size:           4
        .value_kind:     hidden_block_count_z
      - .offset:         60
        .size:           2
        .value_kind:     hidden_group_size_x
      - .offset:         62
        .size:           2
        .value_kind:     hidden_group_size_y
      - .offset:         64
        .size:           2
        .value_kind:     hidden_group_size_z
      - .offset:         66
        .size:           2
        .value_kind:     hidden_remainder_x
      - .offset:         68
        .size:           2
        .value_kind:     hidden_remainder_y
      - .offset:         70
        .size:           2
        .value_kind:     hidden_remainder_z
      - .offset:         88
        .size:           8
        .value_kind:     hidden_global_offset_x
      - .offset:         96
        .size:           8
        .value_kind:     hidden_global_offset_y
      - .offset:         104
        .size:           8
        .value_kind:     hidden_global_offset_z
      - .offset:         112
        .size:           2
        .value_kind:     hidden_grid_dims
    .group_segment_fixed_size: 0
    .kernarg_segment_align: 8
    .kernarg_segment_size: 304
    .language:       OpenCL C
    .language_version:
      - 2
      - 0
    .max_flat_workgroup_size: 1024
    .name:           _ZN12_GLOBAL__N_120softmax_warp_forwardIdddLi1ELb0ELb0ELi64EEEvPT0_PKT_iiiPKbib
    .private_segment_fixed_size: 0
    .sgpr_count:     18
    .sgpr_spill_count: 0
    .symbol:         _ZN12_GLOBAL__N_120softmax_warp_forwardIdddLi1ELb0ELb0ELi64EEEvPT0_PKT_iiiPKbib.kd
    .uniform_work_group_size: 1
    .uses_dynamic_stack: false
    .vgpr_count:     22
    .vgpr_spill_count: 0
    .wavefront_size: 32
    .workgroup_processor_mode: 1
  - .args:
      - .address_space:  global
        .offset:         0
        .size:           8
        .value_kind:     global_buffer
      - .address_space:  global
        .offset:         8
        .size:           8
        .value_kind:     global_buffer
      - .offset:         16
        .size:           4
        .value_kind:     by_value
      - .offset:         20
        .size:           4
        .value_kind:     by_value
      - .offset:         24
        .size:           4
        .value_kind:     by_value
      - .address_space:  global
        .offset:         32
        .size:           8
        .value_kind:     global_buffer
      - .offset:         40
        .size:           4
        .value_kind:     by_value
      - .offset:         44
        .size:           1
        .value_kind:     by_value
      - .offset:         48
        .size:           4
        .value_kind:     hidden_block_count_x
      - .offset:         52
        .size:           4
        .value_kind:     hidden_block_count_y
      - .offset:         56
        .size:           4
        .value_kind:     hidden_block_count_z
      - .offset:         60
        .size:           2
        .value_kind:     hidden_group_size_x
      - .offset:         62
        .size:           2
        .value_kind:     hidden_group_size_y
      - .offset:         64
        .size:           2
        .value_kind:     hidden_group_size_z
      - .offset:         66
        .size:           2
        .value_kind:     hidden_remainder_x
      - .offset:         68
        .size:           2
        .value_kind:     hidden_remainder_y
      - .offset:         70
        .size:           2
        .value_kind:     hidden_remainder_z
      - .offset:         88
        .size:           8
        .value_kind:     hidden_global_offset_x
      - .offset:         96
        .size:           8
        .value_kind:     hidden_global_offset_y
      - .offset:         104
        .size:           8
        .value_kind:     hidden_global_offset_z
      - .offset:         112
        .size:           2
        .value_kind:     hidden_grid_dims
    .group_segment_fixed_size: 0
    .kernarg_segment_align: 8
    .kernarg_segment_size: 304
    .language:       OpenCL C
    .language_version:
      - 2
      - 0
    .max_flat_workgroup_size: 1024
    .name:           _ZN12_GLOBAL__N_120softmax_warp_forwardIdddLi1ELb0ELb0ELi32EEEvPT0_PKT_iiiPKbib
    .private_segment_fixed_size: 0
    .sgpr_count:     18
    .sgpr_spill_count: 0
    .symbol:         _ZN12_GLOBAL__N_120softmax_warp_forwardIdddLi1ELb0ELb0ELi32EEEvPT0_PKT_iiiPKbib.kd
    .uniform_work_group_size: 1
    .uses_dynamic_stack: false
    .vgpr_count:     22
    .vgpr_spill_count: 0
    .wavefront_size: 32
    .workgroup_processor_mode: 1
  - .args:
      - .address_space:  global
        .offset:         0
        .size:           8
        .value_kind:     global_buffer
      - .address_space:  global
        .offset:         8
        .size:           8
        .value_kind:     global_buffer
      - .offset:         16
        .size:           4
        .value_kind:     by_value
      - .offset:         20
        .size:           4
        .value_kind:     by_value
      - .offset:         24
        .size:           4
        .value_kind:     by_value
      - .address_space:  global
        .offset:         32
        .size:           8
        .value_kind:     global_buffer
      - .offset:         40
        .size:           4
        .value_kind:     by_value
      - .offset:         44
        .size:           1
        .value_kind:     by_value
      - .offset:         48
        .size:           4
        .value_kind:     hidden_block_count_x
      - .offset:         52
        .size:           4
        .value_kind:     hidden_block_count_y
      - .offset:         56
        .size:           4
        .value_kind:     hidden_block_count_z
      - .offset:         60
        .size:           2
        .value_kind:     hidden_group_size_x
      - .offset:         62
        .size:           2
        .value_kind:     hidden_group_size_y
      - .offset:         64
        .size:           2
        .value_kind:     hidden_group_size_z
      - .offset:         66
        .size:           2
        .value_kind:     hidden_remainder_x
      - .offset:         68
        .size:           2
        .value_kind:     hidden_remainder_y
      - .offset:         70
        .size:           2
        .value_kind:     hidden_remainder_z
      - .offset:         88
        .size:           8
        .value_kind:     hidden_global_offset_x
      - .offset:         96
        .size:           8
        .value_kind:     hidden_global_offset_y
      - .offset:         104
        .size:           8
        .value_kind:     hidden_global_offset_z
      - .offset:         112
        .size:           2
        .value_kind:     hidden_grid_dims
    .group_segment_fixed_size: 0
    .kernarg_segment_align: 8
    .kernarg_segment_size: 304
    .language:       OpenCL C
    .language_version:
      - 2
      - 0
    .max_flat_workgroup_size: 1024
    .name:           _ZN12_GLOBAL__N_120softmax_warp_forwardIdddLi2ELb0ELb0ELi64EEEvPT0_PKT_iiiPKbib
    .private_segment_fixed_size: 0
    .sgpr_count:     18
    .sgpr_spill_count: 0
    .symbol:         _ZN12_GLOBAL__N_120softmax_warp_forwardIdddLi2ELb0ELb0ELi64EEEvPT0_PKT_iiiPKbib.kd
    .uniform_work_group_size: 1
    .uses_dynamic_stack: false
    .vgpr_count:     22
    .vgpr_spill_count: 0
    .wavefront_size: 32
    .workgroup_processor_mode: 1
  - .args:
      - .address_space:  global
        .offset:         0
        .size:           8
        .value_kind:     global_buffer
      - .address_space:  global
        .offset:         8
        .size:           8
        .value_kind:     global_buffer
      - .offset:         16
        .size:           4
        .value_kind:     by_value
      - .offset:         20
        .size:           4
        .value_kind:     by_value
      - .offset:         24
        .size:           4
        .value_kind:     by_value
      - .address_space:  global
        .offset:         32
        .size:           8
        .value_kind:     global_buffer
      - .offset:         40
        .size:           4
        .value_kind:     by_value
      - .offset:         44
        .size:           1
        .value_kind:     by_value
      - .offset:         48
        .size:           4
        .value_kind:     hidden_block_count_x
      - .offset:         52
        .size:           4
        .value_kind:     hidden_block_count_y
      - .offset:         56
        .size:           4
        .value_kind:     hidden_block_count_z
      - .offset:         60
        .size:           2
        .value_kind:     hidden_group_size_x
      - .offset:         62
        .size:           2
        .value_kind:     hidden_group_size_y
      - .offset:         64
        .size:           2
        .value_kind:     hidden_group_size_z
      - .offset:         66
        .size:           2
        .value_kind:     hidden_remainder_x
      - .offset:         68
        .size:           2
        .value_kind:     hidden_remainder_y
      - .offset:         70
        .size:           2
        .value_kind:     hidden_remainder_z
      - .offset:         88
        .size:           8
        .value_kind:     hidden_global_offset_x
      - .offset:         96
        .size:           8
        .value_kind:     hidden_global_offset_y
      - .offset:         104
        .size:           8
        .value_kind:     hidden_global_offset_z
      - .offset:         112
        .size:           2
        .value_kind:     hidden_grid_dims
    .group_segment_fixed_size: 0
    .kernarg_segment_align: 8
    .kernarg_segment_size: 304
    .language:       OpenCL C
    .language_version:
      - 2
      - 0
    .max_flat_workgroup_size: 1024
    .name:           _ZN12_GLOBAL__N_120softmax_warp_forwardIdddLi2ELb0ELb0ELi32EEEvPT0_PKT_iiiPKbib
    .private_segment_fixed_size: 0
    .sgpr_count:     18
    .sgpr_spill_count: 0
    .symbol:         _ZN12_GLOBAL__N_120softmax_warp_forwardIdddLi2ELb0ELb0ELi32EEEvPT0_PKT_iiiPKbib.kd
    .uniform_work_group_size: 1
    .uses_dynamic_stack: false
    .vgpr_count:     22
    .vgpr_spill_count: 0
    .wavefront_size: 32
    .workgroup_processor_mode: 1
  - .args:
      - .address_space:  global
        .offset:         0
        .size:           8
        .value_kind:     global_buffer
      - .address_space:  global
        .offset:         8
        .size:           8
        .value_kind:     global_buffer
      - .offset:         16
        .size:           4
        .value_kind:     by_value
      - .offset:         20
        .size:           4
        .value_kind:     by_value
      - .offset:         24
        .size:           4
        .value_kind:     by_value
      - .address_space:  global
        .offset:         32
        .size:           8
        .value_kind:     global_buffer
      - .offset:         40
        .size:           4
        .value_kind:     by_value
      - .offset:         44
        .size:           1
        .value_kind:     by_value
      - .offset:         48
        .size:           4
        .value_kind:     hidden_block_count_x
      - .offset:         52
        .size:           4
        .value_kind:     hidden_block_count_y
      - .offset:         56
        .size:           4
        .value_kind:     hidden_block_count_z
      - .offset:         60
        .size:           2
        .value_kind:     hidden_group_size_x
      - .offset:         62
        .size:           2
        .value_kind:     hidden_group_size_y
      - .offset:         64
        .size:           2
        .value_kind:     hidden_group_size_z
      - .offset:         66
        .size:           2
        .value_kind:     hidden_remainder_x
      - .offset:         68
        .size:           2
        .value_kind:     hidden_remainder_y
      - .offset:         70
        .size:           2
        .value_kind:     hidden_remainder_z
      - .offset:         88
        .size:           8
        .value_kind:     hidden_global_offset_x
      - .offset:         96
        .size:           8
        .value_kind:     hidden_global_offset_y
      - .offset:         104
        .size:           8
        .value_kind:     hidden_global_offset_z
      - .offset:         112
        .size:           2
        .value_kind:     hidden_grid_dims
    .group_segment_fixed_size: 0
    .kernarg_segment_align: 8
    .kernarg_segment_size: 304
    .language:       OpenCL C
    .language_version:
      - 2
      - 0
    .max_flat_workgroup_size: 1024
    .name:           _ZN12_GLOBAL__N_120softmax_warp_forwardIdddLi3ELb0ELb0ELi64EEEvPT0_PKT_iiiPKbib
    .private_segment_fixed_size: 0
    .sgpr_count:     18
    .sgpr_spill_count: 0
    .symbol:         _ZN12_GLOBAL__N_120softmax_warp_forwardIdddLi3ELb0ELb0ELi64EEEvPT0_PKT_iiiPKbib.kd
    .uniform_work_group_size: 1
    .uses_dynamic_stack: false
    .vgpr_count:     23
    .vgpr_spill_count: 0
    .wavefront_size: 32
    .workgroup_processor_mode: 1
  - .args:
      - .address_space:  global
        .offset:         0
        .size:           8
        .value_kind:     global_buffer
      - .address_space:  global
        .offset:         8
        .size:           8
        .value_kind:     global_buffer
      - .offset:         16
        .size:           4
        .value_kind:     by_value
      - .offset:         20
        .size:           4
        .value_kind:     by_value
      - .offset:         24
        .size:           4
        .value_kind:     by_value
      - .address_space:  global
        .offset:         32
        .size:           8
        .value_kind:     global_buffer
      - .offset:         40
        .size:           4
        .value_kind:     by_value
      - .offset:         44
        .size:           1
        .value_kind:     by_value
      - .offset:         48
        .size:           4
        .value_kind:     hidden_block_count_x
      - .offset:         52
        .size:           4
        .value_kind:     hidden_block_count_y
      - .offset:         56
        .size:           4
        .value_kind:     hidden_block_count_z
      - .offset:         60
        .size:           2
        .value_kind:     hidden_group_size_x
      - .offset:         62
        .size:           2
        .value_kind:     hidden_group_size_y
      - .offset:         64
        .size:           2
        .value_kind:     hidden_group_size_z
      - .offset:         66
        .size:           2
        .value_kind:     hidden_remainder_x
      - .offset:         68
        .size:           2
        .value_kind:     hidden_remainder_y
      - .offset:         70
        .size:           2
        .value_kind:     hidden_remainder_z
      - .offset:         88
        .size:           8
        .value_kind:     hidden_global_offset_x
      - .offset:         96
        .size:           8
        .value_kind:     hidden_global_offset_y
      - .offset:         104
        .size:           8
        .value_kind:     hidden_global_offset_z
      - .offset:         112
        .size:           2
        .value_kind:     hidden_grid_dims
    .group_segment_fixed_size: 0
    .kernarg_segment_align: 8
    .kernarg_segment_size: 304
    .language:       OpenCL C
    .language_version:
      - 2
      - 0
    .max_flat_workgroup_size: 1024
    .name:           _ZN12_GLOBAL__N_120softmax_warp_forwardIdddLi3ELb0ELb0ELi32EEEvPT0_PKT_iiiPKbib
    .private_segment_fixed_size: 0
    .sgpr_count:     18
    .sgpr_spill_count: 0
    .symbol:         _ZN12_GLOBAL__N_120softmax_warp_forwardIdddLi3ELb0ELb0ELi32EEEvPT0_PKT_iiiPKbib.kd
    .uniform_work_group_size: 1
    .uses_dynamic_stack: false
    .vgpr_count:     23
    .vgpr_spill_count: 0
    .wavefront_size: 32
    .workgroup_processor_mode: 1
  - .args:
      - .address_space:  global
        .offset:         0
        .size:           8
        .value_kind:     global_buffer
      - .address_space:  global
        .offset:         8
        .size:           8
        .value_kind:     global_buffer
      - .offset:         16
        .size:           4
        .value_kind:     by_value
      - .offset:         20
        .size:           4
        .value_kind:     by_value
      - .offset:         24
        .size:           4
        .value_kind:     by_value
      - .address_space:  global
        .offset:         32
        .size:           8
        .value_kind:     global_buffer
      - .offset:         40
        .size:           4
        .value_kind:     by_value
      - .offset:         44
        .size:           1
        .value_kind:     by_value
      - .offset:         48
        .size:           4
        .value_kind:     hidden_block_count_x
      - .offset:         52
        .size:           4
        .value_kind:     hidden_block_count_y
      - .offset:         56
        .size:           4
        .value_kind:     hidden_block_count_z
      - .offset:         60
        .size:           2
        .value_kind:     hidden_group_size_x
      - .offset:         62
        .size:           2
        .value_kind:     hidden_group_size_y
      - .offset:         64
        .size:           2
        .value_kind:     hidden_group_size_z
      - .offset:         66
        .size:           2
        .value_kind:     hidden_remainder_x
      - .offset:         68
        .size:           2
        .value_kind:     hidden_remainder_y
      - .offset:         70
        .size:           2
        .value_kind:     hidden_remainder_z
      - .offset:         88
        .size:           8
        .value_kind:     hidden_global_offset_x
      - .offset:         96
        .size:           8
        .value_kind:     hidden_global_offset_y
      - .offset:         104
        .size:           8
        .value_kind:     hidden_global_offset_z
      - .offset:         112
        .size:           2
        .value_kind:     hidden_grid_dims
    .group_segment_fixed_size: 0
    .kernarg_segment_align: 8
    .kernarg_segment_size: 304
    .language:       OpenCL C
    .language_version:
      - 2
      - 0
    .max_flat_workgroup_size: 1024
    .name:           _ZN12_GLOBAL__N_120softmax_warp_forwardIdddLi4ELb0ELb0ELi64EEEvPT0_PKT_iiiPKbib
    .private_segment_fixed_size: 0
    .sgpr_count:     18
    .sgpr_spill_count: 0
    .symbol:         _ZN12_GLOBAL__N_120softmax_warp_forwardIdddLi4ELb0ELb0ELi64EEEvPT0_PKT_iiiPKbib.kd
    .uniform_work_group_size: 1
    .uses_dynamic_stack: false
    .vgpr_count:     24
    .vgpr_spill_count: 0
    .wavefront_size: 32
    .workgroup_processor_mode: 1
  - .args:
      - .address_space:  global
        .offset:         0
        .size:           8
        .value_kind:     global_buffer
      - .address_space:  global
        .offset:         8
        .size:           8
        .value_kind:     global_buffer
      - .offset:         16
        .size:           4
        .value_kind:     by_value
      - .offset:         20
        .size:           4
        .value_kind:     by_value
      - .offset:         24
        .size:           4
        .value_kind:     by_value
      - .address_space:  global
        .offset:         32
        .size:           8
        .value_kind:     global_buffer
      - .offset:         40
        .size:           4
        .value_kind:     by_value
      - .offset:         44
        .size:           1
        .value_kind:     by_value
      - .offset:         48
        .size:           4
        .value_kind:     hidden_block_count_x
      - .offset:         52
        .size:           4
        .value_kind:     hidden_block_count_y
      - .offset:         56
        .size:           4
        .value_kind:     hidden_block_count_z
      - .offset:         60
        .size:           2
        .value_kind:     hidden_group_size_x
      - .offset:         62
        .size:           2
        .value_kind:     hidden_group_size_y
      - .offset:         64
        .size:           2
        .value_kind:     hidden_group_size_z
      - .offset:         66
        .size:           2
        .value_kind:     hidden_remainder_x
      - .offset:         68
        .size:           2
        .value_kind:     hidden_remainder_y
      - .offset:         70
        .size:           2
        .value_kind:     hidden_remainder_z
      - .offset:         88
        .size:           8
        .value_kind:     hidden_global_offset_x
      - .offset:         96
        .size:           8
        .value_kind:     hidden_global_offset_y
      - .offset:         104
        .size:           8
        .value_kind:     hidden_global_offset_z
      - .offset:         112
        .size:           2
        .value_kind:     hidden_grid_dims
    .group_segment_fixed_size: 0
    .kernarg_segment_align: 8
    .kernarg_segment_size: 304
    .language:       OpenCL C
    .language_version:
      - 2
      - 0
    .max_flat_workgroup_size: 1024
    .name:           _ZN12_GLOBAL__N_120softmax_warp_forwardIdddLi4ELb0ELb0ELi32EEEvPT0_PKT_iiiPKbib
    .private_segment_fixed_size: 0
    .sgpr_count:     18
    .sgpr_spill_count: 0
    .symbol:         _ZN12_GLOBAL__N_120softmax_warp_forwardIdddLi4ELb0ELb0ELi32EEEvPT0_PKT_iiiPKbib.kd
    .uniform_work_group_size: 1
    .uses_dynamic_stack: false
    .vgpr_count:     24
    .vgpr_spill_count: 0
    .wavefront_size: 32
    .workgroup_processor_mode: 1
  - .args:
      - .address_space:  global
        .offset:         0
        .size:           8
        .value_kind:     global_buffer
      - .address_space:  global
        .offset:         8
        .size:           8
        .value_kind:     global_buffer
      - .offset:         16
        .size:           4
        .value_kind:     by_value
      - .offset:         20
        .size:           4
        .value_kind:     by_value
      - .offset:         24
        .size:           4
        .value_kind:     by_value
      - .address_space:  global
        .offset:         32
        .size:           8
        .value_kind:     global_buffer
      - .offset:         40
        .size:           4
        .value_kind:     by_value
      - .offset:         44
        .size:           1
        .value_kind:     by_value
      - .offset:         48
        .size:           4
        .value_kind:     hidden_block_count_x
      - .offset:         52
        .size:           4
        .value_kind:     hidden_block_count_y
      - .offset:         56
        .size:           4
        .value_kind:     hidden_block_count_z
      - .offset:         60
        .size:           2
        .value_kind:     hidden_group_size_x
      - .offset:         62
        .size:           2
        .value_kind:     hidden_group_size_y
      - .offset:         64
        .size:           2
        .value_kind:     hidden_group_size_z
      - .offset:         66
        .size:           2
        .value_kind:     hidden_remainder_x
      - .offset:         68
        .size:           2
        .value_kind:     hidden_remainder_y
      - .offset:         70
        .size:           2
        .value_kind:     hidden_remainder_z
      - .offset:         88
        .size:           8
        .value_kind:     hidden_global_offset_x
      - .offset:         96
        .size:           8
        .value_kind:     hidden_global_offset_y
      - .offset:         104
        .size:           8
        .value_kind:     hidden_global_offset_z
      - .offset:         112
        .size:           2
        .value_kind:     hidden_grid_dims
    .group_segment_fixed_size: 0
    .kernarg_segment_align: 8
    .kernarg_segment_size: 304
    .language:       OpenCL C
    .language_version:
      - 2
      - 0
    .max_flat_workgroup_size: 1024
    .name:           _ZN12_GLOBAL__N_120softmax_warp_forwardIdddLi5ELb0ELb0ELi64EEEvPT0_PKT_iiiPKbib
    .private_segment_fixed_size: 0
    .sgpr_count:     18
    .sgpr_spill_count: 0
    .symbol:         _ZN12_GLOBAL__N_120softmax_warp_forwardIdddLi5ELb0ELb0ELi64EEEvPT0_PKT_iiiPKbib.kd
    .uniform_work_group_size: 1
    .uses_dynamic_stack: false
    .vgpr_count:     25
    .vgpr_spill_count: 0
    .wavefront_size: 32
    .workgroup_processor_mode: 1
  - .args:
      - .address_space:  global
        .offset:         0
        .size:           8
        .value_kind:     global_buffer
      - .address_space:  global
        .offset:         8
        .size:           8
        .value_kind:     global_buffer
      - .offset:         16
        .size:           4
        .value_kind:     by_value
      - .offset:         20
        .size:           4
        .value_kind:     by_value
      - .offset:         24
        .size:           4
        .value_kind:     by_value
      - .address_space:  global
        .offset:         32
        .size:           8
        .value_kind:     global_buffer
      - .offset:         40
        .size:           4
        .value_kind:     by_value
      - .offset:         44
        .size:           1
        .value_kind:     by_value
      - .offset:         48
        .size:           4
        .value_kind:     hidden_block_count_x
      - .offset:         52
        .size:           4
        .value_kind:     hidden_block_count_y
      - .offset:         56
        .size:           4
        .value_kind:     hidden_block_count_z
      - .offset:         60
        .size:           2
        .value_kind:     hidden_group_size_x
      - .offset:         62
        .size:           2
        .value_kind:     hidden_group_size_y
      - .offset:         64
        .size:           2
        .value_kind:     hidden_group_size_z
      - .offset:         66
        .size:           2
        .value_kind:     hidden_remainder_x
      - .offset:         68
        .size:           2
        .value_kind:     hidden_remainder_y
      - .offset:         70
        .size:           2
        .value_kind:     hidden_remainder_z
      - .offset:         88
        .size:           8
        .value_kind:     hidden_global_offset_x
      - .offset:         96
        .size:           8
        .value_kind:     hidden_global_offset_y
      - .offset:         104
        .size:           8
        .value_kind:     hidden_global_offset_z
      - .offset:         112
        .size:           2
        .value_kind:     hidden_grid_dims
    .group_segment_fixed_size: 0
    .kernarg_segment_align: 8
    .kernarg_segment_size: 304
    .language:       OpenCL C
    .language_version:
      - 2
      - 0
    .max_flat_workgroup_size: 1024
    .name:           _ZN12_GLOBAL__N_120softmax_warp_forwardIdddLi5ELb0ELb0ELi32EEEvPT0_PKT_iiiPKbib
    .private_segment_fixed_size: 0
    .sgpr_count:     18
    .sgpr_spill_count: 0
    .symbol:         _ZN12_GLOBAL__N_120softmax_warp_forwardIdddLi5ELb0ELb0ELi32EEEvPT0_PKT_iiiPKbib.kd
    .uniform_work_group_size: 1
    .uses_dynamic_stack: false
    .vgpr_count:     25
    .vgpr_spill_count: 0
    .wavefront_size: 32
    .workgroup_processor_mode: 1
  - .args:
      - .address_space:  global
        .offset:         0
        .size:           8
        .value_kind:     global_buffer
      - .address_space:  global
        .offset:         8
        .size:           8
        .value_kind:     global_buffer
      - .offset:         16
        .size:           4
        .value_kind:     by_value
      - .offset:         20
        .size:           4
        .value_kind:     by_value
      - .offset:         24
        .size:           4
        .value_kind:     by_value
      - .address_space:  global
        .offset:         32
        .size:           8
        .value_kind:     global_buffer
      - .offset:         40
        .size:           4
        .value_kind:     by_value
      - .offset:         44
        .size:           1
        .value_kind:     by_value
      - .offset:         48
        .size:           4
        .value_kind:     hidden_block_count_x
      - .offset:         52
        .size:           4
        .value_kind:     hidden_block_count_y
      - .offset:         56
        .size:           4
        .value_kind:     hidden_block_count_z
      - .offset:         60
        .size:           2
        .value_kind:     hidden_group_size_x
      - .offset:         62
        .size:           2
        .value_kind:     hidden_group_size_y
      - .offset:         64
        .size:           2
        .value_kind:     hidden_group_size_z
      - .offset:         66
        .size:           2
        .value_kind:     hidden_remainder_x
      - .offset:         68
        .size:           2
        .value_kind:     hidden_remainder_y
      - .offset:         70
        .size:           2
        .value_kind:     hidden_remainder_z
      - .offset:         88
        .size:           8
        .value_kind:     hidden_global_offset_x
      - .offset:         96
        .size:           8
        .value_kind:     hidden_global_offset_y
      - .offset:         104
        .size:           8
        .value_kind:     hidden_global_offset_z
      - .offset:         112
        .size:           2
        .value_kind:     hidden_grid_dims
    .group_segment_fixed_size: 0
    .kernarg_segment_align: 8
    .kernarg_segment_size: 304
    .language:       OpenCL C
    .language_version:
      - 2
      - 0
    .max_flat_workgroup_size: 1024
    .name:           _ZN12_GLOBAL__N_120softmax_warp_forwardIdddLi6ELb0ELb0ELi64EEEvPT0_PKT_iiiPKbib
    .private_segment_fixed_size: 0
    .sgpr_count:     18
    .sgpr_spill_count: 0
    .symbol:         _ZN12_GLOBAL__N_120softmax_warp_forwardIdddLi6ELb0ELb0ELi64EEEvPT0_PKT_iiiPKbib.kd
    .uniform_work_group_size: 1
    .uses_dynamic_stack: false
    .vgpr_count:     26
    .vgpr_spill_count: 0
    .wavefront_size: 32
    .workgroup_processor_mode: 1
  - .args:
      - .address_space:  global
        .offset:         0
        .size:           8
        .value_kind:     global_buffer
      - .address_space:  global
        .offset:         8
        .size:           8
        .value_kind:     global_buffer
      - .offset:         16
        .size:           4
        .value_kind:     by_value
      - .offset:         20
        .size:           4
        .value_kind:     by_value
      - .offset:         24
        .size:           4
        .value_kind:     by_value
      - .address_space:  global
        .offset:         32
        .size:           8
        .value_kind:     global_buffer
      - .offset:         40
        .size:           4
        .value_kind:     by_value
      - .offset:         44
        .size:           1
        .value_kind:     by_value
      - .offset:         48
        .size:           4
        .value_kind:     hidden_block_count_x
      - .offset:         52
        .size:           4
        .value_kind:     hidden_block_count_y
      - .offset:         56
        .size:           4
        .value_kind:     hidden_block_count_z
      - .offset:         60
        .size:           2
        .value_kind:     hidden_group_size_x
      - .offset:         62
        .size:           2
        .value_kind:     hidden_group_size_y
      - .offset:         64
        .size:           2
        .value_kind:     hidden_group_size_z
      - .offset:         66
        .size:           2
        .value_kind:     hidden_remainder_x
      - .offset:         68
        .size:           2
        .value_kind:     hidden_remainder_y
      - .offset:         70
        .size:           2
        .value_kind:     hidden_remainder_z
      - .offset:         88
        .size:           8
        .value_kind:     hidden_global_offset_x
      - .offset:         96
        .size:           8
        .value_kind:     hidden_global_offset_y
      - .offset:         104
        .size:           8
        .value_kind:     hidden_global_offset_z
      - .offset:         112
        .size:           2
        .value_kind:     hidden_grid_dims
    .group_segment_fixed_size: 0
    .kernarg_segment_align: 8
    .kernarg_segment_size: 304
    .language:       OpenCL C
    .language_version:
      - 2
      - 0
    .max_flat_workgroup_size: 1024
    .name:           _ZN12_GLOBAL__N_120softmax_warp_forwardIdddLi6ELb0ELb0ELi32EEEvPT0_PKT_iiiPKbib
    .private_segment_fixed_size: 0
    .sgpr_count:     22
    .sgpr_spill_count: 0
    .symbol:         _ZN12_GLOBAL__N_120softmax_warp_forwardIdddLi6ELb0ELb0ELi32EEEvPT0_PKT_iiiPKbib.kd
    .uniform_work_group_size: 1
    .uses_dynamic_stack: false
    .vgpr_count:     41
    .vgpr_spill_count: 0
    .wavefront_size: 32
    .workgroup_processor_mode: 1
  - .args:
      - .address_space:  global
        .offset:         0
        .size:           8
        .value_kind:     global_buffer
      - .address_space:  global
        .offset:         8
        .size:           8
        .value_kind:     global_buffer
      - .offset:         16
        .size:           4
        .value_kind:     by_value
      - .offset:         20
        .size:           4
        .value_kind:     by_value
      - .offset:         24
        .size:           4
        .value_kind:     by_value
      - .address_space:  global
        .offset:         32
        .size:           8
        .value_kind:     global_buffer
      - .offset:         40
        .size:           4
        .value_kind:     by_value
      - .offset:         44
        .size:           1
        .value_kind:     by_value
      - .offset:         48
        .size:           4
        .value_kind:     hidden_block_count_x
      - .offset:         52
        .size:           4
        .value_kind:     hidden_block_count_y
      - .offset:         56
        .size:           4
        .value_kind:     hidden_block_count_z
      - .offset:         60
        .size:           2
        .value_kind:     hidden_group_size_x
      - .offset:         62
        .size:           2
        .value_kind:     hidden_group_size_y
      - .offset:         64
        .size:           2
        .value_kind:     hidden_group_size_z
      - .offset:         66
        .size:           2
        .value_kind:     hidden_remainder_x
      - .offset:         68
        .size:           2
        .value_kind:     hidden_remainder_y
      - .offset:         70
        .size:           2
        .value_kind:     hidden_remainder_z
      - .offset:         88
        .size:           8
        .value_kind:     hidden_global_offset_x
      - .offset:         96
        .size:           8
        .value_kind:     hidden_global_offset_y
      - .offset:         104
        .size:           8
        .value_kind:     hidden_global_offset_z
      - .offset:         112
        .size:           2
        .value_kind:     hidden_grid_dims
    .group_segment_fixed_size: 0
    .kernarg_segment_align: 8
    .kernarg_segment_size: 304
    .language:       OpenCL C
    .language_version:
      - 2
      - 0
    .max_flat_workgroup_size: 1024
    .name:           _ZN12_GLOBAL__N_120softmax_warp_forwardIdddLi7ELb0ELb0ELi64EEEvPT0_PKT_iiiPKbib
    .private_segment_fixed_size: 0
    .sgpr_count:     22
    .sgpr_spill_count: 0
    .symbol:         _ZN12_GLOBAL__N_120softmax_warp_forwardIdddLi7ELb0ELb0ELi64EEEvPT0_PKT_iiiPKbib.kd
    .uniform_work_group_size: 1
    .uses_dynamic_stack: false
    .vgpr_count:     42
    .vgpr_spill_count: 0
    .wavefront_size: 32
    .workgroup_processor_mode: 1
  - .args:
      - .address_space:  global
        .offset:         0
        .size:           8
        .value_kind:     global_buffer
      - .address_space:  global
        .offset:         8
        .size:           8
        .value_kind:     global_buffer
      - .offset:         16
        .size:           4
        .value_kind:     by_value
      - .offset:         20
        .size:           4
        .value_kind:     by_value
      - .offset:         24
        .size:           4
        .value_kind:     by_value
      - .address_space:  global
        .offset:         32
        .size:           8
        .value_kind:     global_buffer
      - .offset:         40
        .size:           4
        .value_kind:     by_value
      - .offset:         44
        .size:           1
        .value_kind:     by_value
      - .offset:         48
        .size:           4
        .value_kind:     hidden_block_count_x
      - .offset:         52
        .size:           4
        .value_kind:     hidden_block_count_y
      - .offset:         56
        .size:           4
        .value_kind:     hidden_block_count_z
      - .offset:         60
        .size:           2
        .value_kind:     hidden_group_size_x
      - .offset:         62
        .size:           2
        .value_kind:     hidden_group_size_y
      - .offset:         64
        .size:           2
        .value_kind:     hidden_group_size_z
      - .offset:         66
        .size:           2
        .value_kind:     hidden_remainder_x
      - .offset:         68
        .size:           2
        .value_kind:     hidden_remainder_y
      - .offset:         70
        .size:           2
        .value_kind:     hidden_remainder_z
      - .offset:         88
        .size:           8
        .value_kind:     hidden_global_offset_x
      - .offset:         96
        .size:           8
        .value_kind:     hidden_global_offset_y
      - .offset:         104
        .size:           8
        .value_kind:     hidden_global_offset_z
      - .offset:         112
        .size:           2
        .value_kind:     hidden_grid_dims
    .group_segment_fixed_size: 0
    .kernarg_segment_align: 8
    .kernarg_segment_size: 304
    .language:       OpenCL C
    .language_version:
      - 2
      - 0
    .max_flat_workgroup_size: 1024
    .name:           _ZN12_GLOBAL__N_120softmax_warp_forwardIdddLi7ELb0ELb0ELi32EEEvPT0_PKT_iiiPKbib
    .private_segment_fixed_size: 0
    .sgpr_count:     40
    .sgpr_spill_count: 0
    .symbol:         _ZN12_GLOBAL__N_120softmax_warp_forwardIdddLi7ELb0ELb0ELi32EEEvPT0_PKT_iiiPKbib.kd
    .uniform_work_group_size: 1
    .uses_dynamic_stack: false
    .vgpr_count:     37
    .vgpr_spill_count: 0
    .wavefront_size: 32
    .workgroup_processor_mode: 1
  - .args:
      - .address_space:  global
        .offset:         0
        .size:           8
        .value_kind:     global_buffer
      - .address_space:  global
        .offset:         8
        .size:           8
        .value_kind:     global_buffer
      - .offset:         16
        .size:           4
        .value_kind:     by_value
      - .offset:         20
        .size:           4
        .value_kind:     by_value
      - .offset:         24
        .size:           4
        .value_kind:     by_value
      - .address_space:  global
        .offset:         32
        .size:           8
        .value_kind:     global_buffer
      - .offset:         40
        .size:           4
        .value_kind:     by_value
      - .offset:         44
        .size:           1
        .value_kind:     by_value
      - .offset:         48
        .size:           4
        .value_kind:     hidden_block_count_x
      - .offset:         52
        .size:           4
        .value_kind:     hidden_block_count_y
      - .offset:         56
        .size:           4
        .value_kind:     hidden_block_count_z
      - .offset:         60
        .size:           2
        .value_kind:     hidden_group_size_x
      - .offset:         62
        .size:           2
        .value_kind:     hidden_group_size_y
      - .offset:         64
        .size:           2
        .value_kind:     hidden_group_size_z
      - .offset:         66
        .size:           2
        .value_kind:     hidden_remainder_x
      - .offset:         68
        .size:           2
        .value_kind:     hidden_remainder_y
      - .offset:         70
        .size:           2
        .value_kind:     hidden_remainder_z
      - .offset:         88
        .size:           8
        .value_kind:     hidden_global_offset_x
      - .offset:         96
        .size:           8
        .value_kind:     hidden_global_offset_y
      - .offset:         104
        .size:           8
        .value_kind:     hidden_global_offset_z
      - .offset:         112
        .size:           2
        .value_kind:     hidden_grid_dims
    .group_segment_fixed_size: 0
    .kernarg_segment_align: 8
    .kernarg_segment_size: 304
    .language:       OpenCL C
    .language_version:
      - 2
      - 0
    .max_flat_workgroup_size: 1024
    .name:           _ZN12_GLOBAL__N_120softmax_warp_forwardIdddLi8ELb0ELb0ELi64EEEvPT0_PKT_iiiPKbib
    .private_segment_fixed_size: 0
    .sgpr_count:     18
    .sgpr_spill_count: 0
    .symbol:         _ZN12_GLOBAL__N_120softmax_warp_forwardIdddLi8ELb0ELb0ELi64EEEvPT0_PKT_iiiPKbib.kd
    .uniform_work_group_size: 1
    .uses_dynamic_stack: false
    .vgpr_count:     42
    .vgpr_spill_count: 0
    .wavefront_size: 32
    .workgroup_processor_mode: 1
  - .args:
      - .address_space:  global
        .offset:         0
        .size:           8
        .value_kind:     global_buffer
      - .address_space:  global
        .offset:         8
        .size:           8
        .value_kind:     global_buffer
      - .offset:         16
        .size:           4
        .value_kind:     by_value
      - .offset:         20
        .size:           4
        .value_kind:     by_value
      - .offset:         24
        .size:           4
        .value_kind:     by_value
      - .address_space:  global
        .offset:         32
        .size:           8
        .value_kind:     global_buffer
      - .offset:         40
        .size:           4
        .value_kind:     by_value
      - .offset:         44
        .size:           1
        .value_kind:     by_value
      - .offset:         48
        .size:           4
        .value_kind:     hidden_block_count_x
      - .offset:         52
        .size:           4
        .value_kind:     hidden_block_count_y
      - .offset:         56
        .size:           4
        .value_kind:     hidden_block_count_z
      - .offset:         60
        .size:           2
        .value_kind:     hidden_group_size_x
      - .offset:         62
        .size:           2
        .value_kind:     hidden_group_size_y
      - .offset:         64
        .size:           2
        .value_kind:     hidden_group_size_z
      - .offset:         66
        .size:           2
        .value_kind:     hidden_remainder_x
      - .offset:         68
        .size:           2
        .value_kind:     hidden_remainder_y
      - .offset:         70
        .size:           2
        .value_kind:     hidden_remainder_z
      - .offset:         88
        .size:           8
        .value_kind:     hidden_global_offset_x
      - .offset:         96
        .size:           8
        .value_kind:     hidden_global_offset_y
      - .offset:         104
        .size:           8
        .value_kind:     hidden_global_offset_z
      - .offset:         112
        .size:           2
        .value_kind:     hidden_grid_dims
    .group_segment_fixed_size: 0
    .kernarg_segment_align: 8
    .kernarg_segment_size: 304
    .language:       OpenCL C
    .language_version:
      - 2
      - 0
    .max_flat_workgroup_size: 1024
    .name:           _ZN12_GLOBAL__N_120softmax_warp_forwardIdddLi8ELb0ELb0ELi32EEEvPT0_PKT_iiiPKbib
    .private_segment_fixed_size: 0
    .sgpr_count:     40
    .sgpr_spill_count: 0
    .symbol:         _ZN12_GLOBAL__N_120softmax_warp_forwardIdddLi8ELb0ELb0ELi32EEEvPT0_PKT_iiiPKbib.kd
    .uniform_work_group_size: 1
    .uses_dynamic_stack: false
    .vgpr_count:     63
    .vgpr_spill_count: 0
    .wavefront_size: 32
    .workgroup_processor_mode: 1
  - .args:
      - .address_space:  global
        .offset:         0
        .size:           8
        .value_kind:     global_buffer
      - .address_space:  global
        .offset:         8
        .size:           8
        .value_kind:     global_buffer
      - .offset:         16
        .size:           4
        .value_kind:     by_value
      - .offset:         20
        .size:           4
        .value_kind:     by_value
      - .offset:         24
        .size:           4
        .value_kind:     by_value
      - .address_space:  global
        .offset:         32
        .size:           8
        .value_kind:     global_buffer
      - .offset:         40
        .size:           4
        .value_kind:     by_value
      - .offset:         44
        .size:           1
        .value_kind:     by_value
      - .offset:         48
        .size:           4
        .value_kind:     hidden_block_count_x
      - .offset:         52
        .size:           4
        .value_kind:     hidden_block_count_y
      - .offset:         56
        .size:           4
        .value_kind:     hidden_block_count_z
      - .offset:         60
        .size:           2
        .value_kind:     hidden_group_size_x
      - .offset:         62
        .size:           2
        .value_kind:     hidden_group_size_y
      - .offset:         64
        .size:           2
        .value_kind:     hidden_group_size_z
      - .offset:         66
        .size:           2
        .value_kind:     hidden_remainder_x
      - .offset:         68
        .size:           2
        .value_kind:     hidden_remainder_y
      - .offset:         70
        .size:           2
        .value_kind:     hidden_remainder_z
      - .offset:         88
        .size:           8
        .value_kind:     hidden_global_offset_x
      - .offset:         96
        .size:           8
        .value_kind:     hidden_global_offset_y
      - .offset:         104
        .size:           8
        .value_kind:     hidden_global_offset_z
      - .offset:         112
        .size:           2
        .value_kind:     hidden_grid_dims
    .group_segment_fixed_size: 0
    .kernarg_segment_align: 8
    .kernarg_segment_size: 304
    .language:       OpenCL C
    .language_version:
      - 2
      - 0
    .max_flat_workgroup_size: 1024
    .name:           _ZN12_GLOBAL__N_120softmax_warp_forwardIdddLi9ELb0ELb0ELi64EEEvPT0_PKT_iiiPKbib
    .private_segment_fixed_size: 0
    .sgpr_count:     40
    .sgpr_spill_count: 0
    .symbol:         _ZN12_GLOBAL__N_120softmax_warp_forwardIdddLi9ELb0ELb0ELi64EEEvPT0_PKT_iiiPKbib.kd
    .uniform_work_group_size: 1
    .uses_dynamic_stack: false
    .vgpr_count:     64
    .vgpr_spill_count: 0
    .wavefront_size: 32
    .workgroup_processor_mode: 1
  - .args:
      - .address_space:  global
        .offset:         0
        .size:           8
        .value_kind:     global_buffer
      - .address_space:  global
        .offset:         8
        .size:           8
        .value_kind:     global_buffer
      - .offset:         16
        .size:           4
        .value_kind:     by_value
      - .offset:         20
        .size:           4
        .value_kind:     by_value
      - .offset:         24
        .size:           4
        .value_kind:     by_value
      - .address_space:  global
        .offset:         32
        .size:           8
        .value_kind:     global_buffer
      - .offset:         40
        .size:           4
        .value_kind:     by_value
      - .offset:         44
        .size:           1
        .value_kind:     by_value
      - .offset:         48
        .size:           4
        .value_kind:     hidden_block_count_x
      - .offset:         52
        .size:           4
        .value_kind:     hidden_block_count_y
      - .offset:         56
        .size:           4
        .value_kind:     hidden_block_count_z
      - .offset:         60
        .size:           2
        .value_kind:     hidden_group_size_x
      - .offset:         62
        .size:           2
        .value_kind:     hidden_group_size_y
      - .offset:         64
        .size:           2
        .value_kind:     hidden_group_size_z
      - .offset:         66
        .size:           2
        .value_kind:     hidden_remainder_x
      - .offset:         68
        .size:           2
        .value_kind:     hidden_remainder_y
      - .offset:         70
        .size:           2
        .value_kind:     hidden_remainder_z
      - .offset:         88
        .size:           8
        .value_kind:     hidden_global_offset_x
      - .offset:         96
        .size:           8
        .value_kind:     hidden_global_offset_y
      - .offset:         104
        .size:           8
        .value_kind:     hidden_global_offset_z
      - .offset:         112
        .size:           2
        .value_kind:     hidden_grid_dims
    .group_segment_fixed_size: 0
    .kernarg_segment_align: 8
    .kernarg_segment_size: 304
    .language:       OpenCL C
    .language_version:
      - 2
      - 0
    .max_flat_workgroup_size: 1024
    .name:           _ZN12_GLOBAL__N_120softmax_warp_forwardIdddLi9ELb0ELb0ELi32EEEvPT0_PKT_iiiPKbib
    .private_segment_fixed_size: 0
    .sgpr_count:     58
    .sgpr_spill_count: 0
    .symbol:         _ZN12_GLOBAL__N_120softmax_warp_forwardIdddLi9ELb0ELb0ELi32EEEvPT0_PKT_iiiPKbib.kd
    .uniform_work_group_size: 1
    .uses_dynamic_stack: false
    .vgpr_count:     100
    .vgpr_spill_count: 0
    .wavefront_size: 32
    .workgroup_processor_mode: 1
  - .args:
      - .address_space:  global
        .offset:         0
        .size:           8
        .value_kind:     global_buffer
      - .address_space:  global
        .offset:         8
        .size:           8
        .value_kind:     global_buffer
      - .offset:         16
        .size:           4
        .value_kind:     by_value
      - .offset:         20
        .size:           4
        .value_kind:     by_value
      - .offset:         24
        .size:           4
        .value_kind:     by_value
      - .address_space:  global
        .offset:         32
        .size:           8
        .value_kind:     global_buffer
      - .offset:         40
        .size:           4
        .value_kind:     by_value
      - .offset:         44
        .size:           1
        .value_kind:     by_value
      - .offset:         48
        .size:           4
        .value_kind:     hidden_block_count_x
      - .offset:         52
        .size:           4
        .value_kind:     hidden_block_count_y
      - .offset:         56
        .size:           4
        .value_kind:     hidden_block_count_z
      - .offset:         60
        .size:           2
        .value_kind:     hidden_group_size_x
      - .offset:         62
        .size:           2
        .value_kind:     hidden_group_size_y
      - .offset:         64
        .size:           2
        .value_kind:     hidden_group_size_z
      - .offset:         66
        .size:           2
        .value_kind:     hidden_remainder_x
      - .offset:         68
        .size:           2
        .value_kind:     hidden_remainder_y
      - .offset:         70
        .size:           2
        .value_kind:     hidden_remainder_z
      - .offset:         88
        .size:           8
        .value_kind:     hidden_global_offset_x
      - .offset:         96
        .size:           8
        .value_kind:     hidden_global_offset_y
      - .offset:         104
        .size:           8
        .value_kind:     hidden_global_offset_z
      - .offset:         112
        .size:           2
        .value_kind:     hidden_grid_dims
    .group_segment_fixed_size: 0
    .kernarg_segment_align: 8
    .kernarg_segment_size: 304
    .language:       OpenCL C
    .language_version:
      - 2
      - 0
    .max_flat_workgroup_size: 1024
    .name:           _ZN12_GLOBAL__N_120softmax_warp_forwardIdddLi10ELb0ELb0ELi64EEEvPT0_PKT_iiiPKbib
    .private_segment_fixed_size: 0
    .sgpr_count:     58
    .sgpr_spill_count: 0
    .symbol:         _ZN12_GLOBAL__N_120softmax_warp_forwardIdddLi10ELb0ELb0ELi64EEEvPT0_PKT_iiiPKbib.kd
    .uniform_work_group_size: 1
    .uses_dynamic_stack: false
    .vgpr_count:     100
    .vgpr_spill_count: 0
    .wavefront_size: 32
    .workgroup_processor_mode: 1
  - .args:
      - .address_space:  global
        .offset:         0
        .size:           8
        .value_kind:     global_buffer
      - .address_space:  global
        .offset:         8
        .size:           8
        .value_kind:     global_buffer
      - .offset:         16
        .size:           4
        .value_kind:     by_value
      - .offset:         20
        .size:           4
        .value_kind:     by_value
      - .offset:         24
        .size:           4
        .value_kind:     by_value
      - .address_space:  global
        .offset:         32
        .size:           8
        .value_kind:     global_buffer
      - .offset:         40
        .size:           4
        .value_kind:     by_value
      - .offset:         44
        .size:           1
        .value_kind:     by_value
      - .offset:         48
        .size:           4
        .value_kind:     hidden_block_count_x
      - .offset:         52
        .size:           4
        .value_kind:     hidden_block_count_y
      - .offset:         56
        .size:           4
        .value_kind:     hidden_block_count_z
      - .offset:         60
        .size:           2
        .value_kind:     hidden_group_size_x
      - .offset:         62
        .size:           2
        .value_kind:     hidden_group_size_y
      - .offset:         64
        .size:           2
        .value_kind:     hidden_group_size_z
      - .offset:         66
        .size:           2
        .value_kind:     hidden_remainder_x
      - .offset:         68
        .size:           2
        .value_kind:     hidden_remainder_y
      - .offset:         70
        .size:           2
        .value_kind:     hidden_remainder_z
      - .offset:         88
        .size:           8
        .value_kind:     hidden_global_offset_x
      - .offset:         96
        .size:           8
        .value_kind:     hidden_global_offset_y
      - .offset:         104
        .size:           8
        .value_kind:     hidden_global_offset_z
      - .offset:         112
        .size:           2
        .value_kind:     hidden_grid_dims
    .group_segment_fixed_size: 0
    .kernarg_segment_align: 8
    .kernarg_segment_size: 304
    .language:       OpenCL C
    .language_version:
      - 2
      - 0
    .max_flat_workgroup_size: 1024
    .name:           _ZN12_GLOBAL__N_120softmax_warp_forwardIdddLi10ELb0ELb0ELi32EEEvPT0_PKT_iiiPKbib
    .private_segment_fixed_size: 0
    .sgpr_count:     64
    .sgpr_spill_count: 0
    .symbol:         _ZN12_GLOBAL__N_120softmax_warp_forwardIdddLi10ELb0ELb0ELi32EEEvPT0_PKT_iiiPKbib.kd
    .uniform_work_group_size: 1
    .uses_dynamic_stack: false
    .vgpr_count:     82
    .vgpr_spill_count: 0
    .wavefront_size: 32
    .workgroup_processor_mode: 1
  - .args:
      - .address_space:  global
        .offset:         0
        .size:           8
        .value_kind:     global_buffer
      - .address_space:  global
        .offset:         8
        .size:           8
        .value_kind:     global_buffer
      - .offset:         16
        .size:           4
        .value_kind:     by_value
      - .offset:         20
        .size:           4
        .value_kind:     by_value
      - .offset:         24
        .size:           4
        .value_kind:     by_value
      - .address_space:  global
        .offset:         32
        .size:           8
        .value_kind:     global_buffer
      - .offset:         40
        .size:           4
        .value_kind:     by_value
      - .offset:         44
        .size:           1
        .value_kind:     by_value
      - .offset:         48
        .size:           4
        .value_kind:     hidden_block_count_x
      - .offset:         52
        .size:           4
        .value_kind:     hidden_block_count_y
      - .offset:         56
        .size:           4
        .value_kind:     hidden_block_count_z
      - .offset:         60
        .size:           2
        .value_kind:     hidden_group_size_x
      - .offset:         62
        .size:           2
        .value_kind:     hidden_group_size_y
      - .offset:         64
        .size:           2
        .value_kind:     hidden_group_size_z
      - .offset:         66
        .size:           2
        .value_kind:     hidden_remainder_x
      - .offset:         68
        .size:           2
        .value_kind:     hidden_remainder_y
      - .offset:         70
        .size:           2
        .value_kind:     hidden_remainder_z
      - .offset:         88
        .size:           8
        .value_kind:     hidden_global_offset_x
      - .offset:         96
        .size:           8
        .value_kind:     hidden_global_offset_y
      - .offset:         104
        .size:           8
        .value_kind:     hidden_global_offset_z
      - .offset:         112
        .size:           2
        .value_kind:     hidden_grid_dims
    .group_segment_fixed_size: 0
    .kernarg_segment_align: 8
    .kernarg_segment_size: 304
    .language:       OpenCL C
    .language_version:
      - 2
      - 0
    .max_flat_workgroup_size: 1024
    .name:           _ZN12_GLOBAL__N_120softmax_warp_forwardIdddLi11ELb0ELb0ELi64EEEvPT0_PKT_iiiPKbib
    .private_segment_fixed_size: 0
    .sgpr_count:     64
    .sgpr_spill_count: 0
    .symbol:         _ZN12_GLOBAL__N_120softmax_warp_forwardIdddLi11ELb0ELb0ELi64EEEvPT0_PKT_iiiPKbib.kd
    .uniform_work_group_size: 1
    .uses_dynamic_stack: false
    .vgpr_count:     83
    .vgpr_spill_count: 0
    .wavefront_size: 32
    .workgroup_processor_mode: 1
  - .args:
      - .address_space:  global
        .offset:         0
        .size:           8
        .value_kind:     global_buffer
      - .address_space:  global
        .offset:         8
        .size:           8
        .value_kind:     global_buffer
      - .offset:         16
        .size:           4
        .value_kind:     by_value
      - .offset:         20
        .size:           4
        .value_kind:     by_value
      - .offset:         24
        .size:           4
        .value_kind:     by_value
      - .address_space:  global
        .offset:         32
        .size:           8
        .value_kind:     global_buffer
      - .offset:         40
        .size:           4
        .value_kind:     by_value
      - .offset:         44
        .size:           1
        .value_kind:     by_value
      - .offset:         48
        .size:           4
        .value_kind:     hidden_block_count_x
      - .offset:         52
        .size:           4
        .value_kind:     hidden_block_count_y
      - .offset:         56
        .size:           4
        .value_kind:     hidden_block_count_z
      - .offset:         60
        .size:           2
        .value_kind:     hidden_group_size_x
      - .offset:         62
        .size:           2
        .value_kind:     hidden_group_size_y
      - .offset:         64
        .size:           2
        .value_kind:     hidden_group_size_z
      - .offset:         66
        .size:           2
        .value_kind:     hidden_remainder_x
      - .offset:         68
        .size:           2
        .value_kind:     hidden_remainder_y
      - .offset:         70
        .size:           2
        .value_kind:     hidden_remainder_z
      - .offset:         88
        .size:           8
        .value_kind:     hidden_global_offset_x
      - .offset:         96
        .size:           8
        .value_kind:     hidden_global_offset_y
      - .offset:         104
        .size:           8
        .value_kind:     hidden_global_offset_z
      - .offset:         112
        .size:           2
        .value_kind:     hidden_grid_dims
    .group_segment_fixed_size: 0
    .kernarg_segment_align: 8
    .kernarg_segment_size: 304
    .language:       OpenCL C
    .language_version:
      - 2
      - 0
    .max_flat_workgroup_size: 1024
    .name:           _ZN12_GLOBAL__N_120softmax_warp_forwardIdddLi11ELb0ELb0ELi32EEEvPT0_PKT_iiiPKbib
    .private_segment_fixed_size: 388
    .sgpr_count:     102
    .sgpr_spill_count: 0
    .symbol:         _ZN12_GLOBAL__N_120softmax_warp_forwardIdddLi11ELb0ELb0ELi32EEEvPT0_PKT_iiiPKbib.kd
    .uniform_work_group_size: 1
    .uses_dynamic_stack: false
    .vgpr_count:     128
    .vgpr_spill_count: 119
    .wavefront_size: 32
    .workgroup_processor_mode: 1
  - .args:
      - .address_space:  global
        .offset:         0
        .size:           8
        .value_kind:     global_buffer
      - .address_space:  global
        .offset:         8
        .size:           8
        .value_kind:     global_buffer
      - .offset:         16
        .size:           8
        .value_kind:     by_value
      - .offset:         24
        .size:           4
        .value_kind:     hidden_block_count_x
      - .offset:         28
        .size:           4
        .value_kind:     hidden_block_count_y
      - .offset:         32
        .size:           4
        .value_kind:     hidden_block_count_z
      - .offset:         36
        .size:           2
        .value_kind:     hidden_group_size_x
      - .offset:         38
        .size:           2
        .value_kind:     hidden_group_size_y
      - .offset:         40
        .size:           2
        .value_kind:     hidden_group_size_z
      - .offset:         42
        .size:           2
        .value_kind:     hidden_remainder_x
      - .offset:         44
        .size:           2
        .value_kind:     hidden_remainder_y
      - .offset:         46
        .size:           2
        .value_kind:     hidden_remainder_z
      - .offset:         64
        .size:           8
        .value_kind:     hidden_global_offset_x
      - .offset:         72
        .size:           8
        .value_kind:     hidden_global_offset_y
      - .offset:         80
        .size:           8
        .value_kind:     hidden_global_offset_z
      - .offset:         88
        .size:           2
        .value_kind:     hidden_grid_dims
      - .offset:         144
        .size:           4
        .value_kind:     hidden_dynamic_lds_size
    .group_segment_fixed_size: 0
    .kernarg_segment_align: 8
    .kernarg_segment_size: 280
    .language:       OpenCL C
    .language_version:
      - 2
      - 0
    .max_flat_workgroup_size: 1024
    .name:           _ZN2at6native12_GLOBAL__N_123cunn_SoftMaxForwardGmemILi2EdddNS1_29SoftMaxForwardWithMulEpilogueElEEvPT2_PKT0_T4_
    .private_segment_fixed_size: 0
    .sgpr_count:     22
    .sgpr_spill_count: 0
    .symbol:         _ZN2at6native12_GLOBAL__N_123cunn_SoftMaxForwardGmemILi2EdddNS1_29SoftMaxForwardWithMulEpilogueElEEvPT2_PKT0_T4_.kd
    .uniform_work_group_size: 1
    .uses_dynamic_stack: false
    .vgpr_count:     22
    .vgpr_spill_count: 0
    .wavefront_size: 32
    .workgroup_processor_mode: 1
  - .args:
      - .address_space:  global
        .offset:         0
        .size:           8
        .value_kind:     global_buffer
      - .address_space:  global
        .offset:         8
        .size:           8
        .value_kind:     global_buffer
      - .offset:         16
        .size:           4
        .value_kind:     by_value
      - .offset:         24
        .size:           4
        .value_kind:     hidden_block_count_x
      - .offset:         28
        .size:           4
        .value_kind:     hidden_block_count_y
      - .offset:         32
        .size:           4
        .value_kind:     hidden_block_count_z
      - .offset:         36
        .size:           2
        .value_kind:     hidden_group_size_x
      - .offset:         38
        .size:           2
        .value_kind:     hidden_group_size_y
      - .offset:         40
        .size:           2
        .value_kind:     hidden_group_size_z
      - .offset:         42
        .size:           2
        .value_kind:     hidden_remainder_x
      - .offset:         44
        .size:           2
        .value_kind:     hidden_remainder_y
      - .offset:         46
        .size:           2
        .value_kind:     hidden_remainder_z
      - .offset:         64
        .size:           8
        .value_kind:     hidden_global_offset_x
      - .offset:         72
        .size:           8
        .value_kind:     hidden_global_offset_y
      - .offset:         80
        .size:           8
        .value_kind:     hidden_global_offset_z
      - .offset:         88
        .size:           2
        .value_kind:     hidden_grid_dims
      - .offset:         144
        .size:           4
        .value_kind:     hidden_dynamic_lds_size
    .group_segment_fixed_size: 0
    .kernarg_segment_align: 8
    .kernarg_segment_size: 280
    .language:       OpenCL C
    .language_version:
      - 2
      - 0
    .max_flat_workgroup_size: 1024
    .name:           _ZN2at6native12_GLOBAL__N_123cunn_SoftMaxForwardFastILi2EdddNS1_29SoftMaxForwardWithMulEpilogueEEEvPT2_PKT0_i
    .private_segment_fixed_size: 0
    .sgpr_count:     21
    .sgpr_spill_count: 0
    .symbol:         _ZN2at6native12_GLOBAL__N_123cunn_SoftMaxForwardFastILi2EdddNS1_29SoftMaxForwardWithMulEpilogueEEEvPT2_PKT0_i.kd
    .uniform_work_group_size: 1
    .uses_dynamic_stack: false
    .vgpr_count:     19
    .vgpr_spill_count: 0
    .wavefront_size: 32
    .workgroup_processor_mode: 1
  - .args:
      - .address_space:  global
        .offset:         0
        .size:           8
        .value_kind:     global_buffer
      - .address_space:  global
        .offset:         8
        .size:           8
        .value_kind:     global_buffer
      - .offset:         16
        .size:           4
        .value_kind:     by_value
      - .offset:         20
        .size:           4
        .value_kind:     by_value
      - .offset:         24
        .size:           4
        .value_kind:     by_value
      - .address_space:  global
        .offset:         32
        .size:           8
        .value_kind:     global_buffer
      - .offset:         40
        .size:           4
        .value_kind:     by_value
      - .offset:         44
        .size:           1
        .value_kind:     by_value
      - .offset:         48
        .size:           4
        .value_kind:     hidden_block_count_x
      - .offset:         52
        .size:           4
        .value_kind:     hidden_block_count_y
      - .offset:         56
        .size:           4
        .value_kind:     hidden_block_count_z
      - .offset:         60
        .size:           2
        .value_kind:     hidden_group_size_x
      - .offset:         62
        .size:           2
        .value_kind:     hidden_group_size_y
      - .offset:         64
        .size:           2
        .value_kind:     hidden_group_size_z
      - .offset:         66
        .size:           2
        .value_kind:     hidden_remainder_x
      - .offset:         68
        .size:           2
        .value_kind:     hidden_remainder_y
      - .offset:         70
        .size:           2
        .value_kind:     hidden_remainder_z
      - .offset:         88
        .size:           8
        .value_kind:     hidden_global_offset_x
      - .offset:         96
        .size:           8
        .value_kind:     hidden_global_offset_y
      - .offset:         104
        .size:           8
        .value_kind:     hidden_global_offset_z
      - .offset:         112
        .size:           2
        .value_kind:     hidden_grid_dims
    .group_segment_fixed_size: 0
    .kernarg_segment_align: 8
    .kernarg_segment_size: 304
    .language:       OpenCL C
    .language_version:
      - 2
      - 0
    .max_flat_workgroup_size: 1024
    .name:           _ZN12_GLOBAL__N_120softmax_warp_forwardIfffLi0ELb0ELb0ELi64EEEvPT0_PKT_iiiPKbib
    .private_segment_fixed_size: 0
    .sgpr_count:     18
    .sgpr_spill_count: 0
    .symbol:         _ZN12_GLOBAL__N_120softmax_warp_forwardIfffLi0ELb0ELb0ELi64EEEvPT0_PKT_iiiPKbib.kd
    .uniform_work_group_size: 1
    .uses_dynamic_stack: false
    .vgpr_count:     9
    .vgpr_spill_count: 0
    .wavefront_size: 32
    .workgroup_processor_mode: 1
  - .args:
      - .address_space:  global
        .offset:         0
        .size:           8
        .value_kind:     global_buffer
      - .address_space:  global
        .offset:         8
        .size:           8
        .value_kind:     global_buffer
      - .offset:         16
        .size:           4
        .value_kind:     by_value
      - .offset:         20
        .size:           4
        .value_kind:     by_value
      - .offset:         24
        .size:           4
        .value_kind:     by_value
      - .address_space:  global
        .offset:         32
        .size:           8
        .value_kind:     global_buffer
      - .offset:         40
        .size:           4
        .value_kind:     by_value
      - .offset:         44
        .size:           1
        .value_kind:     by_value
      - .offset:         48
        .size:           4
        .value_kind:     hidden_block_count_x
      - .offset:         52
        .size:           4
        .value_kind:     hidden_block_count_y
      - .offset:         56
        .size:           4
        .value_kind:     hidden_block_count_z
      - .offset:         60
        .size:           2
        .value_kind:     hidden_group_size_x
      - .offset:         62
        .size:           2
        .value_kind:     hidden_group_size_y
      - .offset:         64
        .size:           2
        .value_kind:     hidden_group_size_z
      - .offset:         66
        .size:           2
        .value_kind:     hidden_remainder_x
      - .offset:         68
        .size:           2
        .value_kind:     hidden_remainder_y
      - .offset:         70
        .size:           2
        .value_kind:     hidden_remainder_z
      - .offset:         88
        .size:           8
        .value_kind:     hidden_global_offset_x
      - .offset:         96
        .size:           8
        .value_kind:     hidden_global_offset_y
      - .offset:         104
        .size:           8
        .value_kind:     hidden_global_offset_z
      - .offset:         112
        .size:           2
        .value_kind:     hidden_grid_dims
    .group_segment_fixed_size: 0
    .kernarg_segment_align: 8
    .kernarg_segment_size: 304
    .language:       OpenCL C
    .language_version:
      - 2
      - 0
    .max_flat_workgroup_size: 1024
    .name:           _ZN12_GLOBAL__N_120softmax_warp_forwardIfffLi0ELb0ELb0ELi32EEEvPT0_PKT_iiiPKbib
    .private_segment_fixed_size: 0
    .sgpr_count:     18
    .sgpr_spill_count: 0
    .symbol:         _ZN12_GLOBAL__N_120softmax_warp_forwardIfffLi0ELb0ELb0ELi32EEEvPT0_PKT_iiiPKbib.kd
    .uniform_work_group_size: 1
    .uses_dynamic_stack: false
    .vgpr_count:     9
    .vgpr_spill_count: 0
    .wavefront_size: 32
    .workgroup_processor_mode: 1
  - .args:
      - .address_space:  global
        .offset:         0
        .size:           8
        .value_kind:     global_buffer
      - .address_space:  global
        .offset:         8
        .size:           8
        .value_kind:     global_buffer
      - .offset:         16
        .size:           4
        .value_kind:     by_value
      - .offset:         20
        .size:           4
        .value_kind:     by_value
      - .offset:         24
        .size:           4
        .value_kind:     by_value
      - .address_space:  global
        .offset:         32
        .size:           8
        .value_kind:     global_buffer
      - .offset:         40
        .size:           4
        .value_kind:     by_value
      - .offset:         44
        .size:           1
        .value_kind:     by_value
      - .offset:         48
        .size:           4
        .value_kind:     hidden_block_count_x
      - .offset:         52
        .size:           4
        .value_kind:     hidden_block_count_y
      - .offset:         56
        .size:           4
        .value_kind:     hidden_block_count_z
      - .offset:         60
        .size:           2
        .value_kind:     hidden_group_size_x
      - .offset:         62
        .size:           2
        .value_kind:     hidden_group_size_y
      - .offset:         64
        .size:           2
        .value_kind:     hidden_group_size_z
      - .offset:         66
        .size:           2
        .value_kind:     hidden_remainder_x
      - .offset:         68
        .size:           2
        .value_kind:     hidden_remainder_y
      - .offset:         70
        .size:           2
        .value_kind:     hidden_remainder_z
      - .offset:         88
        .size:           8
        .value_kind:     hidden_global_offset_x
      - .offset:         96
        .size:           8
        .value_kind:     hidden_global_offset_y
      - .offset:         104
        .size:           8
        .value_kind:     hidden_global_offset_z
      - .offset:         112
        .size:           2
        .value_kind:     hidden_grid_dims
    .group_segment_fixed_size: 0
    .kernarg_segment_align: 8
    .kernarg_segment_size: 304
    .language:       OpenCL C
    .language_version:
      - 2
      - 0
    .max_flat_workgroup_size: 1024
    .name:           _ZN12_GLOBAL__N_120softmax_warp_forwardIfffLi1ELb0ELb0ELi64EEEvPT0_PKT_iiiPKbib
    .private_segment_fixed_size: 0
    .sgpr_count:     18
    .sgpr_spill_count: 0
    .symbol:         _ZN12_GLOBAL__N_120softmax_warp_forwardIfffLi1ELb0ELb0ELi64EEEvPT0_PKT_iiiPKbib.kd
    .uniform_work_group_size: 1
    .uses_dynamic_stack: false
    .vgpr_count:     12
    .vgpr_spill_count: 0
    .wavefront_size: 32
    .workgroup_processor_mode: 1
  - .args:
      - .address_space:  global
        .offset:         0
        .size:           8
        .value_kind:     global_buffer
      - .address_space:  global
        .offset:         8
        .size:           8
        .value_kind:     global_buffer
      - .offset:         16
        .size:           4
        .value_kind:     by_value
      - .offset:         20
        .size:           4
        .value_kind:     by_value
      - .offset:         24
        .size:           4
        .value_kind:     by_value
      - .address_space:  global
        .offset:         32
        .size:           8
        .value_kind:     global_buffer
      - .offset:         40
        .size:           4
        .value_kind:     by_value
      - .offset:         44
        .size:           1
        .value_kind:     by_value
      - .offset:         48
        .size:           4
        .value_kind:     hidden_block_count_x
      - .offset:         52
        .size:           4
        .value_kind:     hidden_block_count_y
      - .offset:         56
        .size:           4
        .value_kind:     hidden_block_count_z
      - .offset:         60
        .size:           2
        .value_kind:     hidden_group_size_x
      - .offset:         62
        .size:           2
        .value_kind:     hidden_group_size_y
      - .offset:         64
        .size:           2
        .value_kind:     hidden_group_size_z
      - .offset:         66
        .size:           2
        .value_kind:     hidden_remainder_x
      - .offset:         68
        .size:           2
        .value_kind:     hidden_remainder_y
      - .offset:         70
        .size:           2
        .value_kind:     hidden_remainder_z
      - .offset:         88
        .size:           8
        .value_kind:     hidden_global_offset_x
      - .offset:         96
        .size:           8
        .value_kind:     hidden_global_offset_y
      - .offset:         104
        .size:           8
        .value_kind:     hidden_global_offset_z
      - .offset:         112
        .size:           2
        .value_kind:     hidden_grid_dims
    .group_segment_fixed_size: 0
    .kernarg_segment_align: 8
    .kernarg_segment_size: 304
    .language:       OpenCL C
    .language_version:
      - 2
      - 0
    .max_flat_workgroup_size: 1024
    .name:           _ZN12_GLOBAL__N_120softmax_warp_forwardIfffLi1ELb0ELb0ELi32EEEvPT0_PKT_iiiPKbib
    .private_segment_fixed_size: 0
    .sgpr_count:     18
    .sgpr_spill_count: 0
    .symbol:         _ZN12_GLOBAL__N_120softmax_warp_forwardIfffLi1ELb0ELb0ELi32EEEvPT0_PKT_iiiPKbib.kd
    .uniform_work_group_size: 1
    .uses_dynamic_stack: false
    .vgpr_count:     12
    .vgpr_spill_count: 0
    .wavefront_size: 32
    .workgroup_processor_mode: 1
  - .args:
      - .address_space:  global
        .offset:         0
        .size:           8
        .value_kind:     global_buffer
      - .address_space:  global
        .offset:         8
        .size:           8
        .value_kind:     global_buffer
      - .offset:         16
        .size:           4
        .value_kind:     by_value
      - .offset:         20
        .size:           4
        .value_kind:     by_value
      - .offset:         24
        .size:           4
        .value_kind:     by_value
      - .address_space:  global
        .offset:         32
        .size:           8
        .value_kind:     global_buffer
      - .offset:         40
        .size:           4
        .value_kind:     by_value
      - .offset:         44
        .size:           1
        .value_kind:     by_value
      - .offset:         48
        .size:           4
        .value_kind:     hidden_block_count_x
      - .offset:         52
        .size:           4
        .value_kind:     hidden_block_count_y
      - .offset:         56
        .size:           4
        .value_kind:     hidden_block_count_z
      - .offset:         60
        .size:           2
        .value_kind:     hidden_group_size_x
      - .offset:         62
        .size:           2
        .value_kind:     hidden_group_size_y
      - .offset:         64
        .size:           2
        .value_kind:     hidden_group_size_z
      - .offset:         66
        .size:           2
        .value_kind:     hidden_remainder_x
      - .offset:         68
        .size:           2
        .value_kind:     hidden_remainder_y
      - .offset:         70
        .size:           2
        .value_kind:     hidden_remainder_z
      - .offset:         88
        .size:           8
        .value_kind:     hidden_global_offset_x
      - .offset:         96
        .size:           8
        .value_kind:     hidden_global_offset_y
      - .offset:         104
        .size:           8
        .value_kind:     hidden_global_offset_z
      - .offset:         112
        .size:           2
        .value_kind:     hidden_grid_dims
    .group_segment_fixed_size: 0
    .kernarg_segment_align: 8
    .kernarg_segment_size: 304
    .language:       OpenCL C
    .language_version:
      - 2
      - 0
    .max_flat_workgroup_size: 1024
    .name:           _ZN12_GLOBAL__N_120softmax_warp_forwardIfffLi2ELb0ELb0ELi64EEEvPT0_PKT_iiiPKbib
    .private_segment_fixed_size: 0
    .sgpr_count:     18
    .sgpr_spill_count: 0
    .symbol:         _ZN12_GLOBAL__N_120softmax_warp_forwardIfffLi2ELb0ELb0ELi64EEEvPT0_PKT_iiiPKbib.kd
    .uniform_work_group_size: 1
    .uses_dynamic_stack: false
    .vgpr_count:     13
    .vgpr_spill_count: 0
    .wavefront_size: 32
    .workgroup_processor_mode: 1
  - .args:
      - .address_space:  global
        .offset:         0
        .size:           8
        .value_kind:     global_buffer
      - .address_space:  global
        .offset:         8
        .size:           8
        .value_kind:     global_buffer
      - .offset:         16
        .size:           4
        .value_kind:     by_value
      - .offset:         20
        .size:           4
        .value_kind:     by_value
      - .offset:         24
        .size:           4
        .value_kind:     by_value
      - .address_space:  global
        .offset:         32
        .size:           8
        .value_kind:     global_buffer
      - .offset:         40
        .size:           4
        .value_kind:     by_value
      - .offset:         44
        .size:           1
        .value_kind:     by_value
      - .offset:         48
        .size:           4
        .value_kind:     hidden_block_count_x
      - .offset:         52
        .size:           4
        .value_kind:     hidden_block_count_y
      - .offset:         56
        .size:           4
        .value_kind:     hidden_block_count_z
      - .offset:         60
        .size:           2
        .value_kind:     hidden_group_size_x
      - .offset:         62
        .size:           2
        .value_kind:     hidden_group_size_y
      - .offset:         64
        .size:           2
        .value_kind:     hidden_group_size_z
      - .offset:         66
        .size:           2
        .value_kind:     hidden_remainder_x
      - .offset:         68
        .size:           2
        .value_kind:     hidden_remainder_y
      - .offset:         70
        .size:           2
        .value_kind:     hidden_remainder_z
      - .offset:         88
        .size:           8
        .value_kind:     hidden_global_offset_x
      - .offset:         96
        .size:           8
        .value_kind:     hidden_global_offset_y
      - .offset:         104
        .size:           8
        .value_kind:     hidden_global_offset_z
      - .offset:         112
        .size:           2
        .value_kind:     hidden_grid_dims
    .group_segment_fixed_size: 0
    .kernarg_segment_align: 8
    .kernarg_segment_size: 304
    .language:       OpenCL C
    .language_version:
      - 2
      - 0
    .max_flat_workgroup_size: 1024
    .name:           _ZN12_GLOBAL__N_120softmax_warp_forwardIfffLi2ELb0ELb0ELi32EEEvPT0_PKT_iiiPKbib
    .private_segment_fixed_size: 0
    .sgpr_count:     18
    .sgpr_spill_count: 0
    .symbol:         _ZN12_GLOBAL__N_120softmax_warp_forwardIfffLi2ELb0ELb0ELi32EEEvPT0_PKT_iiiPKbib.kd
    .uniform_work_group_size: 1
    .uses_dynamic_stack: false
    .vgpr_count:     13
    .vgpr_spill_count: 0
    .wavefront_size: 32
    .workgroup_processor_mode: 1
  - .args:
      - .address_space:  global
        .offset:         0
        .size:           8
        .value_kind:     global_buffer
      - .address_space:  global
        .offset:         8
        .size:           8
        .value_kind:     global_buffer
      - .offset:         16
        .size:           4
        .value_kind:     by_value
      - .offset:         20
        .size:           4
        .value_kind:     by_value
      - .offset:         24
        .size:           4
        .value_kind:     by_value
      - .address_space:  global
        .offset:         32
        .size:           8
        .value_kind:     global_buffer
      - .offset:         40
        .size:           4
        .value_kind:     by_value
      - .offset:         44
        .size:           1
        .value_kind:     by_value
      - .offset:         48
        .size:           4
        .value_kind:     hidden_block_count_x
      - .offset:         52
        .size:           4
        .value_kind:     hidden_block_count_y
      - .offset:         56
        .size:           4
        .value_kind:     hidden_block_count_z
      - .offset:         60
        .size:           2
        .value_kind:     hidden_group_size_x
      - .offset:         62
        .size:           2
        .value_kind:     hidden_group_size_y
      - .offset:         64
        .size:           2
        .value_kind:     hidden_group_size_z
      - .offset:         66
        .size:           2
        .value_kind:     hidden_remainder_x
      - .offset:         68
        .size:           2
        .value_kind:     hidden_remainder_y
      - .offset:         70
        .size:           2
        .value_kind:     hidden_remainder_z
      - .offset:         88
        .size:           8
        .value_kind:     hidden_global_offset_x
      - .offset:         96
        .size:           8
        .value_kind:     hidden_global_offset_y
      - .offset:         104
        .size:           8
        .value_kind:     hidden_global_offset_z
      - .offset:         112
        .size:           2
        .value_kind:     hidden_grid_dims
    .group_segment_fixed_size: 0
    .kernarg_segment_align: 8
    .kernarg_segment_size: 304
    .language:       OpenCL C
    .language_version:
      - 2
      - 0
    .max_flat_workgroup_size: 1024
    .name:           _ZN12_GLOBAL__N_120softmax_warp_forwardIfffLi3ELb0ELb0ELi64EEEvPT0_PKT_iiiPKbib
    .private_segment_fixed_size: 0
    .sgpr_count:     18
    .sgpr_spill_count: 0
    .symbol:         _ZN12_GLOBAL__N_120softmax_warp_forwardIfffLi3ELb0ELb0ELi64EEEvPT0_PKT_iiiPKbib.kd
    .uniform_work_group_size: 1
    .uses_dynamic_stack: false
    .vgpr_count:     14
    .vgpr_spill_count: 0
    .wavefront_size: 32
    .workgroup_processor_mode: 1
  - .args:
      - .address_space:  global
        .offset:         0
        .size:           8
        .value_kind:     global_buffer
      - .address_space:  global
        .offset:         8
        .size:           8
        .value_kind:     global_buffer
      - .offset:         16
        .size:           4
        .value_kind:     by_value
      - .offset:         20
        .size:           4
        .value_kind:     by_value
      - .offset:         24
        .size:           4
        .value_kind:     by_value
      - .address_space:  global
        .offset:         32
        .size:           8
        .value_kind:     global_buffer
      - .offset:         40
        .size:           4
        .value_kind:     by_value
      - .offset:         44
        .size:           1
        .value_kind:     by_value
      - .offset:         48
        .size:           4
        .value_kind:     hidden_block_count_x
      - .offset:         52
        .size:           4
        .value_kind:     hidden_block_count_y
      - .offset:         56
        .size:           4
        .value_kind:     hidden_block_count_z
      - .offset:         60
        .size:           2
        .value_kind:     hidden_group_size_x
      - .offset:         62
        .size:           2
        .value_kind:     hidden_group_size_y
      - .offset:         64
        .size:           2
        .value_kind:     hidden_group_size_z
      - .offset:         66
        .size:           2
        .value_kind:     hidden_remainder_x
      - .offset:         68
        .size:           2
        .value_kind:     hidden_remainder_y
      - .offset:         70
        .size:           2
        .value_kind:     hidden_remainder_z
      - .offset:         88
        .size:           8
        .value_kind:     hidden_global_offset_x
      - .offset:         96
        .size:           8
        .value_kind:     hidden_global_offset_y
      - .offset:         104
        .size:           8
        .value_kind:     hidden_global_offset_z
      - .offset:         112
        .size:           2
        .value_kind:     hidden_grid_dims
    .group_segment_fixed_size: 0
    .kernarg_segment_align: 8
    .kernarg_segment_size: 304
    .language:       OpenCL C
    .language_version:
      - 2
      - 0
    .max_flat_workgroup_size: 1024
    .name:           _ZN12_GLOBAL__N_120softmax_warp_forwardIfffLi3ELb0ELb0ELi32EEEvPT0_PKT_iiiPKbib
    .private_segment_fixed_size: 0
    .sgpr_count:     18
    .sgpr_spill_count: 0
    .symbol:         _ZN12_GLOBAL__N_120softmax_warp_forwardIfffLi3ELb0ELb0ELi32EEEvPT0_PKT_iiiPKbib.kd
    .uniform_work_group_size: 1
    .uses_dynamic_stack: false
    .vgpr_count:     14
    .vgpr_spill_count: 0
    .wavefront_size: 32
    .workgroup_processor_mode: 1
  - .args:
      - .address_space:  global
        .offset:         0
        .size:           8
        .value_kind:     global_buffer
      - .address_space:  global
        .offset:         8
        .size:           8
        .value_kind:     global_buffer
      - .offset:         16
        .size:           4
        .value_kind:     by_value
      - .offset:         20
        .size:           4
        .value_kind:     by_value
      - .offset:         24
        .size:           4
        .value_kind:     by_value
      - .address_space:  global
        .offset:         32
        .size:           8
        .value_kind:     global_buffer
      - .offset:         40
        .size:           4
        .value_kind:     by_value
      - .offset:         44
        .size:           1
        .value_kind:     by_value
      - .offset:         48
        .size:           4
        .value_kind:     hidden_block_count_x
      - .offset:         52
        .size:           4
        .value_kind:     hidden_block_count_y
      - .offset:         56
        .size:           4
        .value_kind:     hidden_block_count_z
      - .offset:         60
        .size:           2
        .value_kind:     hidden_group_size_x
      - .offset:         62
        .size:           2
        .value_kind:     hidden_group_size_y
      - .offset:         64
        .size:           2
        .value_kind:     hidden_group_size_z
      - .offset:         66
        .size:           2
        .value_kind:     hidden_remainder_x
      - .offset:         68
        .size:           2
        .value_kind:     hidden_remainder_y
      - .offset:         70
        .size:           2
        .value_kind:     hidden_remainder_z
      - .offset:         88
        .size:           8
        .value_kind:     hidden_global_offset_x
      - .offset:         96
        .size:           8
        .value_kind:     hidden_global_offset_y
      - .offset:         104
        .size:           8
        .value_kind:     hidden_global_offset_z
      - .offset:         112
        .size:           2
        .value_kind:     hidden_grid_dims
    .group_segment_fixed_size: 0
    .kernarg_segment_align: 8
    .kernarg_segment_size: 304
    .language:       OpenCL C
    .language_version:
      - 2
      - 0
    .max_flat_workgroup_size: 1024
    .name:           _ZN12_GLOBAL__N_120softmax_warp_forwardIfffLi4ELb0ELb0ELi64EEEvPT0_PKT_iiiPKbib
    .private_segment_fixed_size: 0
    .sgpr_count:     18
    .sgpr_spill_count: 0
    .symbol:         _ZN12_GLOBAL__N_120softmax_warp_forwardIfffLi4ELb0ELb0ELi64EEEvPT0_PKT_iiiPKbib.kd
    .uniform_work_group_size: 1
    .uses_dynamic_stack: false
    .vgpr_count:     15
    .vgpr_spill_count: 0
    .wavefront_size: 32
    .workgroup_processor_mode: 1
  - .args:
      - .address_space:  global
        .offset:         0
        .size:           8
        .value_kind:     global_buffer
      - .address_space:  global
        .offset:         8
        .size:           8
        .value_kind:     global_buffer
      - .offset:         16
        .size:           4
        .value_kind:     by_value
      - .offset:         20
        .size:           4
        .value_kind:     by_value
      - .offset:         24
        .size:           4
        .value_kind:     by_value
      - .address_space:  global
        .offset:         32
        .size:           8
        .value_kind:     global_buffer
      - .offset:         40
        .size:           4
        .value_kind:     by_value
      - .offset:         44
        .size:           1
        .value_kind:     by_value
      - .offset:         48
        .size:           4
        .value_kind:     hidden_block_count_x
      - .offset:         52
        .size:           4
        .value_kind:     hidden_block_count_y
      - .offset:         56
        .size:           4
        .value_kind:     hidden_block_count_z
      - .offset:         60
        .size:           2
        .value_kind:     hidden_group_size_x
      - .offset:         62
        .size:           2
        .value_kind:     hidden_group_size_y
      - .offset:         64
        .size:           2
        .value_kind:     hidden_group_size_z
      - .offset:         66
        .size:           2
        .value_kind:     hidden_remainder_x
      - .offset:         68
        .size:           2
        .value_kind:     hidden_remainder_y
      - .offset:         70
        .size:           2
        .value_kind:     hidden_remainder_z
      - .offset:         88
        .size:           8
        .value_kind:     hidden_global_offset_x
      - .offset:         96
        .size:           8
        .value_kind:     hidden_global_offset_y
      - .offset:         104
        .size:           8
        .value_kind:     hidden_global_offset_z
      - .offset:         112
        .size:           2
        .value_kind:     hidden_grid_dims
    .group_segment_fixed_size: 0
    .kernarg_segment_align: 8
    .kernarg_segment_size: 304
    .language:       OpenCL C
    .language_version:
      - 2
      - 0
    .max_flat_workgroup_size: 1024
    .name:           _ZN12_GLOBAL__N_120softmax_warp_forwardIfffLi4ELb0ELb0ELi32EEEvPT0_PKT_iiiPKbib
    .private_segment_fixed_size: 0
    .sgpr_count:     18
    .sgpr_spill_count: 0
    .symbol:         _ZN12_GLOBAL__N_120softmax_warp_forwardIfffLi4ELb0ELb0ELi32EEEvPT0_PKT_iiiPKbib.kd
    .uniform_work_group_size: 1
    .uses_dynamic_stack: false
    .vgpr_count:     15
    .vgpr_spill_count: 0
    .wavefront_size: 32
    .workgroup_processor_mode: 1
  - .args:
      - .address_space:  global
        .offset:         0
        .size:           8
        .value_kind:     global_buffer
      - .address_space:  global
        .offset:         8
        .size:           8
        .value_kind:     global_buffer
      - .offset:         16
        .size:           4
        .value_kind:     by_value
      - .offset:         20
        .size:           4
        .value_kind:     by_value
      - .offset:         24
        .size:           4
        .value_kind:     by_value
      - .address_space:  global
        .offset:         32
        .size:           8
        .value_kind:     global_buffer
      - .offset:         40
        .size:           4
        .value_kind:     by_value
      - .offset:         44
        .size:           1
        .value_kind:     by_value
      - .offset:         48
        .size:           4
        .value_kind:     hidden_block_count_x
      - .offset:         52
        .size:           4
        .value_kind:     hidden_block_count_y
      - .offset:         56
        .size:           4
        .value_kind:     hidden_block_count_z
      - .offset:         60
        .size:           2
        .value_kind:     hidden_group_size_x
      - .offset:         62
        .size:           2
        .value_kind:     hidden_group_size_y
      - .offset:         64
        .size:           2
        .value_kind:     hidden_group_size_z
      - .offset:         66
        .size:           2
        .value_kind:     hidden_remainder_x
      - .offset:         68
        .size:           2
        .value_kind:     hidden_remainder_y
      - .offset:         70
        .size:           2
        .value_kind:     hidden_remainder_z
      - .offset:         88
        .size:           8
        .value_kind:     hidden_global_offset_x
      - .offset:         96
        .size:           8
        .value_kind:     hidden_global_offset_y
      - .offset:         104
        .size:           8
        .value_kind:     hidden_global_offset_z
      - .offset:         112
        .size:           2
        .value_kind:     hidden_grid_dims
    .group_segment_fixed_size: 0
    .kernarg_segment_align: 8
    .kernarg_segment_size: 304
    .language:       OpenCL C
    .language_version:
      - 2
      - 0
    .max_flat_workgroup_size: 1024
    .name:           _ZN12_GLOBAL__N_120softmax_warp_forwardIfffLi5ELb0ELb0ELi64EEEvPT0_PKT_iiiPKbib
    .private_segment_fixed_size: 0
    .sgpr_count:     18
    .sgpr_spill_count: 0
    .symbol:         _ZN12_GLOBAL__N_120softmax_warp_forwardIfffLi5ELb0ELb0ELi64EEEvPT0_PKT_iiiPKbib.kd
    .uniform_work_group_size: 1
    .uses_dynamic_stack: false
    .vgpr_count:     16
    .vgpr_spill_count: 0
    .wavefront_size: 32
    .workgroup_processor_mode: 1
  - .args:
      - .address_space:  global
        .offset:         0
        .size:           8
        .value_kind:     global_buffer
      - .address_space:  global
        .offset:         8
        .size:           8
        .value_kind:     global_buffer
      - .offset:         16
        .size:           4
        .value_kind:     by_value
      - .offset:         20
        .size:           4
        .value_kind:     by_value
      - .offset:         24
        .size:           4
        .value_kind:     by_value
      - .address_space:  global
        .offset:         32
        .size:           8
        .value_kind:     global_buffer
      - .offset:         40
        .size:           4
        .value_kind:     by_value
      - .offset:         44
        .size:           1
        .value_kind:     by_value
      - .offset:         48
        .size:           4
        .value_kind:     hidden_block_count_x
      - .offset:         52
        .size:           4
        .value_kind:     hidden_block_count_y
      - .offset:         56
        .size:           4
        .value_kind:     hidden_block_count_z
      - .offset:         60
        .size:           2
        .value_kind:     hidden_group_size_x
      - .offset:         62
        .size:           2
        .value_kind:     hidden_group_size_y
      - .offset:         64
        .size:           2
        .value_kind:     hidden_group_size_z
      - .offset:         66
        .size:           2
        .value_kind:     hidden_remainder_x
      - .offset:         68
        .size:           2
        .value_kind:     hidden_remainder_y
      - .offset:         70
        .size:           2
        .value_kind:     hidden_remainder_z
      - .offset:         88
        .size:           8
        .value_kind:     hidden_global_offset_x
      - .offset:         96
        .size:           8
        .value_kind:     hidden_global_offset_y
      - .offset:         104
        .size:           8
        .value_kind:     hidden_global_offset_z
      - .offset:         112
        .size:           2
        .value_kind:     hidden_grid_dims
    .group_segment_fixed_size: 0
    .kernarg_segment_align: 8
    .kernarg_segment_size: 304
    .language:       OpenCL C
    .language_version:
      - 2
      - 0
    .max_flat_workgroup_size: 1024
    .name:           _ZN12_GLOBAL__N_120softmax_warp_forwardIfffLi5ELb0ELb0ELi32EEEvPT0_PKT_iiiPKbib
    .private_segment_fixed_size: 0
    .sgpr_count:     18
    .sgpr_spill_count: 0
    .symbol:         _ZN12_GLOBAL__N_120softmax_warp_forwardIfffLi5ELb0ELb0ELi32EEEvPT0_PKT_iiiPKbib.kd
    .uniform_work_group_size: 1
    .uses_dynamic_stack: false
    .vgpr_count:     16
    .vgpr_spill_count: 0
    .wavefront_size: 32
    .workgroup_processor_mode: 1
  - .args:
      - .address_space:  global
        .offset:         0
        .size:           8
        .value_kind:     global_buffer
      - .address_space:  global
        .offset:         8
        .size:           8
        .value_kind:     global_buffer
      - .offset:         16
        .size:           4
        .value_kind:     by_value
      - .offset:         20
        .size:           4
        .value_kind:     by_value
      - .offset:         24
        .size:           4
        .value_kind:     by_value
      - .address_space:  global
        .offset:         32
        .size:           8
        .value_kind:     global_buffer
      - .offset:         40
        .size:           4
        .value_kind:     by_value
      - .offset:         44
        .size:           1
        .value_kind:     by_value
      - .offset:         48
        .size:           4
        .value_kind:     hidden_block_count_x
      - .offset:         52
        .size:           4
        .value_kind:     hidden_block_count_y
      - .offset:         56
        .size:           4
        .value_kind:     hidden_block_count_z
      - .offset:         60
        .size:           2
        .value_kind:     hidden_group_size_x
      - .offset:         62
        .size:           2
        .value_kind:     hidden_group_size_y
      - .offset:         64
        .size:           2
        .value_kind:     hidden_group_size_z
      - .offset:         66
        .size:           2
        .value_kind:     hidden_remainder_x
      - .offset:         68
        .size:           2
        .value_kind:     hidden_remainder_y
      - .offset:         70
        .size:           2
        .value_kind:     hidden_remainder_z
      - .offset:         88
        .size:           8
        .value_kind:     hidden_global_offset_x
      - .offset:         96
        .size:           8
        .value_kind:     hidden_global_offset_y
      - .offset:         104
        .size:           8
        .value_kind:     hidden_global_offset_z
      - .offset:         112
        .size:           2
        .value_kind:     hidden_grid_dims
    .group_segment_fixed_size: 0
    .kernarg_segment_align: 8
    .kernarg_segment_size: 304
    .language:       OpenCL C
    .language_version:
      - 2
      - 0
    .max_flat_workgroup_size: 1024
    .name:           _ZN12_GLOBAL__N_120softmax_warp_forwardIfffLi6ELb0ELb0ELi64EEEvPT0_PKT_iiiPKbib
    .private_segment_fixed_size: 0
    .sgpr_count:     18
    .sgpr_spill_count: 0
    .symbol:         _ZN12_GLOBAL__N_120softmax_warp_forwardIfffLi6ELb0ELb0ELi64EEEvPT0_PKT_iiiPKbib.kd
    .uniform_work_group_size: 1
    .uses_dynamic_stack: false
    .vgpr_count:     17
    .vgpr_spill_count: 0
    .wavefront_size: 32
    .workgroup_processor_mode: 1
  - .args:
      - .address_space:  global
        .offset:         0
        .size:           8
        .value_kind:     global_buffer
      - .address_space:  global
        .offset:         8
        .size:           8
        .value_kind:     global_buffer
      - .offset:         16
        .size:           4
        .value_kind:     by_value
      - .offset:         20
        .size:           4
        .value_kind:     by_value
      - .offset:         24
        .size:           4
        .value_kind:     by_value
      - .address_space:  global
        .offset:         32
        .size:           8
        .value_kind:     global_buffer
      - .offset:         40
        .size:           4
        .value_kind:     by_value
      - .offset:         44
        .size:           1
        .value_kind:     by_value
      - .offset:         48
        .size:           4
        .value_kind:     hidden_block_count_x
      - .offset:         52
        .size:           4
        .value_kind:     hidden_block_count_y
      - .offset:         56
        .size:           4
        .value_kind:     hidden_block_count_z
      - .offset:         60
        .size:           2
        .value_kind:     hidden_group_size_x
      - .offset:         62
        .size:           2
        .value_kind:     hidden_group_size_y
      - .offset:         64
        .size:           2
        .value_kind:     hidden_group_size_z
      - .offset:         66
        .size:           2
        .value_kind:     hidden_remainder_x
      - .offset:         68
        .size:           2
        .value_kind:     hidden_remainder_y
      - .offset:         70
        .size:           2
        .value_kind:     hidden_remainder_z
      - .offset:         88
        .size:           8
        .value_kind:     hidden_global_offset_x
      - .offset:         96
        .size:           8
        .value_kind:     hidden_global_offset_y
      - .offset:         104
        .size:           8
        .value_kind:     hidden_global_offset_z
      - .offset:         112
        .size:           2
        .value_kind:     hidden_grid_dims
    .group_segment_fixed_size: 0
    .kernarg_segment_align: 8
    .kernarg_segment_size: 304
    .language:       OpenCL C
    .language_version:
      - 2
      - 0
    .max_flat_workgroup_size: 1024
    .name:           _ZN12_GLOBAL__N_120softmax_warp_forwardIfffLi6ELb0ELb0ELi32EEEvPT0_PKT_iiiPKbib
    .private_segment_fixed_size: 0
    .sgpr_count:     18
    .sgpr_spill_count: 0
    .symbol:         _ZN12_GLOBAL__N_120softmax_warp_forwardIfffLi6ELb0ELb0ELi32EEEvPT0_PKT_iiiPKbib.kd
    .uniform_work_group_size: 1
    .uses_dynamic_stack: false
    .vgpr_count:     24
    .vgpr_spill_count: 0
    .wavefront_size: 32
    .workgroup_processor_mode: 1
  - .args:
      - .address_space:  global
        .offset:         0
        .size:           8
        .value_kind:     global_buffer
      - .address_space:  global
        .offset:         8
        .size:           8
        .value_kind:     global_buffer
      - .offset:         16
        .size:           4
        .value_kind:     by_value
      - .offset:         20
        .size:           4
        .value_kind:     by_value
      - .offset:         24
        .size:           4
        .value_kind:     by_value
      - .address_space:  global
        .offset:         32
        .size:           8
        .value_kind:     global_buffer
      - .offset:         40
        .size:           4
        .value_kind:     by_value
      - .offset:         44
        .size:           1
        .value_kind:     by_value
      - .offset:         48
        .size:           4
        .value_kind:     hidden_block_count_x
      - .offset:         52
        .size:           4
        .value_kind:     hidden_block_count_y
      - .offset:         56
        .size:           4
        .value_kind:     hidden_block_count_z
      - .offset:         60
        .size:           2
        .value_kind:     hidden_group_size_x
      - .offset:         62
        .size:           2
        .value_kind:     hidden_group_size_y
      - .offset:         64
        .size:           2
        .value_kind:     hidden_group_size_z
      - .offset:         66
        .size:           2
        .value_kind:     hidden_remainder_x
      - .offset:         68
        .size:           2
        .value_kind:     hidden_remainder_y
      - .offset:         70
        .size:           2
        .value_kind:     hidden_remainder_z
      - .offset:         88
        .size:           8
        .value_kind:     hidden_global_offset_x
      - .offset:         96
        .size:           8
        .value_kind:     hidden_global_offset_y
      - .offset:         104
        .size:           8
        .value_kind:     hidden_global_offset_z
      - .offset:         112
        .size:           2
        .value_kind:     hidden_grid_dims
    .group_segment_fixed_size: 0
    .kernarg_segment_align: 8
    .kernarg_segment_size: 304
    .language:       OpenCL C
    .language_version:
      - 2
      - 0
    .max_flat_workgroup_size: 1024
    .name:           _ZN12_GLOBAL__N_120softmax_warp_forwardIfffLi7ELb0ELb0ELi64EEEvPT0_PKT_iiiPKbib
    .private_segment_fixed_size: 0
    .sgpr_count:     18
    .sgpr_spill_count: 0
    .symbol:         _ZN12_GLOBAL__N_120softmax_warp_forwardIfffLi7ELb0ELb0ELi64EEEvPT0_PKT_iiiPKbib.kd
    .uniform_work_group_size: 1
    .uses_dynamic_stack: false
    .vgpr_count:     25
    .vgpr_spill_count: 0
    .wavefront_size: 32
    .workgroup_processor_mode: 1
  - .args:
      - .address_space:  global
        .offset:         0
        .size:           8
        .value_kind:     global_buffer
      - .address_space:  global
        .offset:         8
        .size:           8
        .value_kind:     global_buffer
      - .offset:         16
        .size:           4
        .value_kind:     by_value
      - .offset:         20
        .size:           4
        .value_kind:     by_value
      - .offset:         24
        .size:           4
        .value_kind:     by_value
      - .address_space:  global
        .offset:         32
        .size:           8
        .value_kind:     global_buffer
      - .offset:         40
        .size:           4
        .value_kind:     by_value
      - .offset:         44
        .size:           1
        .value_kind:     by_value
      - .offset:         48
        .size:           4
        .value_kind:     hidden_block_count_x
      - .offset:         52
        .size:           4
        .value_kind:     hidden_block_count_y
      - .offset:         56
        .size:           4
        .value_kind:     hidden_block_count_z
      - .offset:         60
        .size:           2
        .value_kind:     hidden_group_size_x
      - .offset:         62
        .size:           2
        .value_kind:     hidden_group_size_y
      - .offset:         64
        .size:           2
        .value_kind:     hidden_group_size_z
      - .offset:         66
        .size:           2
        .value_kind:     hidden_remainder_x
      - .offset:         68
        .size:           2
        .value_kind:     hidden_remainder_y
      - .offset:         70
        .size:           2
        .value_kind:     hidden_remainder_z
      - .offset:         88
        .size:           8
        .value_kind:     hidden_global_offset_x
      - .offset:         96
        .size:           8
        .value_kind:     hidden_global_offset_y
      - .offset:         104
        .size:           8
        .value_kind:     hidden_global_offset_z
      - .offset:         112
        .size:           2
        .value_kind:     hidden_grid_dims
    .group_segment_fixed_size: 0
    .kernarg_segment_align: 8
    .kernarg_segment_size: 304
    .language:       OpenCL C
    .language_version:
      - 2
      - 0
    .max_flat_workgroup_size: 1024
    .name:           _ZN12_GLOBAL__N_120softmax_warp_forwardIfffLi7ELb0ELb0ELi32EEEvPT0_PKT_iiiPKbib
    .private_segment_fixed_size: 0
    .sgpr_count:     18
    .sgpr_spill_count: 0
    .symbol:         _ZN12_GLOBAL__N_120softmax_warp_forwardIfffLi7ELb0ELb0ELi32EEEvPT0_PKT_iiiPKbib.kd
    .uniform_work_group_size: 1
    .uses_dynamic_stack: false
    .vgpr_count:     40
    .vgpr_spill_count: 0
    .wavefront_size: 32
    .workgroup_processor_mode: 1
  - .args:
      - .address_space:  global
        .offset:         0
        .size:           8
        .value_kind:     global_buffer
      - .address_space:  global
        .offset:         8
        .size:           8
        .value_kind:     global_buffer
      - .offset:         16
        .size:           4
        .value_kind:     by_value
      - .offset:         20
        .size:           4
        .value_kind:     by_value
      - .offset:         24
        .size:           4
        .value_kind:     by_value
      - .address_space:  global
        .offset:         32
        .size:           8
        .value_kind:     global_buffer
      - .offset:         40
        .size:           4
        .value_kind:     by_value
      - .offset:         44
        .size:           1
        .value_kind:     by_value
      - .offset:         48
        .size:           4
        .value_kind:     hidden_block_count_x
      - .offset:         52
        .size:           4
        .value_kind:     hidden_block_count_y
      - .offset:         56
        .size:           4
        .value_kind:     hidden_block_count_z
      - .offset:         60
        .size:           2
        .value_kind:     hidden_group_size_x
      - .offset:         62
        .size:           2
        .value_kind:     hidden_group_size_y
      - .offset:         64
        .size:           2
        .value_kind:     hidden_group_size_z
      - .offset:         66
        .size:           2
        .value_kind:     hidden_remainder_x
      - .offset:         68
        .size:           2
        .value_kind:     hidden_remainder_y
      - .offset:         70
        .size:           2
        .value_kind:     hidden_remainder_z
      - .offset:         88
        .size:           8
        .value_kind:     hidden_global_offset_x
      - .offset:         96
        .size:           8
        .value_kind:     hidden_global_offset_y
      - .offset:         104
        .size:           8
        .value_kind:     hidden_global_offset_z
      - .offset:         112
        .size:           2
        .value_kind:     hidden_grid_dims
    .group_segment_fixed_size: 0
    .kernarg_segment_align: 8
    .kernarg_segment_size: 304
    .language:       OpenCL C
    .language_version:
      - 2
      - 0
    .max_flat_workgroup_size: 1024
    .name:           _ZN12_GLOBAL__N_120softmax_warp_forwardIfffLi8ELb0ELb0ELi64EEEvPT0_PKT_iiiPKbib
    .private_segment_fixed_size: 0
    .sgpr_count:     18
    .sgpr_spill_count: 0
    .symbol:         _ZN12_GLOBAL__N_120softmax_warp_forwardIfffLi8ELb0ELb0ELi64EEEvPT0_PKT_iiiPKbib.kd
    .uniform_work_group_size: 1
    .uses_dynamic_stack: false
    .vgpr_count:     24
    .vgpr_spill_count: 0
    .wavefront_size: 32
    .workgroup_processor_mode: 1
  - .args:
      - .address_space:  global
        .offset:         0
        .size:           8
        .value_kind:     global_buffer
      - .address_space:  global
        .offset:         8
        .size:           8
        .value_kind:     global_buffer
      - .offset:         16
        .size:           4
        .value_kind:     by_value
      - .offset:         20
        .size:           4
        .value_kind:     by_value
      - .offset:         24
        .size:           4
        .value_kind:     by_value
      - .address_space:  global
        .offset:         32
        .size:           8
        .value_kind:     global_buffer
      - .offset:         40
        .size:           4
        .value_kind:     by_value
      - .offset:         44
        .size:           1
        .value_kind:     by_value
      - .offset:         48
        .size:           4
        .value_kind:     hidden_block_count_x
      - .offset:         52
        .size:           4
        .value_kind:     hidden_block_count_y
      - .offset:         56
        .size:           4
        .value_kind:     hidden_block_count_z
      - .offset:         60
        .size:           2
        .value_kind:     hidden_group_size_x
      - .offset:         62
        .size:           2
        .value_kind:     hidden_group_size_y
      - .offset:         64
        .size:           2
        .value_kind:     hidden_group_size_z
      - .offset:         66
        .size:           2
        .value_kind:     hidden_remainder_x
      - .offset:         68
        .size:           2
        .value_kind:     hidden_remainder_y
      - .offset:         70
        .size:           2
        .value_kind:     hidden_remainder_z
      - .offset:         88
        .size:           8
        .value_kind:     hidden_global_offset_x
      - .offset:         96
        .size:           8
        .value_kind:     hidden_global_offset_y
      - .offset:         104
        .size:           8
        .value_kind:     hidden_global_offset_z
      - .offset:         112
        .size:           2
        .value_kind:     hidden_grid_dims
    .group_segment_fixed_size: 0
    .kernarg_segment_align: 8
    .kernarg_segment_size: 304
    .language:       OpenCL C
    .language_version:
      - 2
      - 0
    .max_flat_workgroup_size: 1024
    .name:           _ZN12_GLOBAL__N_120softmax_warp_forwardIfffLi8ELb0ELb0ELi32EEEvPT0_PKT_iiiPKbib
    .private_segment_fixed_size: 0
    .sgpr_count:     18
    .sgpr_spill_count: 0
    .symbol:         _ZN12_GLOBAL__N_120softmax_warp_forwardIfffLi8ELb0ELb0ELi32EEEvPT0_PKT_iiiPKbib.kd
    .uniform_work_group_size: 1
    .uses_dynamic_stack: false
    .vgpr_count:     40
    .vgpr_spill_count: 0
    .wavefront_size: 32
    .workgroup_processor_mode: 1
  - .args:
      - .address_space:  global
        .offset:         0
        .size:           8
        .value_kind:     global_buffer
      - .address_space:  global
        .offset:         8
        .size:           8
        .value_kind:     global_buffer
      - .offset:         16
        .size:           4
        .value_kind:     by_value
      - .offset:         20
        .size:           4
        .value_kind:     by_value
      - .offset:         24
        .size:           4
        .value_kind:     by_value
      - .address_space:  global
        .offset:         32
        .size:           8
        .value_kind:     global_buffer
      - .offset:         40
        .size:           4
        .value_kind:     by_value
      - .offset:         44
        .size:           1
        .value_kind:     by_value
      - .offset:         48
        .size:           4
        .value_kind:     hidden_block_count_x
      - .offset:         52
        .size:           4
        .value_kind:     hidden_block_count_y
      - .offset:         56
        .size:           4
        .value_kind:     hidden_block_count_z
      - .offset:         60
        .size:           2
        .value_kind:     hidden_group_size_x
      - .offset:         62
        .size:           2
        .value_kind:     hidden_group_size_y
      - .offset:         64
        .size:           2
        .value_kind:     hidden_group_size_z
      - .offset:         66
        .size:           2
        .value_kind:     hidden_remainder_x
      - .offset:         68
        .size:           2
        .value_kind:     hidden_remainder_y
      - .offset:         70
        .size:           2
        .value_kind:     hidden_remainder_z
      - .offset:         88
        .size:           8
        .value_kind:     hidden_global_offset_x
      - .offset:         96
        .size:           8
        .value_kind:     hidden_global_offset_y
      - .offset:         104
        .size:           8
        .value_kind:     hidden_global_offset_z
      - .offset:         112
        .size:           2
        .value_kind:     hidden_grid_dims
    .group_segment_fixed_size: 0
    .kernarg_segment_align: 8
    .kernarg_segment_size: 304
    .language:       OpenCL C
    .language_version:
      - 2
      - 0
    .max_flat_workgroup_size: 1024
    .name:           _ZN12_GLOBAL__N_120softmax_warp_forwardIfffLi9ELb0ELb0ELi64EEEvPT0_PKT_iiiPKbib
    .private_segment_fixed_size: 0
    .sgpr_count:     18
    .sgpr_spill_count: 0
    .symbol:         _ZN12_GLOBAL__N_120softmax_warp_forwardIfffLi9ELb0ELb0ELi64EEEvPT0_PKT_iiiPKbib.kd
    .uniform_work_group_size: 1
    .uses_dynamic_stack: false
    .vgpr_count:     41
    .vgpr_spill_count: 0
    .wavefront_size: 32
    .workgroup_processor_mode: 1
  - .args:
      - .address_space:  global
        .offset:         0
        .size:           8
        .value_kind:     global_buffer
      - .address_space:  global
        .offset:         8
        .size:           8
        .value_kind:     global_buffer
      - .offset:         16
        .size:           4
        .value_kind:     by_value
      - .offset:         20
        .size:           4
        .value_kind:     by_value
      - .offset:         24
        .size:           4
        .value_kind:     by_value
      - .address_space:  global
        .offset:         32
        .size:           8
        .value_kind:     global_buffer
      - .offset:         40
        .size:           4
        .value_kind:     by_value
      - .offset:         44
        .size:           1
        .value_kind:     by_value
      - .offset:         48
        .size:           4
        .value_kind:     hidden_block_count_x
      - .offset:         52
        .size:           4
        .value_kind:     hidden_block_count_y
      - .offset:         56
        .size:           4
        .value_kind:     hidden_block_count_z
      - .offset:         60
        .size:           2
        .value_kind:     hidden_group_size_x
      - .offset:         62
        .size:           2
        .value_kind:     hidden_group_size_y
      - .offset:         64
        .size:           2
        .value_kind:     hidden_group_size_z
      - .offset:         66
        .size:           2
        .value_kind:     hidden_remainder_x
      - .offset:         68
        .size:           2
        .value_kind:     hidden_remainder_y
      - .offset:         70
        .size:           2
        .value_kind:     hidden_remainder_z
      - .offset:         88
        .size:           8
        .value_kind:     hidden_global_offset_x
      - .offset:         96
        .size:           8
        .value_kind:     hidden_global_offset_y
      - .offset:         104
        .size:           8
        .value_kind:     hidden_global_offset_z
      - .offset:         112
        .size:           2
        .value_kind:     hidden_grid_dims
    .group_segment_fixed_size: 0
    .kernarg_segment_align: 8
    .kernarg_segment_size: 304
    .language:       OpenCL C
    .language_version:
      - 2
      - 0
    .max_flat_workgroup_size: 1024
    .name:           _ZN12_GLOBAL__N_120softmax_warp_forwardIfffLi9ELb0ELb0ELi32EEEvPT0_PKT_iiiPKbib
    .private_segment_fixed_size: 0
    .sgpr_count:     26
    .sgpr_spill_count: 0
    .symbol:         _ZN12_GLOBAL__N_120softmax_warp_forwardIfffLi9ELb0ELb0ELi32EEEvPT0_PKT_iiiPKbib.kd
    .uniform_work_group_size: 1
    .uses_dynamic_stack: false
    .vgpr_count:     62
    .vgpr_spill_count: 0
    .wavefront_size: 32
    .workgroup_processor_mode: 1
  - .args:
      - .address_space:  global
        .offset:         0
        .size:           8
        .value_kind:     global_buffer
      - .address_space:  global
        .offset:         8
        .size:           8
        .value_kind:     global_buffer
      - .offset:         16
        .size:           4
        .value_kind:     by_value
      - .offset:         20
        .size:           4
        .value_kind:     by_value
      - .offset:         24
        .size:           4
        .value_kind:     by_value
      - .address_space:  global
        .offset:         32
        .size:           8
        .value_kind:     global_buffer
      - .offset:         40
        .size:           4
        .value_kind:     by_value
      - .offset:         44
        .size:           1
        .value_kind:     by_value
      - .offset:         48
        .size:           4
        .value_kind:     hidden_block_count_x
      - .offset:         52
        .size:           4
        .value_kind:     hidden_block_count_y
      - .offset:         56
        .size:           4
        .value_kind:     hidden_block_count_z
      - .offset:         60
        .size:           2
        .value_kind:     hidden_group_size_x
      - .offset:         62
        .size:           2
        .value_kind:     hidden_group_size_y
      - .offset:         64
        .size:           2
        .value_kind:     hidden_group_size_z
      - .offset:         66
        .size:           2
        .value_kind:     hidden_remainder_x
      - .offset:         68
        .size:           2
        .value_kind:     hidden_remainder_y
      - .offset:         70
        .size:           2
        .value_kind:     hidden_remainder_z
      - .offset:         88
        .size:           8
        .value_kind:     hidden_global_offset_x
      - .offset:         96
        .size:           8
        .value_kind:     hidden_global_offset_y
      - .offset:         104
        .size:           8
        .value_kind:     hidden_global_offset_z
      - .offset:         112
        .size:           2
        .value_kind:     hidden_grid_dims
    .group_segment_fixed_size: 0
    .kernarg_segment_align: 8
    .kernarg_segment_size: 304
    .language:       OpenCL C
    .language_version:
      - 2
      - 0
    .max_flat_workgroup_size: 1024
    .name:           _ZN12_GLOBAL__N_120softmax_warp_forwardIfffLi10ELb0ELb0ELi64EEEvPT0_PKT_iiiPKbib
    .private_segment_fixed_size: 0
    .sgpr_count:     26
    .sgpr_spill_count: 0
    .symbol:         _ZN12_GLOBAL__N_120softmax_warp_forwardIfffLi10ELb0ELb0ELi64EEEvPT0_PKT_iiiPKbib.kd
    .uniform_work_group_size: 1
    .uses_dynamic_stack: false
    .vgpr_count:     62
    .vgpr_spill_count: 0
    .wavefront_size: 32
    .workgroup_processor_mode: 1
  - .args:
      - .address_space:  global
        .offset:         0
        .size:           8
        .value_kind:     global_buffer
      - .address_space:  global
        .offset:         8
        .size:           8
        .value_kind:     global_buffer
      - .offset:         16
        .size:           4
        .value_kind:     by_value
      - .offset:         20
        .size:           4
        .value_kind:     by_value
      - .offset:         24
        .size:           4
        .value_kind:     by_value
      - .address_space:  global
        .offset:         32
        .size:           8
        .value_kind:     global_buffer
      - .offset:         40
        .size:           4
        .value_kind:     by_value
      - .offset:         44
        .size:           1
        .value_kind:     by_value
      - .offset:         48
        .size:           4
        .value_kind:     hidden_block_count_x
      - .offset:         52
        .size:           4
        .value_kind:     hidden_block_count_y
      - .offset:         56
        .size:           4
        .value_kind:     hidden_block_count_z
      - .offset:         60
        .size:           2
        .value_kind:     hidden_group_size_x
      - .offset:         62
        .size:           2
        .value_kind:     hidden_group_size_y
      - .offset:         64
        .size:           2
        .value_kind:     hidden_group_size_z
      - .offset:         66
        .size:           2
        .value_kind:     hidden_remainder_x
      - .offset:         68
        .size:           2
        .value_kind:     hidden_remainder_y
      - .offset:         70
        .size:           2
        .value_kind:     hidden_remainder_z
      - .offset:         88
        .size:           8
        .value_kind:     hidden_global_offset_x
      - .offset:         96
        .size:           8
        .value_kind:     hidden_global_offset_y
      - .offset:         104
        .size:           8
        .value_kind:     hidden_global_offset_z
      - .offset:         112
        .size:           2
        .value_kind:     hidden_grid_dims
    .group_segment_fixed_size: 0
    .kernarg_segment_align: 8
    .kernarg_segment_size: 304
    .language:       OpenCL C
    .language_version:
      - 2
      - 0
    .max_flat_workgroup_size: 1024
    .name:           _ZN12_GLOBAL__N_120softmax_warp_forwardIfffLi10ELb0ELb0ELi32EEEvPT0_PKT_iiiPKbib
    .private_segment_fixed_size: 0
    .sgpr_count:     46
    .sgpr_spill_count: 0
    .symbol:         _ZN12_GLOBAL__N_120softmax_warp_forwardIfffLi10ELb0ELb0ELi32EEEvPT0_PKT_iiiPKbib.kd
    .uniform_work_group_size: 1
    .uses_dynamic_stack: false
    .vgpr_count:     45
    .vgpr_spill_count: 0
    .wavefront_size: 32
    .workgroup_processor_mode: 1
  - .args:
      - .address_space:  global
        .offset:         0
        .size:           8
        .value_kind:     global_buffer
      - .address_space:  global
        .offset:         8
        .size:           8
        .value_kind:     global_buffer
      - .offset:         16
        .size:           4
        .value_kind:     by_value
      - .offset:         20
        .size:           4
        .value_kind:     by_value
      - .offset:         24
        .size:           4
        .value_kind:     by_value
      - .address_space:  global
        .offset:         32
        .size:           8
        .value_kind:     global_buffer
      - .offset:         40
        .size:           4
        .value_kind:     by_value
      - .offset:         44
        .size:           1
        .value_kind:     by_value
      - .offset:         48
        .size:           4
        .value_kind:     hidden_block_count_x
      - .offset:         52
        .size:           4
        .value_kind:     hidden_block_count_y
      - .offset:         56
        .size:           4
        .value_kind:     hidden_block_count_z
      - .offset:         60
        .size:           2
        .value_kind:     hidden_group_size_x
      - .offset:         62
        .size:           2
        .value_kind:     hidden_group_size_y
      - .offset:         64
        .size:           2
        .value_kind:     hidden_group_size_z
      - .offset:         66
        .size:           2
        .value_kind:     hidden_remainder_x
      - .offset:         68
        .size:           2
        .value_kind:     hidden_remainder_y
      - .offset:         70
        .size:           2
        .value_kind:     hidden_remainder_z
      - .offset:         88
        .size:           8
        .value_kind:     hidden_global_offset_x
      - .offset:         96
        .size:           8
        .value_kind:     hidden_global_offset_y
      - .offset:         104
        .size:           8
        .value_kind:     hidden_global_offset_z
      - .offset:         112
        .size:           2
        .value_kind:     hidden_grid_dims
    .group_segment_fixed_size: 0
    .kernarg_segment_align: 8
    .kernarg_segment_size: 304
    .language:       OpenCL C
    .language_version:
      - 2
      - 0
    .max_flat_workgroup_size: 1024
    .name:           _ZN12_GLOBAL__N_120softmax_warp_forwardIfffLi11ELb0ELb0ELi64EEEvPT0_PKT_iiiPKbib
    .private_segment_fixed_size: 0
    .sgpr_count:     46
    .sgpr_spill_count: 0
    .symbol:         _ZN12_GLOBAL__N_120softmax_warp_forwardIfffLi11ELb0ELb0ELi64EEEvPT0_PKT_iiiPKbib.kd
    .uniform_work_group_size: 1
    .uses_dynamic_stack: false
    .vgpr_count:     46
    .vgpr_spill_count: 0
    .wavefront_size: 32
    .workgroup_processor_mode: 1
  - .args:
      - .address_space:  global
        .offset:         0
        .size:           8
        .value_kind:     global_buffer
      - .address_space:  global
        .offset:         8
        .size:           8
        .value_kind:     global_buffer
      - .offset:         16
        .size:           4
        .value_kind:     by_value
      - .offset:         20
        .size:           4
        .value_kind:     by_value
      - .offset:         24
        .size:           4
        .value_kind:     by_value
      - .address_space:  global
        .offset:         32
        .size:           8
        .value_kind:     global_buffer
      - .offset:         40
        .size:           4
        .value_kind:     by_value
      - .offset:         44
        .size:           1
        .value_kind:     by_value
      - .offset:         48
        .size:           4
        .value_kind:     hidden_block_count_x
      - .offset:         52
        .size:           4
        .value_kind:     hidden_block_count_y
      - .offset:         56
        .size:           4
        .value_kind:     hidden_block_count_z
      - .offset:         60
        .size:           2
        .value_kind:     hidden_group_size_x
      - .offset:         62
        .size:           2
        .value_kind:     hidden_group_size_y
      - .offset:         64
        .size:           2
        .value_kind:     hidden_group_size_z
      - .offset:         66
        .size:           2
        .value_kind:     hidden_remainder_x
      - .offset:         68
        .size:           2
        .value_kind:     hidden_remainder_y
      - .offset:         70
        .size:           2
        .value_kind:     hidden_remainder_z
      - .offset:         88
        .size:           8
        .value_kind:     hidden_global_offset_x
      - .offset:         96
        .size:           8
        .value_kind:     hidden_global_offset_y
      - .offset:         104
        .size:           8
        .value_kind:     hidden_global_offset_z
      - .offset:         112
        .size:           2
        .value_kind:     hidden_grid_dims
    .group_segment_fixed_size: 0
    .kernarg_segment_align: 8
    .kernarg_segment_size: 304
    .language:       OpenCL C
    .language_version:
      - 2
      - 0
    .max_flat_workgroup_size: 1024
    .name:           _ZN12_GLOBAL__N_120softmax_warp_forwardIfffLi11ELb0ELb0ELi32EEEvPT0_PKT_iiiPKbib
    .private_segment_fixed_size: 0
    .sgpr_count:     78
    .sgpr_spill_count: 0
    .symbol:         _ZN12_GLOBAL__N_120softmax_warp_forwardIfffLi11ELb0ELb0ELi32EEEvPT0_PKT_iiiPKbib.kd
    .uniform_work_group_size: 1
    .uses_dynamic_stack: false
    .vgpr_count:     77
    .vgpr_spill_count: 0
    .wavefront_size: 32
    .workgroup_processor_mode: 1
  - .args:
      - .address_space:  global
        .offset:         0
        .size:           8
        .value_kind:     global_buffer
      - .address_space:  global
        .offset:         8
        .size:           8
        .value_kind:     global_buffer
      - .offset:         16
        .size:           8
        .value_kind:     by_value
      - .offset:         24
        .size:           4
        .value_kind:     hidden_block_count_x
      - .offset:         28
        .size:           4
        .value_kind:     hidden_block_count_y
      - .offset:         32
        .size:           4
        .value_kind:     hidden_block_count_z
      - .offset:         36
        .size:           2
        .value_kind:     hidden_group_size_x
      - .offset:         38
        .size:           2
        .value_kind:     hidden_group_size_y
      - .offset:         40
        .size:           2
        .value_kind:     hidden_group_size_z
      - .offset:         42
        .size:           2
        .value_kind:     hidden_remainder_x
      - .offset:         44
        .size:           2
        .value_kind:     hidden_remainder_y
      - .offset:         46
        .size:           2
        .value_kind:     hidden_remainder_z
      - .offset:         64
        .size:           8
        .value_kind:     hidden_global_offset_x
      - .offset:         72
        .size:           8
        .value_kind:     hidden_global_offset_y
      - .offset:         80
        .size:           8
        .value_kind:     hidden_global_offset_z
      - .offset:         88
        .size:           2
        .value_kind:     hidden_grid_dims
      - .offset:         144
        .size:           4
        .value_kind:     hidden_dynamic_lds_size
    .group_segment_fixed_size: 0
    .kernarg_segment_align: 8
    .kernarg_segment_size: 280
    .language:       OpenCL C
    .language_version:
      - 2
      - 0
    .max_flat_workgroup_size: 1024
    .name:           _ZN2at6native12_GLOBAL__N_123cunn_SoftMaxForwardGmemILi4EfffNS1_29SoftMaxForwardWithMulEpilogueElEEvPT2_PKT0_T4_
    .private_segment_fixed_size: 0
    .sgpr_count:     22
    .sgpr_spill_count: 0
    .symbol:         _ZN2at6native12_GLOBAL__N_123cunn_SoftMaxForwardGmemILi4EfffNS1_29SoftMaxForwardWithMulEpilogueElEEvPT2_PKT0_T4_.kd
    .uniform_work_group_size: 1
    .uses_dynamic_stack: false
    .vgpr_count:     21
    .vgpr_spill_count: 0
    .wavefront_size: 32
    .workgroup_processor_mode: 1
  - .args:
      - .address_space:  global
        .offset:         0
        .size:           8
        .value_kind:     global_buffer
      - .address_space:  global
        .offset:         8
        .size:           8
        .value_kind:     global_buffer
      - .offset:         16
        .size:           4
        .value_kind:     by_value
      - .offset:         24
        .size:           4
        .value_kind:     hidden_block_count_x
      - .offset:         28
        .size:           4
        .value_kind:     hidden_block_count_y
      - .offset:         32
        .size:           4
        .value_kind:     hidden_block_count_z
      - .offset:         36
        .size:           2
        .value_kind:     hidden_group_size_x
      - .offset:         38
        .size:           2
        .value_kind:     hidden_group_size_y
      - .offset:         40
        .size:           2
        .value_kind:     hidden_group_size_z
      - .offset:         42
        .size:           2
        .value_kind:     hidden_remainder_x
      - .offset:         44
        .size:           2
        .value_kind:     hidden_remainder_y
      - .offset:         46
        .size:           2
        .value_kind:     hidden_remainder_z
      - .offset:         64
        .size:           8
        .value_kind:     hidden_global_offset_x
      - .offset:         72
        .size:           8
        .value_kind:     hidden_global_offset_y
      - .offset:         80
        .size:           8
        .value_kind:     hidden_global_offset_z
      - .offset:         88
        .size:           2
        .value_kind:     hidden_grid_dims
      - .offset:         144
        .size:           4
        .value_kind:     hidden_dynamic_lds_size
    .group_segment_fixed_size: 0
    .kernarg_segment_align: 8
    .kernarg_segment_size: 280
    .language:       OpenCL C
    .language_version:
      - 2
      - 0
    .max_flat_workgroup_size: 1024
    .name:           _ZN2at6native12_GLOBAL__N_123cunn_SoftMaxForwardFastILi4EfffNS1_29SoftMaxForwardWithMulEpilogueEEEvPT2_PKT0_i
    .private_segment_fixed_size: 0
    .sgpr_count:     23
    .sgpr_spill_count: 0
    .symbol:         _ZN2at6native12_GLOBAL__N_123cunn_SoftMaxForwardFastILi4EfffNS1_29SoftMaxForwardWithMulEpilogueEEEvPT2_PKT0_i.kd
    .uniform_work_group_size: 1
    .uses_dynamic_stack: false
    .vgpr_count:     18
    .vgpr_spill_count: 0
    .wavefront_size: 32
    .workgroup_processor_mode: 1
  - .args:
      - .address_space:  global
        .offset:         0
        .size:           8
        .value_kind:     global_buffer
      - .address_space:  global
        .offset:         8
        .size:           8
        .value_kind:     global_buffer
      - .offset:         16
        .size:           4
        .value_kind:     by_value
      - .offset:         20
        .size:           4
        .value_kind:     by_value
      - .offset:         24
        .size:           4
        .value_kind:     by_value
      - .address_space:  global
        .offset:         32
        .size:           8
        .value_kind:     global_buffer
      - .offset:         40
        .size:           4
        .value_kind:     by_value
      - .offset:         44
        .size:           1
        .value_kind:     by_value
      - .offset:         48
        .size:           4
        .value_kind:     hidden_block_count_x
      - .offset:         52
        .size:           4
        .value_kind:     hidden_block_count_y
      - .offset:         56
        .size:           4
        .value_kind:     hidden_block_count_z
      - .offset:         60
        .size:           2
        .value_kind:     hidden_group_size_x
      - .offset:         62
        .size:           2
        .value_kind:     hidden_group_size_y
      - .offset:         64
        .size:           2
        .value_kind:     hidden_group_size_z
      - .offset:         66
        .size:           2
        .value_kind:     hidden_remainder_x
      - .offset:         68
        .size:           2
        .value_kind:     hidden_remainder_y
      - .offset:         70
        .size:           2
        .value_kind:     hidden_remainder_z
      - .offset:         88
        .size:           8
        .value_kind:     hidden_global_offset_x
      - .offset:         96
        .size:           8
        .value_kind:     hidden_global_offset_y
      - .offset:         104
        .size:           8
        .value_kind:     hidden_global_offset_z
      - .offset:         112
        .size:           2
        .value_kind:     hidden_grid_dims
    .group_segment_fixed_size: 0
    .kernarg_segment_align: 8
    .kernarg_segment_size: 304
    .language:       OpenCL C
    .language_version:
      - 2
      - 0
    .max_flat_workgroup_size: 1024
    .name:           _ZN12_GLOBAL__N_120softmax_warp_forwardIN3c104HalfES2_fLi0ELb0ELb0ELi64EEEvPT0_PKT_iiiPKbib
    .private_segment_fixed_size: 0
    .sgpr_count:     18
    .sgpr_spill_count: 0
    .symbol:         _ZN12_GLOBAL__N_120softmax_warp_forwardIN3c104HalfES2_fLi0ELb0ELb0ELi64EEEvPT0_PKT_iiiPKbib.kd
    .uniform_work_group_size: 1
    .uses_dynamic_stack: false
    .vgpr_count:     9
    .vgpr_spill_count: 0
    .wavefront_size: 32
    .workgroup_processor_mode: 1
  - .args:
      - .address_space:  global
        .offset:         0
        .size:           8
        .value_kind:     global_buffer
      - .address_space:  global
        .offset:         8
        .size:           8
        .value_kind:     global_buffer
      - .offset:         16
        .size:           4
        .value_kind:     by_value
      - .offset:         20
        .size:           4
        .value_kind:     by_value
      - .offset:         24
        .size:           4
        .value_kind:     by_value
      - .address_space:  global
        .offset:         32
        .size:           8
        .value_kind:     global_buffer
      - .offset:         40
        .size:           4
        .value_kind:     by_value
      - .offset:         44
        .size:           1
        .value_kind:     by_value
      - .offset:         48
        .size:           4
        .value_kind:     hidden_block_count_x
      - .offset:         52
        .size:           4
        .value_kind:     hidden_block_count_y
      - .offset:         56
        .size:           4
        .value_kind:     hidden_block_count_z
      - .offset:         60
        .size:           2
        .value_kind:     hidden_group_size_x
      - .offset:         62
        .size:           2
        .value_kind:     hidden_group_size_y
      - .offset:         64
        .size:           2
        .value_kind:     hidden_group_size_z
      - .offset:         66
        .size:           2
        .value_kind:     hidden_remainder_x
      - .offset:         68
        .size:           2
        .value_kind:     hidden_remainder_y
      - .offset:         70
        .size:           2
        .value_kind:     hidden_remainder_z
      - .offset:         88
        .size:           8
        .value_kind:     hidden_global_offset_x
      - .offset:         96
        .size:           8
        .value_kind:     hidden_global_offset_y
      - .offset:         104
        .size:           8
        .value_kind:     hidden_global_offset_z
      - .offset:         112
        .size:           2
        .value_kind:     hidden_grid_dims
    .group_segment_fixed_size: 0
    .kernarg_segment_align: 8
    .kernarg_segment_size: 304
    .language:       OpenCL C
    .language_version:
      - 2
      - 0
    .max_flat_workgroup_size: 1024
    .name:           _ZN12_GLOBAL__N_120softmax_warp_forwardIN3c104HalfES2_fLi0ELb0ELb0ELi32EEEvPT0_PKT_iiiPKbib
    .private_segment_fixed_size: 0
    .sgpr_count:     18
    .sgpr_spill_count: 0
    .symbol:         _ZN12_GLOBAL__N_120softmax_warp_forwardIN3c104HalfES2_fLi0ELb0ELb0ELi32EEEvPT0_PKT_iiiPKbib.kd
    .uniform_work_group_size: 1
    .uses_dynamic_stack: false
    .vgpr_count:     9
    .vgpr_spill_count: 0
    .wavefront_size: 32
    .workgroup_processor_mode: 1
  - .args:
      - .address_space:  global
        .offset:         0
        .size:           8
        .value_kind:     global_buffer
      - .address_space:  global
        .offset:         8
        .size:           8
        .value_kind:     global_buffer
      - .offset:         16
        .size:           4
        .value_kind:     by_value
      - .offset:         20
        .size:           4
        .value_kind:     by_value
      - .offset:         24
        .size:           4
        .value_kind:     by_value
      - .address_space:  global
        .offset:         32
        .size:           8
        .value_kind:     global_buffer
      - .offset:         40
        .size:           4
        .value_kind:     by_value
      - .offset:         44
        .size:           1
        .value_kind:     by_value
      - .offset:         48
        .size:           4
        .value_kind:     hidden_block_count_x
      - .offset:         52
        .size:           4
        .value_kind:     hidden_block_count_y
      - .offset:         56
        .size:           4
        .value_kind:     hidden_block_count_z
      - .offset:         60
        .size:           2
        .value_kind:     hidden_group_size_x
      - .offset:         62
        .size:           2
        .value_kind:     hidden_group_size_y
      - .offset:         64
        .size:           2
        .value_kind:     hidden_group_size_z
      - .offset:         66
        .size:           2
        .value_kind:     hidden_remainder_x
      - .offset:         68
        .size:           2
        .value_kind:     hidden_remainder_y
      - .offset:         70
        .size:           2
        .value_kind:     hidden_remainder_z
      - .offset:         88
        .size:           8
        .value_kind:     hidden_global_offset_x
      - .offset:         96
        .size:           8
        .value_kind:     hidden_global_offset_y
      - .offset:         104
        .size:           8
        .value_kind:     hidden_global_offset_z
      - .offset:         112
        .size:           2
        .value_kind:     hidden_grid_dims
    .group_segment_fixed_size: 0
    .kernarg_segment_align: 8
    .kernarg_segment_size: 304
    .language:       OpenCL C
    .language_version:
      - 2
      - 0
    .max_flat_workgroup_size: 1024
    .name:           _ZN12_GLOBAL__N_120softmax_warp_forwardIN3c104HalfES2_fLi1ELb0ELb0ELi64EEEvPT0_PKT_iiiPKbib
    .private_segment_fixed_size: 0
    .sgpr_count:     18
    .sgpr_spill_count: 0
    .symbol:         _ZN12_GLOBAL__N_120softmax_warp_forwardIN3c104HalfES2_fLi1ELb0ELb0ELi64EEEvPT0_PKT_iiiPKbib.kd
    .uniform_work_group_size: 1
    .uses_dynamic_stack: false
    .vgpr_count:     12
    .vgpr_spill_count: 0
    .wavefront_size: 32
    .workgroup_processor_mode: 1
  - .args:
      - .address_space:  global
        .offset:         0
        .size:           8
        .value_kind:     global_buffer
      - .address_space:  global
        .offset:         8
        .size:           8
        .value_kind:     global_buffer
      - .offset:         16
        .size:           4
        .value_kind:     by_value
      - .offset:         20
        .size:           4
        .value_kind:     by_value
      - .offset:         24
        .size:           4
        .value_kind:     by_value
      - .address_space:  global
        .offset:         32
        .size:           8
        .value_kind:     global_buffer
      - .offset:         40
        .size:           4
        .value_kind:     by_value
      - .offset:         44
        .size:           1
        .value_kind:     by_value
      - .offset:         48
        .size:           4
        .value_kind:     hidden_block_count_x
      - .offset:         52
        .size:           4
        .value_kind:     hidden_block_count_y
      - .offset:         56
        .size:           4
        .value_kind:     hidden_block_count_z
      - .offset:         60
        .size:           2
        .value_kind:     hidden_group_size_x
      - .offset:         62
        .size:           2
        .value_kind:     hidden_group_size_y
      - .offset:         64
        .size:           2
        .value_kind:     hidden_group_size_z
      - .offset:         66
        .size:           2
        .value_kind:     hidden_remainder_x
      - .offset:         68
        .size:           2
        .value_kind:     hidden_remainder_y
      - .offset:         70
        .size:           2
        .value_kind:     hidden_remainder_z
      - .offset:         88
        .size:           8
        .value_kind:     hidden_global_offset_x
      - .offset:         96
        .size:           8
        .value_kind:     hidden_global_offset_y
      - .offset:         104
        .size:           8
        .value_kind:     hidden_global_offset_z
      - .offset:         112
        .size:           2
        .value_kind:     hidden_grid_dims
    .group_segment_fixed_size: 0
    .kernarg_segment_align: 8
    .kernarg_segment_size: 304
    .language:       OpenCL C
    .language_version:
      - 2
      - 0
    .max_flat_workgroup_size: 1024
    .name:           _ZN12_GLOBAL__N_120softmax_warp_forwardIN3c104HalfES2_fLi1ELb0ELb0ELi32EEEvPT0_PKT_iiiPKbib
    .private_segment_fixed_size: 0
    .sgpr_count:     18
    .sgpr_spill_count: 0
    .symbol:         _ZN12_GLOBAL__N_120softmax_warp_forwardIN3c104HalfES2_fLi1ELb0ELb0ELi32EEEvPT0_PKT_iiiPKbib.kd
    .uniform_work_group_size: 1
    .uses_dynamic_stack: false
    .vgpr_count:     12
    .vgpr_spill_count: 0
    .wavefront_size: 32
    .workgroup_processor_mode: 1
  - .args:
      - .address_space:  global
        .offset:         0
        .size:           8
        .value_kind:     global_buffer
      - .address_space:  global
        .offset:         8
        .size:           8
        .value_kind:     global_buffer
      - .offset:         16
        .size:           4
        .value_kind:     by_value
      - .offset:         20
        .size:           4
        .value_kind:     by_value
      - .offset:         24
        .size:           4
        .value_kind:     by_value
      - .address_space:  global
        .offset:         32
        .size:           8
        .value_kind:     global_buffer
      - .offset:         40
        .size:           4
        .value_kind:     by_value
      - .offset:         44
        .size:           1
        .value_kind:     by_value
      - .offset:         48
        .size:           4
        .value_kind:     hidden_block_count_x
      - .offset:         52
        .size:           4
        .value_kind:     hidden_block_count_y
      - .offset:         56
        .size:           4
        .value_kind:     hidden_block_count_z
      - .offset:         60
        .size:           2
        .value_kind:     hidden_group_size_x
      - .offset:         62
        .size:           2
        .value_kind:     hidden_group_size_y
      - .offset:         64
        .size:           2
        .value_kind:     hidden_group_size_z
      - .offset:         66
        .size:           2
        .value_kind:     hidden_remainder_x
      - .offset:         68
        .size:           2
        .value_kind:     hidden_remainder_y
      - .offset:         70
        .size:           2
        .value_kind:     hidden_remainder_z
      - .offset:         88
        .size:           8
        .value_kind:     hidden_global_offset_x
      - .offset:         96
        .size:           8
        .value_kind:     hidden_global_offset_y
      - .offset:         104
        .size:           8
        .value_kind:     hidden_global_offset_z
      - .offset:         112
        .size:           2
        .value_kind:     hidden_grid_dims
    .group_segment_fixed_size: 0
    .kernarg_segment_align: 8
    .kernarg_segment_size: 304
    .language:       OpenCL C
    .language_version:
      - 2
      - 0
    .max_flat_workgroup_size: 1024
    .name:           _ZN12_GLOBAL__N_120softmax_warp_forwardIN3c104HalfES2_fLi2ELb0ELb0ELi64EEEvPT0_PKT_iiiPKbib
    .private_segment_fixed_size: 0
    .sgpr_count:     18
    .sgpr_spill_count: 0
    .symbol:         _ZN12_GLOBAL__N_120softmax_warp_forwardIN3c104HalfES2_fLi2ELb0ELb0ELi64EEEvPT0_PKT_iiiPKbib.kd
    .uniform_work_group_size: 1
    .uses_dynamic_stack: false
    .vgpr_count:     13
    .vgpr_spill_count: 0
    .wavefront_size: 32
    .workgroup_processor_mode: 1
  - .args:
      - .address_space:  global
        .offset:         0
        .size:           8
        .value_kind:     global_buffer
      - .address_space:  global
        .offset:         8
        .size:           8
        .value_kind:     global_buffer
      - .offset:         16
        .size:           4
        .value_kind:     by_value
      - .offset:         20
        .size:           4
        .value_kind:     by_value
      - .offset:         24
        .size:           4
        .value_kind:     by_value
      - .address_space:  global
        .offset:         32
        .size:           8
        .value_kind:     global_buffer
      - .offset:         40
        .size:           4
        .value_kind:     by_value
      - .offset:         44
        .size:           1
        .value_kind:     by_value
      - .offset:         48
        .size:           4
        .value_kind:     hidden_block_count_x
      - .offset:         52
        .size:           4
        .value_kind:     hidden_block_count_y
      - .offset:         56
        .size:           4
        .value_kind:     hidden_block_count_z
      - .offset:         60
        .size:           2
        .value_kind:     hidden_group_size_x
      - .offset:         62
        .size:           2
        .value_kind:     hidden_group_size_y
      - .offset:         64
        .size:           2
        .value_kind:     hidden_group_size_z
      - .offset:         66
        .size:           2
        .value_kind:     hidden_remainder_x
      - .offset:         68
        .size:           2
        .value_kind:     hidden_remainder_y
      - .offset:         70
        .size:           2
        .value_kind:     hidden_remainder_z
      - .offset:         88
        .size:           8
        .value_kind:     hidden_global_offset_x
      - .offset:         96
        .size:           8
        .value_kind:     hidden_global_offset_y
      - .offset:         104
        .size:           8
        .value_kind:     hidden_global_offset_z
      - .offset:         112
        .size:           2
        .value_kind:     hidden_grid_dims
    .group_segment_fixed_size: 0
    .kernarg_segment_align: 8
    .kernarg_segment_size: 304
    .language:       OpenCL C
    .language_version:
      - 2
      - 0
    .max_flat_workgroup_size: 1024
    .name:           _ZN12_GLOBAL__N_120softmax_warp_forwardIN3c104HalfES2_fLi2ELb0ELb0ELi32EEEvPT0_PKT_iiiPKbib
    .private_segment_fixed_size: 0
    .sgpr_count:     18
    .sgpr_spill_count: 0
    .symbol:         _ZN12_GLOBAL__N_120softmax_warp_forwardIN3c104HalfES2_fLi2ELb0ELb0ELi32EEEvPT0_PKT_iiiPKbib.kd
    .uniform_work_group_size: 1
    .uses_dynamic_stack: false
    .vgpr_count:     13
    .vgpr_spill_count: 0
    .wavefront_size: 32
    .workgroup_processor_mode: 1
  - .args:
      - .address_space:  global
        .offset:         0
        .size:           8
        .value_kind:     global_buffer
      - .address_space:  global
        .offset:         8
        .size:           8
        .value_kind:     global_buffer
      - .offset:         16
        .size:           4
        .value_kind:     by_value
      - .offset:         20
        .size:           4
        .value_kind:     by_value
      - .offset:         24
        .size:           4
        .value_kind:     by_value
      - .address_space:  global
        .offset:         32
        .size:           8
        .value_kind:     global_buffer
      - .offset:         40
        .size:           4
        .value_kind:     by_value
      - .offset:         44
        .size:           1
        .value_kind:     by_value
      - .offset:         48
        .size:           4
        .value_kind:     hidden_block_count_x
      - .offset:         52
        .size:           4
        .value_kind:     hidden_block_count_y
      - .offset:         56
        .size:           4
        .value_kind:     hidden_block_count_z
      - .offset:         60
        .size:           2
        .value_kind:     hidden_group_size_x
      - .offset:         62
        .size:           2
        .value_kind:     hidden_group_size_y
      - .offset:         64
        .size:           2
        .value_kind:     hidden_group_size_z
      - .offset:         66
        .size:           2
        .value_kind:     hidden_remainder_x
      - .offset:         68
        .size:           2
        .value_kind:     hidden_remainder_y
      - .offset:         70
        .size:           2
        .value_kind:     hidden_remainder_z
      - .offset:         88
        .size:           8
        .value_kind:     hidden_global_offset_x
      - .offset:         96
        .size:           8
        .value_kind:     hidden_global_offset_y
      - .offset:         104
        .size:           8
        .value_kind:     hidden_global_offset_z
      - .offset:         112
        .size:           2
        .value_kind:     hidden_grid_dims
    .group_segment_fixed_size: 0
    .kernarg_segment_align: 8
    .kernarg_segment_size: 304
    .language:       OpenCL C
    .language_version:
      - 2
      - 0
    .max_flat_workgroup_size: 1024
    .name:           _ZN12_GLOBAL__N_120softmax_warp_forwardIN3c104HalfES2_fLi3ELb0ELb0ELi64EEEvPT0_PKT_iiiPKbib
    .private_segment_fixed_size: 0
    .sgpr_count:     18
    .sgpr_spill_count: 0
    .symbol:         _ZN12_GLOBAL__N_120softmax_warp_forwardIN3c104HalfES2_fLi3ELb0ELb0ELi64EEEvPT0_PKT_iiiPKbib.kd
    .uniform_work_group_size: 1
    .uses_dynamic_stack: false
    .vgpr_count:     14
    .vgpr_spill_count: 0
    .wavefront_size: 32
    .workgroup_processor_mode: 1
  - .args:
      - .address_space:  global
        .offset:         0
        .size:           8
        .value_kind:     global_buffer
      - .address_space:  global
        .offset:         8
        .size:           8
        .value_kind:     global_buffer
      - .offset:         16
        .size:           4
        .value_kind:     by_value
      - .offset:         20
        .size:           4
        .value_kind:     by_value
      - .offset:         24
        .size:           4
        .value_kind:     by_value
      - .address_space:  global
        .offset:         32
        .size:           8
        .value_kind:     global_buffer
      - .offset:         40
        .size:           4
        .value_kind:     by_value
      - .offset:         44
        .size:           1
        .value_kind:     by_value
      - .offset:         48
        .size:           4
        .value_kind:     hidden_block_count_x
      - .offset:         52
        .size:           4
        .value_kind:     hidden_block_count_y
      - .offset:         56
        .size:           4
        .value_kind:     hidden_block_count_z
      - .offset:         60
        .size:           2
        .value_kind:     hidden_group_size_x
      - .offset:         62
        .size:           2
        .value_kind:     hidden_group_size_y
      - .offset:         64
        .size:           2
        .value_kind:     hidden_group_size_z
      - .offset:         66
        .size:           2
        .value_kind:     hidden_remainder_x
      - .offset:         68
        .size:           2
        .value_kind:     hidden_remainder_y
      - .offset:         70
        .size:           2
        .value_kind:     hidden_remainder_z
      - .offset:         88
        .size:           8
        .value_kind:     hidden_global_offset_x
      - .offset:         96
        .size:           8
        .value_kind:     hidden_global_offset_y
      - .offset:         104
        .size:           8
        .value_kind:     hidden_global_offset_z
      - .offset:         112
        .size:           2
        .value_kind:     hidden_grid_dims
    .group_segment_fixed_size: 0
    .kernarg_segment_align: 8
    .kernarg_segment_size: 304
    .language:       OpenCL C
    .language_version:
      - 2
      - 0
    .max_flat_workgroup_size: 1024
    .name:           _ZN12_GLOBAL__N_120softmax_warp_forwardIN3c104HalfES2_fLi3ELb0ELb0ELi32EEEvPT0_PKT_iiiPKbib
    .private_segment_fixed_size: 0
    .sgpr_count:     18
    .sgpr_spill_count: 0
    .symbol:         _ZN12_GLOBAL__N_120softmax_warp_forwardIN3c104HalfES2_fLi3ELb0ELb0ELi32EEEvPT0_PKT_iiiPKbib.kd
    .uniform_work_group_size: 1
    .uses_dynamic_stack: false
    .vgpr_count:     14
    .vgpr_spill_count: 0
    .wavefront_size: 32
    .workgroup_processor_mode: 1
  - .args:
      - .address_space:  global
        .offset:         0
        .size:           8
        .value_kind:     global_buffer
      - .address_space:  global
        .offset:         8
        .size:           8
        .value_kind:     global_buffer
      - .offset:         16
        .size:           4
        .value_kind:     by_value
      - .offset:         20
        .size:           4
        .value_kind:     by_value
      - .offset:         24
        .size:           4
        .value_kind:     by_value
      - .address_space:  global
        .offset:         32
        .size:           8
        .value_kind:     global_buffer
      - .offset:         40
        .size:           4
        .value_kind:     by_value
      - .offset:         44
        .size:           1
        .value_kind:     by_value
      - .offset:         48
        .size:           4
        .value_kind:     hidden_block_count_x
      - .offset:         52
        .size:           4
        .value_kind:     hidden_block_count_y
      - .offset:         56
        .size:           4
        .value_kind:     hidden_block_count_z
      - .offset:         60
        .size:           2
        .value_kind:     hidden_group_size_x
      - .offset:         62
        .size:           2
        .value_kind:     hidden_group_size_y
      - .offset:         64
        .size:           2
        .value_kind:     hidden_group_size_z
      - .offset:         66
        .size:           2
        .value_kind:     hidden_remainder_x
      - .offset:         68
        .size:           2
        .value_kind:     hidden_remainder_y
      - .offset:         70
        .size:           2
        .value_kind:     hidden_remainder_z
      - .offset:         88
        .size:           8
        .value_kind:     hidden_global_offset_x
      - .offset:         96
        .size:           8
        .value_kind:     hidden_global_offset_y
      - .offset:         104
        .size:           8
        .value_kind:     hidden_global_offset_z
      - .offset:         112
        .size:           2
        .value_kind:     hidden_grid_dims
    .group_segment_fixed_size: 0
    .kernarg_segment_align: 8
    .kernarg_segment_size: 304
    .language:       OpenCL C
    .language_version:
      - 2
      - 0
    .max_flat_workgroup_size: 1024
    .name:           _ZN12_GLOBAL__N_120softmax_warp_forwardIN3c104HalfES2_fLi4ELb0ELb0ELi64EEEvPT0_PKT_iiiPKbib
    .private_segment_fixed_size: 0
    .sgpr_count:     18
    .sgpr_spill_count: 0
    .symbol:         _ZN12_GLOBAL__N_120softmax_warp_forwardIN3c104HalfES2_fLi4ELb0ELb0ELi64EEEvPT0_PKT_iiiPKbib.kd
    .uniform_work_group_size: 1
    .uses_dynamic_stack: false
    .vgpr_count:     15
    .vgpr_spill_count: 0
    .wavefront_size: 32
    .workgroup_processor_mode: 1
  - .args:
      - .address_space:  global
        .offset:         0
        .size:           8
        .value_kind:     global_buffer
      - .address_space:  global
        .offset:         8
        .size:           8
        .value_kind:     global_buffer
      - .offset:         16
        .size:           4
        .value_kind:     by_value
      - .offset:         20
        .size:           4
        .value_kind:     by_value
      - .offset:         24
        .size:           4
        .value_kind:     by_value
      - .address_space:  global
        .offset:         32
        .size:           8
        .value_kind:     global_buffer
      - .offset:         40
        .size:           4
        .value_kind:     by_value
      - .offset:         44
        .size:           1
        .value_kind:     by_value
      - .offset:         48
        .size:           4
        .value_kind:     hidden_block_count_x
      - .offset:         52
        .size:           4
        .value_kind:     hidden_block_count_y
      - .offset:         56
        .size:           4
        .value_kind:     hidden_block_count_z
      - .offset:         60
        .size:           2
        .value_kind:     hidden_group_size_x
      - .offset:         62
        .size:           2
        .value_kind:     hidden_group_size_y
      - .offset:         64
        .size:           2
        .value_kind:     hidden_group_size_z
      - .offset:         66
        .size:           2
        .value_kind:     hidden_remainder_x
      - .offset:         68
        .size:           2
        .value_kind:     hidden_remainder_y
      - .offset:         70
        .size:           2
        .value_kind:     hidden_remainder_z
      - .offset:         88
        .size:           8
        .value_kind:     hidden_global_offset_x
      - .offset:         96
        .size:           8
        .value_kind:     hidden_global_offset_y
      - .offset:         104
        .size:           8
        .value_kind:     hidden_global_offset_z
      - .offset:         112
        .size:           2
        .value_kind:     hidden_grid_dims
    .group_segment_fixed_size: 0
    .kernarg_segment_align: 8
    .kernarg_segment_size: 304
    .language:       OpenCL C
    .language_version:
      - 2
      - 0
    .max_flat_workgroup_size: 1024
    .name:           _ZN12_GLOBAL__N_120softmax_warp_forwardIN3c104HalfES2_fLi4ELb0ELb0ELi32EEEvPT0_PKT_iiiPKbib
    .private_segment_fixed_size: 0
    .sgpr_count:     18
    .sgpr_spill_count: 0
    .symbol:         _ZN12_GLOBAL__N_120softmax_warp_forwardIN3c104HalfES2_fLi4ELb0ELb0ELi32EEEvPT0_PKT_iiiPKbib.kd
    .uniform_work_group_size: 1
    .uses_dynamic_stack: false
    .vgpr_count:     15
    .vgpr_spill_count: 0
    .wavefront_size: 32
    .workgroup_processor_mode: 1
  - .args:
      - .address_space:  global
        .offset:         0
        .size:           8
        .value_kind:     global_buffer
      - .address_space:  global
        .offset:         8
        .size:           8
        .value_kind:     global_buffer
      - .offset:         16
        .size:           4
        .value_kind:     by_value
      - .offset:         20
        .size:           4
        .value_kind:     by_value
      - .offset:         24
        .size:           4
        .value_kind:     by_value
      - .address_space:  global
        .offset:         32
        .size:           8
        .value_kind:     global_buffer
      - .offset:         40
        .size:           4
        .value_kind:     by_value
      - .offset:         44
        .size:           1
        .value_kind:     by_value
      - .offset:         48
        .size:           4
        .value_kind:     hidden_block_count_x
      - .offset:         52
        .size:           4
        .value_kind:     hidden_block_count_y
      - .offset:         56
        .size:           4
        .value_kind:     hidden_block_count_z
      - .offset:         60
        .size:           2
        .value_kind:     hidden_group_size_x
      - .offset:         62
        .size:           2
        .value_kind:     hidden_group_size_y
      - .offset:         64
        .size:           2
        .value_kind:     hidden_group_size_z
      - .offset:         66
        .size:           2
        .value_kind:     hidden_remainder_x
      - .offset:         68
        .size:           2
        .value_kind:     hidden_remainder_y
      - .offset:         70
        .size:           2
        .value_kind:     hidden_remainder_z
      - .offset:         88
        .size:           8
        .value_kind:     hidden_global_offset_x
      - .offset:         96
        .size:           8
        .value_kind:     hidden_global_offset_y
      - .offset:         104
        .size:           8
        .value_kind:     hidden_global_offset_z
      - .offset:         112
        .size:           2
        .value_kind:     hidden_grid_dims
    .group_segment_fixed_size: 0
    .kernarg_segment_align: 8
    .kernarg_segment_size: 304
    .language:       OpenCL C
    .language_version:
      - 2
      - 0
    .max_flat_workgroup_size: 1024
    .name:           _ZN12_GLOBAL__N_120softmax_warp_forwardIN3c104HalfES2_fLi5ELb0ELb0ELi64EEEvPT0_PKT_iiiPKbib
    .private_segment_fixed_size: 0
    .sgpr_count:     18
    .sgpr_spill_count: 0
    .symbol:         _ZN12_GLOBAL__N_120softmax_warp_forwardIN3c104HalfES2_fLi5ELb0ELb0ELi64EEEvPT0_PKT_iiiPKbib.kd
    .uniform_work_group_size: 1
    .uses_dynamic_stack: false
    .vgpr_count:     16
    .vgpr_spill_count: 0
    .wavefront_size: 32
    .workgroup_processor_mode: 1
  - .args:
      - .address_space:  global
        .offset:         0
        .size:           8
        .value_kind:     global_buffer
      - .address_space:  global
        .offset:         8
        .size:           8
        .value_kind:     global_buffer
      - .offset:         16
        .size:           4
        .value_kind:     by_value
      - .offset:         20
        .size:           4
        .value_kind:     by_value
      - .offset:         24
        .size:           4
        .value_kind:     by_value
      - .address_space:  global
        .offset:         32
        .size:           8
        .value_kind:     global_buffer
      - .offset:         40
        .size:           4
        .value_kind:     by_value
      - .offset:         44
        .size:           1
        .value_kind:     by_value
      - .offset:         48
        .size:           4
        .value_kind:     hidden_block_count_x
      - .offset:         52
        .size:           4
        .value_kind:     hidden_block_count_y
      - .offset:         56
        .size:           4
        .value_kind:     hidden_block_count_z
      - .offset:         60
        .size:           2
        .value_kind:     hidden_group_size_x
      - .offset:         62
        .size:           2
        .value_kind:     hidden_group_size_y
      - .offset:         64
        .size:           2
        .value_kind:     hidden_group_size_z
      - .offset:         66
        .size:           2
        .value_kind:     hidden_remainder_x
      - .offset:         68
        .size:           2
        .value_kind:     hidden_remainder_y
      - .offset:         70
        .size:           2
        .value_kind:     hidden_remainder_z
      - .offset:         88
        .size:           8
        .value_kind:     hidden_global_offset_x
      - .offset:         96
        .size:           8
        .value_kind:     hidden_global_offset_y
      - .offset:         104
        .size:           8
        .value_kind:     hidden_global_offset_z
      - .offset:         112
        .size:           2
        .value_kind:     hidden_grid_dims
    .group_segment_fixed_size: 0
    .kernarg_segment_align: 8
    .kernarg_segment_size: 304
    .language:       OpenCL C
    .language_version:
      - 2
      - 0
    .max_flat_workgroup_size: 1024
    .name:           _ZN12_GLOBAL__N_120softmax_warp_forwardIN3c104HalfES2_fLi5ELb0ELb0ELi32EEEvPT0_PKT_iiiPKbib
    .private_segment_fixed_size: 0
    .sgpr_count:     18
    .sgpr_spill_count: 0
    .symbol:         _ZN12_GLOBAL__N_120softmax_warp_forwardIN3c104HalfES2_fLi5ELb0ELb0ELi32EEEvPT0_PKT_iiiPKbib.kd
    .uniform_work_group_size: 1
    .uses_dynamic_stack: false
    .vgpr_count:     16
    .vgpr_spill_count: 0
    .wavefront_size: 32
    .workgroup_processor_mode: 1
  - .args:
      - .address_space:  global
        .offset:         0
        .size:           8
        .value_kind:     global_buffer
      - .address_space:  global
        .offset:         8
        .size:           8
        .value_kind:     global_buffer
      - .offset:         16
        .size:           4
        .value_kind:     by_value
      - .offset:         20
        .size:           4
        .value_kind:     by_value
      - .offset:         24
        .size:           4
        .value_kind:     by_value
      - .address_space:  global
        .offset:         32
        .size:           8
        .value_kind:     global_buffer
      - .offset:         40
        .size:           4
        .value_kind:     by_value
      - .offset:         44
        .size:           1
        .value_kind:     by_value
      - .offset:         48
        .size:           4
        .value_kind:     hidden_block_count_x
      - .offset:         52
        .size:           4
        .value_kind:     hidden_block_count_y
      - .offset:         56
        .size:           4
        .value_kind:     hidden_block_count_z
      - .offset:         60
        .size:           2
        .value_kind:     hidden_group_size_x
      - .offset:         62
        .size:           2
        .value_kind:     hidden_group_size_y
      - .offset:         64
        .size:           2
        .value_kind:     hidden_group_size_z
      - .offset:         66
        .size:           2
        .value_kind:     hidden_remainder_x
      - .offset:         68
        .size:           2
        .value_kind:     hidden_remainder_y
      - .offset:         70
        .size:           2
        .value_kind:     hidden_remainder_z
      - .offset:         88
        .size:           8
        .value_kind:     hidden_global_offset_x
      - .offset:         96
        .size:           8
        .value_kind:     hidden_global_offset_y
      - .offset:         104
        .size:           8
        .value_kind:     hidden_global_offset_z
      - .offset:         112
        .size:           2
        .value_kind:     hidden_grid_dims
    .group_segment_fixed_size: 0
    .kernarg_segment_align: 8
    .kernarg_segment_size: 304
    .language:       OpenCL C
    .language_version:
      - 2
      - 0
    .max_flat_workgroup_size: 1024
    .name:           _ZN12_GLOBAL__N_120softmax_warp_forwardIN3c104HalfES2_fLi6ELb0ELb0ELi64EEEvPT0_PKT_iiiPKbib
    .private_segment_fixed_size: 0
    .sgpr_count:     18
    .sgpr_spill_count: 0
    .symbol:         _ZN12_GLOBAL__N_120softmax_warp_forwardIN3c104HalfES2_fLi6ELb0ELb0ELi64EEEvPT0_PKT_iiiPKbib.kd
    .uniform_work_group_size: 1
    .uses_dynamic_stack: false
    .vgpr_count:     17
    .vgpr_spill_count: 0
    .wavefront_size: 32
    .workgroup_processor_mode: 1
  - .args:
      - .address_space:  global
        .offset:         0
        .size:           8
        .value_kind:     global_buffer
      - .address_space:  global
        .offset:         8
        .size:           8
        .value_kind:     global_buffer
      - .offset:         16
        .size:           4
        .value_kind:     by_value
      - .offset:         20
        .size:           4
        .value_kind:     by_value
      - .offset:         24
        .size:           4
        .value_kind:     by_value
      - .address_space:  global
        .offset:         32
        .size:           8
        .value_kind:     global_buffer
      - .offset:         40
        .size:           4
        .value_kind:     by_value
      - .offset:         44
        .size:           1
        .value_kind:     by_value
      - .offset:         48
        .size:           4
        .value_kind:     hidden_block_count_x
      - .offset:         52
        .size:           4
        .value_kind:     hidden_block_count_y
      - .offset:         56
        .size:           4
        .value_kind:     hidden_block_count_z
      - .offset:         60
        .size:           2
        .value_kind:     hidden_group_size_x
      - .offset:         62
        .size:           2
        .value_kind:     hidden_group_size_y
      - .offset:         64
        .size:           2
        .value_kind:     hidden_group_size_z
      - .offset:         66
        .size:           2
        .value_kind:     hidden_remainder_x
      - .offset:         68
        .size:           2
        .value_kind:     hidden_remainder_y
      - .offset:         70
        .size:           2
        .value_kind:     hidden_remainder_z
      - .offset:         88
        .size:           8
        .value_kind:     hidden_global_offset_x
      - .offset:         96
        .size:           8
        .value_kind:     hidden_global_offset_y
      - .offset:         104
        .size:           8
        .value_kind:     hidden_global_offset_z
      - .offset:         112
        .size:           2
        .value_kind:     hidden_grid_dims
    .group_segment_fixed_size: 0
    .kernarg_segment_align: 8
    .kernarg_segment_size: 304
    .language:       OpenCL C
    .language_version:
      - 2
      - 0
    .max_flat_workgroup_size: 1024
    .name:           _ZN12_GLOBAL__N_120softmax_warp_forwardIN3c104HalfES2_fLi6ELb0ELb0ELi32EEEvPT0_PKT_iiiPKbib
    .private_segment_fixed_size: 0
    .sgpr_count:     18
    .sgpr_spill_count: 0
    .symbol:         _ZN12_GLOBAL__N_120softmax_warp_forwardIN3c104HalfES2_fLi6ELb0ELb0ELi32EEEvPT0_PKT_iiiPKbib.kd
    .uniform_work_group_size: 1
    .uses_dynamic_stack: false
    .vgpr_count:     24
    .vgpr_spill_count: 0
    .wavefront_size: 32
    .workgroup_processor_mode: 1
  - .args:
      - .address_space:  global
        .offset:         0
        .size:           8
        .value_kind:     global_buffer
      - .address_space:  global
        .offset:         8
        .size:           8
        .value_kind:     global_buffer
      - .offset:         16
        .size:           4
        .value_kind:     by_value
      - .offset:         20
        .size:           4
        .value_kind:     by_value
      - .offset:         24
        .size:           4
        .value_kind:     by_value
      - .address_space:  global
        .offset:         32
        .size:           8
        .value_kind:     global_buffer
      - .offset:         40
        .size:           4
        .value_kind:     by_value
      - .offset:         44
        .size:           1
        .value_kind:     by_value
      - .offset:         48
        .size:           4
        .value_kind:     hidden_block_count_x
      - .offset:         52
        .size:           4
        .value_kind:     hidden_block_count_y
      - .offset:         56
        .size:           4
        .value_kind:     hidden_block_count_z
      - .offset:         60
        .size:           2
        .value_kind:     hidden_group_size_x
      - .offset:         62
        .size:           2
        .value_kind:     hidden_group_size_y
      - .offset:         64
        .size:           2
        .value_kind:     hidden_group_size_z
      - .offset:         66
        .size:           2
        .value_kind:     hidden_remainder_x
      - .offset:         68
        .size:           2
        .value_kind:     hidden_remainder_y
      - .offset:         70
        .size:           2
        .value_kind:     hidden_remainder_z
      - .offset:         88
        .size:           8
        .value_kind:     hidden_global_offset_x
      - .offset:         96
        .size:           8
        .value_kind:     hidden_global_offset_y
      - .offset:         104
        .size:           8
        .value_kind:     hidden_global_offset_z
      - .offset:         112
        .size:           2
        .value_kind:     hidden_grid_dims
    .group_segment_fixed_size: 0
    .kernarg_segment_align: 8
    .kernarg_segment_size: 304
    .language:       OpenCL C
    .language_version:
      - 2
      - 0
    .max_flat_workgroup_size: 1024
    .name:           _ZN12_GLOBAL__N_120softmax_warp_forwardIN3c104HalfES2_fLi7ELb0ELb0ELi64EEEvPT0_PKT_iiiPKbib
    .private_segment_fixed_size: 0
    .sgpr_count:     18
    .sgpr_spill_count: 0
    .symbol:         _ZN12_GLOBAL__N_120softmax_warp_forwardIN3c104HalfES2_fLi7ELb0ELb0ELi64EEEvPT0_PKT_iiiPKbib.kd
    .uniform_work_group_size: 1
    .uses_dynamic_stack: false
    .vgpr_count:     25
    .vgpr_spill_count: 0
    .wavefront_size: 32
    .workgroup_processor_mode: 1
  - .args:
      - .address_space:  global
        .offset:         0
        .size:           8
        .value_kind:     global_buffer
      - .address_space:  global
        .offset:         8
        .size:           8
        .value_kind:     global_buffer
      - .offset:         16
        .size:           4
        .value_kind:     by_value
      - .offset:         20
        .size:           4
        .value_kind:     by_value
      - .offset:         24
        .size:           4
        .value_kind:     by_value
      - .address_space:  global
        .offset:         32
        .size:           8
        .value_kind:     global_buffer
      - .offset:         40
        .size:           4
        .value_kind:     by_value
      - .offset:         44
        .size:           1
        .value_kind:     by_value
      - .offset:         48
        .size:           4
        .value_kind:     hidden_block_count_x
      - .offset:         52
        .size:           4
        .value_kind:     hidden_block_count_y
      - .offset:         56
        .size:           4
        .value_kind:     hidden_block_count_z
      - .offset:         60
        .size:           2
        .value_kind:     hidden_group_size_x
      - .offset:         62
        .size:           2
        .value_kind:     hidden_group_size_y
      - .offset:         64
        .size:           2
        .value_kind:     hidden_group_size_z
      - .offset:         66
        .size:           2
        .value_kind:     hidden_remainder_x
      - .offset:         68
        .size:           2
        .value_kind:     hidden_remainder_y
      - .offset:         70
        .size:           2
        .value_kind:     hidden_remainder_z
      - .offset:         88
        .size:           8
        .value_kind:     hidden_global_offset_x
      - .offset:         96
        .size:           8
        .value_kind:     hidden_global_offset_y
      - .offset:         104
        .size:           8
        .value_kind:     hidden_global_offset_z
      - .offset:         112
        .size:           2
        .value_kind:     hidden_grid_dims
    .group_segment_fixed_size: 0
    .kernarg_segment_align: 8
    .kernarg_segment_size: 304
    .language:       OpenCL C
    .language_version:
      - 2
      - 0
    .max_flat_workgroup_size: 1024
    .name:           _ZN12_GLOBAL__N_120softmax_warp_forwardIN3c104HalfES2_fLi7ELb0ELb0ELi32EEEvPT0_PKT_iiiPKbib
    .private_segment_fixed_size: 0
    .sgpr_count:     18
    .sgpr_spill_count: 0
    .symbol:         _ZN12_GLOBAL__N_120softmax_warp_forwardIN3c104HalfES2_fLi7ELb0ELb0ELi32EEEvPT0_PKT_iiiPKbib.kd
    .uniform_work_group_size: 1
    .uses_dynamic_stack: false
    .vgpr_count:     40
    .vgpr_spill_count: 0
    .wavefront_size: 32
    .workgroup_processor_mode: 1
  - .args:
      - .address_space:  global
        .offset:         0
        .size:           8
        .value_kind:     global_buffer
      - .address_space:  global
        .offset:         8
        .size:           8
        .value_kind:     global_buffer
      - .offset:         16
        .size:           4
        .value_kind:     by_value
      - .offset:         20
        .size:           4
        .value_kind:     by_value
      - .offset:         24
        .size:           4
        .value_kind:     by_value
      - .address_space:  global
        .offset:         32
        .size:           8
        .value_kind:     global_buffer
      - .offset:         40
        .size:           4
        .value_kind:     by_value
      - .offset:         44
        .size:           1
        .value_kind:     by_value
      - .offset:         48
        .size:           4
        .value_kind:     hidden_block_count_x
      - .offset:         52
        .size:           4
        .value_kind:     hidden_block_count_y
      - .offset:         56
        .size:           4
        .value_kind:     hidden_block_count_z
      - .offset:         60
        .size:           2
        .value_kind:     hidden_group_size_x
      - .offset:         62
        .size:           2
        .value_kind:     hidden_group_size_y
      - .offset:         64
        .size:           2
        .value_kind:     hidden_group_size_z
      - .offset:         66
        .size:           2
        .value_kind:     hidden_remainder_x
      - .offset:         68
        .size:           2
        .value_kind:     hidden_remainder_y
      - .offset:         70
        .size:           2
        .value_kind:     hidden_remainder_z
      - .offset:         88
        .size:           8
        .value_kind:     hidden_global_offset_x
      - .offset:         96
        .size:           8
        .value_kind:     hidden_global_offset_y
      - .offset:         104
        .size:           8
        .value_kind:     hidden_global_offset_z
      - .offset:         112
        .size:           2
        .value_kind:     hidden_grid_dims
    .group_segment_fixed_size: 0
    .kernarg_segment_align: 8
    .kernarg_segment_size: 304
    .language:       OpenCL C
    .language_version:
      - 2
      - 0
    .max_flat_workgroup_size: 1024
    .name:           _ZN12_GLOBAL__N_120softmax_warp_forwardIN3c104HalfES2_fLi8ELb0ELb0ELi64EEEvPT0_PKT_iiiPKbib
    .private_segment_fixed_size: 0
    .sgpr_count:     18
    .sgpr_spill_count: 0
    .symbol:         _ZN12_GLOBAL__N_120softmax_warp_forwardIN3c104HalfES2_fLi8ELb0ELb0ELi64EEEvPT0_PKT_iiiPKbib.kd
    .uniform_work_group_size: 1
    .uses_dynamic_stack: false
    .vgpr_count:     24
    .vgpr_spill_count: 0
    .wavefront_size: 32
    .workgroup_processor_mode: 1
  - .args:
      - .address_space:  global
        .offset:         0
        .size:           8
        .value_kind:     global_buffer
      - .address_space:  global
        .offset:         8
        .size:           8
        .value_kind:     global_buffer
      - .offset:         16
        .size:           4
        .value_kind:     by_value
      - .offset:         20
        .size:           4
        .value_kind:     by_value
      - .offset:         24
        .size:           4
        .value_kind:     by_value
      - .address_space:  global
        .offset:         32
        .size:           8
        .value_kind:     global_buffer
      - .offset:         40
        .size:           4
        .value_kind:     by_value
      - .offset:         44
        .size:           1
        .value_kind:     by_value
      - .offset:         48
        .size:           4
        .value_kind:     hidden_block_count_x
      - .offset:         52
        .size:           4
        .value_kind:     hidden_block_count_y
      - .offset:         56
        .size:           4
        .value_kind:     hidden_block_count_z
      - .offset:         60
        .size:           2
        .value_kind:     hidden_group_size_x
      - .offset:         62
        .size:           2
        .value_kind:     hidden_group_size_y
      - .offset:         64
        .size:           2
        .value_kind:     hidden_group_size_z
      - .offset:         66
        .size:           2
        .value_kind:     hidden_remainder_x
      - .offset:         68
        .size:           2
        .value_kind:     hidden_remainder_y
      - .offset:         70
        .size:           2
        .value_kind:     hidden_remainder_z
      - .offset:         88
        .size:           8
        .value_kind:     hidden_global_offset_x
      - .offset:         96
        .size:           8
        .value_kind:     hidden_global_offset_y
      - .offset:         104
        .size:           8
        .value_kind:     hidden_global_offset_z
      - .offset:         112
        .size:           2
        .value_kind:     hidden_grid_dims
    .group_segment_fixed_size: 0
    .kernarg_segment_align: 8
    .kernarg_segment_size: 304
    .language:       OpenCL C
    .language_version:
      - 2
      - 0
    .max_flat_workgroup_size: 1024
    .name:           _ZN12_GLOBAL__N_120softmax_warp_forwardIN3c104HalfES2_fLi8ELb0ELb0ELi32EEEvPT0_PKT_iiiPKbib
    .private_segment_fixed_size: 0
    .sgpr_count:     18
    .sgpr_spill_count: 0
    .symbol:         _ZN12_GLOBAL__N_120softmax_warp_forwardIN3c104HalfES2_fLi8ELb0ELb0ELi32EEEvPT0_PKT_iiiPKbib.kd
    .uniform_work_group_size: 1
    .uses_dynamic_stack: false
    .vgpr_count:     40
    .vgpr_spill_count: 0
    .wavefront_size: 32
    .workgroup_processor_mode: 1
  - .args:
      - .address_space:  global
        .offset:         0
        .size:           8
        .value_kind:     global_buffer
      - .address_space:  global
        .offset:         8
        .size:           8
        .value_kind:     global_buffer
      - .offset:         16
        .size:           4
        .value_kind:     by_value
      - .offset:         20
        .size:           4
        .value_kind:     by_value
      - .offset:         24
        .size:           4
        .value_kind:     by_value
      - .address_space:  global
        .offset:         32
        .size:           8
        .value_kind:     global_buffer
      - .offset:         40
        .size:           4
        .value_kind:     by_value
      - .offset:         44
        .size:           1
        .value_kind:     by_value
      - .offset:         48
        .size:           4
        .value_kind:     hidden_block_count_x
      - .offset:         52
        .size:           4
        .value_kind:     hidden_block_count_y
      - .offset:         56
        .size:           4
        .value_kind:     hidden_block_count_z
      - .offset:         60
        .size:           2
        .value_kind:     hidden_group_size_x
      - .offset:         62
        .size:           2
        .value_kind:     hidden_group_size_y
      - .offset:         64
        .size:           2
        .value_kind:     hidden_group_size_z
      - .offset:         66
        .size:           2
        .value_kind:     hidden_remainder_x
      - .offset:         68
        .size:           2
        .value_kind:     hidden_remainder_y
      - .offset:         70
        .size:           2
        .value_kind:     hidden_remainder_z
      - .offset:         88
        .size:           8
        .value_kind:     hidden_global_offset_x
      - .offset:         96
        .size:           8
        .value_kind:     hidden_global_offset_y
      - .offset:         104
        .size:           8
        .value_kind:     hidden_global_offset_z
      - .offset:         112
        .size:           2
        .value_kind:     hidden_grid_dims
    .group_segment_fixed_size: 0
    .kernarg_segment_align: 8
    .kernarg_segment_size: 304
    .language:       OpenCL C
    .language_version:
      - 2
      - 0
    .max_flat_workgroup_size: 1024
    .name:           _ZN12_GLOBAL__N_120softmax_warp_forwardIN3c104HalfES2_fLi9ELb0ELb0ELi64EEEvPT0_PKT_iiiPKbib
    .private_segment_fixed_size: 0
    .sgpr_count:     18
    .sgpr_spill_count: 0
    .symbol:         _ZN12_GLOBAL__N_120softmax_warp_forwardIN3c104HalfES2_fLi9ELb0ELb0ELi64EEEvPT0_PKT_iiiPKbib.kd
    .uniform_work_group_size: 1
    .uses_dynamic_stack: false
    .vgpr_count:     41
    .vgpr_spill_count: 0
    .wavefront_size: 32
    .workgroup_processor_mode: 1
  - .args:
      - .address_space:  global
        .offset:         0
        .size:           8
        .value_kind:     global_buffer
      - .address_space:  global
        .offset:         8
        .size:           8
        .value_kind:     global_buffer
      - .offset:         16
        .size:           4
        .value_kind:     by_value
      - .offset:         20
        .size:           4
        .value_kind:     by_value
      - .offset:         24
        .size:           4
        .value_kind:     by_value
      - .address_space:  global
        .offset:         32
        .size:           8
        .value_kind:     global_buffer
      - .offset:         40
        .size:           4
        .value_kind:     by_value
      - .offset:         44
        .size:           1
        .value_kind:     by_value
      - .offset:         48
        .size:           4
        .value_kind:     hidden_block_count_x
      - .offset:         52
        .size:           4
        .value_kind:     hidden_block_count_y
      - .offset:         56
        .size:           4
        .value_kind:     hidden_block_count_z
      - .offset:         60
        .size:           2
        .value_kind:     hidden_group_size_x
      - .offset:         62
        .size:           2
        .value_kind:     hidden_group_size_y
      - .offset:         64
        .size:           2
        .value_kind:     hidden_group_size_z
      - .offset:         66
        .size:           2
        .value_kind:     hidden_remainder_x
      - .offset:         68
        .size:           2
        .value_kind:     hidden_remainder_y
      - .offset:         70
        .size:           2
        .value_kind:     hidden_remainder_z
      - .offset:         88
        .size:           8
        .value_kind:     hidden_global_offset_x
      - .offset:         96
        .size:           8
        .value_kind:     hidden_global_offset_y
      - .offset:         104
        .size:           8
        .value_kind:     hidden_global_offset_z
      - .offset:         112
        .size:           2
        .value_kind:     hidden_grid_dims
    .group_segment_fixed_size: 0
    .kernarg_segment_align: 8
    .kernarg_segment_size: 304
    .language:       OpenCL C
    .language_version:
      - 2
      - 0
    .max_flat_workgroup_size: 1024
    .name:           _ZN12_GLOBAL__N_120softmax_warp_forwardIN3c104HalfES2_fLi9ELb0ELb0ELi32EEEvPT0_PKT_iiiPKbib
    .private_segment_fixed_size: 0
    .sgpr_count:     26
    .sgpr_spill_count: 0
    .symbol:         _ZN12_GLOBAL__N_120softmax_warp_forwardIN3c104HalfES2_fLi9ELb0ELb0ELi32EEEvPT0_PKT_iiiPKbib.kd
    .uniform_work_group_size: 1
    .uses_dynamic_stack: false
    .vgpr_count:     62
    .vgpr_spill_count: 0
    .wavefront_size: 32
    .workgroup_processor_mode: 1
  - .args:
      - .address_space:  global
        .offset:         0
        .size:           8
        .value_kind:     global_buffer
      - .address_space:  global
        .offset:         8
        .size:           8
        .value_kind:     global_buffer
      - .offset:         16
        .size:           4
        .value_kind:     by_value
      - .offset:         20
        .size:           4
        .value_kind:     by_value
      - .offset:         24
        .size:           4
        .value_kind:     by_value
      - .address_space:  global
        .offset:         32
        .size:           8
        .value_kind:     global_buffer
      - .offset:         40
        .size:           4
        .value_kind:     by_value
      - .offset:         44
        .size:           1
        .value_kind:     by_value
      - .offset:         48
        .size:           4
        .value_kind:     hidden_block_count_x
      - .offset:         52
        .size:           4
        .value_kind:     hidden_block_count_y
      - .offset:         56
        .size:           4
        .value_kind:     hidden_block_count_z
      - .offset:         60
        .size:           2
        .value_kind:     hidden_group_size_x
      - .offset:         62
        .size:           2
        .value_kind:     hidden_group_size_y
      - .offset:         64
        .size:           2
        .value_kind:     hidden_group_size_z
      - .offset:         66
        .size:           2
        .value_kind:     hidden_remainder_x
      - .offset:         68
        .size:           2
        .value_kind:     hidden_remainder_y
      - .offset:         70
        .size:           2
        .value_kind:     hidden_remainder_z
      - .offset:         88
        .size:           8
        .value_kind:     hidden_global_offset_x
      - .offset:         96
        .size:           8
        .value_kind:     hidden_global_offset_y
      - .offset:         104
        .size:           8
        .value_kind:     hidden_global_offset_z
      - .offset:         112
        .size:           2
        .value_kind:     hidden_grid_dims
    .group_segment_fixed_size: 0
    .kernarg_segment_align: 8
    .kernarg_segment_size: 304
    .language:       OpenCL C
    .language_version:
      - 2
      - 0
    .max_flat_workgroup_size: 1024
    .name:           _ZN12_GLOBAL__N_120softmax_warp_forwardIN3c104HalfES2_fLi10ELb0ELb0ELi64EEEvPT0_PKT_iiiPKbib
    .private_segment_fixed_size: 0
    .sgpr_count:     26
    .sgpr_spill_count: 0
    .symbol:         _ZN12_GLOBAL__N_120softmax_warp_forwardIN3c104HalfES2_fLi10ELb0ELb0ELi64EEEvPT0_PKT_iiiPKbib.kd
    .uniform_work_group_size: 1
    .uses_dynamic_stack: false
    .vgpr_count:     62
    .vgpr_spill_count: 0
    .wavefront_size: 32
    .workgroup_processor_mode: 1
  - .args:
      - .address_space:  global
        .offset:         0
        .size:           8
        .value_kind:     global_buffer
      - .address_space:  global
        .offset:         8
        .size:           8
        .value_kind:     global_buffer
      - .offset:         16
        .size:           4
        .value_kind:     by_value
      - .offset:         20
        .size:           4
        .value_kind:     by_value
      - .offset:         24
        .size:           4
        .value_kind:     by_value
      - .address_space:  global
        .offset:         32
        .size:           8
        .value_kind:     global_buffer
      - .offset:         40
        .size:           4
        .value_kind:     by_value
      - .offset:         44
        .size:           1
        .value_kind:     by_value
      - .offset:         48
        .size:           4
        .value_kind:     hidden_block_count_x
      - .offset:         52
        .size:           4
        .value_kind:     hidden_block_count_y
      - .offset:         56
        .size:           4
        .value_kind:     hidden_block_count_z
      - .offset:         60
        .size:           2
        .value_kind:     hidden_group_size_x
      - .offset:         62
        .size:           2
        .value_kind:     hidden_group_size_y
      - .offset:         64
        .size:           2
        .value_kind:     hidden_group_size_z
      - .offset:         66
        .size:           2
        .value_kind:     hidden_remainder_x
      - .offset:         68
        .size:           2
        .value_kind:     hidden_remainder_y
      - .offset:         70
        .size:           2
        .value_kind:     hidden_remainder_z
      - .offset:         88
        .size:           8
        .value_kind:     hidden_global_offset_x
      - .offset:         96
        .size:           8
        .value_kind:     hidden_global_offset_y
      - .offset:         104
        .size:           8
        .value_kind:     hidden_global_offset_z
      - .offset:         112
        .size:           2
        .value_kind:     hidden_grid_dims
    .group_segment_fixed_size: 0
    .kernarg_segment_align: 8
    .kernarg_segment_size: 304
    .language:       OpenCL C
    .language_version:
      - 2
      - 0
    .max_flat_workgroup_size: 1024
    .name:           _ZN12_GLOBAL__N_120softmax_warp_forwardIN3c104HalfES2_fLi10ELb0ELb0ELi32EEEvPT0_PKT_iiiPKbib
    .private_segment_fixed_size: 0
    .sgpr_count:     46
    .sgpr_spill_count: 0
    .symbol:         _ZN12_GLOBAL__N_120softmax_warp_forwardIN3c104HalfES2_fLi10ELb0ELb0ELi32EEEvPT0_PKT_iiiPKbib.kd
    .uniform_work_group_size: 1
    .uses_dynamic_stack: false
    .vgpr_count:     45
    .vgpr_spill_count: 0
    .wavefront_size: 32
    .workgroup_processor_mode: 1
  - .args:
      - .address_space:  global
        .offset:         0
        .size:           8
        .value_kind:     global_buffer
      - .address_space:  global
        .offset:         8
        .size:           8
        .value_kind:     global_buffer
      - .offset:         16
        .size:           4
        .value_kind:     by_value
      - .offset:         20
        .size:           4
        .value_kind:     by_value
      - .offset:         24
        .size:           4
        .value_kind:     by_value
      - .address_space:  global
        .offset:         32
        .size:           8
        .value_kind:     global_buffer
      - .offset:         40
        .size:           4
        .value_kind:     by_value
      - .offset:         44
        .size:           1
        .value_kind:     by_value
      - .offset:         48
        .size:           4
        .value_kind:     hidden_block_count_x
      - .offset:         52
        .size:           4
        .value_kind:     hidden_block_count_y
      - .offset:         56
        .size:           4
        .value_kind:     hidden_block_count_z
      - .offset:         60
        .size:           2
        .value_kind:     hidden_group_size_x
      - .offset:         62
        .size:           2
        .value_kind:     hidden_group_size_y
      - .offset:         64
        .size:           2
        .value_kind:     hidden_group_size_z
      - .offset:         66
        .size:           2
        .value_kind:     hidden_remainder_x
      - .offset:         68
        .size:           2
        .value_kind:     hidden_remainder_y
      - .offset:         70
        .size:           2
        .value_kind:     hidden_remainder_z
      - .offset:         88
        .size:           8
        .value_kind:     hidden_global_offset_x
      - .offset:         96
        .size:           8
        .value_kind:     hidden_global_offset_y
      - .offset:         104
        .size:           8
        .value_kind:     hidden_global_offset_z
      - .offset:         112
        .size:           2
        .value_kind:     hidden_grid_dims
    .group_segment_fixed_size: 0
    .kernarg_segment_align: 8
    .kernarg_segment_size: 304
    .language:       OpenCL C
    .language_version:
      - 2
      - 0
    .max_flat_workgroup_size: 1024
    .name:           _ZN12_GLOBAL__N_120softmax_warp_forwardIN3c104HalfES2_fLi11ELb0ELb0ELi64EEEvPT0_PKT_iiiPKbib
    .private_segment_fixed_size: 0
    .sgpr_count:     46
    .sgpr_spill_count: 0
    .symbol:         _ZN12_GLOBAL__N_120softmax_warp_forwardIN3c104HalfES2_fLi11ELb0ELb0ELi64EEEvPT0_PKT_iiiPKbib.kd
    .uniform_work_group_size: 1
    .uses_dynamic_stack: false
    .vgpr_count:     46
    .vgpr_spill_count: 0
    .wavefront_size: 32
    .workgroup_processor_mode: 1
  - .args:
      - .address_space:  global
        .offset:         0
        .size:           8
        .value_kind:     global_buffer
      - .address_space:  global
        .offset:         8
        .size:           8
        .value_kind:     global_buffer
      - .offset:         16
        .size:           4
        .value_kind:     by_value
      - .offset:         20
        .size:           4
        .value_kind:     by_value
      - .offset:         24
        .size:           4
        .value_kind:     by_value
      - .address_space:  global
        .offset:         32
        .size:           8
        .value_kind:     global_buffer
      - .offset:         40
        .size:           4
        .value_kind:     by_value
      - .offset:         44
        .size:           1
        .value_kind:     by_value
      - .offset:         48
        .size:           4
        .value_kind:     hidden_block_count_x
      - .offset:         52
        .size:           4
        .value_kind:     hidden_block_count_y
      - .offset:         56
        .size:           4
        .value_kind:     hidden_block_count_z
      - .offset:         60
        .size:           2
        .value_kind:     hidden_group_size_x
      - .offset:         62
        .size:           2
        .value_kind:     hidden_group_size_y
      - .offset:         64
        .size:           2
        .value_kind:     hidden_group_size_z
      - .offset:         66
        .size:           2
        .value_kind:     hidden_remainder_x
      - .offset:         68
        .size:           2
        .value_kind:     hidden_remainder_y
      - .offset:         70
        .size:           2
        .value_kind:     hidden_remainder_z
      - .offset:         88
        .size:           8
        .value_kind:     hidden_global_offset_x
      - .offset:         96
        .size:           8
        .value_kind:     hidden_global_offset_y
      - .offset:         104
        .size:           8
        .value_kind:     hidden_global_offset_z
      - .offset:         112
        .size:           2
        .value_kind:     hidden_grid_dims
    .group_segment_fixed_size: 0
    .kernarg_segment_align: 8
    .kernarg_segment_size: 304
    .language:       OpenCL C
    .language_version:
      - 2
      - 0
    .max_flat_workgroup_size: 1024
    .name:           _ZN12_GLOBAL__N_120softmax_warp_forwardIN3c104HalfES2_fLi11ELb0ELb0ELi32EEEvPT0_PKT_iiiPKbib
    .private_segment_fixed_size: 0
    .sgpr_count:     78
    .sgpr_spill_count: 0
    .symbol:         _ZN12_GLOBAL__N_120softmax_warp_forwardIN3c104HalfES2_fLi11ELb0ELb0ELi32EEEvPT0_PKT_iiiPKbib.kd
    .uniform_work_group_size: 1
    .uses_dynamic_stack: false
    .vgpr_count:     77
    .vgpr_spill_count: 0
    .wavefront_size: 32
    .workgroup_processor_mode: 1
  - .args:
      - .address_space:  global
        .offset:         0
        .size:           8
        .value_kind:     global_buffer
      - .address_space:  global
        .offset:         8
        .size:           8
        .value_kind:     global_buffer
      - .offset:         16
        .size:           8
        .value_kind:     by_value
      - .offset:         24
        .size:           4
        .value_kind:     hidden_block_count_x
      - .offset:         28
        .size:           4
        .value_kind:     hidden_block_count_y
      - .offset:         32
        .size:           4
        .value_kind:     hidden_block_count_z
      - .offset:         36
        .size:           2
        .value_kind:     hidden_group_size_x
      - .offset:         38
        .size:           2
        .value_kind:     hidden_group_size_y
      - .offset:         40
        .size:           2
        .value_kind:     hidden_group_size_z
      - .offset:         42
        .size:           2
        .value_kind:     hidden_remainder_x
      - .offset:         44
        .size:           2
        .value_kind:     hidden_remainder_y
      - .offset:         46
        .size:           2
        .value_kind:     hidden_remainder_z
      - .offset:         64
        .size:           8
        .value_kind:     hidden_global_offset_x
      - .offset:         72
        .size:           8
        .value_kind:     hidden_global_offset_y
      - .offset:         80
        .size:           8
        .value_kind:     hidden_global_offset_z
      - .offset:         88
        .size:           2
        .value_kind:     hidden_grid_dims
      - .offset:         144
        .size:           4
        .value_kind:     hidden_dynamic_lds_size
    .group_segment_fixed_size: 0
    .kernarg_segment_align: 8
    .kernarg_segment_size: 280
    .language:       OpenCL C
    .language_version:
      - 2
      - 0
    .max_flat_workgroup_size: 1024
    .name:           _ZN2at6native12_GLOBAL__N_123cunn_SoftMaxForwardGmemILi8EN3c104HalfEfS4_NS1_29SoftMaxForwardWithMulEpilogueElEEvPT2_PKT0_T4_
    .private_segment_fixed_size: 0
    .sgpr_count:     21
    .sgpr_spill_count: 0
    .symbol:         _ZN2at6native12_GLOBAL__N_123cunn_SoftMaxForwardGmemILi8EN3c104HalfEfS4_NS1_29SoftMaxForwardWithMulEpilogueElEEvPT2_PKT0_T4_.kd
    .uniform_work_group_size: 1
    .uses_dynamic_stack: false
    .vgpr_count:     24
    .vgpr_spill_count: 0
    .wavefront_size: 32
    .workgroup_processor_mode: 1
  - .args:
      - .address_space:  global
        .offset:         0
        .size:           8
        .value_kind:     global_buffer
      - .address_space:  global
        .offset:         8
        .size:           8
        .value_kind:     global_buffer
      - .offset:         16
        .size:           4
        .value_kind:     by_value
      - .offset:         24
        .size:           4
        .value_kind:     hidden_block_count_x
      - .offset:         28
        .size:           4
        .value_kind:     hidden_block_count_y
      - .offset:         32
        .size:           4
        .value_kind:     hidden_block_count_z
      - .offset:         36
        .size:           2
        .value_kind:     hidden_group_size_x
      - .offset:         38
        .size:           2
        .value_kind:     hidden_group_size_y
      - .offset:         40
        .size:           2
        .value_kind:     hidden_group_size_z
      - .offset:         42
        .size:           2
        .value_kind:     hidden_remainder_x
      - .offset:         44
        .size:           2
        .value_kind:     hidden_remainder_y
      - .offset:         46
        .size:           2
        .value_kind:     hidden_remainder_z
      - .offset:         64
        .size:           8
        .value_kind:     hidden_global_offset_x
      - .offset:         72
        .size:           8
        .value_kind:     hidden_global_offset_y
      - .offset:         80
        .size:           8
        .value_kind:     hidden_global_offset_z
      - .offset:         88
        .size:           2
        .value_kind:     hidden_grid_dims
      - .offset:         144
        .size:           4
        .value_kind:     hidden_dynamic_lds_size
    .group_segment_fixed_size: 0
    .kernarg_segment_align: 8
    .kernarg_segment_size: 280
    .language:       OpenCL C
    .language_version:
      - 2
      - 0
    .max_flat_workgroup_size: 1024
    .name:           _ZN2at6native12_GLOBAL__N_123cunn_SoftMaxForwardFastILi8EN3c104HalfEfS4_NS1_29SoftMaxForwardWithMulEpilogueEEEvPT2_PKT0_i
    .private_segment_fixed_size: 0
    .sgpr_count:     23
    .sgpr_spill_count: 0
    .symbol:         _ZN2at6native12_GLOBAL__N_123cunn_SoftMaxForwardFastILi8EN3c104HalfEfS4_NS1_29SoftMaxForwardWithMulEpilogueEEEvPT2_PKT0_i.kd
    .uniform_work_group_size: 1
    .uses_dynamic_stack: false
    .vgpr_count:     19
    .vgpr_spill_count: 0
    .wavefront_size: 32
    .workgroup_processor_mode: 1
  - .args:
      - .address_space:  global
        .offset:         0
        .size:           8
        .value_kind:     global_buffer
      - .address_space:  global
        .offset:         8
        .size:           8
        .value_kind:     global_buffer
      - .offset:         16
        .size:           4
        .value_kind:     by_value
      - .offset:         20
        .size:           4
        .value_kind:     by_value
      - .offset:         24
        .size:           4
        .value_kind:     by_value
      - .address_space:  global
        .offset:         32
        .size:           8
        .value_kind:     global_buffer
      - .offset:         40
        .size:           4
        .value_kind:     by_value
      - .offset:         44
        .size:           1
        .value_kind:     by_value
      - .offset:         48
        .size:           4
        .value_kind:     hidden_block_count_x
      - .offset:         52
        .size:           4
        .value_kind:     hidden_block_count_y
      - .offset:         56
        .size:           4
        .value_kind:     hidden_block_count_z
      - .offset:         60
        .size:           2
        .value_kind:     hidden_group_size_x
      - .offset:         62
        .size:           2
        .value_kind:     hidden_group_size_y
      - .offset:         64
        .size:           2
        .value_kind:     hidden_group_size_z
      - .offset:         66
        .size:           2
        .value_kind:     hidden_remainder_x
      - .offset:         68
        .size:           2
        .value_kind:     hidden_remainder_y
      - .offset:         70
        .size:           2
        .value_kind:     hidden_remainder_z
      - .offset:         88
        .size:           8
        .value_kind:     hidden_global_offset_x
      - .offset:         96
        .size:           8
        .value_kind:     hidden_global_offset_y
      - .offset:         104
        .size:           8
        .value_kind:     hidden_global_offset_z
      - .offset:         112
        .size:           2
        .value_kind:     hidden_grid_dims
    .group_segment_fixed_size: 0
    .kernarg_segment_align: 8
    .kernarg_segment_size: 304
    .language:       OpenCL C
    .language_version:
      - 2
      - 0
    .max_flat_workgroup_size: 1024
    .name:           _ZN12_GLOBAL__N_120softmax_warp_forwardIN3c104HalfEffLi0ELb0ELb0ELi64EEEvPT0_PKT_iiiPKbib
    .private_segment_fixed_size: 0
    .sgpr_count:     18
    .sgpr_spill_count: 0
    .symbol:         _ZN12_GLOBAL__N_120softmax_warp_forwardIN3c104HalfEffLi0ELb0ELb0ELi64EEEvPT0_PKT_iiiPKbib.kd
    .uniform_work_group_size: 1
    .uses_dynamic_stack: false
    .vgpr_count:     9
    .vgpr_spill_count: 0
    .wavefront_size: 32
    .workgroup_processor_mode: 1
  - .args:
      - .address_space:  global
        .offset:         0
        .size:           8
        .value_kind:     global_buffer
      - .address_space:  global
        .offset:         8
        .size:           8
        .value_kind:     global_buffer
      - .offset:         16
        .size:           4
        .value_kind:     by_value
      - .offset:         20
        .size:           4
        .value_kind:     by_value
      - .offset:         24
        .size:           4
        .value_kind:     by_value
      - .address_space:  global
        .offset:         32
        .size:           8
        .value_kind:     global_buffer
      - .offset:         40
        .size:           4
        .value_kind:     by_value
      - .offset:         44
        .size:           1
        .value_kind:     by_value
      - .offset:         48
        .size:           4
        .value_kind:     hidden_block_count_x
      - .offset:         52
        .size:           4
        .value_kind:     hidden_block_count_y
      - .offset:         56
        .size:           4
        .value_kind:     hidden_block_count_z
      - .offset:         60
        .size:           2
        .value_kind:     hidden_group_size_x
      - .offset:         62
        .size:           2
        .value_kind:     hidden_group_size_y
      - .offset:         64
        .size:           2
        .value_kind:     hidden_group_size_z
      - .offset:         66
        .size:           2
        .value_kind:     hidden_remainder_x
      - .offset:         68
        .size:           2
        .value_kind:     hidden_remainder_y
      - .offset:         70
        .size:           2
        .value_kind:     hidden_remainder_z
      - .offset:         88
        .size:           8
        .value_kind:     hidden_global_offset_x
      - .offset:         96
        .size:           8
        .value_kind:     hidden_global_offset_y
      - .offset:         104
        .size:           8
        .value_kind:     hidden_global_offset_z
      - .offset:         112
        .size:           2
        .value_kind:     hidden_grid_dims
    .group_segment_fixed_size: 0
    .kernarg_segment_align: 8
    .kernarg_segment_size: 304
    .language:       OpenCL C
    .language_version:
      - 2
      - 0
    .max_flat_workgroup_size: 1024
    .name:           _ZN12_GLOBAL__N_120softmax_warp_forwardIN3c104HalfEffLi0ELb0ELb0ELi32EEEvPT0_PKT_iiiPKbib
    .private_segment_fixed_size: 0
    .sgpr_count:     18
    .sgpr_spill_count: 0
    .symbol:         _ZN12_GLOBAL__N_120softmax_warp_forwardIN3c104HalfEffLi0ELb0ELb0ELi32EEEvPT0_PKT_iiiPKbib.kd
    .uniform_work_group_size: 1
    .uses_dynamic_stack: false
    .vgpr_count:     9
    .vgpr_spill_count: 0
    .wavefront_size: 32
    .workgroup_processor_mode: 1
  - .args:
      - .address_space:  global
        .offset:         0
        .size:           8
        .value_kind:     global_buffer
      - .address_space:  global
        .offset:         8
        .size:           8
        .value_kind:     global_buffer
      - .offset:         16
        .size:           4
        .value_kind:     by_value
      - .offset:         20
        .size:           4
        .value_kind:     by_value
      - .offset:         24
        .size:           4
        .value_kind:     by_value
      - .address_space:  global
        .offset:         32
        .size:           8
        .value_kind:     global_buffer
      - .offset:         40
        .size:           4
        .value_kind:     by_value
      - .offset:         44
        .size:           1
        .value_kind:     by_value
      - .offset:         48
        .size:           4
        .value_kind:     hidden_block_count_x
      - .offset:         52
        .size:           4
        .value_kind:     hidden_block_count_y
      - .offset:         56
        .size:           4
        .value_kind:     hidden_block_count_z
      - .offset:         60
        .size:           2
        .value_kind:     hidden_group_size_x
      - .offset:         62
        .size:           2
        .value_kind:     hidden_group_size_y
      - .offset:         64
        .size:           2
        .value_kind:     hidden_group_size_z
      - .offset:         66
        .size:           2
        .value_kind:     hidden_remainder_x
      - .offset:         68
        .size:           2
        .value_kind:     hidden_remainder_y
      - .offset:         70
        .size:           2
        .value_kind:     hidden_remainder_z
      - .offset:         88
        .size:           8
        .value_kind:     hidden_global_offset_x
      - .offset:         96
        .size:           8
        .value_kind:     hidden_global_offset_y
      - .offset:         104
        .size:           8
        .value_kind:     hidden_global_offset_z
      - .offset:         112
        .size:           2
        .value_kind:     hidden_grid_dims
    .group_segment_fixed_size: 0
    .kernarg_segment_align: 8
    .kernarg_segment_size: 304
    .language:       OpenCL C
    .language_version:
      - 2
      - 0
    .max_flat_workgroup_size: 1024
    .name:           _ZN12_GLOBAL__N_120softmax_warp_forwardIN3c104HalfEffLi1ELb0ELb0ELi64EEEvPT0_PKT_iiiPKbib
    .private_segment_fixed_size: 0
    .sgpr_count:     18
    .sgpr_spill_count: 0
    .symbol:         _ZN12_GLOBAL__N_120softmax_warp_forwardIN3c104HalfEffLi1ELb0ELb0ELi64EEEvPT0_PKT_iiiPKbib.kd
    .uniform_work_group_size: 1
    .uses_dynamic_stack: false
    .vgpr_count:     12
    .vgpr_spill_count: 0
    .wavefront_size: 32
    .workgroup_processor_mode: 1
  - .args:
      - .address_space:  global
        .offset:         0
        .size:           8
        .value_kind:     global_buffer
      - .address_space:  global
        .offset:         8
        .size:           8
        .value_kind:     global_buffer
      - .offset:         16
        .size:           4
        .value_kind:     by_value
      - .offset:         20
        .size:           4
        .value_kind:     by_value
      - .offset:         24
        .size:           4
        .value_kind:     by_value
      - .address_space:  global
        .offset:         32
        .size:           8
        .value_kind:     global_buffer
      - .offset:         40
        .size:           4
        .value_kind:     by_value
      - .offset:         44
        .size:           1
        .value_kind:     by_value
      - .offset:         48
        .size:           4
        .value_kind:     hidden_block_count_x
      - .offset:         52
        .size:           4
        .value_kind:     hidden_block_count_y
      - .offset:         56
        .size:           4
        .value_kind:     hidden_block_count_z
      - .offset:         60
        .size:           2
        .value_kind:     hidden_group_size_x
      - .offset:         62
        .size:           2
        .value_kind:     hidden_group_size_y
      - .offset:         64
        .size:           2
        .value_kind:     hidden_group_size_z
      - .offset:         66
        .size:           2
        .value_kind:     hidden_remainder_x
      - .offset:         68
        .size:           2
        .value_kind:     hidden_remainder_y
      - .offset:         70
        .size:           2
        .value_kind:     hidden_remainder_z
      - .offset:         88
        .size:           8
        .value_kind:     hidden_global_offset_x
      - .offset:         96
        .size:           8
        .value_kind:     hidden_global_offset_y
      - .offset:         104
        .size:           8
        .value_kind:     hidden_global_offset_z
      - .offset:         112
        .size:           2
        .value_kind:     hidden_grid_dims
    .group_segment_fixed_size: 0
    .kernarg_segment_align: 8
    .kernarg_segment_size: 304
    .language:       OpenCL C
    .language_version:
      - 2
      - 0
    .max_flat_workgroup_size: 1024
    .name:           _ZN12_GLOBAL__N_120softmax_warp_forwardIN3c104HalfEffLi1ELb0ELb0ELi32EEEvPT0_PKT_iiiPKbib
    .private_segment_fixed_size: 0
    .sgpr_count:     18
    .sgpr_spill_count: 0
    .symbol:         _ZN12_GLOBAL__N_120softmax_warp_forwardIN3c104HalfEffLi1ELb0ELb0ELi32EEEvPT0_PKT_iiiPKbib.kd
    .uniform_work_group_size: 1
    .uses_dynamic_stack: false
    .vgpr_count:     12
    .vgpr_spill_count: 0
    .wavefront_size: 32
    .workgroup_processor_mode: 1
  - .args:
      - .address_space:  global
        .offset:         0
        .size:           8
        .value_kind:     global_buffer
      - .address_space:  global
        .offset:         8
        .size:           8
        .value_kind:     global_buffer
      - .offset:         16
        .size:           4
        .value_kind:     by_value
      - .offset:         20
        .size:           4
        .value_kind:     by_value
      - .offset:         24
        .size:           4
        .value_kind:     by_value
      - .address_space:  global
        .offset:         32
        .size:           8
        .value_kind:     global_buffer
      - .offset:         40
        .size:           4
        .value_kind:     by_value
      - .offset:         44
        .size:           1
        .value_kind:     by_value
      - .offset:         48
        .size:           4
        .value_kind:     hidden_block_count_x
      - .offset:         52
        .size:           4
        .value_kind:     hidden_block_count_y
      - .offset:         56
        .size:           4
        .value_kind:     hidden_block_count_z
      - .offset:         60
        .size:           2
        .value_kind:     hidden_group_size_x
      - .offset:         62
        .size:           2
        .value_kind:     hidden_group_size_y
      - .offset:         64
        .size:           2
        .value_kind:     hidden_group_size_z
      - .offset:         66
        .size:           2
        .value_kind:     hidden_remainder_x
      - .offset:         68
        .size:           2
        .value_kind:     hidden_remainder_y
      - .offset:         70
        .size:           2
        .value_kind:     hidden_remainder_z
      - .offset:         88
        .size:           8
        .value_kind:     hidden_global_offset_x
      - .offset:         96
        .size:           8
        .value_kind:     hidden_global_offset_y
      - .offset:         104
        .size:           8
        .value_kind:     hidden_global_offset_z
      - .offset:         112
        .size:           2
        .value_kind:     hidden_grid_dims
    .group_segment_fixed_size: 0
    .kernarg_segment_align: 8
    .kernarg_segment_size: 304
    .language:       OpenCL C
    .language_version:
      - 2
      - 0
    .max_flat_workgroup_size: 1024
    .name:           _ZN12_GLOBAL__N_120softmax_warp_forwardIN3c104HalfEffLi2ELb0ELb0ELi64EEEvPT0_PKT_iiiPKbib
    .private_segment_fixed_size: 0
    .sgpr_count:     18
    .sgpr_spill_count: 0
    .symbol:         _ZN12_GLOBAL__N_120softmax_warp_forwardIN3c104HalfEffLi2ELb0ELb0ELi64EEEvPT0_PKT_iiiPKbib.kd
    .uniform_work_group_size: 1
    .uses_dynamic_stack: false
    .vgpr_count:     13
    .vgpr_spill_count: 0
    .wavefront_size: 32
    .workgroup_processor_mode: 1
  - .args:
      - .address_space:  global
        .offset:         0
        .size:           8
        .value_kind:     global_buffer
      - .address_space:  global
        .offset:         8
        .size:           8
        .value_kind:     global_buffer
      - .offset:         16
        .size:           4
        .value_kind:     by_value
      - .offset:         20
        .size:           4
        .value_kind:     by_value
      - .offset:         24
        .size:           4
        .value_kind:     by_value
      - .address_space:  global
        .offset:         32
        .size:           8
        .value_kind:     global_buffer
      - .offset:         40
        .size:           4
        .value_kind:     by_value
      - .offset:         44
        .size:           1
        .value_kind:     by_value
      - .offset:         48
        .size:           4
        .value_kind:     hidden_block_count_x
      - .offset:         52
        .size:           4
        .value_kind:     hidden_block_count_y
      - .offset:         56
        .size:           4
        .value_kind:     hidden_block_count_z
      - .offset:         60
        .size:           2
        .value_kind:     hidden_group_size_x
      - .offset:         62
        .size:           2
        .value_kind:     hidden_group_size_y
      - .offset:         64
        .size:           2
        .value_kind:     hidden_group_size_z
      - .offset:         66
        .size:           2
        .value_kind:     hidden_remainder_x
      - .offset:         68
        .size:           2
        .value_kind:     hidden_remainder_y
      - .offset:         70
        .size:           2
        .value_kind:     hidden_remainder_z
      - .offset:         88
        .size:           8
        .value_kind:     hidden_global_offset_x
      - .offset:         96
        .size:           8
        .value_kind:     hidden_global_offset_y
      - .offset:         104
        .size:           8
        .value_kind:     hidden_global_offset_z
      - .offset:         112
        .size:           2
        .value_kind:     hidden_grid_dims
    .group_segment_fixed_size: 0
    .kernarg_segment_align: 8
    .kernarg_segment_size: 304
    .language:       OpenCL C
    .language_version:
      - 2
      - 0
    .max_flat_workgroup_size: 1024
    .name:           _ZN12_GLOBAL__N_120softmax_warp_forwardIN3c104HalfEffLi2ELb0ELb0ELi32EEEvPT0_PKT_iiiPKbib
    .private_segment_fixed_size: 0
    .sgpr_count:     18
    .sgpr_spill_count: 0
    .symbol:         _ZN12_GLOBAL__N_120softmax_warp_forwardIN3c104HalfEffLi2ELb0ELb0ELi32EEEvPT0_PKT_iiiPKbib.kd
    .uniform_work_group_size: 1
    .uses_dynamic_stack: false
    .vgpr_count:     13
    .vgpr_spill_count: 0
    .wavefront_size: 32
    .workgroup_processor_mode: 1
  - .args:
      - .address_space:  global
        .offset:         0
        .size:           8
        .value_kind:     global_buffer
      - .address_space:  global
        .offset:         8
        .size:           8
        .value_kind:     global_buffer
      - .offset:         16
        .size:           4
        .value_kind:     by_value
      - .offset:         20
        .size:           4
        .value_kind:     by_value
      - .offset:         24
        .size:           4
        .value_kind:     by_value
      - .address_space:  global
        .offset:         32
        .size:           8
        .value_kind:     global_buffer
      - .offset:         40
        .size:           4
        .value_kind:     by_value
      - .offset:         44
        .size:           1
        .value_kind:     by_value
      - .offset:         48
        .size:           4
        .value_kind:     hidden_block_count_x
      - .offset:         52
        .size:           4
        .value_kind:     hidden_block_count_y
      - .offset:         56
        .size:           4
        .value_kind:     hidden_block_count_z
      - .offset:         60
        .size:           2
        .value_kind:     hidden_group_size_x
      - .offset:         62
        .size:           2
        .value_kind:     hidden_group_size_y
      - .offset:         64
        .size:           2
        .value_kind:     hidden_group_size_z
      - .offset:         66
        .size:           2
        .value_kind:     hidden_remainder_x
      - .offset:         68
        .size:           2
        .value_kind:     hidden_remainder_y
      - .offset:         70
        .size:           2
        .value_kind:     hidden_remainder_z
      - .offset:         88
        .size:           8
        .value_kind:     hidden_global_offset_x
      - .offset:         96
        .size:           8
        .value_kind:     hidden_global_offset_y
      - .offset:         104
        .size:           8
        .value_kind:     hidden_global_offset_z
      - .offset:         112
        .size:           2
        .value_kind:     hidden_grid_dims
    .group_segment_fixed_size: 0
    .kernarg_segment_align: 8
    .kernarg_segment_size: 304
    .language:       OpenCL C
    .language_version:
      - 2
      - 0
    .max_flat_workgroup_size: 1024
    .name:           _ZN12_GLOBAL__N_120softmax_warp_forwardIN3c104HalfEffLi3ELb0ELb0ELi64EEEvPT0_PKT_iiiPKbib
    .private_segment_fixed_size: 0
    .sgpr_count:     18
    .sgpr_spill_count: 0
    .symbol:         _ZN12_GLOBAL__N_120softmax_warp_forwardIN3c104HalfEffLi3ELb0ELb0ELi64EEEvPT0_PKT_iiiPKbib.kd
    .uniform_work_group_size: 1
    .uses_dynamic_stack: false
    .vgpr_count:     14
    .vgpr_spill_count: 0
    .wavefront_size: 32
    .workgroup_processor_mode: 1
  - .args:
      - .address_space:  global
        .offset:         0
        .size:           8
        .value_kind:     global_buffer
      - .address_space:  global
        .offset:         8
        .size:           8
        .value_kind:     global_buffer
      - .offset:         16
        .size:           4
        .value_kind:     by_value
      - .offset:         20
        .size:           4
        .value_kind:     by_value
      - .offset:         24
        .size:           4
        .value_kind:     by_value
      - .address_space:  global
        .offset:         32
        .size:           8
        .value_kind:     global_buffer
      - .offset:         40
        .size:           4
        .value_kind:     by_value
      - .offset:         44
        .size:           1
        .value_kind:     by_value
      - .offset:         48
        .size:           4
        .value_kind:     hidden_block_count_x
      - .offset:         52
        .size:           4
        .value_kind:     hidden_block_count_y
      - .offset:         56
        .size:           4
        .value_kind:     hidden_block_count_z
      - .offset:         60
        .size:           2
        .value_kind:     hidden_group_size_x
      - .offset:         62
        .size:           2
        .value_kind:     hidden_group_size_y
      - .offset:         64
        .size:           2
        .value_kind:     hidden_group_size_z
      - .offset:         66
        .size:           2
        .value_kind:     hidden_remainder_x
      - .offset:         68
        .size:           2
        .value_kind:     hidden_remainder_y
      - .offset:         70
        .size:           2
        .value_kind:     hidden_remainder_z
      - .offset:         88
        .size:           8
        .value_kind:     hidden_global_offset_x
      - .offset:         96
        .size:           8
        .value_kind:     hidden_global_offset_y
      - .offset:         104
        .size:           8
        .value_kind:     hidden_global_offset_z
      - .offset:         112
        .size:           2
        .value_kind:     hidden_grid_dims
    .group_segment_fixed_size: 0
    .kernarg_segment_align: 8
    .kernarg_segment_size: 304
    .language:       OpenCL C
    .language_version:
      - 2
      - 0
    .max_flat_workgroup_size: 1024
    .name:           _ZN12_GLOBAL__N_120softmax_warp_forwardIN3c104HalfEffLi3ELb0ELb0ELi32EEEvPT0_PKT_iiiPKbib
    .private_segment_fixed_size: 0
    .sgpr_count:     18
    .sgpr_spill_count: 0
    .symbol:         _ZN12_GLOBAL__N_120softmax_warp_forwardIN3c104HalfEffLi3ELb0ELb0ELi32EEEvPT0_PKT_iiiPKbib.kd
    .uniform_work_group_size: 1
    .uses_dynamic_stack: false
    .vgpr_count:     14
    .vgpr_spill_count: 0
    .wavefront_size: 32
    .workgroup_processor_mode: 1
  - .args:
      - .address_space:  global
        .offset:         0
        .size:           8
        .value_kind:     global_buffer
      - .address_space:  global
        .offset:         8
        .size:           8
        .value_kind:     global_buffer
      - .offset:         16
        .size:           4
        .value_kind:     by_value
      - .offset:         20
        .size:           4
        .value_kind:     by_value
      - .offset:         24
        .size:           4
        .value_kind:     by_value
      - .address_space:  global
        .offset:         32
        .size:           8
        .value_kind:     global_buffer
      - .offset:         40
        .size:           4
        .value_kind:     by_value
      - .offset:         44
        .size:           1
        .value_kind:     by_value
      - .offset:         48
        .size:           4
        .value_kind:     hidden_block_count_x
      - .offset:         52
        .size:           4
        .value_kind:     hidden_block_count_y
      - .offset:         56
        .size:           4
        .value_kind:     hidden_block_count_z
      - .offset:         60
        .size:           2
        .value_kind:     hidden_group_size_x
      - .offset:         62
        .size:           2
        .value_kind:     hidden_group_size_y
      - .offset:         64
        .size:           2
        .value_kind:     hidden_group_size_z
      - .offset:         66
        .size:           2
        .value_kind:     hidden_remainder_x
      - .offset:         68
        .size:           2
        .value_kind:     hidden_remainder_y
      - .offset:         70
        .size:           2
        .value_kind:     hidden_remainder_z
      - .offset:         88
        .size:           8
        .value_kind:     hidden_global_offset_x
      - .offset:         96
        .size:           8
        .value_kind:     hidden_global_offset_y
      - .offset:         104
        .size:           8
        .value_kind:     hidden_global_offset_z
      - .offset:         112
        .size:           2
        .value_kind:     hidden_grid_dims
    .group_segment_fixed_size: 0
    .kernarg_segment_align: 8
    .kernarg_segment_size: 304
    .language:       OpenCL C
    .language_version:
      - 2
      - 0
    .max_flat_workgroup_size: 1024
    .name:           _ZN12_GLOBAL__N_120softmax_warp_forwardIN3c104HalfEffLi4ELb0ELb0ELi64EEEvPT0_PKT_iiiPKbib
    .private_segment_fixed_size: 0
    .sgpr_count:     18
    .sgpr_spill_count: 0
    .symbol:         _ZN12_GLOBAL__N_120softmax_warp_forwardIN3c104HalfEffLi4ELb0ELb0ELi64EEEvPT0_PKT_iiiPKbib.kd
    .uniform_work_group_size: 1
    .uses_dynamic_stack: false
    .vgpr_count:     15
    .vgpr_spill_count: 0
    .wavefront_size: 32
    .workgroup_processor_mode: 1
  - .args:
      - .address_space:  global
        .offset:         0
        .size:           8
        .value_kind:     global_buffer
      - .address_space:  global
        .offset:         8
        .size:           8
        .value_kind:     global_buffer
      - .offset:         16
        .size:           4
        .value_kind:     by_value
      - .offset:         20
        .size:           4
        .value_kind:     by_value
      - .offset:         24
        .size:           4
        .value_kind:     by_value
      - .address_space:  global
        .offset:         32
        .size:           8
        .value_kind:     global_buffer
      - .offset:         40
        .size:           4
        .value_kind:     by_value
      - .offset:         44
        .size:           1
        .value_kind:     by_value
      - .offset:         48
        .size:           4
        .value_kind:     hidden_block_count_x
      - .offset:         52
        .size:           4
        .value_kind:     hidden_block_count_y
      - .offset:         56
        .size:           4
        .value_kind:     hidden_block_count_z
      - .offset:         60
        .size:           2
        .value_kind:     hidden_group_size_x
      - .offset:         62
        .size:           2
        .value_kind:     hidden_group_size_y
      - .offset:         64
        .size:           2
        .value_kind:     hidden_group_size_z
      - .offset:         66
        .size:           2
        .value_kind:     hidden_remainder_x
      - .offset:         68
        .size:           2
        .value_kind:     hidden_remainder_y
      - .offset:         70
        .size:           2
        .value_kind:     hidden_remainder_z
      - .offset:         88
        .size:           8
        .value_kind:     hidden_global_offset_x
      - .offset:         96
        .size:           8
        .value_kind:     hidden_global_offset_y
      - .offset:         104
        .size:           8
        .value_kind:     hidden_global_offset_z
      - .offset:         112
        .size:           2
        .value_kind:     hidden_grid_dims
    .group_segment_fixed_size: 0
    .kernarg_segment_align: 8
    .kernarg_segment_size: 304
    .language:       OpenCL C
    .language_version:
      - 2
      - 0
    .max_flat_workgroup_size: 1024
    .name:           _ZN12_GLOBAL__N_120softmax_warp_forwardIN3c104HalfEffLi4ELb0ELb0ELi32EEEvPT0_PKT_iiiPKbib
    .private_segment_fixed_size: 0
    .sgpr_count:     18
    .sgpr_spill_count: 0
    .symbol:         _ZN12_GLOBAL__N_120softmax_warp_forwardIN3c104HalfEffLi4ELb0ELb0ELi32EEEvPT0_PKT_iiiPKbib.kd
    .uniform_work_group_size: 1
    .uses_dynamic_stack: false
    .vgpr_count:     15
    .vgpr_spill_count: 0
    .wavefront_size: 32
    .workgroup_processor_mode: 1
  - .args:
      - .address_space:  global
        .offset:         0
        .size:           8
        .value_kind:     global_buffer
      - .address_space:  global
        .offset:         8
        .size:           8
        .value_kind:     global_buffer
      - .offset:         16
        .size:           4
        .value_kind:     by_value
      - .offset:         20
        .size:           4
        .value_kind:     by_value
      - .offset:         24
        .size:           4
        .value_kind:     by_value
      - .address_space:  global
        .offset:         32
        .size:           8
        .value_kind:     global_buffer
      - .offset:         40
        .size:           4
        .value_kind:     by_value
      - .offset:         44
        .size:           1
        .value_kind:     by_value
      - .offset:         48
        .size:           4
        .value_kind:     hidden_block_count_x
      - .offset:         52
        .size:           4
        .value_kind:     hidden_block_count_y
      - .offset:         56
        .size:           4
        .value_kind:     hidden_block_count_z
      - .offset:         60
        .size:           2
        .value_kind:     hidden_group_size_x
      - .offset:         62
        .size:           2
        .value_kind:     hidden_group_size_y
      - .offset:         64
        .size:           2
        .value_kind:     hidden_group_size_z
      - .offset:         66
        .size:           2
        .value_kind:     hidden_remainder_x
      - .offset:         68
        .size:           2
        .value_kind:     hidden_remainder_y
      - .offset:         70
        .size:           2
        .value_kind:     hidden_remainder_z
      - .offset:         88
        .size:           8
        .value_kind:     hidden_global_offset_x
      - .offset:         96
        .size:           8
        .value_kind:     hidden_global_offset_y
      - .offset:         104
        .size:           8
        .value_kind:     hidden_global_offset_z
      - .offset:         112
        .size:           2
        .value_kind:     hidden_grid_dims
    .group_segment_fixed_size: 0
    .kernarg_segment_align: 8
    .kernarg_segment_size: 304
    .language:       OpenCL C
    .language_version:
      - 2
      - 0
    .max_flat_workgroup_size: 1024
    .name:           _ZN12_GLOBAL__N_120softmax_warp_forwardIN3c104HalfEffLi5ELb0ELb0ELi64EEEvPT0_PKT_iiiPKbib
    .private_segment_fixed_size: 0
    .sgpr_count:     18
    .sgpr_spill_count: 0
    .symbol:         _ZN12_GLOBAL__N_120softmax_warp_forwardIN3c104HalfEffLi5ELb0ELb0ELi64EEEvPT0_PKT_iiiPKbib.kd
    .uniform_work_group_size: 1
    .uses_dynamic_stack: false
    .vgpr_count:     16
    .vgpr_spill_count: 0
    .wavefront_size: 32
    .workgroup_processor_mode: 1
  - .args:
      - .address_space:  global
        .offset:         0
        .size:           8
        .value_kind:     global_buffer
      - .address_space:  global
        .offset:         8
        .size:           8
        .value_kind:     global_buffer
      - .offset:         16
        .size:           4
        .value_kind:     by_value
      - .offset:         20
        .size:           4
        .value_kind:     by_value
      - .offset:         24
        .size:           4
        .value_kind:     by_value
      - .address_space:  global
        .offset:         32
        .size:           8
        .value_kind:     global_buffer
      - .offset:         40
        .size:           4
        .value_kind:     by_value
      - .offset:         44
        .size:           1
        .value_kind:     by_value
      - .offset:         48
        .size:           4
        .value_kind:     hidden_block_count_x
      - .offset:         52
        .size:           4
        .value_kind:     hidden_block_count_y
      - .offset:         56
        .size:           4
        .value_kind:     hidden_block_count_z
      - .offset:         60
        .size:           2
        .value_kind:     hidden_group_size_x
      - .offset:         62
        .size:           2
        .value_kind:     hidden_group_size_y
      - .offset:         64
        .size:           2
        .value_kind:     hidden_group_size_z
      - .offset:         66
        .size:           2
        .value_kind:     hidden_remainder_x
      - .offset:         68
        .size:           2
        .value_kind:     hidden_remainder_y
      - .offset:         70
        .size:           2
        .value_kind:     hidden_remainder_z
      - .offset:         88
        .size:           8
        .value_kind:     hidden_global_offset_x
      - .offset:         96
        .size:           8
        .value_kind:     hidden_global_offset_y
      - .offset:         104
        .size:           8
        .value_kind:     hidden_global_offset_z
      - .offset:         112
        .size:           2
        .value_kind:     hidden_grid_dims
    .group_segment_fixed_size: 0
    .kernarg_segment_align: 8
    .kernarg_segment_size: 304
    .language:       OpenCL C
    .language_version:
      - 2
      - 0
    .max_flat_workgroup_size: 1024
    .name:           _ZN12_GLOBAL__N_120softmax_warp_forwardIN3c104HalfEffLi5ELb0ELb0ELi32EEEvPT0_PKT_iiiPKbib
    .private_segment_fixed_size: 0
    .sgpr_count:     18
    .sgpr_spill_count: 0
    .symbol:         _ZN12_GLOBAL__N_120softmax_warp_forwardIN3c104HalfEffLi5ELb0ELb0ELi32EEEvPT0_PKT_iiiPKbib.kd
    .uniform_work_group_size: 1
    .uses_dynamic_stack: false
    .vgpr_count:     16
    .vgpr_spill_count: 0
    .wavefront_size: 32
    .workgroup_processor_mode: 1
  - .args:
      - .address_space:  global
        .offset:         0
        .size:           8
        .value_kind:     global_buffer
      - .address_space:  global
        .offset:         8
        .size:           8
        .value_kind:     global_buffer
      - .offset:         16
        .size:           4
        .value_kind:     by_value
      - .offset:         20
        .size:           4
        .value_kind:     by_value
      - .offset:         24
        .size:           4
        .value_kind:     by_value
      - .address_space:  global
        .offset:         32
        .size:           8
        .value_kind:     global_buffer
      - .offset:         40
        .size:           4
        .value_kind:     by_value
      - .offset:         44
        .size:           1
        .value_kind:     by_value
      - .offset:         48
        .size:           4
        .value_kind:     hidden_block_count_x
      - .offset:         52
        .size:           4
        .value_kind:     hidden_block_count_y
      - .offset:         56
        .size:           4
        .value_kind:     hidden_block_count_z
      - .offset:         60
        .size:           2
        .value_kind:     hidden_group_size_x
      - .offset:         62
        .size:           2
        .value_kind:     hidden_group_size_y
      - .offset:         64
        .size:           2
        .value_kind:     hidden_group_size_z
      - .offset:         66
        .size:           2
        .value_kind:     hidden_remainder_x
      - .offset:         68
        .size:           2
        .value_kind:     hidden_remainder_y
      - .offset:         70
        .size:           2
        .value_kind:     hidden_remainder_z
      - .offset:         88
        .size:           8
        .value_kind:     hidden_global_offset_x
      - .offset:         96
        .size:           8
        .value_kind:     hidden_global_offset_y
      - .offset:         104
        .size:           8
        .value_kind:     hidden_global_offset_z
      - .offset:         112
        .size:           2
        .value_kind:     hidden_grid_dims
    .group_segment_fixed_size: 0
    .kernarg_segment_align: 8
    .kernarg_segment_size: 304
    .language:       OpenCL C
    .language_version:
      - 2
      - 0
    .max_flat_workgroup_size: 1024
    .name:           _ZN12_GLOBAL__N_120softmax_warp_forwardIN3c104HalfEffLi6ELb0ELb0ELi64EEEvPT0_PKT_iiiPKbib
    .private_segment_fixed_size: 0
    .sgpr_count:     18
    .sgpr_spill_count: 0
    .symbol:         _ZN12_GLOBAL__N_120softmax_warp_forwardIN3c104HalfEffLi6ELb0ELb0ELi64EEEvPT0_PKT_iiiPKbib.kd
    .uniform_work_group_size: 1
    .uses_dynamic_stack: false
    .vgpr_count:     17
    .vgpr_spill_count: 0
    .wavefront_size: 32
    .workgroup_processor_mode: 1
  - .args:
      - .address_space:  global
        .offset:         0
        .size:           8
        .value_kind:     global_buffer
      - .address_space:  global
        .offset:         8
        .size:           8
        .value_kind:     global_buffer
      - .offset:         16
        .size:           4
        .value_kind:     by_value
      - .offset:         20
        .size:           4
        .value_kind:     by_value
      - .offset:         24
        .size:           4
        .value_kind:     by_value
      - .address_space:  global
        .offset:         32
        .size:           8
        .value_kind:     global_buffer
      - .offset:         40
        .size:           4
        .value_kind:     by_value
      - .offset:         44
        .size:           1
        .value_kind:     by_value
      - .offset:         48
        .size:           4
        .value_kind:     hidden_block_count_x
      - .offset:         52
        .size:           4
        .value_kind:     hidden_block_count_y
      - .offset:         56
        .size:           4
        .value_kind:     hidden_block_count_z
      - .offset:         60
        .size:           2
        .value_kind:     hidden_group_size_x
      - .offset:         62
        .size:           2
        .value_kind:     hidden_group_size_y
      - .offset:         64
        .size:           2
        .value_kind:     hidden_group_size_z
      - .offset:         66
        .size:           2
        .value_kind:     hidden_remainder_x
      - .offset:         68
        .size:           2
        .value_kind:     hidden_remainder_y
      - .offset:         70
        .size:           2
        .value_kind:     hidden_remainder_z
      - .offset:         88
        .size:           8
        .value_kind:     hidden_global_offset_x
      - .offset:         96
        .size:           8
        .value_kind:     hidden_global_offset_y
      - .offset:         104
        .size:           8
        .value_kind:     hidden_global_offset_z
      - .offset:         112
        .size:           2
        .value_kind:     hidden_grid_dims
    .group_segment_fixed_size: 0
    .kernarg_segment_align: 8
    .kernarg_segment_size: 304
    .language:       OpenCL C
    .language_version:
      - 2
      - 0
    .max_flat_workgroup_size: 1024
    .name:           _ZN12_GLOBAL__N_120softmax_warp_forwardIN3c104HalfEffLi6ELb0ELb0ELi32EEEvPT0_PKT_iiiPKbib
    .private_segment_fixed_size: 0
    .sgpr_count:     18
    .sgpr_spill_count: 0
    .symbol:         _ZN12_GLOBAL__N_120softmax_warp_forwardIN3c104HalfEffLi6ELb0ELb0ELi32EEEvPT0_PKT_iiiPKbib.kd
    .uniform_work_group_size: 1
    .uses_dynamic_stack: false
    .vgpr_count:     24
    .vgpr_spill_count: 0
    .wavefront_size: 32
    .workgroup_processor_mode: 1
  - .args:
      - .address_space:  global
        .offset:         0
        .size:           8
        .value_kind:     global_buffer
      - .address_space:  global
        .offset:         8
        .size:           8
        .value_kind:     global_buffer
      - .offset:         16
        .size:           4
        .value_kind:     by_value
      - .offset:         20
        .size:           4
        .value_kind:     by_value
      - .offset:         24
        .size:           4
        .value_kind:     by_value
      - .address_space:  global
        .offset:         32
        .size:           8
        .value_kind:     global_buffer
      - .offset:         40
        .size:           4
        .value_kind:     by_value
      - .offset:         44
        .size:           1
        .value_kind:     by_value
      - .offset:         48
        .size:           4
        .value_kind:     hidden_block_count_x
      - .offset:         52
        .size:           4
        .value_kind:     hidden_block_count_y
      - .offset:         56
        .size:           4
        .value_kind:     hidden_block_count_z
      - .offset:         60
        .size:           2
        .value_kind:     hidden_group_size_x
      - .offset:         62
        .size:           2
        .value_kind:     hidden_group_size_y
      - .offset:         64
        .size:           2
        .value_kind:     hidden_group_size_z
      - .offset:         66
        .size:           2
        .value_kind:     hidden_remainder_x
      - .offset:         68
        .size:           2
        .value_kind:     hidden_remainder_y
      - .offset:         70
        .size:           2
        .value_kind:     hidden_remainder_z
      - .offset:         88
        .size:           8
        .value_kind:     hidden_global_offset_x
      - .offset:         96
        .size:           8
        .value_kind:     hidden_global_offset_y
      - .offset:         104
        .size:           8
        .value_kind:     hidden_global_offset_z
      - .offset:         112
        .size:           2
        .value_kind:     hidden_grid_dims
    .group_segment_fixed_size: 0
    .kernarg_segment_align: 8
    .kernarg_segment_size: 304
    .language:       OpenCL C
    .language_version:
      - 2
      - 0
    .max_flat_workgroup_size: 1024
    .name:           _ZN12_GLOBAL__N_120softmax_warp_forwardIN3c104HalfEffLi7ELb0ELb0ELi64EEEvPT0_PKT_iiiPKbib
    .private_segment_fixed_size: 0
    .sgpr_count:     18
    .sgpr_spill_count: 0
    .symbol:         _ZN12_GLOBAL__N_120softmax_warp_forwardIN3c104HalfEffLi7ELb0ELb0ELi64EEEvPT0_PKT_iiiPKbib.kd
    .uniform_work_group_size: 1
    .uses_dynamic_stack: false
    .vgpr_count:     25
    .vgpr_spill_count: 0
    .wavefront_size: 32
    .workgroup_processor_mode: 1
  - .args:
      - .address_space:  global
        .offset:         0
        .size:           8
        .value_kind:     global_buffer
      - .address_space:  global
        .offset:         8
        .size:           8
        .value_kind:     global_buffer
      - .offset:         16
        .size:           4
        .value_kind:     by_value
      - .offset:         20
        .size:           4
        .value_kind:     by_value
      - .offset:         24
        .size:           4
        .value_kind:     by_value
      - .address_space:  global
        .offset:         32
        .size:           8
        .value_kind:     global_buffer
      - .offset:         40
        .size:           4
        .value_kind:     by_value
      - .offset:         44
        .size:           1
        .value_kind:     by_value
      - .offset:         48
        .size:           4
        .value_kind:     hidden_block_count_x
      - .offset:         52
        .size:           4
        .value_kind:     hidden_block_count_y
      - .offset:         56
        .size:           4
        .value_kind:     hidden_block_count_z
      - .offset:         60
        .size:           2
        .value_kind:     hidden_group_size_x
      - .offset:         62
        .size:           2
        .value_kind:     hidden_group_size_y
      - .offset:         64
        .size:           2
        .value_kind:     hidden_group_size_z
      - .offset:         66
        .size:           2
        .value_kind:     hidden_remainder_x
      - .offset:         68
        .size:           2
        .value_kind:     hidden_remainder_y
      - .offset:         70
        .size:           2
        .value_kind:     hidden_remainder_z
      - .offset:         88
        .size:           8
        .value_kind:     hidden_global_offset_x
      - .offset:         96
        .size:           8
        .value_kind:     hidden_global_offset_y
      - .offset:         104
        .size:           8
        .value_kind:     hidden_global_offset_z
      - .offset:         112
        .size:           2
        .value_kind:     hidden_grid_dims
    .group_segment_fixed_size: 0
    .kernarg_segment_align: 8
    .kernarg_segment_size: 304
    .language:       OpenCL C
    .language_version:
      - 2
      - 0
    .max_flat_workgroup_size: 1024
    .name:           _ZN12_GLOBAL__N_120softmax_warp_forwardIN3c104HalfEffLi7ELb0ELb0ELi32EEEvPT0_PKT_iiiPKbib
    .private_segment_fixed_size: 0
    .sgpr_count:     18
    .sgpr_spill_count: 0
    .symbol:         _ZN12_GLOBAL__N_120softmax_warp_forwardIN3c104HalfEffLi7ELb0ELb0ELi32EEEvPT0_PKT_iiiPKbib.kd
    .uniform_work_group_size: 1
    .uses_dynamic_stack: false
    .vgpr_count:     40
    .vgpr_spill_count: 0
    .wavefront_size: 32
    .workgroup_processor_mode: 1
  - .args:
      - .address_space:  global
        .offset:         0
        .size:           8
        .value_kind:     global_buffer
      - .address_space:  global
        .offset:         8
        .size:           8
        .value_kind:     global_buffer
      - .offset:         16
        .size:           4
        .value_kind:     by_value
      - .offset:         20
        .size:           4
        .value_kind:     by_value
      - .offset:         24
        .size:           4
        .value_kind:     by_value
      - .address_space:  global
        .offset:         32
        .size:           8
        .value_kind:     global_buffer
      - .offset:         40
        .size:           4
        .value_kind:     by_value
      - .offset:         44
        .size:           1
        .value_kind:     by_value
      - .offset:         48
        .size:           4
        .value_kind:     hidden_block_count_x
      - .offset:         52
        .size:           4
        .value_kind:     hidden_block_count_y
      - .offset:         56
        .size:           4
        .value_kind:     hidden_block_count_z
      - .offset:         60
        .size:           2
        .value_kind:     hidden_group_size_x
      - .offset:         62
        .size:           2
        .value_kind:     hidden_group_size_y
      - .offset:         64
        .size:           2
        .value_kind:     hidden_group_size_z
      - .offset:         66
        .size:           2
        .value_kind:     hidden_remainder_x
      - .offset:         68
        .size:           2
        .value_kind:     hidden_remainder_y
      - .offset:         70
        .size:           2
        .value_kind:     hidden_remainder_z
      - .offset:         88
        .size:           8
        .value_kind:     hidden_global_offset_x
      - .offset:         96
        .size:           8
        .value_kind:     hidden_global_offset_y
      - .offset:         104
        .size:           8
        .value_kind:     hidden_global_offset_z
      - .offset:         112
        .size:           2
        .value_kind:     hidden_grid_dims
    .group_segment_fixed_size: 0
    .kernarg_segment_align: 8
    .kernarg_segment_size: 304
    .language:       OpenCL C
    .language_version:
      - 2
      - 0
    .max_flat_workgroup_size: 1024
    .name:           _ZN12_GLOBAL__N_120softmax_warp_forwardIN3c104HalfEffLi8ELb0ELb0ELi64EEEvPT0_PKT_iiiPKbib
    .private_segment_fixed_size: 0
    .sgpr_count:     18
    .sgpr_spill_count: 0
    .symbol:         _ZN12_GLOBAL__N_120softmax_warp_forwardIN3c104HalfEffLi8ELb0ELb0ELi64EEEvPT0_PKT_iiiPKbib.kd
    .uniform_work_group_size: 1
    .uses_dynamic_stack: false
    .vgpr_count:     24
    .vgpr_spill_count: 0
    .wavefront_size: 32
    .workgroup_processor_mode: 1
  - .args:
      - .address_space:  global
        .offset:         0
        .size:           8
        .value_kind:     global_buffer
      - .address_space:  global
        .offset:         8
        .size:           8
        .value_kind:     global_buffer
      - .offset:         16
        .size:           4
        .value_kind:     by_value
      - .offset:         20
        .size:           4
        .value_kind:     by_value
      - .offset:         24
        .size:           4
        .value_kind:     by_value
      - .address_space:  global
        .offset:         32
        .size:           8
        .value_kind:     global_buffer
      - .offset:         40
        .size:           4
        .value_kind:     by_value
      - .offset:         44
        .size:           1
        .value_kind:     by_value
      - .offset:         48
        .size:           4
        .value_kind:     hidden_block_count_x
      - .offset:         52
        .size:           4
        .value_kind:     hidden_block_count_y
      - .offset:         56
        .size:           4
        .value_kind:     hidden_block_count_z
      - .offset:         60
        .size:           2
        .value_kind:     hidden_group_size_x
      - .offset:         62
        .size:           2
        .value_kind:     hidden_group_size_y
      - .offset:         64
        .size:           2
        .value_kind:     hidden_group_size_z
      - .offset:         66
        .size:           2
        .value_kind:     hidden_remainder_x
      - .offset:         68
        .size:           2
        .value_kind:     hidden_remainder_y
      - .offset:         70
        .size:           2
        .value_kind:     hidden_remainder_z
      - .offset:         88
        .size:           8
        .value_kind:     hidden_global_offset_x
      - .offset:         96
        .size:           8
        .value_kind:     hidden_global_offset_y
      - .offset:         104
        .size:           8
        .value_kind:     hidden_global_offset_z
      - .offset:         112
        .size:           2
        .value_kind:     hidden_grid_dims
    .group_segment_fixed_size: 0
    .kernarg_segment_align: 8
    .kernarg_segment_size: 304
    .language:       OpenCL C
    .language_version:
      - 2
      - 0
    .max_flat_workgroup_size: 1024
    .name:           _ZN12_GLOBAL__N_120softmax_warp_forwardIN3c104HalfEffLi8ELb0ELb0ELi32EEEvPT0_PKT_iiiPKbib
    .private_segment_fixed_size: 0
    .sgpr_count:     18
    .sgpr_spill_count: 0
    .symbol:         _ZN12_GLOBAL__N_120softmax_warp_forwardIN3c104HalfEffLi8ELb0ELb0ELi32EEEvPT0_PKT_iiiPKbib.kd
    .uniform_work_group_size: 1
    .uses_dynamic_stack: false
    .vgpr_count:     40
    .vgpr_spill_count: 0
    .wavefront_size: 32
    .workgroup_processor_mode: 1
  - .args:
      - .address_space:  global
        .offset:         0
        .size:           8
        .value_kind:     global_buffer
      - .address_space:  global
        .offset:         8
        .size:           8
        .value_kind:     global_buffer
      - .offset:         16
        .size:           4
        .value_kind:     by_value
      - .offset:         20
        .size:           4
        .value_kind:     by_value
      - .offset:         24
        .size:           4
        .value_kind:     by_value
      - .address_space:  global
        .offset:         32
        .size:           8
        .value_kind:     global_buffer
      - .offset:         40
        .size:           4
        .value_kind:     by_value
      - .offset:         44
        .size:           1
        .value_kind:     by_value
      - .offset:         48
        .size:           4
        .value_kind:     hidden_block_count_x
      - .offset:         52
        .size:           4
        .value_kind:     hidden_block_count_y
      - .offset:         56
        .size:           4
        .value_kind:     hidden_block_count_z
      - .offset:         60
        .size:           2
        .value_kind:     hidden_group_size_x
      - .offset:         62
        .size:           2
        .value_kind:     hidden_group_size_y
      - .offset:         64
        .size:           2
        .value_kind:     hidden_group_size_z
      - .offset:         66
        .size:           2
        .value_kind:     hidden_remainder_x
      - .offset:         68
        .size:           2
        .value_kind:     hidden_remainder_y
      - .offset:         70
        .size:           2
        .value_kind:     hidden_remainder_z
      - .offset:         88
        .size:           8
        .value_kind:     hidden_global_offset_x
      - .offset:         96
        .size:           8
        .value_kind:     hidden_global_offset_y
      - .offset:         104
        .size:           8
        .value_kind:     hidden_global_offset_z
      - .offset:         112
        .size:           2
        .value_kind:     hidden_grid_dims
    .group_segment_fixed_size: 0
    .kernarg_segment_align: 8
    .kernarg_segment_size: 304
    .language:       OpenCL C
    .language_version:
      - 2
      - 0
    .max_flat_workgroup_size: 1024
    .name:           _ZN12_GLOBAL__N_120softmax_warp_forwardIN3c104HalfEffLi9ELb0ELb0ELi64EEEvPT0_PKT_iiiPKbib
    .private_segment_fixed_size: 0
    .sgpr_count:     18
    .sgpr_spill_count: 0
    .symbol:         _ZN12_GLOBAL__N_120softmax_warp_forwardIN3c104HalfEffLi9ELb0ELb0ELi64EEEvPT0_PKT_iiiPKbib.kd
    .uniform_work_group_size: 1
    .uses_dynamic_stack: false
    .vgpr_count:     41
    .vgpr_spill_count: 0
    .wavefront_size: 32
    .workgroup_processor_mode: 1
  - .args:
      - .address_space:  global
        .offset:         0
        .size:           8
        .value_kind:     global_buffer
      - .address_space:  global
        .offset:         8
        .size:           8
        .value_kind:     global_buffer
      - .offset:         16
        .size:           4
        .value_kind:     by_value
      - .offset:         20
        .size:           4
        .value_kind:     by_value
      - .offset:         24
        .size:           4
        .value_kind:     by_value
      - .address_space:  global
        .offset:         32
        .size:           8
        .value_kind:     global_buffer
      - .offset:         40
        .size:           4
        .value_kind:     by_value
      - .offset:         44
        .size:           1
        .value_kind:     by_value
      - .offset:         48
        .size:           4
        .value_kind:     hidden_block_count_x
      - .offset:         52
        .size:           4
        .value_kind:     hidden_block_count_y
      - .offset:         56
        .size:           4
        .value_kind:     hidden_block_count_z
      - .offset:         60
        .size:           2
        .value_kind:     hidden_group_size_x
      - .offset:         62
        .size:           2
        .value_kind:     hidden_group_size_y
      - .offset:         64
        .size:           2
        .value_kind:     hidden_group_size_z
      - .offset:         66
        .size:           2
        .value_kind:     hidden_remainder_x
      - .offset:         68
        .size:           2
        .value_kind:     hidden_remainder_y
      - .offset:         70
        .size:           2
        .value_kind:     hidden_remainder_z
      - .offset:         88
        .size:           8
        .value_kind:     hidden_global_offset_x
      - .offset:         96
        .size:           8
        .value_kind:     hidden_global_offset_y
      - .offset:         104
        .size:           8
        .value_kind:     hidden_global_offset_z
      - .offset:         112
        .size:           2
        .value_kind:     hidden_grid_dims
    .group_segment_fixed_size: 0
    .kernarg_segment_align: 8
    .kernarg_segment_size: 304
    .language:       OpenCL C
    .language_version:
      - 2
      - 0
    .max_flat_workgroup_size: 1024
    .name:           _ZN12_GLOBAL__N_120softmax_warp_forwardIN3c104HalfEffLi9ELb0ELb0ELi32EEEvPT0_PKT_iiiPKbib
    .private_segment_fixed_size: 0
    .sgpr_count:     26
    .sgpr_spill_count: 0
    .symbol:         _ZN12_GLOBAL__N_120softmax_warp_forwardIN3c104HalfEffLi9ELb0ELb0ELi32EEEvPT0_PKT_iiiPKbib.kd
    .uniform_work_group_size: 1
    .uses_dynamic_stack: false
    .vgpr_count:     62
    .vgpr_spill_count: 0
    .wavefront_size: 32
    .workgroup_processor_mode: 1
  - .args:
      - .address_space:  global
        .offset:         0
        .size:           8
        .value_kind:     global_buffer
      - .address_space:  global
        .offset:         8
        .size:           8
        .value_kind:     global_buffer
      - .offset:         16
        .size:           4
        .value_kind:     by_value
      - .offset:         20
        .size:           4
        .value_kind:     by_value
      - .offset:         24
        .size:           4
        .value_kind:     by_value
      - .address_space:  global
        .offset:         32
        .size:           8
        .value_kind:     global_buffer
      - .offset:         40
        .size:           4
        .value_kind:     by_value
      - .offset:         44
        .size:           1
        .value_kind:     by_value
      - .offset:         48
        .size:           4
        .value_kind:     hidden_block_count_x
      - .offset:         52
        .size:           4
        .value_kind:     hidden_block_count_y
      - .offset:         56
        .size:           4
        .value_kind:     hidden_block_count_z
      - .offset:         60
        .size:           2
        .value_kind:     hidden_group_size_x
      - .offset:         62
        .size:           2
        .value_kind:     hidden_group_size_y
      - .offset:         64
        .size:           2
        .value_kind:     hidden_group_size_z
      - .offset:         66
        .size:           2
        .value_kind:     hidden_remainder_x
      - .offset:         68
        .size:           2
        .value_kind:     hidden_remainder_y
      - .offset:         70
        .size:           2
        .value_kind:     hidden_remainder_z
      - .offset:         88
        .size:           8
        .value_kind:     hidden_global_offset_x
      - .offset:         96
        .size:           8
        .value_kind:     hidden_global_offset_y
      - .offset:         104
        .size:           8
        .value_kind:     hidden_global_offset_z
      - .offset:         112
        .size:           2
        .value_kind:     hidden_grid_dims
    .group_segment_fixed_size: 0
    .kernarg_segment_align: 8
    .kernarg_segment_size: 304
    .language:       OpenCL C
    .language_version:
      - 2
      - 0
    .max_flat_workgroup_size: 1024
    .name:           _ZN12_GLOBAL__N_120softmax_warp_forwardIN3c104HalfEffLi10ELb0ELb0ELi64EEEvPT0_PKT_iiiPKbib
    .private_segment_fixed_size: 0
    .sgpr_count:     26
    .sgpr_spill_count: 0
    .symbol:         _ZN12_GLOBAL__N_120softmax_warp_forwardIN3c104HalfEffLi10ELb0ELb0ELi64EEEvPT0_PKT_iiiPKbib.kd
    .uniform_work_group_size: 1
    .uses_dynamic_stack: false
    .vgpr_count:     62
    .vgpr_spill_count: 0
    .wavefront_size: 32
    .workgroup_processor_mode: 1
  - .args:
      - .address_space:  global
        .offset:         0
        .size:           8
        .value_kind:     global_buffer
      - .address_space:  global
        .offset:         8
        .size:           8
        .value_kind:     global_buffer
      - .offset:         16
        .size:           4
        .value_kind:     by_value
      - .offset:         20
        .size:           4
        .value_kind:     by_value
      - .offset:         24
        .size:           4
        .value_kind:     by_value
      - .address_space:  global
        .offset:         32
        .size:           8
        .value_kind:     global_buffer
      - .offset:         40
        .size:           4
        .value_kind:     by_value
      - .offset:         44
        .size:           1
        .value_kind:     by_value
      - .offset:         48
        .size:           4
        .value_kind:     hidden_block_count_x
      - .offset:         52
        .size:           4
        .value_kind:     hidden_block_count_y
      - .offset:         56
        .size:           4
        .value_kind:     hidden_block_count_z
      - .offset:         60
        .size:           2
        .value_kind:     hidden_group_size_x
      - .offset:         62
        .size:           2
        .value_kind:     hidden_group_size_y
      - .offset:         64
        .size:           2
        .value_kind:     hidden_group_size_z
      - .offset:         66
        .size:           2
        .value_kind:     hidden_remainder_x
      - .offset:         68
        .size:           2
        .value_kind:     hidden_remainder_y
      - .offset:         70
        .size:           2
        .value_kind:     hidden_remainder_z
      - .offset:         88
        .size:           8
        .value_kind:     hidden_global_offset_x
      - .offset:         96
        .size:           8
        .value_kind:     hidden_global_offset_y
      - .offset:         104
        .size:           8
        .value_kind:     hidden_global_offset_z
      - .offset:         112
        .size:           2
        .value_kind:     hidden_grid_dims
    .group_segment_fixed_size: 0
    .kernarg_segment_align: 8
    .kernarg_segment_size: 304
    .language:       OpenCL C
    .language_version:
      - 2
      - 0
    .max_flat_workgroup_size: 1024
    .name:           _ZN12_GLOBAL__N_120softmax_warp_forwardIN3c104HalfEffLi10ELb0ELb0ELi32EEEvPT0_PKT_iiiPKbib
    .private_segment_fixed_size: 0
    .sgpr_count:     46
    .sgpr_spill_count: 0
    .symbol:         _ZN12_GLOBAL__N_120softmax_warp_forwardIN3c104HalfEffLi10ELb0ELb0ELi32EEEvPT0_PKT_iiiPKbib.kd
    .uniform_work_group_size: 1
    .uses_dynamic_stack: false
    .vgpr_count:     45
    .vgpr_spill_count: 0
    .wavefront_size: 32
    .workgroup_processor_mode: 1
  - .args:
      - .address_space:  global
        .offset:         0
        .size:           8
        .value_kind:     global_buffer
      - .address_space:  global
        .offset:         8
        .size:           8
        .value_kind:     global_buffer
      - .offset:         16
        .size:           4
        .value_kind:     by_value
      - .offset:         20
        .size:           4
        .value_kind:     by_value
      - .offset:         24
        .size:           4
        .value_kind:     by_value
      - .address_space:  global
        .offset:         32
        .size:           8
        .value_kind:     global_buffer
      - .offset:         40
        .size:           4
        .value_kind:     by_value
      - .offset:         44
        .size:           1
        .value_kind:     by_value
      - .offset:         48
        .size:           4
        .value_kind:     hidden_block_count_x
      - .offset:         52
        .size:           4
        .value_kind:     hidden_block_count_y
      - .offset:         56
        .size:           4
        .value_kind:     hidden_block_count_z
      - .offset:         60
        .size:           2
        .value_kind:     hidden_group_size_x
      - .offset:         62
        .size:           2
        .value_kind:     hidden_group_size_y
      - .offset:         64
        .size:           2
        .value_kind:     hidden_group_size_z
      - .offset:         66
        .size:           2
        .value_kind:     hidden_remainder_x
      - .offset:         68
        .size:           2
        .value_kind:     hidden_remainder_y
      - .offset:         70
        .size:           2
        .value_kind:     hidden_remainder_z
      - .offset:         88
        .size:           8
        .value_kind:     hidden_global_offset_x
      - .offset:         96
        .size:           8
        .value_kind:     hidden_global_offset_y
      - .offset:         104
        .size:           8
        .value_kind:     hidden_global_offset_z
      - .offset:         112
        .size:           2
        .value_kind:     hidden_grid_dims
    .group_segment_fixed_size: 0
    .kernarg_segment_align: 8
    .kernarg_segment_size: 304
    .language:       OpenCL C
    .language_version:
      - 2
      - 0
    .max_flat_workgroup_size: 1024
    .name:           _ZN12_GLOBAL__N_120softmax_warp_forwardIN3c104HalfEffLi11ELb0ELb0ELi64EEEvPT0_PKT_iiiPKbib
    .private_segment_fixed_size: 0
    .sgpr_count:     46
    .sgpr_spill_count: 0
    .symbol:         _ZN12_GLOBAL__N_120softmax_warp_forwardIN3c104HalfEffLi11ELb0ELb0ELi64EEEvPT0_PKT_iiiPKbib.kd
    .uniform_work_group_size: 1
    .uses_dynamic_stack: false
    .vgpr_count:     46
    .vgpr_spill_count: 0
    .wavefront_size: 32
    .workgroup_processor_mode: 1
  - .args:
      - .address_space:  global
        .offset:         0
        .size:           8
        .value_kind:     global_buffer
      - .address_space:  global
        .offset:         8
        .size:           8
        .value_kind:     global_buffer
      - .offset:         16
        .size:           4
        .value_kind:     by_value
      - .offset:         20
        .size:           4
        .value_kind:     by_value
      - .offset:         24
        .size:           4
        .value_kind:     by_value
      - .address_space:  global
        .offset:         32
        .size:           8
        .value_kind:     global_buffer
      - .offset:         40
        .size:           4
        .value_kind:     by_value
      - .offset:         44
        .size:           1
        .value_kind:     by_value
      - .offset:         48
        .size:           4
        .value_kind:     hidden_block_count_x
      - .offset:         52
        .size:           4
        .value_kind:     hidden_block_count_y
      - .offset:         56
        .size:           4
        .value_kind:     hidden_block_count_z
      - .offset:         60
        .size:           2
        .value_kind:     hidden_group_size_x
      - .offset:         62
        .size:           2
        .value_kind:     hidden_group_size_y
      - .offset:         64
        .size:           2
        .value_kind:     hidden_group_size_z
      - .offset:         66
        .size:           2
        .value_kind:     hidden_remainder_x
      - .offset:         68
        .size:           2
        .value_kind:     hidden_remainder_y
      - .offset:         70
        .size:           2
        .value_kind:     hidden_remainder_z
      - .offset:         88
        .size:           8
        .value_kind:     hidden_global_offset_x
      - .offset:         96
        .size:           8
        .value_kind:     hidden_global_offset_y
      - .offset:         104
        .size:           8
        .value_kind:     hidden_global_offset_z
      - .offset:         112
        .size:           2
        .value_kind:     hidden_grid_dims
    .group_segment_fixed_size: 0
    .kernarg_segment_align: 8
    .kernarg_segment_size: 304
    .language:       OpenCL C
    .language_version:
      - 2
      - 0
    .max_flat_workgroup_size: 1024
    .name:           _ZN12_GLOBAL__N_120softmax_warp_forwardIN3c104HalfEffLi11ELb0ELb0ELi32EEEvPT0_PKT_iiiPKbib
    .private_segment_fixed_size: 0
    .sgpr_count:     78
    .sgpr_spill_count: 0
    .symbol:         _ZN12_GLOBAL__N_120softmax_warp_forwardIN3c104HalfEffLi11ELb0ELb0ELi32EEEvPT0_PKT_iiiPKbib.kd
    .uniform_work_group_size: 1
    .uses_dynamic_stack: false
    .vgpr_count:     77
    .vgpr_spill_count: 0
    .wavefront_size: 32
    .workgroup_processor_mode: 1
  - .args:
      - .address_space:  global
        .offset:         0
        .size:           8
        .value_kind:     global_buffer
      - .address_space:  global
        .offset:         8
        .size:           8
        .value_kind:     global_buffer
      - .offset:         16
        .size:           8
        .value_kind:     by_value
      - .offset:         24
        .size:           4
        .value_kind:     hidden_block_count_x
      - .offset:         28
        .size:           4
        .value_kind:     hidden_block_count_y
      - .offset:         32
        .size:           4
        .value_kind:     hidden_block_count_z
      - .offset:         36
        .size:           2
        .value_kind:     hidden_group_size_x
      - .offset:         38
        .size:           2
        .value_kind:     hidden_group_size_y
      - .offset:         40
        .size:           2
        .value_kind:     hidden_group_size_z
      - .offset:         42
        .size:           2
        .value_kind:     hidden_remainder_x
      - .offset:         44
        .size:           2
        .value_kind:     hidden_remainder_y
      - .offset:         46
        .size:           2
        .value_kind:     hidden_remainder_z
      - .offset:         64
        .size:           8
        .value_kind:     hidden_global_offset_x
      - .offset:         72
        .size:           8
        .value_kind:     hidden_global_offset_y
      - .offset:         80
        .size:           8
        .value_kind:     hidden_global_offset_z
      - .offset:         88
        .size:           2
        .value_kind:     hidden_grid_dims
      - .offset:         144
        .size:           4
        .value_kind:     hidden_dynamic_lds_size
    .group_segment_fixed_size: 0
    .kernarg_segment_align: 8
    .kernarg_segment_size: 280
    .language:       OpenCL C
    .language_version:
      - 2
      - 0
    .max_flat_workgroup_size: 1024
    .name:           _ZN2at6native12_GLOBAL__N_123cunn_SoftMaxForwardGmemILi8EN3c104HalfEffNS1_29SoftMaxForwardWithMulEpilogueElEEvPT2_PKT0_T4_
    .private_segment_fixed_size: 0
    .sgpr_count:     22
    .sgpr_spill_count: 0
    .symbol:         _ZN2at6native12_GLOBAL__N_123cunn_SoftMaxForwardGmemILi8EN3c104HalfEffNS1_29SoftMaxForwardWithMulEpilogueElEEvPT2_PKT0_T4_.kd
    .uniform_work_group_size: 1
    .uses_dynamic_stack: false
    .vgpr_count:     24
    .vgpr_spill_count: 0
    .wavefront_size: 32
    .workgroup_processor_mode: 1
  - .args:
      - .address_space:  global
        .offset:         0
        .size:           8
        .value_kind:     global_buffer
      - .address_space:  global
        .offset:         8
        .size:           8
        .value_kind:     global_buffer
      - .offset:         16
        .size:           4
        .value_kind:     by_value
      - .offset:         24
        .size:           4
        .value_kind:     hidden_block_count_x
      - .offset:         28
        .size:           4
        .value_kind:     hidden_block_count_y
      - .offset:         32
        .size:           4
        .value_kind:     hidden_block_count_z
      - .offset:         36
        .size:           2
        .value_kind:     hidden_group_size_x
      - .offset:         38
        .size:           2
        .value_kind:     hidden_group_size_y
      - .offset:         40
        .size:           2
        .value_kind:     hidden_group_size_z
      - .offset:         42
        .size:           2
        .value_kind:     hidden_remainder_x
      - .offset:         44
        .size:           2
        .value_kind:     hidden_remainder_y
      - .offset:         46
        .size:           2
        .value_kind:     hidden_remainder_z
      - .offset:         64
        .size:           8
        .value_kind:     hidden_global_offset_x
      - .offset:         72
        .size:           8
        .value_kind:     hidden_global_offset_y
      - .offset:         80
        .size:           8
        .value_kind:     hidden_global_offset_z
      - .offset:         88
        .size:           2
        .value_kind:     hidden_grid_dims
      - .offset:         144
        .size:           4
        .value_kind:     hidden_dynamic_lds_size
    .group_segment_fixed_size: 0
    .kernarg_segment_align: 8
    .kernarg_segment_size: 280
    .language:       OpenCL C
    .language_version:
      - 2
      - 0
    .max_flat_workgroup_size: 1024
    .name:           _ZN2at6native12_GLOBAL__N_123cunn_SoftMaxForwardFastILi8EN3c104HalfEffNS1_29SoftMaxForwardWithMulEpilogueEEEvPT2_PKT0_i
    .private_segment_fixed_size: 0
    .sgpr_count:     23
    .sgpr_spill_count: 0
    .symbol:         _ZN2at6native12_GLOBAL__N_123cunn_SoftMaxForwardFastILi8EN3c104HalfEffNS1_29SoftMaxForwardWithMulEpilogueEEEvPT2_PKT0_i.kd
    .uniform_work_group_size: 1
    .uses_dynamic_stack: false
    .vgpr_count:     19
    .vgpr_spill_count: 0
    .wavefront_size: 32
    .workgroup_processor_mode: 1
  - .args:
      - .address_space:  global
        .offset:         0
        .size:           8
        .value_kind:     global_buffer
      - .address_space:  global
        .offset:         8
        .size:           8
        .value_kind:     global_buffer
      - .offset:         16
        .size:           4
        .value_kind:     by_value
      - .offset:         20
        .size:           4
        .value_kind:     by_value
      - .offset:         24
        .size:           4
        .value_kind:     by_value
      - .address_space:  global
        .offset:         32
        .size:           8
        .value_kind:     global_buffer
      - .offset:         40
        .size:           4
        .value_kind:     by_value
      - .offset:         44
        .size:           1
        .value_kind:     by_value
      - .offset:         48
        .size:           4
        .value_kind:     hidden_block_count_x
      - .offset:         52
        .size:           4
        .value_kind:     hidden_block_count_y
      - .offset:         56
        .size:           4
        .value_kind:     hidden_block_count_z
      - .offset:         60
        .size:           2
        .value_kind:     hidden_group_size_x
      - .offset:         62
        .size:           2
        .value_kind:     hidden_group_size_y
      - .offset:         64
        .size:           2
        .value_kind:     hidden_group_size_z
      - .offset:         66
        .size:           2
        .value_kind:     hidden_remainder_x
      - .offset:         68
        .size:           2
        .value_kind:     hidden_remainder_y
      - .offset:         70
        .size:           2
        .value_kind:     hidden_remainder_z
      - .offset:         88
        .size:           8
        .value_kind:     hidden_global_offset_x
      - .offset:         96
        .size:           8
        .value_kind:     hidden_global_offset_y
      - .offset:         104
        .size:           8
        .value_kind:     hidden_global_offset_z
      - .offset:         112
        .size:           2
        .value_kind:     hidden_grid_dims
    .group_segment_fixed_size: 0
    .kernarg_segment_align: 8
    .kernarg_segment_size: 304
    .language:       OpenCL C
    .language_version:
      - 2
      - 0
    .max_flat_workgroup_size: 1024
    .name:           _ZN12_GLOBAL__N_120softmax_warp_forwardIN3c108BFloat16ES2_fLi0ELb0ELb0ELi64EEEvPT0_PKT_iiiPKbib
    .private_segment_fixed_size: 0
    .sgpr_count:     18
    .sgpr_spill_count: 0
    .symbol:         _ZN12_GLOBAL__N_120softmax_warp_forwardIN3c108BFloat16ES2_fLi0ELb0ELb0ELi64EEEvPT0_PKT_iiiPKbib.kd
    .uniform_work_group_size: 1
    .uses_dynamic_stack: false
    .vgpr_count:     9
    .vgpr_spill_count: 0
    .wavefront_size: 32
    .workgroup_processor_mode: 1
  - .args:
      - .address_space:  global
        .offset:         0
        .size:           8
        .value_kind:     global_buffer
      - .address_space:  global
        .offset:         8
        .size:           8
        .value_kind:     global_buffer
      - .offset:         16
        .size:           4
        .value_kind:     by_value
      - .offset:         20
        .size:           4
        .value_kind:     by_value
      - .offset:         24
        .size:           4
        .value_kind:     by_value
      - .address_space:  global
        .offset:         32
        .size:           8
        .value_kind:     global_buffer
      - .offset:         40
        .size:           4
        .value_kind:     by_value
      - .offset:         44
        .size:           1
        .value_kind:     by_value
      - .offset:         48
        .size:           4
        .value_kind:     hidden_block_count_x
      - .offset:         52
        .size:           4
        .value_kind:     hidden_block_count_y
      - .offset:         56
        .size:           4
        .value_kind:     hidden_block_count_z
      - .offset:         60
        .size:           2
        .value_kind:     hidden_group_size_x
      - .offset:         62
        .size:           2
        .value_kind:     hidden_group_size_y
      - .offset:         64
        .size:           2
        .value_kind:     hidden_group_size_z
      - .offset:         66
        .size:           2
        .value_kind:     hidden_remainder_x
      - .offset:         68
        .size:           2
        .value_kind:     hidden_remainder_y
      - .offset:         70
        .size:           2
        .value_kind:     hidden_remainder_z
      - .offset:         88
        .size:           8
        .value_kind:     hidden_global_offset_x
      - .offset:         96
        .size:           8
        .value_kind:     hidden_global_offset_y
      - .offset:         104
        .size:           8
        .value_kind:     hidden_global_offset_z
      - .offset:         112
        .size:           2
        .value_kind:     hidden_grid_dims
    .group_segment_fixed_size: 0
    .kernarg_segment_align: 8
    .kernarg_segment_size: 304
    .language:       OpenCL C
    .language_version:
      - 2
      - 0
    .max_flat_workgroup_size: 1024
    .name:           _ZN12_GLOBAL__N_120softmax_warp_forwardIN3c108BFloat16ES2_fLi0ELb0ELb0ELi32EEEvPT0_PKT_iiiPKbib
    .private_segment_fixed_size: 0
    .sgpr_count:     18
    .sgpr_spill_count: 0
    .symbol:         _ZN12_GLOBAL__N_120softmax_warp_forwardIN3c108BFloat16ES2_fLi0ELb0ELb0ELi32EEEvPT0_PKT_iiiPKbib.kd
    .uniform_work_group_size: 1
    .uses_dynamic_stack: false
    .vgpr_count:     9
    .vgpr_spill_count: 0
    .wavefront_size: 32
    .workgroup_processor_mode: 1
  - .args:
      - .address_space:  global
        .offset:         0
        .size:           8
        .value_kind:     global_buffer
      - .address_space:  global
        .offset:         8
        .size:           8
        .value_kind:     global_buffer
      - .offset:         16
        .size:           4
        .value_kind:     by_value
      - .offset:         20
        .size:           4
        .value_kind:     by_value
      - .offset:         24
        .size:           4
        .value_kind:     by_value
      - .address_space:  global
        .offset:         32
        .size:           8
        .value_kind:     global_buffer
      - .offset:         40
        .size:           4
        .value_kind:     by_value
      - .offset:         44
        .size:           1
        .value_kind:     by_value
      - .offset:         48
        .size:           4
        .value_kind:     hidden_block_count_x
      - .offset:         52
        .size:           4
        .value_kind:     hidden_block_count_y
      - .offset:         56
        .size:           4
        .value_kind:     hidden_block_count_z
      - .offset:         60
        .size:           2
        .value_kind:     hidden_group_size_x
      - .offset:         62
        .size:           2
        .value_kind:     hidden_group_size_y
      - .offset:         64
        .size:           2
        .value_kind:     hidden_group_size_z
      - .offset:         66
        .size:           2
        .value_kind:     hidden_remainder_x
      - .offset:         68
        .size:           2
        .value_kind:     hidden_remainder_y
      - .offset:         70
        .size:           2
        .value_kind:     hidden_remainder_z
      - .offset:         88
        .size:           8
        .value_kind:     hidden_global_offset_x
      - .offset:         96
        .size:           8
        .value_kind:     hidden_global_offset_y
      - .offset:         104
        .size:           8
        .value_kind:     hidden_global_offset_z
      - .offset:         112
        .size:           2
        .value_kind:     hidden_grid_dims
    .group_segment_fixed_size: 0
    .kernarg_segment_align: 8
    .kernarg_segment_size: 304
    .language:       OpenCL C
    .language_version:
      - 2
      - 0
    .max_flat_workgroup_size: 1024
    .name:           _ZN12_GLOBAL__N_120softmax_warp_forwardIN3c108BFloat16ES2_fLi1ELb0ELb0ELi64EEEvPT0_PKT_iiiPKbib
    .private_segment_fixed_size: 0
    .sgpr_count:     18
    .sgpr_spill_count: 0
    .symbol:         _ZN12_GLOBAL__N_120softmax_warp_forwardIN3c108BFloat16ES2_fLi1ELb0ELb0ELi64EEEvPT0_PKT_iiiPKbib.kd
    .uniform_work_group_size: 1
    .uses_dynamic_stack: false
    .vgpr_count:     12
    .vgpr_spill_count: 0
    .wavefront_size: 32
    .workgroup_processor_mode: 1
  - .args:
      - .address_space:  global
        .offset:         0
        .size:           8
        .value_kind:     global_buffer
      - .address_space:  global
        .offset:         8
        .size:           8
        .value_kind:     global_buffer
      - .offset:         16
        .size:           4
        .value_kind:     by_value
      - .offset:         20
        .size:           4
        .value_kind:     by_value
      - .offset:         24
        .size:           4
        .value_kind:     by_value
      - .address_space:  global
        .offset:         32
        .size:           8
        .value_kind:     global_buffer
      - .offset:         40
        .size:           4
        .value_kind:     by_value
      - .offset:         44
        .size:           1
        .value_kind:     by_value
      - .offset:         48
        .size:           4
        .value_kind:     hidden_block_count_x
      - .offset:         52
        .size:           4
        .value_kind:     hidden_block_count_y
      - .offset:         56
        .size:           4
        .value_kind:     hidden_block_count_z
      - .offset:         60
        .size:           2
        .value_kind:     hidden_group_size_x
      - .offset:         62
        .size:           2
        .value_kind:     hidden_group_size_y
      - .offset:         64
        .size:           2
        .value_kind:     hidden_group_size_z
      - .offset:         66
        .size:           2
        .value_kind:     hidden_remainder_x
      - .offset:         68
        .size:           2
        .value_kind:     hidden_remainder_y
      - .offset:         70
        .size:           2
        .value_kind:     hidden_remainder_z
      - .offset:         88
        .size:           8
        .value_kind:     hidden_global_offset_x
      - .offset:         96
        .size:           8
        .value_kind:     hidden_global_offset_y
      - .offset:         104
        .size:           8
        .value_kind:     hidden_global_offset_z
      - .offset:         112
        .size:           2
        .value_kind:     hidden_grid_dims
    .group_segment_fixed_size: 0
    .kernarg_segment_align: 8
    .kernarg_segment_size: 304
    .language:       OpenCL C
    .language_version:
      - 2
      - 0
    .max_flat_workgroup_size: 1024
    .name:           _ZN12_GLOBAL__N_120softmax_warp_forwardIN3c108BFloat16ES2_fLi1ELb0ELb0ELi32EEEvPT0_PKT_iiiPKbib
    .private_segment_fixed_size: 0
    .sgpr_count:     18
    .sgpr_spill_count: 0
    .symbol:         _ZN12_GLOBAL__N_120softmax_warp_forwardIN3c108BFloat16ES2_fLi1ELb0ELb0ELi32EEEvPT0_PKT_iiiPKbib.kd
    .uniform_work_group_size: 1
    .uses_dynamic_stack: false
    .vgpr_count:     12
    .vgpr_spill_count: 0
    .wavefront_size: 32
    .workgroup_processor_mode: 1
  - .args:
      - .address_space:  global
        .offset:         0
        .size:           8
        .value_kind:     global_buffer
      - .address_space:  global
        .offset:         8
        .size:           8
        .value_kind:     global_buffer
      - .offset:         16
        .size:           4
        .value_kind:     by_value
      - .offset:         20
        .size:           4
        .value_kind:     by_value
      - .offset:         24
        .size:           4
        .value_kind:     by_value
      - .address_space:  global
        .offset:         32
        .size:           8
        .value_kind:     global_buffer
      - .offset:         40
        .size:           4
        .value_kind:     by_value
      - .offset:         44
        .size:           1
        .value_kind:     by_value
      - .offset:         48
        .size:           4
        .value_kind:     hidden_block_count_x
      - .offset:         52
        .size:           4
        .value_kind:     hidden_block_count_y
      - .offset:         56
        .size:           4
        .value_kind:     hidden_block_count_z
      - .offset:         60
        .size:           2
        .value_kind:     hidden_group_size_x
      - .offset:         62
        .size:           2
        .value_kind:     hidden_group_size_y
      - .offset:         64
        .size:           2
        .value_kind:     hidden_group_size_z
      - .offset:         66
        .size:           2
        .value_kind:     hidden_remainder_x
      - .offset:         68
        .size:           2
        .value_kind:     hidden_remainder_y
      - .offset:         70
        .size:           2
        .value_kind:     hidden_remainder_z
      - .offset:         88
        .size:           8
        .value_kind:     hidden_global_offset_x
      - .offset:         96
        .size:           8
        .value_kind:     hidden_global_offset_y
      - .offset:         104
        .size:           8
        .value_kind:     hidden_global_offset_z
      - .offset:         112
        .size:           2
        .value_kind:     hidden_grid_dims
    .group_segment_fixed_size: 0
    .kernarg_segment_align: 8
    .kernarg_segment_size: 304
    .language:       OpenCL C
    .language_version:
      - 2
      - 0
    .max_flat_workgroup_size: 1024
    .name:           _ZN12_GLOBAL__N_120softmax_warp_forwardIN3c108BFloat16ES2_fLi2ELb0ELb0ELi64EEEvPT0_PKT_iiiPKbib
    .private_segment_fixed_size: 0
    .sgpr_count:     18
    .sgpr_spill_count: 0
    .symbol:         _ZN12_GLOBAL__N_120softmax_warp_forwardIN3c108BFloat16ES2_fLi2ELb0ELb0ELi64EEEvPT0_PKT_iiiPKbib.kd
    .uniform_work_group_size: 1
    .uses_dynamic_stack: false
    .vgpr_count:     13
    .vgpr_spill_count: 0
    .wavefront_size: 32
    .workgroup_processor_mode: 1
  - .args:
      - .address_space:  global
        .offset:         0
        .size:           8
        .value_kind:     global_buffer
      - .address_space:  global
        .offset:         8
        .size:           8
        .value_kind:     global_buffer
      - .offset:         16
        .size:           4
        .value_kind:     by_value
      - .offset:         20
        .size:           4
        .value_kind:     by_value
      - .offset:         24
        .size:           4
        .value_kind:     by_value
      - .address_space:  global
        .offset:         32
        .size:           8
        .value_kind:     global_buffer
      - .offset:         40
        .size:           4
        .value_kind:     by_value
      - .offset:         44
        .size:           1
        .value_kind:     by_value
      - .offset:         48
        .size:           4
        .value_kind:     hidden_block_count_x
      - .offset:         52
        .size:           4
        .value_kind:     hidden_block_count_y
      - .offset:         56
        .size:           4
        .value_kind:     hidden_block_count_z
      - .offset:         60
        .size:           2
        .value_kind:     hidden_group_size_x
      - .offset:         62
        .size:           2
        .value_kind:     hidden_group_size_y
      - .offset:         64
        .size:           2
        .value_kind:     hidden_group_size_z
      - .offset:         66
        .size:           2
        .value_kind:     hidden_remainder_x
      - .offset:         68
        .size:           2
        .value_kind:     hidden_remainder_y
      - .offset:         70
        .size:           2
        .value_kind:     hidden_remainder_z
      - .offset:         88
        .size:           8
        .value_kind:     hidden_global_offset_x
      - .offset:         96
        .size:           8
        .value_kind:     hidden_global_offset_y
      - .offset:         104
        .size:           8
        .value_kind:     hidden_global_offset_z
      - .offset:         112
        .size:           2
        .value_kind:     hidden_grid_dims
    .group_segment_fixed_size: 0
    .kernarg_segment_align: 8
    .kernarg_segment_size: 304
    .language:       OpenCL C
    .language_version:
      - 2
      - 0
    .max_flat_workgroup_size: 1024
    .name:           _ZN12_GLOBAL__N_120softmax_warp_forwardIN3c108BFloat16ES2_fLi2ELb0ELb0ELi32EEEvPT0_PKT_iiiPKbib
    .private_segment_fixed_size: 0
    .sgpr_count:     18
    .sgpr_spill_count: 0
    .symbol:         _ZN12_GLOBAL__N_120softmax_warp_forwardIN3c108BFloat16ES2_fLi2ELb0ELb0ELi32EEEvPT0_PKT_iiiPKbib.kd
    .uniform_work_group_size: 1
    .uses_dynamic_stack: false
    .vgpr_count:     13
    .vgpr_spill_count: 0
    .wavefront_size: 32
    .workgroup_processor_mode: 1
  - .args:
      - .address_space:  global
        .offset:         0
        .size:           8
        .value_kind:     global_buffer
      - .address_space:  global
        .offset:         8
        .size:           8
        .value_kind:     global_buffer
      - .offset:         16
        .size:           4
        .value_kind:     by_value
      - .offset:         20
        .size:           4
        .value_kind:     by_value
      - .offset:         24
        .size:           4
        .value_kind:     by_value
      - .address_space:  global
        .offset:         32
        .size:           8
        .value_kind:     global_buffer
      - .offset:         40
        .size:           4
        .value_kind:     by_value
      - .offset:         44
        .size:           1
        .value_kind:     by_value
      - .offset:         48
        .size:           4
        .value_kind:     hidden_block_count_x
      - .offset:         52
        .size:           4
        .value_kind:     hidden_block_count_y
      - .offset:         56
        .size:           4
        .value_kind:     hidden_block_count_z
      - .offset:         60
        .size:           2
        .value_kind:     hidden_group_size_x
      - .offset:         62
        .size:           2
        .value_kind:     hidden_group_size_y
      - .offset:         64
        .size:           2
        .value_kind:     hidden_group_size_z
      - .offset:         66
        .size:           2
        .value_kind:     hidden_remainder_x
      - .offset:         68
        .size:           2
        .value_kind:     hidden_remainder_y
      - .offset:         70
        .size:           2
        .value_kind:     hidden_remainder_z
      - .offset:         88
        .size:           8
        .value_kind:     hidden_global_offset_x
      - .offset:         96
        .size:           8
        .value_kind:     hidden_global_offset_y
      - .offset:         104
        .size:           8
        .value_kind:     hidden_global_offset_z
      - .offset:         112
        .size:           2
        .value_kind:     hidden_grid_dims
    .group_segment_fixed_size: 0
    .kernarg_segment_align: 8
    .kernarg_segment_size: 304
    .language:       OpenCL C
    .language_version:
      - 2
      - 0
    .max_flat_workgroup_size: 1024
    .name:           _ZN12_GLOBAL__N_120softmax_warp_forwardIN3c108BFloat16ES2_fLi3ELb0ELb0ELi64EEEvPT0_PKT_iiiPKbib
    .private_segment_fixed_size: 0
    .sgpr_count:     18
    .sgpr_spill_count: 0
    .symbol:         _ZN12_GLOBAL__N_120softmax_warp_forwardIN3c108BFloat16ES2_fLi3ELb0ELb0ELi64EEEvPT0_PKT_iiiPKbib.kd
    .uniform_work_group_size: 1
    .uses_dynamic_stack: false
    .vgpr_count:     14
    .vgpr_spill_count: 0
    .wavefront_size: 32
    .workgroup_processor_mode: 1
  - .args:
      - .address_space:  global
        .offset:         0
        .size:           8
        .value_kind:     global_buffer
      - .address_space:  global
        .offset:         8
        .size:           8
        .value_kind:     global_buffer
      - .offset:         16
        .size:           4
        .value_kind:     by_value
      - .offset:         20
        .size:           4
        .value_kind:     by_value
      - .offset:         24
        .size:           4
        .value_kind:     by_value
      - .address_space:  global
        .offset:         32
        .size:           8
        .value_kind:     global_buffer
      - .offset:         40
        .size:           4
        .value_kind:     by_value
      - .offset:         44
        .size:           1
        .value_kind:     by_value
      - .offset:         48
        .size:           4
        .value_kind:     hidden_block_count_x
      - .offset:         52
        .size:           4
        .value_kind:     hidden_block_count_y
      - .offset:         56
        .size:           4
        .value_kind:     hidden_block_count_z
      - .offset:         60
        .size:           2
        .value_kind:     hidden_group_size_x
      - .offset:         62
        .size:           2
        .value_kind:     hidden_group_size_y
      - .offset:         64
        .size:           2
        .value_kind:     hidden_group_size_z
      - .offset:         66
        .size:           2
        .value_kind:     hidden_remainder_x
      - .offset:         68
        .size:           2
        .value_kind:     hidden_remainder_y
      - .offset:         70
        .size:           2
        .value_kind:     hidden_remainder_z
      - .offset:         88
        .size:           8
        .value_kind:     hidden_global_offset_x
      - .offset:         96
        .size:           8
        .value_kind:     hidden_global_offset_y
      - .offset:         104
        .size:           8
        .value_kind:     hidden_global_offset_z
      - .offset:         112
        .size:           2
        .value_kind:     hidden_grid_dims
    .group_segment_fixed_size: 0
    .kernarg_segment_align: 8
    .kernarg_segment_size: 304
    .language:       OpenCL C
    .language_version:
      - 2
      - 0
    .max_flat_workgroup_size: 1024
    .name:           _ZN12_GLOBAL__N_120softmax_warp_forwardIN3c108BFloat16ES2_fLi3ELb0ELb0ELi32EEEvPT0_PKT_iiiPKbib
    .private_segment_fixed_size: 0
    .sgpr_count:     18
    .sgpr_spill_count: 0
    .symbol:         _ZN12_GLOBAL__N_120softmax_warp_forwardIN3c108BFloat16ES2_fLi3ELb0ELb0ELi32EEEvPT0_PKT_iiiPKbib.kd
    .uniform_work_group_size: 1
    .uses_dynamic_stack: false
    .vgpr_count:     14
    .vgpr_spill_count: 0
    .wavefront_size: 32
    .workgroup_processor_mode: 1
  - .args:
      - .address_space:  global
        .offset:         0
        .size:           8
        .value_kind:     global_buffer
      - .address_space:  global
        .offset:         8
        .size:           8
        .value_kind:     global_buffer
      - .offset:         16
        .size:           4
        .value_kind:     by_value
      - .offset:         20
        .size:           4
        .value_kind:     by_value
      - .offset:         24
        .size:           4
        .value_kind:     by_value
      - .address_space:  global
        .offset:         32
        .size:           8
        .value_kind:     global_buffer
      - .offset:         40
        .size:           4
        .value_kind:     by_value
      - .offset:         44
        .size:           1
        .value_kind:     by_value
      - .offset:         48
        .size:           4
        .value_kind:     hidden_block_count_x
      - .offset:         52
        .size:           4
        .value_kind:     hidden_block_count_y
      - .offset:         56
        .size:           4
        .value_kind:     hidden_block_count_z
      - .offset:         60
        .size:           2
        .value_kind:     hidden_group_size_x
      - .offset:         62
        .size:           2
        .value_kind:     hidden_group_size_y
      - .offset:         64
        .size:           2
        .value_kind:     hidden_group_size_z
      - .offset:         66
        .size:           2
        .value_kind:     hidden_remainder_x
      - .offset:         68
        .size:           2
        .value_kind:     hidden_remainder_y
      - .offset:         70
        .size:           2
        .value_kind:     hidden_remainder_z
      - .offset:         88
        .size:           8
        .value_kind:     hidden_global_offset_x
      - .offset:         96
        .size:           8
        .value_kind:     hidden_global_offset_y
      - .offset:         104
        .size:           8
        .value_kind:     hidden_global_offset_z
      - .offset:         112
        .size:           2
        .value_kind:     hidden_grid_dims
    .group_segment_fixed_size: 0
    .kernarg_segment_align: 8
    .kernarg_segment_size: 304
    .language:       OpenCL C
    .language_version:
      - 2
      - 0
    .max_flat_workgroup_size: 1024
    .name:           _ZN12_GLOBAL__N_120softmax_warp_forwardIN3c108BFloat16ES2_fLi4ELb0ELb0ELi64EEEvPT0_PKT_iiiPKbib
    .private_segment_fixed_size: 0
    .sgpr_count:     18
    .sgpr_spill_count: 0
    .symbol:         _ZN12_GLOBAL__N_120softmax_warp_forwardIN3c108BFloat16ES2_fLi4ELb0ELb0ELi64EEEvPT0_PKT_iiiPKbib.kd
    .uniform_work_group_size: 1
    .uses_dynamic_stack: false
    .vgpr_count:     15
    .vgpr_spill_count: 0
    .wavefront_size: 32
    .workgroup_processor_mode: 1
  - .args:
      - .address_space:  global
        .offset:         0
        .size:           8
        .value_kind:     global_buffer
      - .address_space:  global
        .offset:         8
        .size:           8
        .value_kind:     global_buffer
      - .offset:         16
        .size:           4
        .value_kind:     by_value
      - .offset:         20
        .size:           4
        .value_kind:     by_value
      - .offset:         24
        .size:           4
        .value_kind:     by_value
      - .address_space:  global
        .offset:         32
        .size:           8
        .value_kind:     global_buffer
      - .offset:         40
        .size:           4
        .value_kind:     by_value
      - .offset:         44
        .size:           1
        .value_kind:     by_value
      - .offset:         48
        .size:           4
        .value_kind:     hidden_block_count_x
      - .offset:         52
        .size:           4
        .value_kind:     hidden_block_count_y
      - .offset:         56
        .size:           4
        .value_kind:     hidden_block_count_z
      - .offset:         60
        .size:           2
        .value_kind:     hidden_group_size_x
      - .offset:         62
        .size:           2
        .value_kind:     hidden_group_size_y
      - .offset:         64
        .size:           2
        .value_kind:     hidden_group_size_z
      - .offset:         66
        .size:           2
        .value_kind:     hidden_remainder_x
      - .offset:         68
        .size:           2
        .value_kind:     hidden_remainder_y
      - .offset:         70
        .size:           2
        .value_kind:     hidden_remainder_z
      - .offset:         88
        .size:           8
        .value_kind:     hidden_global_offset_x
      - .offset:         96
        .size:           8
        .value_kind:     hidden_global_offset_y
      - .offset:         104
        .size:           8
        .value_kind:     hidden_global_offset_z
      - .offset:         112
        .size:           2
        .value_kind:     hidden_grid_dims
    .group_segment_fixed_size: 0
    .kernarg_segment_align: 8
    .kernarg_segment_size: 304
    .language:       OpenCL C
    .language_version:
      - 2
      - 0
    .max_flat_workgroup_size: 1024
    .name:           _ZN12_GLOBAL__N_120softmax_warp_forwardIN3c108BFloat16ES2_fLi4ELb0ELb0ELi32EEEvPT0_PKT_iiiPKbib
    .private_segment_fixed_size: 0
    .sgpr_count:     18
    .sgpr_spill_count: 0
    .symbol:         _ZN12_GLOBAL__N_120softmax_warp_forwardIN3c108BFloat16ES2_fLi4ELb0ELb0ELi32EEEvPT0_PKT_iiiPKbib.kd
    .uniform_work_group_size: 1
    .uses_dynamic_stack: false
    .vgpr_count:     15
    .vgpr_spill_count: 0
    .wavefront_size: 32
    .workgroup_processor_mode: 1
  - .args:
      - .address_space:  global
        .offset:         0
        .size:           8
        .value_kind:     global_buffer
      - .address_space:  global
        .offset:         8
        .size:           8
        .value_kind:     global_buffer
      - .offset:         16
        .size:           4
        .value_kind:     by_value
      - .offset:         20
        .size:           4
        .value_kind:     by_value
      - .offset:         24
        .size:           4
        .value_kind:     by_value
      - .address_space:  global
        .offset:         32
        .size:           8
        .value_kind:     global_buffer
      - .offset:         40
        .size:           4
        .value_kind:     by_value
      - .offset:         44
        .size:           1
        .value_kind:     by_value
      - .offset:         48
        .size:           4
        .value_kind:     hidden_block_count_x
      - .offset:         52
        .size:           4
        .value_kind:     hidden_block_count_y
      - .offset:         56
        .size:           4
        .value_kind:     hidden_block_count_z
      - .offset:         60
        .size:           2
        .value_kind:     hidden_group_size_x
      - .offset:         62
        .size:           2
        .value_kind:     hidden_group_size_y
      - .offset:         64
        .size:           2
        .value_kind:     hidden_group_size_z
      - .offset:         66
        .size:           2
        .value_kind:     hidden_remainder_x
      - .offset:         68
        .size:           2
        .value_kind:     hidden_remainder_y
      - .offset:         70
        .size:           2
        .value_kind:     hidden_remainder_z
      - .offset:         88
        .size:           8
        .value_kind:     hidden_global_offset_x
      - .offset:         96
        .size:           8
        .value_kind:     hidden_global_offset_y
      - .offset:         104
        .size:           8
        .value_kind:     hidden_global_offset_z
      - .offset:         112
        .size:           2
        .value_kind:     hidden_grid_dims
    .group_segment_fixed_size: 0
    .kernarg_segment_align: 8
    .kernarg_segment_size: 304
    .language:       OpenCL C
    .language_version:
      - 2
      - 0
    .max_flat_workgroup_size: 1024
    .name:           _ZN12_GLOBAL__N_120softmax_warp_forwardIN3c108BFloat16ES2_fLi5ELb0ELb0ELi64EEEvPT0_PKT_iiiPKbib
    .private_segment_fixed_size: 0
    .sgpr_count:     18
    .sgpr_spill_count: 0
    .symbol:         _ZN12_GLOBAL__N_120softmax_warp_forwardIN3c108BFloat16ES2_fLi5ELb0ELb0ELi64EEEvPT0_PKT_iiiPKbib.kd
    .uniform_work_group_size: 1
    .uses_dynamic_stack: false
    .vgpr_count:     16
    .vgpr_spill_count: 0
    .wavefront_size: 32
    .workgroup_processor_mode: 1
  - .args:
      - .address_space:  global
        .offset:         0
        .size:           8
        .value_kind:     global_buffer
      - .address_space:  global
        .offset:         8
        .size:           8
        .value_kind:     global_buffer
      - .offset:         16
        .size:           4
        .value_kind:     by_value
      - .offset:         20
        .size:           4
        .value_kind:     by_value
      - .offset:         24
        .size:           4
        .value_kind:     by_value
      - .address_space:  global
        .offset:         32
        .size:           8
        .value_kind:     global_buffer
      - .offset:         40
        .size:           4
        .value_kind:     by_value
      - .offset:         44
        .size:           1
        .value_kind:     by_value
      - .offset:         48
        .size:           4
        .value_kind:     hidden_block_count_x
      - .offset:         52
        .size:           4
        .value_kind:     hidden_block_count_y
      - .offset:         56
        .size:           4
        .value_kind:     hidden_block_count_z
      - .offset:         60
        .size:           2
        .value_kind:     hidden_group_size_x
      - .offset:         62
        .size:           2
        .value_kind:     hidden_group_size_y
      - .offset:         64
        .size:           2
        .value_kind:     hidden_group_size_z
      - .offset:         66
        .size:           2
        .value_kind:     hidden_remainder_x
      - .offset:         68
        .size:           2
        .value_kind:     hidden_remainder_y
      - .offset:         70
        .size:           2
        .value_kind:     hidden_remainder_z
      - .offset:         88
        .size:           8
        .value_kind:     hidden_global_offset_x
      - .offset:         96
        .size:           8
        .value_kind:     hidden_global_offset_y
      - .offset:         104
        .size:           8
        .value_kind:     hidden_global_offset_z
      - .offset:         112
        .size:           2
        .value_kind:     hidden_grid_dims
    .group_segment_fixed_size: 0
    .kernarg_segment_align: 8
    .kernarg_segment_size: 304
    .language:       OpenCL C
    .language_version:
      - 2
      - 0
    .max_flat_workgroup_size: 1024
    .name:           _ZN12_GLOBAL__N_120softmax_warp_forwardIN3c108BFloat16ES2_fLi5ELb0ELb0ELi32EEEvPT0_PKT_iiiPKbib
    .private_segment_fixed_size: 0
    .sgpr_count:     18
    .sgpr_spill_count: 0
    .symbol:         _ZN12_GLOBAL__N_120softmax_warp_forwardIN3c108BFloat16ES2_fLi5ELb0ELb0ELi32EEEvPT0_PKT_iiiPKbib.kd
    .uniform_work_group_size: 1
    .uses_dynamic_stack: false
    .vgpr_count:     16
    .vgpr_spill_count: 0
    .wavefront_size: 32
    .workgroup_processor_mode: 1
  - .args:
      - .address_space:  global
        .offset:         0
        .size:           8
        .value_kind:     global_buffer
      - .address_space:  global
        .offset:         8
        .size:           8
        .value_kind:     global_buffer
      - .offset:         16
        .size:           4
        .value_kind:     by_value
      - .offset:         20
        .size:           4
        .value_kind:     by_value
      - .offset:         24
        .size:           4
        .value_kind:     by_value
      - .address_space:  global
        .offset:         32
        .size:           8
        .value_kind:     global_buffer
      - .offset:         40
        .size:           4
        .value_kind:     by_value
      - .offset:         44
        .size:           1
        .value_kind:     by_value
      - .offset:         48
        .size:           4
        .value_kind:     hidden_block_count_x
      - .offset:         52
        .size:           4
        .value_kind:     hidden_block_count_y
      - .offset:         56
        .size:           4
        .value_kind:     hidden_block_count_z
      - .offset:         60
        .size:           2
        .value_kind:     hidden_group_size_x
      - .offset:         62
        .size:           2
        .value_kind:     hidden_group_size_y
      - .offset:         64
        .size:           2
        .value_kind:     hidden_group_size_z
      - .offset:         66
        .size:           2
        .value_kind:     hidden_remainder_x
      - .offset:         68
        .size:           2
        .value_kind:     hidden_remainder_y
      - .offset:         70
        .size:           2
        .value_kind:     hidden_remainder_z
      - .offset:         88
        .size:           8
        .value_kind:     hidden_global_offset_x
      - .offset:         96
        .size:           8
        .value_kind:     hidden_global_offset_y
      - .offset:         104
        .size:           8
        .value_kind:     hidden_global_offset_z
      - .offset:         112
        .size:           2
        .value_kind:     hidden_grid_dims
    .group_segment_fixed_size: 0
    .kernarg_segment_align: 8
    .kernarg_segment_size: 304
    .language:       OpenCL C
    .language_version:
      - 2
      - 0
    .max_flat_workgroup_size: 1024
    .name:           _ZN12_GLOBAL__N_120softmax_warp_forwardIN3c108BFloat16ES2_fLi6ELb0ELb0ELi64EEEvPT0_PKT_iiiPKbib
    .private_segment_fixed_size: 0
    .sgpr_count:     18
    .sgpr_spill_count: 0
    .symbol:         _ZN12_GLOBAL__N_120softmax_warp_forwardIN3c108BFloat16ES2_fLi6ELb0ELb0ELi64EEEvPT0_PKT_iiiPKbib.kd
    .uniform_work_group_size: 1
    .uses_dynamic_stack: false
    .vgpr_count:     17
    .vgpr_spill_count: 0
    .wavefront_size: 32
    .workgroup_processor_mode: 1
  - .args:
      - .address_space:  global
        .offset:         0
        .size:           8
        .value_kind:     global_buffer
      - .address_space:  global
        .offset:         8
        .size:           8
        .value_kind:     global_buffer
      - .offset:         16
        .size:           4
        .value_kind:     by_value
      - .offset:         20
        .size:           4
        .value_kind:     by_value
      - .offset:         24
        .size:           4
        .value_kind:     by_value
      - .address_space:  global
        .offset:         32
        .size:           8
        .value_kind:     global_buffer
      - .offset:         40
        .size:           4
        .value_kind:     by_value
      - .offset:         44
        .size:           1
        .value_kind:     by_value
      - .offset:         48
        .size:           4
        .value_kind:     hidden_block_count_x
      - .offset:         52
        .size:           4
        .value_kind:     hidden_block_count_y
      - .offset:         56
        .size:           4
        .value_kind:     hidden_block_count_z
      - .offset:         60
        .size:           2
        .value_kind:     hidden_group_size_x
      - .offset:         62
        .size:           2
        .value_kind:     hidden_group_size_y
      - .offset:         64
        .size:           2
        .value_kind:     hidden_group_size_z
      - .offset:         66
        .size:           2
        .value_kind:     hidden_remainder_x
      - .offset:         68
        .size:           2
        .value_kind:     hidden_remainder_y
      - .offset:         70
        .size:           2
        .value_kind:     hidden_remainder_z
      - .offset:         88
        .size:           8
        .value_kind:     hidden_global_offset_x
      - .offset:         96
        .size:           8
        .value_kind:     hidden_global_offset_y
      - .offset:         104
        .size:           8
        .value_kind:     hidden_global_offset_z
      - .offset:         112
        .size:           2
        .value_kind:     hidden_grid_dims
    .group_segment_fixed_size: 0
    .kernarg_segment_align: 8
    .kernarg_segment_size: 304
    .language:       OpenCL C
    .language_version:
      - 2
      - 0
    .max_flat_workgroup_size: 1024
    .name:           _ZN12_GLOBAL__N_120softmax_warp_forwardIN3c108BFloat16ES2_fLi6ELb0ELb0ELi32EEEvPT0_PKT_iiiPKbib
    .private_segment_fixed_size: 0
    .sgpr_count:     18
    .sgpr_spill_count: 0
    .symbol:         _ZN12_GLOBAL__N_120softmax_warp_forwardIN3c108BFloat16ES2_fLi6ELb0ELb0ELi32EEEvPT0_PKT_iiiPKbib.kd
    .uniform_work_group_size: 1
    .uses_dynamic_stack: false
    .vgpr_count:     24
    .vgpr_spill_count: 0
    .wavefront_size: 32
    .workgroup_processor_mode: 1
  - .args:
      - .address_space:  global
        .offset:         0
        .size:           8
        .value_kind:     global_buffer
      - .address_space:  global
        .offset:         8
        .size:           8
        .value_kind:     global_buffer
      - .offset:         16
        .size:           4
        .value_kind:     by_value
      - .offset:         20
        .size:           4
        .value_kind:     by_value
      - .offset:         24
        .size:           4
        .value_kind:     by_value
      - .address_space:  global
        .offset:         32
        .size:           8
        .value_kind:     global_buffer
      - .offset:         40
        .size:           4
        .value_kind:     by_value
      - .offset:         44
        .size:           1
        .value_kind:     by_value
      - .offset:         48
        .size:           4
        .value_kind:     hidden_block_count_x
      - .offset:         52
        .size:           4
        .value_kind:     hidden_block_count_y
      - .offset:         56
        .size:           4
        .value_kind:     hidden_block_count_z
      - .offset:         60
        .size:           2
        .value_kind:     hidden_group_size_x
      - .offset:         62
        .size:           2
        .value_kind:     hidden_group_size_y
      - .offset:         64
        .size:           2
        .value_kind:     hidden_group_size_z
      - .offset:         66
        .size:           2
        .value_kind:     hidden_remainder_x
      - .offset:         68
        .size:           2
        .value_kind:     hidden_remainder_y
      - .offset:         70
        .size:           2
        .value_kind:     hidden_remainder_z
      - .offset:         88
        .size:           8
        .value_kind:     hidden_global_offset_x
      - .offset:         96
        .size:           8
        .value_kind:     hidden_global_offset_y
      - .offset:         104
        .size:           8
        .value_kind:     hidden_global_offset_z
      - .offset:         112
        .size:           2
        .value_kind:     hidden_grid_dims
    .group_segment_fixed_size: 0
    .kernarg_segment_align: 8
    .kernarg_segment_size: 304
    .language:       OpenCL C
    .language_version:
      - 2
      - 0
    .max_flat_workgroup_size: 1024
    .name:           _ZN12_GLOBAL__N_120softmax_warp_forwardIN3c108BFloat16ES2_fLi7ELb0ELb0ELi64EEEvPT0_PKT_iiiPKbib
    .private_segment_fixed_size: 0
    .sgpr_count:     18
    .sgpr_spill_count: 0
    .symbol:         _ZN12_GLOBAL__N_120softmax_warp_forwardIN3c108BFloat16ES2_fLi7ELb0ELb0ELi64EEEvPT0_PKT_iiiPKbib.kd
    .uniform_work_group_size: 1
    .uses_dynamic_stack: false
    .vgpr_count:     25
    .vgpr_spill_count: 0
    .wavefront_size: 32
    .workgroup_processor_mode: 1
  - .args:
      - .address_space:  global
        .offset:         0
        .size:           8
        .value_kind:     global_buffer
      - .address_space:  global
        .offset:         8
        .size:           8
        .value_kind:     global_buffer
      - .offset:         16
        .size:           4
        .value_kind:     by_value
      - .offset:         20
        .size:           4
        .value_kind:     by_value
      - .offset:         24
        .size:           4
        .value_kind:     by_value
      - .address_space:  global
        .offset:         32
        .size:           8
        .value_kind:     global_buffer
      - .offset:         40
        .size:           4
        .value_kind:     by_value
      - .offset:         44
        .size:           1
        .value_kind:     by_value
      - .offset:         48
        .size:           4
        .value_kind:     hidden_block_count_x
      - .offset:         52
        .size:           4
        .value_kind:     hidden_block_count_y
      - .offset:         56
        .size:           4
        .value_kind:     hidden_block_count_z
      - .offset:         60
        .size:           2
        .value_kind:     hidden_group_size_x
      - .offset:         62
        .size:           2
        .value_kind:     hidden_group_size_y
      - .offset:         64
        .size:           2
        .value_kind:     hidden_group_size_z
      - .offset:         66
        .size:           2
        .value_kind:     hidden_remainder_x
      - .offset:         68
        .size:           2
        .value_kind:     hidden_remainder_y
      - .offset:         70
        .size:           2
        .value_kind:     hidden_remainder_z
      - .offset:         88
        .size:           8
        .value_kind:     hidden_global_offset_x
      - .offset:         96
        .size:           8
        .value_kind:     hidden_global_offset_y
      - .offset:         104
        .size:           8
        .value_kind:     hidden_global_offset_z
      - .offset:         112
        .size:           2
        .value_kind:     hidden_grid_dims
    .group_segment_fixed_size: 0
    .kernarg_segment_align: 8
    .kernarg_segment_size: 304
    .language:       OpenCL C
    .language_version:
      - 2
      - 0
    .max_flat_workgroup_size: 1024
    .name:           _ZN12_GLOBAL__N_120softmax_warp_forwardIN3c108BFloat16ES2_fLi7ELb0ELb0ELi32EEEvPT0_PKT_iiiPKbib
    .private_segment_fixed_size: 0
    .sgpr_count:     18
    .sgpr_spill_count: 0
    .symbol:         _ZN12_GLOBAL__N_120softmax_warp_forwardIN3c108BFloat16ES2_fLi7ELb0ELb0ELi32EEEvPT0_PKT_iiiPKbib.kd
    .uniform_work_group_size: 1
    .uses_dynamic_stack: false
    .vgpr_count:     40
    .vgpr_spill_count: 0
    .wavefront_size: 32
    .workgroup_processor_mode: 1
  - .args:
      - .address_space:  global
        .offset:         0
        .size:           8
        .value_kind:     global_buffer
      - .address_space:  global
        .offset:         8
        .size:           8
        .value_kind:     global_buffer
      - .offset:         16
        .size:           4
        .value_kind:     by_value
      - .offset:         20
        .size:           4
        .value_kind:     by_value
      - .offset:         24
        .size:           4
        .value_kind:     by_value
      - .address_space:  global
        .offset:         32
        .size:           8
        .value_kind:     global_buffer
      - .offset:         40
        .size:           4
        .value_kind:     by_value
      - .offset:         44
        .size:           1
        .value_kind:     by_value
      - .offset:         48
        .size:           4
        .value_kind:     hidden_block_count_x
      - .offset:         52
        .size:           4
        .value_kind:     hidden_block_count_y
      - .offset:         56
        .size:           4
        .value_kind:     hidden_block_count_z
      - .offset:         60
        .size:           2
        .value_kind:     hidden_group_size_x
      - .offset:         62
        .size:           2
        .value_kind:     hidden_group_size_y
      - .offset:         64
        .size:           2
        .value_kind:     hidden_group_size_z
      - .offset:         66
        .size:           2
        .value_kind:     hidden_remainder_x
      - .offset:         68
        .size:           2
        .value_kind:     hidden_remainder_y
      - .offset:         70
        .size:           2
        .value_kind:     hidden_remainder_z
      - .offset:         88
        .size:           8
        .value_kind:     hidden_global_offset_x
      - .offset:         96
        .size:           8
        .value_kind:     hidden_global_offset_y
      - .offset:         104
        .size:           8
        .value_kind:     hidden_global_offset_z
      - .offset:         112
        .size:           2
        .value_kind:     hidden_grid_dims
    .group_segment_fixed_size: 0
    .kernarg_segment_align: 8
    .kernarg_segment_size: 304
    .language:       OpenCL C
    .language_version:
      - 2
      - 0
    .max_flat_workgroup_size: 1024
    .name:           _ZN12_GLOBAL__N_120softmax_warp_forwardIN3c108BFloat16ES2_fLi8ELb0ELb0ELi64EEEvPT0_PKT_iiiPKbib
    .private_segment_fixed_size: 0
    .sgpr_count:     18
    .sgpr_spill_count: 0
    .symbol:         _ZN12_GLOBAL__N_120softmax_warp_forwardIN3c108BFloat16ES2_fLi8ELb0ELb0ELi64EEEvPT0_PKT_iiiPKbib.kd
    .uniform_work_group_size: 1
    .uses_dynamic_stack: false
    .vgpr_count:     24
    .vgpr_spill_count: 0
    .wavefront_size: 32
    .workgroup_processor_mode: 1
  - .args:
      - .address_space:  global
        .offset:         0
        .size:           8
        .value_kind:     global_buffer
      - .address_space:  global
        .offset:         8
        .size:           8
        .value_kind:     global_buffer
      - .offset:         16
        .size:           4
        .value_kind:     by_value
      - .offset:         20
        .size:           4
        .value_kind:     by_value
      - .offset:         24
        .size:           4
        .value_kind:     by_value
      - .address_space:  global
        .offset:         32
        .size:           8
        .value_kind:     global_buffer
      - .offset:         40
        .size:           4
        .value_kind:     by_value
      - .offset:         44
        .size:           1
        .value_kind:     by_value
      - .offset:         48
        .size:           4
        .value_kind:     hidden_block_count_x
      - .offset:         52
        .size:           4
        .value_kind:     hidden_block_count_y
      - .offset:         56
        .size:           4
        .value_kind:     hidden_block_count_z
      - .offset:         60
        .size:           2
        .value_kind:     hidden_group_size_x
      - .offset:         62
        .size:           2
        .value_kind:     hidden_group_size_y
      - .offset:         64
        .size:           2
        .value_kind:     hidden_group_size_z
      - .offset:         66
        .size:           2
        .value_kind:     hidden_remainder_x
      - .offset:         68
        .size:           2
        .value_kind:     hidden_remainder_y
      - .offset:         70
        .size:           2
        .value_kind:     hidden_remainder_z
      - .offset:         88
        .size:           8
        .value_kind:     hidden_global_offset_x
      - .offset:         96
        .size:           8
        .value_kind:     hidden_global_offset_y
      - .offset:         104
        .size:           8
        .value_kind:     hidden_global_offset_z
      - .offset:         112
        .size:           2
        .value_kind:     hidden_grid_dims
    .group_segment_fixed_size: 0
    .kernarg_segment_align: 8
    .kernarg_segment_size: 304
    .language:       OpenCL C
    .language_version:
      - 2
      - 0
    .max_flat_workgroup_size: 1024
    .name:           _ZN12_GLOBAL__N_120softmax_warp_forwardIN3c108BFloat16ES2_fLi8ELb0ELb0ELi32EEEvPT0_PKT_iiiPKbib
    .private_segment_fixed_size: 0
    .sgpr_count:     18
    .sgpr_spill_count: 0
    .symbol:         _ZN12_GLOBAL__N_120softmax_warp_forwardIN3c108BFloat16ES2_fLi8ELb0ELb0ELi32EEEvPT0_PKT_iiiPKbib.kd
    .uniform_work_group_size: 1
    .uses_dynamic_stack: false
    .vgpr_count:     40
    .vgpr_spill_count: 0
    .wavefront_size: 32
    .workgroup_processor_mode: 1
  - .args:
      - .address_space:  global
        .offset:         0
        .size:           8
        .value_kind:     global_buffer
      - .address_space:  global
        .offset:         8
        .size:           8
        .value_kind:     global_buffer
      - .offset:         16
        .size:           4
        .value_kind:     by_value
      - .offset:         20
        .size:           4
        .value_kind:     by_value
      - .offset:         24
        .size:           4
        .value_kind:     by_value
      - .address_space:  global
        .offset:         32
        .size:           8
        .value_kind:     global_buffer
      - .offset:         40
        .size:           4
        .value_kind:     by_value
      - .offset:         44
        .size:           1
        .value_kind:     by_value
      - .offset:         48
        .size:           4
        .value_kind:     hidden_block_count_x
      - .offset:         52
        .size:           4
        .value_kind:     hidden_block_count_y
      - .offset:         56
        .size:           4
        .value_kind:     hidden_block_count_z
      - .offset:         60
        .size:           2
        .value_kind:     hidden_group_size_x
      - .offset:         62
        .size:           2
        .value_kind:     hidden_group_size_y
      - .offset:         64
        .size:           2
        .value_kind:     hidden_group_size_z
      - .offset:         66
        .size:           2
        .value_kind:     hidden_remainder_x
      - .offset:         68
        .size:           2
        .value_kind:     hidden_remainder_y
      - .offset:         70
        .size:           2
        .value_kind:     hidden_remainder_z
      - .offset:         88
        .size:           8
        .value_kind:     hidden_global_offset_x
      - .offset:         96
        .size:           8
        .value_kind:     hidden_global_offset_y
      - .offset:         104
        .size:           8
        .value_kind:     hidden_global_offset_z
      - .offset:         112
        .size:           2
        .value_kind:     hidden_grid_dims
    .group_segment_fixed_size: 0
    .kernarg_segment_align: 8
    .kernarg_segment_size: 304
    .language:       OpenCL C
    .language_version:
      - 2
      - 0
    .max_flat_workgroup_size: 1024
    .name:           _ZN12_GLOBAL__N_120softmax_warp_forwardIN3c108BFloat16ES2_fLi9ELb0ELb0ELi64EEEvPT0_PKT_iiiPKbib
    .private_segment_fixed_size: 0
    .sgpr_count:     18
    .sgpr_spill_count: 0
    .symbol:         _ZN12_GLOBAL__N_120softmax_warp_forwardIN3c108BFloat16ES2_fLi9ELb0ELb0ELi64EEEvPT0_PKT_iiiPKbib.kd
    .uniform_work_group_size: 1
    .uses_dynamic_stack: false
    .vgpr_count:     41
    .vgpr_spill_count: 0
    .wavefront_size: 32
    .workgroup_processor_mode: 1
  - .args:
      - .address_space:  global
        .offset:         0
        .size:           8
        .value_kind:     global_buffer
      - .address_space:  global
        .offset:         8
        .size:           8
        .value_kind:     global_buffer
      - .offset:         16
        .size:           4
        .value_kind:     by_value
      - .offset:         20
        .size:           4
        .value_kind:     by_value
      - .offset:         24
        .size:           4
        .value_kind:     by_value
      - .address_space:  global
        .offset:         32
        .size:           8
        .value_kind:     global_buffer
      - .offset:         40
        .size:           4
        .value_kind:     by_value
      - .offset:         44
        .size:           1
        .value_kind:     by_value
      - .offset:         48
        .size:           4
        .value_kind:     hidden_block_count_x
      - .offset:         52
        .size:           4
        .value_kind:     hidden_block_count_y
      - .offset:         56
        .size:           4
        .value_kind:     hidden_block_count_z
      - .offset:         60
        .size:           2
        .value_kind:     hidden_group_size_x
      - .offset:         62
        .size:           2
        .value_kind:     hidden_group_size_y
      - .offset:         64
        .size:           2
        .value_kind:     hidden_group_size_z
      - .offset:         66
        .size:           2
        .value_kind:     hidden_remainder_x
      - .offset:         68
        .size:           2
        .value_kind:     hidden_remainder_y
      - .offset:         70
        .size:           2
        .value_kind:     hidden_remainder_z
      - .offset:         88
        .size:           8
        .value_kind:     hidden_global_offset_x
      - .offset:         96
        .size:           8
        .value_kind:     hidden_global_offset_y
      - .offset:         104
        .size:           8
        .value_kind:     hidden_global_offset_z
      - .offset:         112
        .size:           2
        .value_kind:     hidden_grid_dims
    .group_segment_fixed_size: 0
    .kernarg_segment_align: 8
    .kernarg_segment_size: 304
    .language:       OpenCL C
    .language_version:
      - 2
      - 0
    .max_flat_workgroup_size: 1024
    .name:           _ZN12_GLOBAL__N_120softmax_warp_forwardIN3c108BFloat16ES2_fLi9ELb0ELb0ELi32EEEvPT0_PKT_iiiPKbib
    .private_segment_fixed_size: 0
    .sgpr_count:     26
    .sgpr_spill_count: 0
    .symbol:         _ZN12_GLOBAL__N_120softmax_warp_forwardIN3c108BFloat16ES2_fLi9ELb0ELb0ELi32EEEvPT0_PKT_iiiPKbib.kd
    .uniform_work_group_size: 1
    .uses_dynamic_stack: false
    .vgpr_count:     62
    .vgpr_spill_count: 0
    .wavefront_size: 32
    .workgroup_processor_mode: 1
  - .args:
      - .address_space:  global
        .offset:         0
        .size:           8
        .value_kind:     global_buffer
      - .address_space:  global
        .offset:         8
        .size:           8
        .value_kind:     global_buffer
      - .offset:         16
        .size:           4
        .value_kind:     by_value
      - .offset:         20
        .size:           4
        .value_kind:     by_value
      - .offset:         24
        .size:           4
        .value_kind:     by_value
      - .address_space:  global
        .offset:         32
        .size:           8
        .value_kind:     global_buffer
      - .offset:         40
        .size:           4
        .value_kind:     by_value
      - .offset:         44
        .size:           1
        .value_kind:     by_value
      - .offset:         48
        .size:           4
        .value_kind:     hidden_block_count_x
      - .offset:         52
        .size:           4
        .value_kind:     hidden_block_count_y
      - .offset:         56
        .size:           4
        .value_kind:     hidden_block_count_z
      - .offset:         60
        .size:           2
        .value_kind:     hidden_group_size_x
      - .offset:         62
        .size:           2
        .value_kind:     hidden_group_size_y
      - .offset:         64
        .size:           2
        .value_kind:     hidden_group_size_z
      - .offset:         66
        .size:           2
        .value_kind:     hidden_remainder_x
      - .offset:         68
        .size:           2
        .value_kind:     hidden_remainder_y
      - .offset:         70
        .size:           2
        .value_kind:     hidden_remainder_z
      - .offset:         88
        .size:           8
        .value_kind:     hidden_global_offset_x
      - .offset:         96
        .size:           8
        .value_kind:     hidden_global_offset_y
      - .offset:         104
        .size:           8
        .value_kind:     hidden_global_offset_z
      - .offset:         112
        .size:           2
        .value_kind:     hidden_grid_dims
    .group_segment_fixed_size: 0
    .kernarg_segment_align: 8
    .kernarg_segment_size: 304
    .language:       OpenCL C
    .language_version:
      - 2
      - 0
    .max_flat_workgroup_size: 1024
    .name:           _ZN12_GLOBAL__N_120softmax_warp_forwardIN3c108BFloat16ES2_fLi10ELb0ELb0ELi64EEEvPT0_PKT_iiiPKbib
    .private_segment_fixed_size: 0
    .sgpr_count:     26
    .sgpr_spill_count: 0
    .symbol:         _ZN12_GLOBAL__N_120softmax_warp_forwardIN3c108BFloat16ES2_fLi10ELb0ELb0ELi64EEEvPT0_PKT_iiiPKbib.kd
    .uniform_work_group_size: 1
    .uses_dynamic_stack: false
    .vgpr_count:     62
    .vgpr_spill_count: 0
    .wavefront_size: 32
    .workgroup_processor_mode: 1
  - .args:
      - .address_space:  global
        .offset:         0
        .size:           8
        .value_kind:     global_buffer
      - .address_space:  global
        .offset:         8
        .size:           8
        .value_kind:     global_buffer
      - .offset:         16
        .size:           4
        .value_kind:     by_value
      - .offset:         20
        .size:           4
        .value_kind:     by_value
      - .offset:         24
        .size:           4
        .value_kind:     by_value
      - .address_space:  global
        .offset:         32
        .size:           8
        .value_kind:     global_buffer
      - .offset:         40
        .size:           4
        .value_kind:     by_value
      - .offset:         44
        .size:           1
        .value_kind:     by_value
      - .offset:         48
        .size:           4
        .value_kind:     hidden_block_count_x
      - .offset:         52
        .size:           4
        .value_kind:     hidden_block_count_y
      - .offset:         56
        .size:           4
        .value_kind:     hidden_block_count_z
      - .offset:         60
        .size:           2
        .value_kind:     hidden_group_size_x
      - .offset:         62
        .size:           2
        .value_kind:     hidden_group_size_y
      - .offset:         64
        .size:           2
        .value_kind:     hidden_group_size_z
      - .offset:         66
        .size:           2
        .value_kind:     hidden_remainder_x
      - .offset:         68
        .size:           2
        .value_kind:     hidden_remainder_y
      - .offset:         70
        .size:           2
        .value_kind:     hidden_remainder_z
      - .offset:         88
        .size:           8
        .value_kind:     hidden_global_offset_x
      - .offset:         96
        .size:           8
        .value_kind:     hidden_global_offset_y
      - .offset:         104
        .size:           8
        .value_kind:     hidden_global_offset_z
      - .offset:         112
        .size:           2
        .value_kind:     hidden_grid_dims
    .group_segment_fixed_size: 0
    .kernarg_segment_align: 8
    .kernarg_segment_size: 304
    .language:       OpenCL C
    .language_version:
      - 2
      - 0
    .max_flat_workgroup_size: 1024
    .name:           _ZN12_GLOBAL__N_120softmax_warp_forwardIN3c108BFloat16ES2_fLi10ELb0ELb0ELi32EEEvPT0_PKT_iiiPKbib
    .private_segment_fixed_size: 0
    .sgpr_count:     46
    .sgpr_spill_count: 0
    .symbol:         _ZN12_GLOBAL__N_120softmax_warp_forwardIN3c108BFloat16ES2_fLi10ELb0ELb0ELi32EEEvPT0_PKT_iiiPKbib.kd
    .uniform_work_group_size: 1
    .uses_dynamic_stack: false
    .vgpr_count:     45
    .vgpr_spill_count: 0
    .wavefront_size: 32
    .workgroup_processor_mode: 1
  - .args:
      - .address_space:  global
        .offset:         0
        .size:           8
        .value_kind:     global_buffer
      - .address_space:  global
        .offset:         8
        .size:           8
        .value_kind:     global_buffer
      - .offset:         16
        .size:           4
        .value_kind:     by_value
      - .offset:         20
        .size:           4
        .value_kind:     by_value
      - .offset:         24
        .size:           4
        .value_kind:     by_value
      - .address_space:  global
        .offset:         32
        .size:           8
        .value_kind:     global_buffer
      - .offset:         40
        .size:           4
        .value_kind:     by_value
      - .offset:         44
        .size:           1
        .value_kind:     by_value
      - .offset:         48
        .size:           4
        .value_kind:     hidden_block_count_x
      - .offset:         52
        .size:           4
        .value_kind:     hidden_block_count_y
      - .offset:         56
        .size:           4
        .value_kind:     hidden_block_count_z
      - .offset:         60
        .size:           2
        .value_kind:     hidden_group_size_x
      - .offset:         62
        .size:           2
        .value_kind:     hidden_group_size_y
      - .offset:         64
        .size:           2
        .value_kind:     hidden_group_size_z
      - .offset:         66
        .size:           2
        .value_kind:     hidden_remainder_x
      - .offset:         68
        .size:           2
        .value_kind:     hidden_remainder_y
      - .offset:         70
        .size:           2
        .value_kind:     hidden_remainder_z
      - .offset:         88
        .size:           8
        .value_kind:     hidden_global_offset_x
      - .offset:         96
        .size:           8
        .value_kind:     hidden_global_offset_y
      - .offset:         104
        .size:           8
        .value_kind:     hidden_global_offset_z
      - .offset:         112
        .size:           2
        .value_kind:     hidden_grid_dims
    .group_segment_fixed_size: 0
    .kernarg_segment_align: 8
    .kernarg_segment_size: 304
    .language:       OpenCL C
    .language_version:
      - 2
      - 0
    .max_flat_workgroup_size: 1024
    .name:           _ZN12_GLOBAL__N_120softmax_warp_forwardIN3c108BFloat16ES2_fLi11ELb0ELb0ELi64EEEvPT0_PKT_iiiPKbib
    .private_segment_fixed_size: 0
    .sgpr_count:     46
    .sgpr_spill_count: 0
    .symbol:         _ZN12_GLOBAL__N_120softmax_warp_forwardIN3c108BFloat16ES2_fLi11ELb0ELb0ELi64EEEvPT0_PKT_iiiPKbib.kd
    .uniform_work_group_size: 1
    .uses_dynamic_stack: false
    .vgpr_count:     46
    .vgpr_spill_count: 0
    .wavefront_size: 32
    .workgroup_processor_mode: 1
  - .args:
      - .address_space:  global
        .offset:         0
        .size:           8
        .value_kind:     global_buffer
      - .address_space:  global
        .offset:         8
        .size:           8
        .value_kind:     global_buffer
      - .offset:         16
        .size:           4
        .value_kind:     by_value
      - .offset:         20
        .size:           4
        .value_kind:     by_value
      - .offset:         24
        .size:           4
        .value_kind:     by_value
      - .address_space:  global
        .offset:         32
        .size:           8
        .value_kind:     global_buffer
      - .offset:         40
        .size:           4
        .value_kind:     by_value
      - .offset:         44
        .size:           1
        .value_kind:     by_value
      - .offset:         48
        .size:           4
        .value_kind:     hidden_block_count_x
      - .offset:         52
        .size:           4
        .value_kind:     hidden_block_count_y
      - .offset:         56
        .size:           4
        .value_kind:     hidden_block_count_z
      - .offset:         60
        .size:           2
        .value_kind:     hidden_group_size_x
      - .offset:         62
        .size:           2
        .value_kind:     hidden_group_size_y
      - .offset:         64
        .size:           2
        .value_kind:     hidden_group_size_z
      - .offset:         66
        .size:           2
        .value_kind:     hidden_remainder_x
      - .offset:         68
        .size:           2
        .value_kind:     hidden_remainder_y
      - .offset:         70
        .size:           2
        .value_kind:     hidden_remainder_z
      - .offset:         88
        .size:           8
        .value_kind:     hidden_global_offset_x
      - .offset:         96
        .size:           8
        .value_kind:     hidden_global_offset_y
      - .offset:         104
        .size:           8
        .value_kind:     hidden_global_offset_z
      - .offset:         112
        .size:           2
        .value_kind:     hidden_grid_dims
    .group_segment_fixed_size: 0
    .kernarg_segment_align: 8
    .kernarg_segment_size: 304
    .language:       OpenCL C
    .language_version:
      - 2
      - 0
    .max_flat_workgroup_size: 1024
    .name:           _ZN12_GLOBAL__N_120softmax_warp_forwardIN3c108BFloat16ES2_fLi11ELb0ELb0ELi32EEEvPT0_PKT_iiiPKbib
    .private_segment_fixed_size: 0
    .sgpr_count:     78
    .sgpr_spill_count: 0
    .symbol:         _ZN12_GLOBAL__N_120softmax_warp_forwardIN3c108BFloat16ES2_fLi11ELb0ELb0ELi32EEEvPT0_PKT_iiiPKbib.kd
    .uniform_work_group_size: 1
    .uses_dynamic_stack: false
    .vgpr_count:     77
    .vgpr_spill_count: 0
    .wavefront_size: 32
    .workgroup_processor_mode: 1
  - .args:
      - .address_space:  global
        .offset:         0
        .size:           8
        .value_kind:     global_buffer
      - .address_space:  global
        .offset:         8
        .size:           8
        .value_kind:     global_buffer
      - .offset:         16
        .size:           8
        .value_kind:     by_value
      - .offset:         24
        .size:           4
        .value_kind:     hidden_block_count_x
      - .offset:         28
        .size:           4
        .value_kind:     hidden_block_count_y
      - .offset:         32
        .size:           4
        .value_kind:     hidden_block_count_z
      - .offset:         36
        .size:           2
        .value_kind:     hidden_group_size_x
      - .offset:         38
        .size:           2
        .value_kind:     hidden_group_size_y
      - .offset:         40
        .size:           2
        .value_kind:     hidden_group_size_z
      - .offset:         42
        .size:           2
        .value_kind:     hidden_remainder_x
      - .offset:         44
        .size:           2
        .value_kind:     hidden_remainder_y
      - .offset:         46
        .size:           2
        .value_kind:     hidden_remainder_z
      - .offset:         64
        .size:           8
        .value_kind:     hidden_global_offset_x
      - .offset:         72
        .size:           8
        .value_kind:     hidden_global_offset_y
      - .offset:         80
        .size:           8
        .value_kind:     hidden_global_offset_z
      - .offset:         88
        .size:           2
        .value_kind:     hidden_grid_dims
      - .offset:         144
        .size:           4
        .value_kind:     hidden_dynamic_lds_size
    .group_segment_fixed_size: 0
    .kernarg_segment_align: 8
    .kernarg_segment_size: 280
    .language:       OpenCL C
    .language_version:
      - 2
      - 0
    .max_flat_workgroup_size: 1024
    .name:           _ZN2at6native12_GLOBAL__N_123cunn_SoftMaxForwardGmemILi8EN3c108BFloat16EfS4_NS1_29SoftMaxForwardWithMulEpilogueElEEvPT2_PKT0_T4_
    .private_segment_fixed_size: 0
    .sgpr_count:     21
    .sgpr_spill_count: 0
    .symbol:         _ZN2at6native12_GLOBAL__N_123cunn_SoftMaxForwardGmemILi8EN3c108BFloat16EfS4_NS1_29SoftMaxForwardWithMulEpilogueElEEvPT2_PKT0_T4_.kd
    .uniform_work_group_size: 1
    .uses_dynamic_stack: false
    .vgpr_count:     26
    .vgpr_spill_count: 0
    .wavefront_size: 32
    .workgroup_processor_mode: 1
  - .args:
      - .address_space:  global
        .offset:         0
        .size:           8
        .value_kind:     global_buffer
      - .address_space:  global
        .offset:         8
        .size:           8
        .value_kind:     global_buffer
      - .offset:         16
        .size:           4
        .value_kind:     by_value
      - .offset:         24
        .size:           4
        .value_kind:     hidden_block_count_x
      - .offset:         28
        .size:           4
        .value_kind:     hidden_block_count_y
      - .offset:         32
        .size:           4
        .value_kind:     hidden_block_count_z
      - .offset:         36
        .size:           2
        .value_kind:     hidden_group_size_x
      - .offset:         38
        .size:           2
        .value_kind:     hidden_group_size_y
      - .offset:         40
        .size:           2
        .value_kind:     hidden_group_size_z
      - .offset:         42
        .size:           2
        .value_kind:     hidden_remainder_x
      - .offset:         44
        .size:           2
        .value_kind:     hidden_remainder_y
      - .offset:         46
        .size:           2
        .value_kind:     hidden_remainder_z
      - .offset:         64
        .size:           8
        .value_kind:     hidden_global_offset_x
      - .offset:         72
        .size:           8
        .value_kind:     hidden_global_offset_y
      - .offset:         80
        .size:           8
        .value_kind:     hidden_global_offset_z
      - .offset:         88
        .size:           2
        .value_kind:     hidden_grid_dims
      - .offset:         144
        .size:           4
        .value_kind:     hidden_dynamic_lds_size
    .group_segment_fixed_size: 0
    .kernarg_segment_align: 8
    .kernarg_segment_size: 280
    .language:       OpenCL C
    .language_version:
      - 2
      - 0
    .max_flat_workgroup_size: 1024
    .name:           _ZN2at6native12_GLOBAL__N_123cunn_SoftMaxForwardFastILi8EN3c108BFloat16EfS4_NS1_29SoftMaxForwardWithMulEpilogueEEEvPT2_PKT0_i
    .private_segment_fixed_size: 0
    .sgpr_count:     23
    .sgpr_spill_count: 0
    .symbol:         _ZN2at6native12_GLOBAL__N_123cunn_SoftMaxForwardFastILi8EN3c108BFloat16EfS4_NS1_29SoftMaxForwardWithMulEpilogueEEEvPT2_PKT0_i.kd
    .uniform_work_group_size: 1
    .uses_dynamic_stack: false
    .vgpr_count:     19
    .vgpr_spill_count: 0
    .wavefront_size: 32
    .workgroup_processor_mode: 1
  - .args:
      - .address_space:  global
        .offset:         0
        .size:           8
        .value_kind:     global_buffer
      - .address_space:  global
        .offset:         8
        .size:           8
        .value_kind:     global_buffer
      - .offset:         16
        .size:           4
        .value_kind:     by_value
      - .offset:         20
        .size:           4
        .value_kind:     by_value
      - .offset:         24
        .size:           4
        .value_kind:     by_value
      - .address_space:  global
        .offset:         32
        .size:           8
        .value_kind:     global_buffer
      - .offset:         40
        .size:           4
        .value_kind:     by_value
      - .offset:         44
        .size:           1
        .value_kind:     by_value
      - .offset:         48
        .size:           4
        .value_kind:     hidden_block_count_x
      - .offset:         52
        .size:           4
        .value_kind:     hidden_block_count_y
      - .offset:         56
        .size:           4
        .value_kind:     hidden_block_count_z
      - .offset:         60
        .size:           2
        .value_kind:     hidden_group_size_x
      - .offset:         62
        .size:           2
        .value_kind:     hidden_group_size_y
      - .offset:         64
        .size:           2
        .value_kind:     hidden_group_size_z
      - .offset:         66
        .size:           2
        .value_kind:     hidden_remainder_x
      - .offset:         68
        .size:           2
        .value_kind:     hidden_remainder_y
      - .offset:         70
        .size:           2
        .value_kind:     hidden_remainder_z
      - .offset:         88
        .size:           8
        .value_kind:     hidden_global_offset_x
      - .offset:         96
        .size:           8
        .value_kind:     hidden_global_offset_y
      - .offset:         104
        .size:           8
        .value_kind:     hidden_global_offset_z
      - .offset:         112
        .size:           2
        .value_kind:     hidden_grid_dims
    .group_segment_fixed_size: 0
    .kernarg_segment_align: 8
    .kernarg_segment_size: 304
    .language:       OpenCL C
    .language_version:
      - 2
      - 0
    .max_flat_workgroup_size: 1024
    .name:           _ZN12_GLOBAL__N_120softmax_warp_forwardIN3c108BFloat16EffLi0ELb0ELb0ELi64EEEvPT0_PKT_iiiPKbib
    .private_segment_fixed_size: 0
    .sgpr_count:     18
    .sgpr_spill_count: 0
    .symbol:         _ZN12_GLOBAL__N_120softmax_warp_forwardIN3c108BFloat16EffLi0ELb0ELb0ELi64EEEvPT0_PKT_iiiPKbib.kd
    .uniform_work_group_size: 1
    .uses_dynamic_stack: false
    .vgpr_count:     9
    .vgpr_spill_count: 0
    .wavefront_size: 32
    .workgroup_processor_mode: 1
  - .args:
      - .address_space:  global
        .offset:         0
        .size:           8
        .value_kind:     global_buffer
      - .address_space:  global
        .offset:         8
        .size:           8
        .value_kind:     global_buffer
      - .offset:         16
        .size:           4
        .value_kind:     by_value
      - .offset:         20
        .size:           4
        .value_kind:     by_value
      - .offset:         24
        .size:           4
        .value_kind:     by_value
      - .address_space:  global
        .offset:         32
        .size:           8
        .value_kind:     global_buffer
      - .offset:         40
        .size:           4
        .value_kind:     by_value
      - .offset:         44
        .size:           1
        .value_kind:     by_value
      - .offset:         48
        .size:           4
        .value_kind:     hidden_block_count_x
      - .offset:         52
        .size:           4
        .value_kind:     hidden_block_count_y
      - .offset:         56
        .size:           4
        .value_kind:     hidden_block_count_z
      - .offset:         60
        .size:           2
        .value_kind:     hidden_group_size_x
      - .offset:         62
        .size:           2
        .value_kind:     hidden_group_size_y
      - .offset:         64
        .size:           2
        .value_kind:     hidden_group_size_z
      - .offset:         66
        .size:           2
        .value_kind:     hidden_remainder_x
      - .offset:         68
        .size:           2
        .value_kind:     hidden_remainder_y
      - .offset:         70
        .size:           2
        .value_kind:     hidden_remainder_z
      - .offset:         88
        .size:           8
        .value_kind:     hidden_global_offset_x
      - .offset:         96
        .size:           8
        .value_kind:     hidden_global_offset_y
      - .offset:         104
        .size:           8
        .value_kind:     hidden_global_offset_z
      - .offset:         112
        .size:           2
        .value_kind:     hidden_grid_dims
    .group_segment_fixed_size: 0
    .kernarg_segment_align: 8
    .kernarg_segment_size: 304
    .language:       OpenCL C
    .language_version:
      - 2
      - 0
    .max_flat_workgroup_size: 1024
    .name:           _ZN12_GLOBAL__N_120softmax_warp_forwardIN3c108BFloat16EffLi0ELb0ELb0ELi32EEEvPT0_PKT_iiiPKbib
    .private_segment_fixed_size: 0
    .sgpr_count:     18
    .sgpr_spill_count: 0
    .symbol:         _ZN12_GLOBAL__N_120softmax_warp_forwardIN3c108BFloat16EffLi0ELb0ELb0ELi32EEEvPT0_PKT_iiiPKbib.kd
    .uniform_work_group_size: 1
    .uses_dynamic_stack: false
    .vgpr_count:     9
    .vgpr_spill_count: 0
    .wavefront_size: 32
    .workgroup_processor_mode: 1
  - .args:
      - .address_space:  global
        .offset:         0
        .size:           8
        .value_kind:     global_buffer
      - .address_space:  global
        .offset:         8
        .size:           8
        .value_kind:     global_buffer
      - .offset:         16
        .size:           4
        .value_kind:     by_value
      - .offset:         20
        .size:           4
        .value_kind:     by_value
      - .offset:         24
        .size:           4
        .value_kind:     by_value
      - .address_space:  global
        .offset:         32
        .size:           8
        .value_kind:     global_buffer
      - .offset:         40
        .size:           4
        .value_kind:     by_value
      - .offset:         44
        .size:           1
        .value_kind:     by_value
      - .offset:         48
        .size:           4
        .value_kind:     hidden_block_count_x
      - .offset:         52
        .size:           4
        .value_kind:     hidden_block_count_y
      - .offset:         56
        .size:           4
        .value_kind:     hidden_block_count_z
      - .offset:         60
        .size:           2
        .value_kind:     hidden_group_size_x
      - .offset:         62
        .size:           2
        .value_kind:     hidden_group_size_y
      - .offset:         64
        .size:           2
        .value_kind:     hidden_group_size_z
      - .offset:         66
        .size:           2
        .value_kind:     hidden_remainder_x
      - .offset:         68
        .size:           2
        .value_kind:     hidden_remainder_y
      - .offset:         70
        .size:           2
        .value_kind:     hidden_remainder_z
      - .offset:         88
        .size:           8
        .value_kind:     hidden_global_offset_x
      - .offset:         96
        .size:           8
        .value_kind:     hidden_global_offset_y
      - .offset:         104
        .size:           8
        .value_kind:     hidden_global_offset_z
      - .offset:         112
        .size:           2
        .value_kind:     hidden_grid_dims
    .group_segment_fixed_size: 0
    .kernarg_segment_align: 8
    .kernarg_segment_size: 304
    .language:       OpenCL C
    .language_version:
      - 2
      - 0
    .max_flat_workgroup_size: 1024
    .name:           _ZN12_GLOBAL__N_120softmax_warp_forwardIN3c108BFloat16EffLi1ELb0ELb0ELi64EEEvPT0_PKT_iiiPKbib
    .private_segment_fixed_size: 0
    .sgpr_count:     18
    .sgpr_spill_count: 0
    .symbol:         _ZN12_GLOBAL__N_120softmax_warp_forwardIN3c108BFloat16EffLi1ELb0ELb0ELi64EEEvPT0_PKT_iiiPKbib.kd
    .uniform_work_group_size: 1
    .uses_dynamic_stack: false
    .vgpr_count:     12
    .vgpr_spill_count: 0
    .wavefront_size: 32
    .workgroup_processor_mode: 1
  - .args:
      - .address_space:  global
        .offset:         0
        .size:           8
        .value_kind:     global_buffer
      - .address_space:  global
        .offset:         8
        .size:           8
        .value_kind:     global_buffer
      - .offset:         16
        .size:           4
        .value_kind:     by_value
      - .offset:         20
        .size:           4
        .value_kind:     by_value
      - .offset:         24
        .size:           4
        .value_kind:     by_value
      - .address_space:  global
        .offset:         32
        .size:           8
        .value_kind:     global_buffer
      - .offset:         40
        .size:           4
        .value_kind:     by_value
      - .offset:         44
        .size:           1
        .value_kind:     by_value
      - .offset:         48
        .size:           4
        .value_kind:     hidden_block_count_x
      - .offset:         52
        .size:           4
        .value_kind:     hidden_block_count_y
      - .offset:         56
        .size:           4
        .value_kind:     hidden_block_count_z
      - .offset:         60
        .size:           2
        .value_kind:     hidden_group_size_x
      - .offset:         62
        .size:           2
        .value_kind:     hidden_group_size_y
      - .offset:         64
        .size:           2
        .value_kind:     hidden_group_size_z
      - .offset:         66
        .size:           2
        .value_kind:     hidden_remainder_x
      - .offset:         68
        .size:           2
        .value_kind:     hidden_remainder_y
      - .offset:         70
        .size:           2
        .value_kind:     hidden_remainder_z
      - .offset:         88
        .size:           8
        .value_kind:     hidden_global_offset_x
      - .offset:         96
        .size:           8
        .value_kind:     hidden_global_offset_y
      - .offset:         104
        .size:           8
        .value_kind:     hidden_global_offset_z
      - .offset:         112
        .size:           2
        .value_kind:     hidden_grid_dims
    .group_segment_fixed_size: 0
    .kernarg_segment_align: 8
    .kernarg_segment_size: 304
    .language:       OpenCL C
    .language_version:
      - 2
      - 0
    .max_flat_workgroup_size: 1024
    .name:           _ZN12_GLOBAL__N_120softmax_warp_forwardIN3c108BFloat16EffLi1ELb0ELb0ELi32EEEvPT0_PKT_iiiPKbib
    .private_segment_fixed_size: 0
    .sgpr_count:     18
    .sgpr_spill_count: 0
    .symbol:         _ZN12_GLOBAL__N_120softmax_warp_forwardIN3c108BFloat16EffLi1ELb0ELb0ELi32EEEvPT0_PKT_iiiPKbib.kd
    .uniform_work_group_size: 1
    .uses_dynamic_stack: false
    .vgpr_count:     12
    .vgpr_spill_count: 0
    .wavefront_size: 32
    .workgroup_processor_mode: 1
  - .args:
      - .address_space:  global
        .offset:         0
        .size:           8
        .value_kind:     global_buffer
      - .address_space:  global
        .offset:         8
        .size:           8
        .value_kind:     global_buffer
      - .offset:         16
        .size:           4
        .value_kind:     by_value
      - .offset:         20
        .size:           4
        .value_kind:     by_value
      - .offset:         24
        .size:           4
        .value_kind:     by_value
      - .address_space:  global
        .offset:         32
        .size:           8
        .value_kind:     global_buffer
      - .offset:         40
        .size:           4
        .value_kind:     by_value
      - .offset:         44
        .size:           1
        .value_kind:     by_value
      - .offset:         48
        .size:           4
        .value_kind:     hidden_block_count_x
      - .offset:         52
        .size:           4
        .value_kind:     hidden_block_count_y
      - .offset:         56
        .size:           4
        .value_kind:     hidden_block_count_z
      - .offset:         60
        .size:           2
        .value_kind:     hidden_group_size_x
      - .offset:         62
        .size:           2
        .value_kind:     hidden_group_size_y
      - .offset:         64
        .size:           2
        .value_kind:     hidden_group_size_z
      - .offset:         66
        .size:           2
        .value_kind:     hidden_remainder_x
      - .offset:         68
        .size:           2
        .value_kind:     hidden_remainder_y
      - .offset:         70
        .size:           2
        .value_kind:     hidden_remainder_z
      - .offset:         88
        .size:           8
        .value_kind:     hidden_global_offset_x
      - .offset:         96
        .size:           8
        .value_kind:     hidden_global_offset_y
      - .offset:         104
        .size:           8
        .value_kind:     hidden_global_offset_z
      - .offset:         112
        .size:           2
        .value_kind:     hidden_grid_dims
    .group_segment_fixed_size: 0
    .kernarg_segment_align: 8
    .kernarg_segment_size: 304
    .language:       OpenCL C
    .language_version:
      - 2
      - 0
    .max_flat_workgroup_size: 1024
    .name:           _ZN12_GLOBAL__N_120softmax_warp_forwardIN3c108BFloat16EffLi2ELb0ELb0ELi64EEEvPT0_PKT_iiiPKbib
    .private_segment_fixed_size: 0
    .sgpr_count:     18
    .sgpr_spill_count: 0
    .symbol:         _ZN12_GLOBAL__N_120softmax_warp_forwardIN3c108BFloat16EffLi2ELb0ELb0ELi64EEEvPT0_PKT_iiiPKbib.kd
    .uniform_work_group_size: 1
    .uses_dynamic_stack: false
    .vgpr_count:     13
    .vgpr_spill_count: 0
    .wavefront_size: 32
    .workgroup_processor_mode: 1
  - .args:
      - .address_space:  global
        .offset:         0
        .size:           8
        .value_kind:     global_buffer
      - .address_space:  global
        .offset:         8
        .size:           8
        .value_kind:     global_buffer
      - .offset:         16
        .size:           4
        .value_kind:     by_value
      - .offset:         20
        .size:           4
        .value_kind:     by_value
      - .offset:         24
        .size:           4
        .value_kind:     by_value
      - .address_space:  global
        .offset:         32
        .size:           8
        .value_kind:     global_buffer
      - .offset:         40
        .size:           4
        .value_kind:     by_value
      - .offset:         44
        .size:           1
        .value_kind:     by_value
      - .offset:         48
        .size:           4
        .value_kind:     hidden_block_count_x
      - .offset:         52
        .size:           4
        .value_kind:     hidden_block_count_y
      - .offset:         56
        .size:           4
        .value_kind:     hidden_block_count_z
      - .offset:         60
        .size:           2
        .value_kind:     hidden_group_size_x
      - .offset:         62
        .size:           2
        .value_kind:     hidden_group_size_y
      - .offset:         64
        .size:           2
        .value_kind:     hidden_group_size_z
      - .offset:         66
        .size:           2
        .value_kind:     hidden_remainder_x
      - .offset:         68
        .size:           2
        .value_kind:     hidden_remainder_y
      - .offset:         70
        .size:           2
        .value_kind:     hidden_remainder_z
      - .offset:         88
        .size:           8
        .value_kind:     hidden_global_offset_x
      - .offset:         96
        .size:           8
        .value_kind:     hidden_global_offset_y
      - .offset:         104
        .size:           8
        .value_kind:     hidden_global_offset_z
      - .offset:         112
        .size:           2
        .value_kind:     hidden_grid_dims
    .group_segment_fixed_size: 0
    .kernarg_segment_align: 8
    .kernarg_segment_size: 304
    .language:       OpenCL C
    .language_version:
      - 2
      - 0
    .max_flat_workgroup_size: 1024
    .name:           _ZN12_GLOBAL__N_120softmax_warp_forwardIN3c108BFloat16EffLi2ELb0ELb0ELi32EEEvPT0_PKT_iiiPKbib
    .private_segment_fixed_size: 0
    .sgpr_count:     18
    .sgpr_spill_count: 0
    .symbol:         _ZN12_GLOBAL__N_120softmax_warp_forwardIN3c108BFloat16EffLi2ELb0ELb0ELi32EEEvPT0_PKT_iiiPKbib.kd
    .uniform_work_group_size: 1
    .uses_dynamic_stack: false
    .vgpr_count:     13
    .vgpr_spill_count: 0
    .wavefront_size: 32
    .workgroup_processor_mode: 1
  - .args:
      - .address_space:  global
        .offset:         0
        .size:           8
        .value_kind:     global_buffer
      - .address_space:  global
        .offset:         8
        .size:           8
        .value_kind:     global_buffer
      - .offset:         16
        .size:           4
        .value_kind:     by_value
      - .offset:         20
        .size:           4
        .value_kind:     by_value
      - .offset:         24
        .size:           4
        .value_kind:     by_value
      - .address_space:  global
        .offset:         32
        .size:           8
        .value_kind:     global_buffer
      - .offset:         40
        .size:           4
        .value_kind:     by_value
      - .offset:         44
        .size:           1
        .value_kind:     by_value
      - .offset:         48
        .size:           4
        .value_kind:     hidden_block_count_x
      - .offset:         52
        .size:           4
        .value_kind:     hidden_block_count_y
      - .offset:         56
        .size:           4
        .value_kind:     hidden_block_count_z
      - .offset:         60
        .size:           2
        .value_kind:     hidden_group_size_x
      - .offset:         62
        .size:           2
        .value_kind:     hidden_group_size_y
      - .offset:         64
        .size:           2
        .value_kind:     hidden_group_size_z
      - .offset:         66
        .size:           2
        .value_kind:     hidden_remainder_x
      - .offset:         68
        .size:           2
        .value_kind:     hidden_remainder_y
      - .offset:         70
        .size:           2
        .value_kind:     hidden_remainder_z
      - .offset:         88
        .size:           8
        .value_kind:     hidden_global_offset_x
      - .offset:         96
        .size:           8
        .value_kind:     hidden_global_offset_y
      - .offset:         104
        .size:           8
        .value_kind:     hidden_global_offset_z
      - .offset:         112
        .size:           2
        .value_kind:     hidden_grid_dims
    .group_segment_fixed_size: 0
    .kernarg_segment_align: 8
    .kernarg_segment_size: 304
    .language:       OpenCL C
    .language_version:
      - 2
      - 0
    .max_flat_workgroup_size: 1024
    .name:           _ZN12_GLOBAL__N_120softmax_warp_forwardIN3c108BFloat16EffLi3ELb0ELb0ELi64EEEvPT0_PKT_iiiPKbib
    .private_segment_fixed_size: 0
    .sgpr_count:     18
    .sgpr_spill_count: 0
    .symbol:         _ZN12_GLOBAL__N_120softmax_warp_forwardIN3c108BFloat16EffLi3ELb0ELb0ELi64EEEvPT0_PKT_iiiPKbib.kd
    .uniform_work_group_size: 1
    .uses_dynamic_stack: false
    .vgpr_count:     14
    .vgpr_spill_count: 0
    .wavefront_size: 32
    .workgroup_processor_mode: 1
  - .args:
      - .address_space:  global
        .offset:         0
        .size:           8
        .value_kind:     global_buffer
      - .address_space:  global
        .offset:         8
        .size:           8
        .value_kind:     global_buffer
      - .offset:         16
        .size:           4
        .value_kind:     by_value
      - .offset:         20
        .size:           4
        .value_kind:     by_value
      - .offset:         24
        .size:           4
        .value_kind:     by_value
      - .address_space:  global
        .offset:         32
        .size:           8
        .value_kind:     global_buffer
      - .offset:         40
        .size:           4
        .value_kind:     by_value
      - .offset:         44
        .size:           1
        .value_kind:     by_value
      - .offset:         48
        .size:           4
        .value_kind:     hidden_block_count_x
      - .offset:         52
        .size:           4
        .value_kind:     hidden_block_count_y
      - .offset:         56
        .size:           4
        .value_kind:     hidden_block_count_z
      - .offset:         60
        .size:           2
        .value_kind:     hidden_group_size_x
      - .offset:         62
        .size:           2
        .value_kind:     hidden_group_size_y
      - .offset:         64
        .size:           2
        .value_kind:     hidden_group_size_z
      - .offset:         66
        .size:           2
        .value_kind:     hidden_remainder_x
      - .offset:         68
        .size:           2
        .value_kind:     hidden_remainder_y
      - .offset:         70
        .size:           2
        .value_kind:     hidden_remainder_z
      - .offset:         88
        .size:           8
        .value_kind:     hidden_global_offset_x
      - .offset:         96
        .size:           8
        .value_kind:     hidden_global_offset_y
      - .offset:         104
        .size:           8
        .value_kind:     hidden_global_offset_z
      - .offset:         112
        .size:           2
        .value_kind:     hidden_grid_dims
    .group_segment_fixed_size: 0
    .kernarg_segment_align: 8
    .kernarg_segment_size: 304
    .language:       OpenCL C
    .language_version:
      - 2
      - 0
    .max_flat_workgroup_size: 1024
    .name:           _ZN12_GLOBAL__N_120softmax_warp_forwardIN3c108BFloat16EffLi3ELb0ELb0ELi32EEEvPT0_PKT_iiiPKbib
    .private_segment_fixed_size: 0
    .sgpr_count:     18
    .sgpr_spill_count: 0
    .symbol:         _ZN12_GLOBAL__N_120softmax_warp_forwardIN3c108BFloat16EffLi3ELb0ELb0ELi32EEEvPT0_PKT_iiiPKbib.kd
    .uniform_work_group_size: 1
    .uses_dynamic_stack: false
    .vgpr_count:     14
    .vgpr_spill_count: 0
    .wavefront_size: 32
    .workgroup_processor_mode: 1
  - .args:
      - .address_space:  global
        .offset:         0
        .size:           8
        .value_kind:     global_buffer
      - .address_space:  global
        .offset:         8
        .size:           8
        .value_kind:     global_buffer
      - .offset:         16
        .size:           4
        .value_kind:     by_value
      - .offset:         20
        .size:           4
        .value_kind:     by_value
      - .offset:         24
        .size:           4
        .value_kind:     by_value
      - .address_space:  global
        .offset:         32
        .size:           8
        .value_kind:     global_buffer
      - .offset:         40
        .size:           4
        .value_kind:     by_value
      - .offset:         44
        .size:           1
        .value_kind:     by_value
      - .offset:         48
        .size:           4
        .value_kind:     hidden_block_count_x
      - .offset:         52
        .size:           4
        .value_kind:     hidden_block_count_y
      - .offset:         56
        .size:           4
        .value_kind:     hidden_block_count_z
      - .offset:         60
        .size:           2
        .value_kind:     hidden_group_size_x
      - .offset:         62
        .size:           2
        .value_kind:     hidden_group_size_y
      - .offset:         64
        .size:           2
        .value_kind:     hidden_group_size_z
      - .offset:         66
        .size:           2
        .value_kind:     hidden_remainder_x
      - .offset:         68
        .size:           2
        .value_kind:     hidden_remainder_y
      - .offset:         70
        .size:           2
        .value_kind:     hidden_remainder_z
      - .offset:         88
        .size:           8
        .value_kind:     hidden_global_offset_x
      - .offset:         96
        .size:           8
        .value_kind:     hidden_global_offset_y
      - .offset:         104
        .size:           8
        .value_kind:     hidden_global_offset_z
      - .offset:         112
        .size:           2
        .value_kind:     hidden_grid_dims
    .group_segment_fixed_size: 0
    .kernarg_segment_align: 8
    .kernarg_segment_size: 304
    .language:       OpenCL C
    .language_version:
      - 2
      - 0
    .max_flat_workgroup_size: 1024
    .name:           _ZN12_GLOBAL__N_120softmax_warp_forwardIN3c108BFloat16EffLi4ELb0ELb0ELi64EEEvPT0_PKT_iiiPKbib
    .private_segment_fixed_size: 0
    .sgpr_count:     18
    .sgpr_spill_count: 0
    .symbol:         _ZN12_GLOBAL__N_120softmax_warp_forwardIN3c108BFloat16EffLi4ELb0ELb0ELi64EEEvPT0_PKT_iiiPKbib.kd
    .uniform_work_group_size: 1
    .uses_dynamic_stack: false
    .vgpr_count:     15
    .vgpr_spill_count: 0
    .wavefront_size: 32
    .workgroup_processor_mode: 1
  - .args:
      - .address_space:  global
        .offset:         0
        .size:           8
        .value_kind:     global_buffer
      - .address_space:  global
        .offset:         8
        .size:           8
        .value_kind:     global_buffer
      - .offset:         16
        .size:           4
        .value_kind:     by_value
      - .offset:         20
        .size:           4
        .value_kind:     by_value
      - .offset:         24
        .size:           4
        .value_kind:     by_value
      - .address_space:  global
        .offset:         32
        .size:           8
        .value_kind:     global_buffer
      - .offset:         40
        .size:           4
        .value_kind:     by_value
      - .offset:         44
        .size:           1
        .value_kind:     by_value
      - .offset:         48
        .size:           4
        .value_kind:     hidden_block_count_x
      - .offset:         52
        .size:           4
        .value_kind:     hidden_block_count_y
      - .offset:         56
        .size:           4
        .value_kind:     hidden_block_count_z
      - .offset:         60
        .size:           2
        .value_kind:     hidden_group_size_x
      - .offset:         62
        .size:           2
        .value_kind:     hidden_group_size_y
      - .offset:         64
        .size:           2
        .value_kind:     hidden_group_size_z
      - .offset:         66
        .size:           2
        .value_kind:     hidden_remainder_x
      - .offset:         68
        .size:           2
        .value_kind:     hidden_remainder_y
      - .offset:         70
        .size:           2
        .value_kind:     hidden_remainder_z
      - .offset:         88
        .size:           8
        .value_kind:     hidden_global_offset_x
      - .offset:         96
        .size:           8
        .value_kind:     hidden_global_offset_y
      - .offset:         104
        .size:           8
        .value_kind:     hidden_global_offset_z
      - .offset:         112
        .size:           2
        .value_kind:     hidden_grid_dims
    .group_segment_fixed_size: 0
    .kernarg_segment_align: 8
    .kernarg_segment_size: 304
    .language:       OpenCL C
    .language_version:
      - 2
      - 0
    .max_flat_workgroup_size: 1024
    .name:           _ZN12_GLOBAL__N_120softmax_warp_forwardIN3c108BFloat16EffLi4ELb0ELb0ELi32EEEvPT0_PKT_iiiPKbib
    .private_segment_fixed_size: 0
    .sgpr_count:     18
    .sgpr_spill_count: 0
    .symbol:         _ZN12_GLOBAL__N_120softmax_warp_forwardIN3c108BFloat16EffLi4ELb0ELb0ELi32EEEvPT0_PKT_iiiPKbib.kd
    .uniform_work_group_size: 1
    .uses_dynamic_stack: false
    .vgpr_count:     15
    .vgpr_spill_count: 0
    .wavefront_size: 32
    .workgroup_processor_mode: 1
  - .args:
      - .address_space:  global
        .offset:         0
        .size:           8
        .value_kind:     global_buffer
      - .address_space:  global
        .offset:         8
        .size:           8
        .value_kind:     global_buffer
      - .offset:         16
        .size:           4
        .value_kind:     by_value
      - .offset:         20
        .size:           4
        .value_kind:     by_value
      - .offset:         24
        .size:           4
        .value_kind:     by_value
      - .address_space:  global
        .offset:         32
        .size:           8
        .value_kind:     global_buffer
      - .offset:         40
        .size:           4
        .value_kind:     by_value
      - .offset:         44
        .size:           1
        .value_kind:     by_value
      - .offset:         48
        .size:           4
        .value_kind:     hidden_block_count_x
      - .offset:         52
        .size:           4
        .value_kind:     hidden_block_count_y
      - .offset:         56
        .size:           4
        .value_kind:     hidden_block_count_z
      - .offset:         60
        .size:           2
        .value_kind:     hidden_group_size_x
      - .offset:         62
        .size:           2
        .value_kind:     hidden_group_size_y
      - .offset:         64
        .size:           2
        .value_kind:     hidden_group_size_z
      - .offset:         66
        .size:           2
        .value_kind:     hidden_remainder_x
      - .offset:         68
        .size:           2
        .value_kind:     hidden_remainder_y
      - .offset:         70
        .size:           2
        .value_kind:     hidden_remainder_z
      - .offset:         88
        .size:           8
        .value_kind:     hidden_global_offset_x
      - .offset:         96
        .size:           8
        .value_kind:     hidden_global_offset_y
      - .offset:         104
        .size:           8
        .value_kind:     hidden_global_offset_z
      - .offset:         112
        .size:           2
        .value_kind:     hidden_grid_dims
    .group_segment_fixed_size: 0
    .kernarg_segment_align: 8
    .kernarg_segment_size: 304
    .language:       OpenCL C
    .language_version:
      - 2
      - 0
    .max_flat_workgroup_size: 1024
    .name:           _ZN12_GLOBAL__N_120softmax_warp_forwardIN3c108BFloat16EffLi5ELb0ELb0ELi64EEEvPT0_PKT_iiiPKbib
    .private_segment_fixed_size: 0
    .sgpr_count:     18
    .sgpr_spill_count: 0
    .symbol:         _ZN12_GLOBAL__N_120softmax_warp_forwardIN3c108BFloat16EffLi5ELb0ELb0ELi64EEEvPT0_PKT_iiiPKbib.kd
    .uniform_work_group_size: 1
    .uses_dynamic_stack: false
    .vgpr_count:     16
    .vgpr_spill_count: 0
    .wavefront_size: 32
    .workgroup_processor_mode: 1
  - .args:
      - .address_space:  global
        .offset:         0
        .size:           8
        .value_kind:     global_buffer
      - .address_space:  global
        .offset:         8
        .size:           8
        .value_kind:     global_buffer
      - .offset:         16
        .size:           4
        .value_kind:     by_value
      - .offset:         20
        .size:           4
        .value_kind:     by_value
      - .offset:         24
        .size:           4
        .value_kind:     by_value
      - .address_space:  global
        .offset:         32
        .size:           8
        .value_kind:     global_buffer
      - .offset:         40
        .size:           4
        .value_kind:     by_value
      - .offset:         44
        .size:           1
        .value_kind:     by_value
      - .offset:         48
        .size:           4
        .value_kind:     hidden_block_count_x
      - .offset:         52
        .size:           4
        .value_kind:     hidden_block_count_y
      - .offset:         56
        .size:           4
        .value_kind:     hidden_block_count_z
      - .offset:         60
        .size:           2
        .value_kind:     hidden_group_size_x
      - .offset:         62
        .size:           2
        .value_kind:     hidden_group_size_y
      - .offset:         64
        .size:           2
        .value_kind:     hidden_group_size_z
      - .offset:         66
        .size:           2
        .value_kind:     hidden_remainder_x
      - .offset:         68
        .size:           2
        .value_kind:     hidden_remainder_y
      - .offset:         70
        .size:           2
        .value_kind:     hidden_remainder_z
      - .offset:         88
        .size:           8
        .value_kind:     hidden_global_offset_x
      - .offset:         96
        .size:           8
        .value_kind:     hidden_global_offset_y
      - .offset:         104
        .size:           8
        .value_kind:     hidden_global_offset_z
      - .offset:         112
        .size:           2
        .value_kind:     hidden_grid_dims
    .group_segment_fixed_size: 0
    .kernarg_segment_align: 8
    .kernarg_segment_size: 304
    .language:       OpenCL C
    .language_version:
      - 2
      - 0
    .max_flat_workgroup_size: 1024
    .name:           _ZN12_GLOBAL__N_120softmax_warp_forwardIN3c108BFloat16EffLi5ELb0ELb0ELi32EEEvPT0_PKT_iiiPKbib
    .private_segment_fixed_size: 0
    .sgpr_count:     18
    .sgpr_spill_count: 0
    .symbol:         _ZN12_GLOBAL__N_120softmax_warp_forwardIN3c108BFloat16EffLi5ELb0ELb0ELi32EEEvPT0_PKT_iiiPKbib.kd
    .uniform_work_group_size: 1
    .uses_dynamic_stack: false
    .vgpr_count:     16
    .vgpr_spill_count: 0
    .wavefront_size: 32
    .workgroup_processor_mode: 1
  - .args:
      - .address_space:  global
        .offset:         0
        .size:           8
        .value_kind:     global_buffer
      - .address_space:  global
        .offset:         8
        .size:           8
        .value_kind:     global_buffer
      - .offset:         16
        .size:           4
        .value_kind:     by_value
      - .offset:         20
        .size:           4
        .value_kind:     by_value
      - .offset:         24
        .size:           4
        .value_kind:     by_value
      - .address_space:  global
        .offset:         32
        .size:           8
        .value_kind:     global_buffer
      - .offset:         40
        .size:           4
        .value_kind:     by_value
      - .offset:         44
        .size:           1
        .value_kind:     by_value
      - .offset:         48
        .size:           4
        .value_kind:     hidden_block_count_x
      - .offset:         52
        .size:           4
        .value_kind:     hidden_block_count_y
      - .offset:         56
        .size:           4
        .value_kind:     hidden_block_count_z
      - .offset:         60
        .size:           2
        .value_kind:     hidden_group_size_x
      - .offset:         62
        .size:           2
        .value_kind:     hidden_group_size_y
      - .offset:         64
        .size:           2
        .value_kind:     hidden_group_size_z
      - .offset:         66
        .size:           2
        .value_kind:     hidden_remainder_x
      - .offset:         68
        .size:           2
        .value_kind:     hidden_remainder_y
      - .offset:         70
        .size:           2
        .value_kind:     hidden_remainder_z
      - .offset:         88
        .size:           8
        .value_kind:     hidden_global_offset_x
      - .offset:         96
        .size:           8
        .value_kind:     hidden_global_offset_y
      - .offset:         104
        .size:           8
        .value_kind:     hidden_global_offset_z
      - .offset:         112
        .size:           2
        .value_kind:     hidden_grid_dims
    .group_segment_fixed_size: 0
    .kernarg_segment_align: 8
    .kernarg_segment_size: 304
    .language:       OpenCL C
    .language_version:
      - 2
      - 0
    .max_flat_workgroup_size: 1024
    .name:           _ZN12_GLOBAL__N_120softmax_warp_forwardIN3c108BFloat16EffLi6ELb0ELb0ELi64EEEvPT0_PKT_iiiPKbib
    .private_segment_fixed_size: 0
    .sgpr_count:     18
    .sgpr_spill_count: 0
    .symbol:         _ZN12_GLOBAL__N_120softmax_warp_forwardIN3c108BFloat16EffLi6ELb0ELb0ELi64EEEvPT0_PKT_iiiPKbib.kd
    .uniform_work_group_size: 1
    .uses_dynamic_stack: false
    .vgpr_count:     17
    .vgpr_spill_count: 0
    .wavefront_size: 32
    .workgroup_processor_mode: 1
  - .args:
      - .address_space:  global
        .offset:         0
        .size:           8
        .value_kind:     global_buffer
      - .address_space:  global
        .offset:         8
        .size:           8
        .value_kind:     global_buffer
      - .offset:         16
        .size:           4
        .value_kind:     by_value
      - .offset:         20
        .size:           4
        .value_kind:     by_value
      - .offset:         24
        .size:           4
        .value_kind:     by_value
      - .address_space:  global
        .offset:         32
        .size:           8
        .value_kind:     global_buffer
      - .offset:         40
        .size:           4
        .value_kind:     by_value
      - .offset:         44
        .size:           1
        .value_kind:     by_value
      - .offset:         48
        .size:           4
        .value_kind:     hidden_block_count_x
      - .offset:         52
        .size:           4
        .value_kind:     hidden_block_count_y
      - .offset:         56
        .size:           4
        .value_kind:     hidden_block_count_z
      - .offset:         60
        .size:           2
        .value_kind:     hidden_group_size_x
      - .offset:         62
        .size:           2
        .value_kind:     hidden_group_size_y
      - .offset:         64
        .size:           2
        .value_kind:     hidden_group_size_z
      - .offset:         66
        .size:           2
        .value_kind:     hidden_remainder_x
      - .offset:         68
        .size:           2
        .value_kind:     hidden_remainder_y
      - .offset:         70
        .size:           2
        .value_kind:     hidden_remainder_z
      - .offset:         88
        .size:           8
        .value_kind:     hidden_global_offset_x
      - .offset:         96
        .size:           8
        .value_kind:     hidden_global_offset_y
      - .offset:         104
        .size:           8
        .value_kind:     hidden_global_offset_z
      - .offset:         112
        .size:           2
        .value_kind:     hidden_grid_dims
    .group_segment_fixed_size: 0
    .kernarg_segment_align: 8
    .kernarg_segment_size: 304
    .language:       OpenCL C
    .language_version:
      - 2
      - 0
    .max_flat_workgroup_size: 1024
    .name:           _ZN12_GLOBAL__N_120softmax_warp_forwardIN3c108BFloat16EffLi6ELb0ELb0ELi32EEEvPT0_PKT_iiiPKbib
    .private_segment_fixed_size: 0
    .sgpr_count:     18
    .sgpr_spill_count: 0
    .symbol:         _ZN12_GLOBAL__N_120softmax_warp_forwardIN3c108BFloat16EffLi6ELb0ELb0ELi32EEEvPT0_PKT_iiiPKbib.kd
    .uniform_work_group_size: 1
    .uses_dynamic_stack: false
    .vgpr_count:     24
    .vgpr_spill_count: 0
    .wavefront_size: 32
    .workgroup_processor_mode: 1
  - .args:
      - .address_space:  global
        .offset:         0
        .size:           8
        .value_kind:     global_buffer
      - .address_space:  global
        .offset:         8
        .size:           8
        .value_kind:     global_buffer
      - .offset:         16
        .size:           4
        .value_kind:     by_value
      - .offset:         20
        .size:           4
        .value_kind:     by_value
      - .offset:         24
        .size:           4
        .value_kind:     by_value
      - .address_space:  global
        .offset:         32
        .size:           8
        .value_kind:     global_buffer
      - .offset:         40
        .size:           4
        .value_kind:     by_value
      - .offset:         44
        .size:           1
        .value_kind:     by_value
      - .offset:         48
        .size:           4
        .value_kind:     hidden_block_count_x
      - .offset:         52
        .size:           4
        .value_kind:     hidden_block_count_y
      - .offset:         56
        .size:           4
        .value_kind:     hidden_block_count_z
      - .offset:         60
        .size:           2
        .value_kind:     hidden_group_size_x
      - .offset:         62
        .size:           2
        .value_kind:     hidden_group_size_y
      - .offset:         64
        .size:           2
        .value_kind:     hidden_group_size_z
      - .offset:         66
        .size:           2
        .value_kind:     hidden_remainder_x
      - .offset:         68
        .size:           2
        .value_kind:     hidden_remainder_y
      - .offset:         70
        .size:           2
        .value_kind:     hidden_remainder_z
      - .offset:         88
        .size:           8
        .value_kind:     hidden_global_offset_x
      - .offset:         96
        .size:           8
        .value_kind:     hidden_global_offset_y
      - .offset:         104
        .size:           8
        .value_kind:     hidden_global_offset_z
      - .offset:         112
        .size:           2
        .value_kind:     hidden_grid_dims
    .group_segment_fixed_size: 0
    .kernarg_segment_align: 8
    .kernarg_segment_size: 304
    .language:       OpenCL C
    .language_version:
      - 2
      - 0
    .max_flat_workgroup_size: 1024
    .name:           _ZN12_GLOBAL__N_120softmax_warp_forwardIN3c108BFloat16EffLi7ELb0ELb0ELi64EEEvPT0_PKT_iiiPKbib
    .private_segment_fixed_size: 0
    .sgpr_count:     18
    .sgpr_spill_count: 0
    .symbol:         _ZN12_GLOBAL__N_120softmax_warp_forwardIN3c108BFloat16EffLi7ELb0ELb0ELi64EEEvPT0_PKT_iiiPKbib.kd
    .uniform_work_group_size: 1
    .uses_dynamic_stack: false
    .vgpr_count:     25
    .vgpr_spill_count: 0
    .wavefront_size: 32
    .workgroup_processor_mode: 1
  - .args:
      - .address_space:  global
        .offset:         0
        .size:           8
        .value_kind:     global_buffer
      - .address_space:  global
        .offset:         8
        .size:           8
        .value_kind:     global_buffer
      - .offset:         16
        .size:           4
        .value_kind:     by_value
      - .offset:         20
        .size:           4
        .value_kind:     by_value
      - .offset:         24
        .size:           4
        .value_kind:     by_value
      - .address_space:  global
        .offset:         32
        .size:           8
        .value_kind:     global_buffer
      - .offset:         40
        .size:           4
        .value_kind:     by_value
      - .offset:         44
        .size:           1
        .value_kind:     by_value
      - .offset:         48
        .size:           4
        .value_kind:     hidden_block_count_x
      - .offset:         52
        .size:           4
        .value_kind:     hidden_block_count_y
      - .offset:         56
        .size:           4
        .value_kind:     hidden_block_count_z
      - .offset:         60
        .size:           2
        .value_kind:     hidden_group_size_x
      - .offset:         62
        .size:           2
        .value_kind:     hidden_group_size_y
      - .offset:         64
        .size:           2
        .value_kind:     hidden_group_size_z
      - .offset:         66
        .size:           2
        .value_kind:     hidden_remainder_x
      - .offset:         68
        .size:           2
        .value_kind:     hidden_remainder_y
      - .offset:         70
        .size:           2
        .value_kind:     hidden_remainder_z
      - .offset:         88
        .size:           8
        .value_kind:     hidden_global_offset_x
      - .offset:         96
        .size:           8
        .value_kind:     hidden_global_offset_y
      - .offset:         104
        .size:           8
        .value_kind:     hidden_global_offset_z
      - .offset:         112
        .size:           2
        .value_kind:     hidden_grid_dims
    .group_segment_fixed_size: 0
    .kernarg_segment_align: 8
    .kernarg_segment_size: 304
    .language:       OpenCL C
    .language_version:
      - 2
      - 0
    .max_flat_workgroup_size: 1024
    .name:           _ZN12_GLOBAL__N_120softmax_warp_forwardIN3c108BFloat16EffLi7ELb0ELb0ELi32EEEvPT0_PKT_iiiPKbib
    .private_segment_fixed_size: 0
    .sgpr_count:     18
    .sgpr_spill_count: 0
    .symbol:         _ZN12_GLOBAL__N_120softmax_warp_forwardIN3c108BFloat16EffLi7ELb0ELb0ELi32EEEvPT0_PKT_iiiPKbib.kd
    .uniform_work_group_size: 1
    .uses_dynamic_stack: false
    .vgpr_count:     40
    .vgpr_spill_count: 0
    .wavefront_size: 32
    .workgroup_processor_mode: 1
  - .args:
      - .address_space:  global
        .offset:         0
        .size:           8
        .value_kind:     global_buffer
      - .address_space:  global
        .offset:         8
        .size:           8
        .value_kind:     global_buffer
      - .offset:         16
        .size:           4
        .value_kind:     by_value
      - .offset:         20
        .size:           4
        .value_kind:     by_value
      - .offset:         24
        .size:           4
        .value_kind:     by_value
      - .address_space:  global
        .offset:         32
        .size:           8
        .value_kind:     global_buffer
      - .offset:         40
        .size:           4
        .value_kind:     by_value
      - .offset:         44
        .size:           1
        .value_kind:     by_value
      - .offset:         48
        .size:           4
        .value_kind:     hidden_block_count_x
      - .offset:         52
        .size:           4
        .value_kind:     hidden_block_count_y
      - .offset:         56
        .size:           4
        .value_kind:     hidden_block_count_z
      - .offset:         60
        .size:           2
        .value_kind:     hidden_group_size_x
      - .offset:         62
        .size:           2
        .value_kind:     hidden_group_size_y
      - .offset:         64
        .size:           2
        .value_kind:     hidden_group_size_z
      - .offset:         66
        .size:           2
        .value_kind:     hidden_remainder_x
      - .offset:         68
        .size:           2
        .value_kind:     hidden_remainder_y
      - .offset:         70
        .size:           2
        .value_kind:     hidden_remainder_z
      - .offset:         88
        .size:           8
        .value_kind:     hidden_global_offset_x
      - .offset:         96
        .size:           8
        .value_kind:     hidden_global_offset_y
      - .offset:         104
        .size:           8
        .value_kind:     hidden_global_offset_z
      - .offset:         112
        .size:           2
        .value_kind:     hidden_grid_dims
    .group_segment_fixed_size: 0
    .kernarg_segment_align: 8
    .kernarg_segment_size: 304
    .language:       OpenCL C
    .language_version:
      - 2
      - 0
    .max_flat_workgroup_size: 1024
    .name:           _ZN12_GLOBAL__N_120softmax_warp_forwardIN3c108BFloat16EffLi8ELb0ELb0ELi64EEEvPT0_PKT_iiiPKbib
    .private_segment_fixed_size: 0
    .sgpr_count:     18
    .sgpr_spill_count: 0
    .symbol:         _ZN12_GLOBAL__N_120softmax_warp_forwardIN3c108BFloat16EffLi8ELb0ELb0ELi64EEEvPT0_PKT_iiiPKbib.kd
    .uniform_work_group_size: 1
    .uses_dynamic_stack: false
    .vgpr_count:     24
    .vgpr_spill_count: 0
    .wavefront_size: 32
    .workgroup_processor_mode: 1
  - .args:
      - .address_space:  global
        .offset:         0
        .size:           8
        .value_kind:     global_buffer
      - .address_space:  global
        .offset:         8
        .size:           8
        .value_kind:     global_buffer
      - .offset:         16
        .size:           4
        .value_kind:     by_value
      - .offset:         20
        .size:           4
        .value_kind:     by_value
      - .offset:         24
        .size:           4
        .value_kind:     by_value
      - .address_space:  global
        .offset:         32
        .size:           8
        .value_kind:     global_buffer
      - .offset:         40
        .size:           4
        .value_kind:     by_value
      - .offset:         44
        .size:           1
        .value_kind:     by_value
      - .offset:         48
        .size:           4
        .value_kind:     hidden_block_count_x
      - .offset:         52
        .size:           4
        .value_kind:     hidden_block_count_y
      - .offset:         56
        .size:           4
        .value_kind:     hidden_block_count_z
      - .offset:         60
        .size:           2
        .value_kind:     hidden_group_size_x
      - .offset:         62
        .size:           2
        .value_kind:     hidden_group_size_y
      - .offset:         64
        .size:           2
        .value_kind:     hidden_group_size_z
      - .offset:         66
        .size:           2
        .value_kind:     hidden_remainder_x
      - .offset:         68
        .size:           2
        .value_kind:     hidden_remainder_y
      - .offset:         70
        .size:           2
        .value_kind:     hidden_remainder_z
      - .offset:         88
        .size:           8
        .value_kind:     hidden_global_offset_x
      - .offset:         96
        .size:           8
        .value_kind:     hidden_global_offset_y
      - .offset:         104
        .size:           8
        .value_kind:     hidden_global_offset_z
      - .offset:         112
        .size:           2
        .value_kind:     hidden_grid_dims
    .group_segment_fixed_size: 0
    .kernarg_segment_align: 8
    .kernarg_segment_size: 304
    .language:       OpenCL C
    .language_version:
      - 2
      - 0
    .max_flat_workgroup_size: 1024
    .name:           _ZN12_GLOBAL__N_120softmax_warp_forwardIN3c108BFloat16EffLi8ELb0ELb0ELi32EEEvPT0_PKT_iiiPKbib
    .private_segment_fixed_size: 0
    .sgpr_count:     18
    .sgpr_spill_count: 0
    .symbol:         _ZN12_GLOBAL__N_120softmax_warp_forwardIN3c108BFloat16EffLi8ELb0ELb0ELi32EEEvPT0_PKT_iiiPKbib.kd
    .uniform_work_group_size: 1
    .uses_dynamic_stack: false
    .vgpr_count:     40
    .vgpr_spill_count: 0
    .wavefront_size: 32
    .workgroup_processor_mode: 1
  - .args:
      - .address_space:  global
        .offset:         0
        .size:           8
        .value_kind:     global_buffer
      - .address_space:  global
        .offset:         8
        .size:           8
        .value_kind:     global_buffer
      - .offset:         16
        .size:           4
        .value_kind:     by_value
      - .offset:         20
        .size:           4
        .value_kind:     by_value
      - .offset:         24
        .size:           4
        .value_kind:     by_value
      - .address_space:  global
        .offset:         32
        .size:           8
        .value_kind:     global_buffer
      - .offset:         40
        .size:           4
        .value_kind:     by_value
      - .offset:         44
        .size:           1
        .value_kind:     by_value
      - .offset:         48
        .size:           4
        .value_kind:     hidden_block_count_x
      - .offset:         52
        .size:           4
        .value_kind:     hidden_block_count_y
      - .offset:         56
        .size:           4
        .value_kind:     hidden_block_count_z
      - .offset:         60
        .size:           2
        .value_kind:     hidden_group_size_x
      - .offset:         62
        .size:           2
        .value_kind:     hidden_group_size_y
      - .offset:         64
        .size:           2
        .value_kind:     hidden_group_size_z
      - .offset:         66
        .size:           2
        .value_kind:     hidden_remainder_x
      - .offset:         68
        .size:           2
        .value_kind:     hidden_remainder_y
      - .offset:         70
        .size:           2
        .value_kind:     hidden_remainder_z
      - .offset:         88
        .size:           8
        .value_kind:     hidden_global_offset_x
      - .offset:         96
        .size:           8
        .value_kind:     hidden_global_offset_y
      - .offset:         104
        .size:           8
        .value_kind:     hidden_global_offset_z
      - .offset:         112
        .size:           2
        .value_kind:     hidden_grid_dims
    .group_segment_fixed_size: 0
    .kernarg_segment_align: 8
    .kernarg_segment_size: 304
    .language:       OpenCL C
    .language_version:
      - 2
      - 0
    .max_flat_workgroup_size: 1024
    .name:           _ZN12_GLOBAL__N_120softmax_warp_forwardIN3c108BFloat16EffLi9ELb0ELb0ELi64EEEvPT0_PKT_iiiPKbib
    .private_segment_fixed_size: 0
    .sgpr_count:     18
    .sgpr_spill_count: 0
    .symbol:         _ZN12_GLOBAL__N_120softmax_warp_forwardIN3c108BFloat16EffLi9ELb0ELb0ELi64EEEvPT0_PKT_iiiPKbib.kd
    .uniform_work_group_size: 1
    .uses_dynamic_stack: false
    .vgpr_count:     41
    .vgpr_spill_count: 0
    .wavefront_size: 32
    .workgroup_processor_mode: 1
  - .args:
      - .address_space:  global
        .offset:         0
        .size:           8
        .value_kind:     global_buffer
      - .address_space:  global
        .offset:         8
        .size:           8
        .value_kind:     global_buffer
      - .offset:         16
        .size:           4
        .value_kind:     by_value
      - .offset:         20
        .size:           4
        .value_kind:     by_value
      - .offset:         24
        .size:           4
        .value_kind:     by_value
      - .address_space:  global
        .offset:         32
        .size:           8
        .value_kind:     global_buffer
      - .offset:         40
        .size:           4
        .value_kind:     by_value
      - .offset:         44
        .size:           1
        .value_kind:     by_value
      - .offset:         48
        .size:           4
        .value_kind:     hidden_block_count_x
      - .offset:         52
        .size:           4
        .value_kind:     hidden_block_count_y
      - .offset:         56
        .size:           4
        .value_kind:     hidden_block_count_z
      - .offset:         60
        .size:           2
        .value_kind:     hidden_group_size_x
      - .offset:         62
        .size:           2
        .value_kind:     hidden_group_size_y
      - .offset:         64
        .size:           2
        .value_kind:     hidden_group_size_z
      - .offset:         66
        .size:           2
        .value_kind:     hidden_remainder_x
      - .offset:         68
        .size:           2
        .value_kind:     hidden_remainder_y
      - .offset:         70
        .size:           2
        .value_kind:     hidden_remainder_z
      - .offset:         88
        .size:           8
        .value_kind:     hidden_global_offset_x
      - .offset:         96
        .size:           8
        .value_kind:     hidden_global_offset_y
      - .offset:         104
        .size:           8
        .value_kind:     hidden_global_offset_z
      - .offset:         112
        .size:           2
        .value_kind:     hidden_grid_dims
    .group_segment_fixed_size: 0
    .kernarg_segment_align: 8
    .kernarg_segment_size: 304
    .language:       OpenCL C
    .language_version:
      - 2
      - 0
    .max_flat_workgroup_size: 1024
    .name:           _ZN12_GLOBAL__N_120softmax_warp_forwardIN3c108BFloat16EffLi9ELb0ELb0ELi32EEEvPT0_PKT_iiiPKbib
    .private_segment_fixed_size: 0
    .sgpr_count:     26
    .sgpr_spill_count: 0
    .symbol:         _ZN12_GLOBAL__N_120softmax_warp_forwardIN3c108BFloat16EffLi9ELb0ELb0ELi32EEEvPT0_PKT_iiiPKbib.kd
    .uniform_work_group_size: 1
    .uses_dynamic_stack: false
    .vgpr_count:     62
    .vgpr_spill_count: 0
    .wavefront_size: 32
    .workgroup_processor_mode: 1
  - .args:
      - .address_space:  global
        .offset:         0
        .size:           8
        .value_kind:     global_buffer
      - .address_space:  global
        .offset:         8
        .size:           8
        .value_kind:     global_buffer
      - .offset:         16
        .size:           4
        .value_kind:     by_value
      - .offset:         20
        .size:           4
        .value_kind:     by_value
      - .offset:         24
        .size:           4
        .value_kind:     by_value
      - .address_space:  global
        .offset:         32
        .size:           8
        .value_kind:     global_buffer
      - .offset:         40
        .size:           4
        .value_kind:     by_value
      - .offset:         44
        .size:           1
        .value_kind:     by_value
      - .offset:         48
        .size:           4
        .value_kind:     hidden_block_count_x
      - .offset:         52
        .size:           4
        .value_kind:     hidden_block_count_y
      - .offset:         56
        .size:           4
        .value_kind:     hidden_block_count_z
      - .offset:         60
        .size:           2
        .value_kind:     hidden_group_size_x
      - .offset:         62
        .size:           2
        .value_kind:     hidden_group_size_y
      - .offset:         64
        .size:           2
        .value_kind:     hidden_group_size_z
      - .offset:         66
        .size:           2
        .value_kind:     hidden_remainder_x
      - .offset:         68
        .size:           2
        .value_kind:     hidden_remainder_y
      - .offset:         70
        .size:           2
        .value_kind:     hidden_remainder_z
      - .offset:         88
        .size:           8
        .value_kind:     hidden_global_offset_x
      - .offset:         96
        .size:           8
        .value_kind:     hidden_global_offset_y
      - .offset:         104
        .size:           8
        .value_kind:     hidden_global_offset_z
      - .offset:         112
        .size:           2
        .value_kind:     hidden_grid_dims
    .group_segment_fixed_size: 0
    .kernarg_segment_align: 8
    .kernarg_segment_size: 304
    .language:       OpenCL C
    .language_version:
      - 2
      - 0
    .max_flat_workgroup_size: 1024
    .name:           _ZN12_GLOBAL__N_120softmax_warp_forwardIN3c108BFloat16EffLi10ELb0ELb0ELi64EEEvPT0_PKT_iiiPKbib
    .private_segment_fixed_size: 0
    .sgpr_count:     26
    .sgpr_spill_count: 0
    .symbol:         _ZN12_GLOBAL__N_120softmax_warp_forwardIN3c108BFloat16EffLi10ELb0ELb0ELi64EEEvPT0_PKT_iiiPKbib.kd
    .uniform_work_group_size: 1
    .uses_dynamic_stack: false
    .vgpr_count:     62
    .vgpr_spill_count: 0
    .wavefront_size: 32
    .workgroup_processor_mode: 1
  - .args:
      - .address_space:  global
        .offset:         0
        .size:           8
        .value_kind:     global_buffer
      - .address_space:  global
        .offset:         8
        .size:           8
        .value_kind:     global_buffer
      - .offset:         16
        .size:           4
        .value_kind:     by_value
      - .offset:         20
        .size:           4
        .value_kind:     by_value
      - .offset:         24
        .size:           4
        .value_kind:     by_value
      - .address_space:  global
        .offset:         32
        .size:           8
        .value_kind:     global_buffer
      - .offset:         40
        .size:           4
        .value_kind:     by_value
      - .offset:         44
        .size:           1
        .value_kind:     by_value
      - .offset:         48
        .size:           4
        .value_kind:     hidden_block_count_x
      - .offset:         52
        .size:           4
        .value_kind:     hidden_block_count_y
      - .offset:         56
        .size:           4
        .value_kind:     hidden_block_count_z
      - .offset:         60
        .size:           2
        .value_kind:     hidden_group_size_x
      - .offset:         62
        .size:           2
        .value_kind:     hidden_group_size_y
      - .offset:         64
        .size:           2
        .value_kind:     hidden_group_size_z
      - .offset:         66
        .size:           2
        .value_kind:     hidden_remainder_x
      - .offset:         68
        .size:           2
        .value_kind:     hidden_remainder_y
      - .offset:         70
        .size:           2
        .value_kind:     hidden_remainder_z
      - .offset:         88
        .size:           8
        .value_kind:     hidden_global_offset_x
      - .offset:         96
        .size:           8
        .value_kind:     hidden_global_offset_y
      - .offset:         104
        .size:           8
        .value_kind:     hidden_global_offset_z
      - .offset:         112
        .size:           2
        .value_kind:     hidden_grid_dims
    .group_segment_fixed_size: 0
    .kernarg_segment_align: 8
    .kernarg_segment_size: 304
    .language:       OpenCL C
    .language_version:
      - 2
      - 0
    .max_flat_workgroup_size: 1024
    .name:           _ZN12_GLOBAL__N_120softmax_warp_forwardIN3c108BFloat16EffLi10ELb0ELb0ELi32EEEvPT0_PKT_iiiPKbib
    .private_segment_fixed_size: 0
    .sgpr_count:     46
    .sgpr_spill_count: 0
    .symbol:         _ZN12_GLOBAL__N_120softmax_warp_forwardIN3c108BFloat16EffLi10ELb0ELb0ELi32EEEvPT0_PKT_iiiPKbib.kd
    .uniform_work_group_size: 1
    .uses_dynamic_stack: false
    .vgpr_count:     45
    .vgpr_spill_count: 0
    .wavefront_size: 32
    .workgroup_processor_mode: 1
  - .args:
      - .address_space:  global
        .offset:         0
        .size:           8
        .value_kind:     global_buffer
      - .address_space:  global
        .offset:         8
        .size:           8
        .value_kind:     global_buffer
      - .offset:         16
        .size:           4
        .value_kind:     by_value
      - .offset:         20
        .size:           4
        .value_kind:     by_value
      - .offset:         24
        .size:           4
        .value_kind:     by_value
      - .address_space:  global
        .offset:         32
        .size:           8
        .value_kind:     global_buffer
      - .offset:         40
        .size:           4
        .value_kind:     by_value
      - .offset:         44
        .size:           1
        .value_kind:     by_value
      - .offset:         48
        .size:           4
        .value_kind:     hidden_block_count_x
      - .offset:         52
        .size:           4
        .value_kind:     hidden_block_count_y
      - .offset:         56
        .size:           4
        .value_kind:     hidden_block_count_z
      - .offset:         60
        .size:           2
        .value_kind:     hidden_group_size_x
      - .offset:         62
        .size:           2
        .value_kind:     hidden_group_size_y
      - .offset:         64
        .size:           2
        .value_kind:     hidden_group_size_z
      - .offset:         66
        .size:           2
        .value_kind:     hidden_remainder_x
      - .offset:         68
        .size:           2
        .value_kind:     hidden_remainder_y
      - .offset:         70
        .size:           2
        .value_kind:     hidden_remainder_z
      - .offset:         88
        .size:           8
        .value_kind:     hidden_global_offset_x
      - .offset:         96
        .size:           8
        .value_kind:     hidden_global_offset_y
      - .offset:         104
        .size:           8
        .value_kind:     hidden_global_offset_z
      - .offset:         112
        .size:           2
        .value_kind:     hidden_grid_dims
    .group_segment_fixed_size: 0
    .kernarg_segment_align: 8
    .kernarg_segment_size: 304
    .language:       OpenCL C
    .language_version:
      - 2
      - 0
    .max_flat_workgroup_size: 1024
    .name:           _ZN12_GLOBAL__N_120softmax_warp_forwardIN3c108BFloat16EffLi11ELb0ELb0ELi64EEEvPT0_PKT_iiiPKbib
    .private_segment_fixed_size: 0
    .sgpr_count:     46
    .sgpr_spill_count: 0
    .symbol:         _ZN12_GLOBAL__N_120softmax_warp_forwardIN3c108BFloat16EffLi11ELb0ELb0ELi64EEEvPT0_PKT_iiiPKbib.kd
    .uniform_work_group_size: 1
    .uses_dynamic_stack: false
    .vgpr_count:     46
    .vgpr_spill_count: 0
    .wavefront_size: 32
    .workgroup_processor_mode: 1
  - .args:
      - .address_space:  global
        .offset:         0
        .size:           8
        .value_kind:     global_buffer
      - .address_space:  global
        .offset:         8
        .size:           8
        .value_kind:     global_buffer
      - .offset:         16
        .size:           4
        .value_kind:     by_value
      - .offset:         20
        .size:           4
        .value_kind:     by_value
      - .offset:         24
        .size:           4
        .value_kind:     by_value
      - .address_space:  global
        .offset:         32
        .size:           8
        .value_kind:     global_buffer
      - .offset:         40
        .size:           4
        .value_kind:     by_value
      - .offset:         44
        .size:           1
        .value_kind:     by_value
      - .offset:         48
        .size:           4
        .value_kind:     hidden_block_count_x
      - .offset:         52
        .size:           4
        .value_kind:     hidden_block_count_y
      - .offset:         56
        .size:           4
        .value_kind:     hidden_block_count_z
      - .offset:         60
        .size:           2
        .value_kind:     hidden_group_size_x
      - .offset:         62
        .size:           2
        .value_kind:     hidden_group_size_y
      - .offset:         64
        .size:           2
        .value_kind:     hidden_group_size_z
      - .offset:         66
        .size:           2
        .value_kind:     hidden_remainder_x
      - .offset:         68
        .size:           2
        .value_kind:     hidden_remainder_y
      - .offset:         70
        .size:           2
        .value_kind:     hidden_remainder_z
      - .offset:         88
        .size:           8
        .value_kind:     hidden_global_offset_x
      - .offset:         96
        .size:           8
        .value_kind:     hidden_global_offset_y
      - .offset:         104
        .size:           8
        .value_kind:     hidden_global_offset_z
      - .offset:         112
        .size:           2
        .value_kind:     hidden_grid_dims
    .group_segment_fixed_size: 0
    .kernarg_segment_align: 8
    .kernarg_segment_size: 304
    .language:       OpenCL C
    .language_version:
      - 2
      - 0
    .max_flat_workgroup_size: 1024
    .name:           _ZN12_GLOBAL__N_120softmax_warp_forwardIN3c108BFloat16EffLi11ELb0ELb0ELi32EEEvPT0_PKT_iiiPKbib
    .private_segment_fixed_size: 0
    .sgpr_count:     78
    .sgpr_spill_count: 0
    .symbol:         _ZN12_GLOBAL__N_120softmax_warp_forwardIN3c108BFloat16EffLi11ELb0ELb0ELi32EEEvPT0_PKT_iiiPKbib.kd
    .uniform_work_group_size: 1
    .uses_dynamic_stack: false
    .vgpr_count:     77
    .vgpr_spill_count: 0
    .wavefront_size: 32
    .workgroup_processor_mode: 1
  - .args:
      - .address_space:  global
        .offset:         0
        .size:           8
        .value_kind:     global_buffer
      - .address_space:  global
        .offset:         8
        .size:           8
        .value_kind:     global_buffer
      - .offset:         16
        .size:           8
        .value_kind:     by_value
      - .offset:         24
        .size:           4
        .value_kind:     hidden_block_count_x
      - .offset:         28
        .size:           4
        .value_kind:     hidden_block_count_y
      - .offset:         32
        .size:           4
        .value_kind:     hidden_block_count_z
      - .offset:         36
        .size:           2
        .value_kind:     hidden_group_size_x
      - .offset:         38
        .size:           2
        .value_kind:     hidden_group_size_y
      - .offset:         40
        .size:           2
        .value_kind:     hidden_group_size_z
      - .offset:         42
        .size:           2
        .value_kind:     hidden_remainder_x
      - .offset:         44
        .size:           2
        .value_kind:     hidden_remainder_y
      - .offset:         46
        .size:           2
        .value_kind:     hidden_remainder_z
      - .offset:         64
        .size:           8
        .value_kind:     hidden_global_offset_x
      - .offset:         72
        .size:           8
        .value_kind:     hidden_global_offset_y
      - .offset:         80
        .size:           8
        .value_kind:     hidden_global_offset_z
      - .offset:         88
        .size:           2
        .value_kind:     hidden_grid_dims
      - .offset:         144
        .size:           4
        .value_kind:     hidden_dynamic_lds_size
    .group_segment_fixed_size: 0
    .kernarg_segment_align: 8
    .kernarg_segment_size: 280
    .language:       OpenCL C
    .language_version:
      - 2
      - 0
    .max_flat_workgroup_size: 1024
    .name:           _ZN2at6native12_GLOBAL__N_123cunn_SoftMaxForwardGmemILi8EN3c108BFloat16EffNS1_29SoftMaxForwardWithMulEpilogueElEEvPT2_PKT0_T4_
    .private_segment_fixed_size: 0
    .sgpr_count:     22
    .sgpr_spill_count: 0
    .symbol:         _ZN2at6native12_GLOBAL__N_123cunn_SoftMaxForwardGmemILi8EN3c108BFloat16EffNS1_29SoftMaxForwardWithMulEpilogueElEEvPT2_PKT0_T4_.kd
    .uniform_work_group_size: 1
    .uses_dynamic_stack: false
    .vgpr_count:     24
    .vgpr_spill_count: 0
    .wavefront_size: 32
    .workgroup_processor_mode: 1
  - .args:
      - .address_space:  global
        .offset:         0
        .size:           8
        .value_kind:     global_buffer
      - .address_space:  global
        .offset:         8
        .size:           8
        .value_kind:     global_buffer
      - .offset:         16
        .size:           4
        .value_kind:     by_value
      - .offset:         24
        .size:           4
        .value_kind:     hidden_block_count_x
      - .offset:         28
        .size:           4
        .value_kind:     hidden_block_count_y
      - .offset:         32
        .size:           4
        .value_kind:     hidden_block_count_z
      - .offset:         36
        .size:           2
        .value_kind:     hidden_group_size_x
      - .offset:         38
        .size:           2
        .value_kind:     hidden_group_size_y
      - .offset:         40
        .size:           2
        .value_kind:     hidden_group_size_z
      - .offset:         42
        .size:           2
        .value_kind:     hidden_remainder_x
      - .offset:         44
        .size:           2
        .value_kind:     hidden_remainder_y
      - .offset:         46
        .size:           2
        .value_kind:     hidden_remainder_z
      - .offset:         64
        .size:           8
        .value_kind:     hidden_global_offset_x
      - .offset:         72
        .size:           8
        .value_kind:     hidden_global_offset_y
      - .offset:         80
        .size:           8
        .value_kind:     hidden_global_offset_z
      - .offset:         88
        .size:           2
        .value_kind:     hidden_grid_dims
      - .offset:         144
        .size:           4
        .value_kind:     hidden_dynamic_lds_size
    .group_segment_fixed_size: 0
    .kernarg_segment_align: 8
    .kernarg_segment_size: 280
    .language:       OpenCL C
    .language_version:
      - 2
      - 0
    .max_flat_workgroup_size: 1024
    .name:           _ZN2at6native12_GLOBAL__N_123cunn_SoftMaxForwardFastILi8EN3c108BFloat16EffNS1_29SoftMaxForwardWithMulEpilogueEEEvPT2_PKT0_i
    .private_segment_fixed_size: 0
    .sgpr_count:     23
    .sgpr_spill_count: 0
    .symbol:         _ZN2at6native12_GLOBAL__N_123cunn_SoftMaxForwardFastILi8EN3c108BFloat16EffNS1_29SoftMaxForwardWithMulEpilogueEEEvPT2_PKT0_i.kd
    .uniform_work_group_size: 1
    .uses_dynamic_stack: false
    .vgpr_count:     19
    .vgpr_spill_count: 0
    .wavefront_size: 32
    .workgroup_processor_mode: 1
  - .args:
      - .address_space:  global
        .offset:         0
        .size:           8
        .value_kind:     global_buffer
      - .address_space:  global
        .offset:         8
        .size:           8
        .value_kind:     global_buffer
      - .offset:         16
        .size:           4
        .value_kind:     by_value
      - .offset:         20
        .size:           4
        .value_kind:     by_value
      - .offset:         24
        .size:           4
        .value_kind:     by_value
      - .offset:         32
        .size:           4
        .value_kind:     hidden_block_count_x
      - .offset:         36
        .size:           4
        .value_kind:     hidden_block_count_y
      - .offset:         40
        .size:           4
        .value_kind:     hidden_block_count_z
      - .offset:         44
        .size:           2
        .value_kind:     hidden_group_size_x
      - .offset:         46
        .size:           2
        .value_kind:     hidden_group_size_y
      - .offset:         48
        .size:           2
        .value_kind:     hidden_group_size_z
      - .offset:         50
        .size:           2
        .value_kind:     hidden_remainder_x
      - .offset:         52
        .size:           2
        .value_kind:     hidden_remainder_y
      - .offset:         54
        .size:           2
        .value_kind:     hidden_remainder_z
      - .offset:         72
        .size:           8
        .value_kind:     hidden_global_offset_x
      - .offset:         80
        .size:           8
        .value_kind:     hidden_global_offset_y
      - .offset:         88
        .size:           8
        .value_kind:     hidden_global_offset_z
      - .offset:         96
        .size:           2
        .value_kind:     hidden_grid_dims
      - .offset:         152
        .size:           4
        .value_kind:     hidden_dynamic_lds_size
    .group_segment_fixed_size: 0
    .kernarg_segment_align: 8
    .kernarg_segment_size: 288
    .language:       OpenCL C
    .language_version:
      - 2
      - 0
    .max_flat_workgroup_size: 1024
    .name:           _ZN2at6native12_GLOBAL__N_126cunn_SpatialSoftMaxForwardIdddiNS1_22SoftMaxForwardEpilogueEEEvPT1_PKT_T2_S9_S9_
    .private_segment_fixed_size: 0
    .sgpr_count:     52
    .sgpr_spill_count: 0
    .symbol:         _ZN2at6native12_GLOBAL__N_126cunn_SpatialSoftMaxForwardIdddiNS1_22SoftMaxForwardEpilogueEEEvPT1_PKT_T2_S9_S9_.kd
    .uniform_work_group_size: 1
    .uses_dynamic_stack: false
    .vgpr_count:     29
    .vgpr_spill_count: 0
    .wavefront_size: 32
    .workgroup_processor_mode: 1
  - .args:
      - .address_space:  global
        .offset:         0
        .size:           8
        .value_kind:     global_buffer
      - .address_space:  global
        .offset:         8
        .size:           8
        .value_kind:     global_buffer
      - .offset:         16
        .size:           8
        .value_kind:     by_value
      - .offset:         24
        .size:           8
        .value_kind:     by_value
      - .offset:         32
        .size:           8
        .value_kind:     by_value
      - .offset:         40
        .size:           4
        .value_kind:     hidden_block_count_x
      - .offset:         44
        .size:           4
        .value_kind:     hidden_block_count_y
      - .offset:         48
        .size:           4
        .value_kind:     hidden_block_count_z
      - .offset:         52
        .size:           2
        .value_kind:     hidden_group_size_x
      - .offset:         54
        .size:           2
        .value_kind:     hidden_group_size_y
      - .offset:         56
        .size:           2
        .value_kind:     hidden_group_size_z
      - .offset:         58
        .size:           2
        .value_kind:     hidden_remainder_x
      - .offset:         60
        .size:           2
        .value_kind:     hidden_remainder_y
      - .offset:         62
        .size:           2
        .value_kind:     hidden_remainder_z
      - .offset:         80
        .size:           8
        .value_kind:     hidden_global_offset_x
      - .offset:         88
        .size:           8
        .value_kind:     hidden_global_offset_y
      - .offset:         96
        .size:           8
        .value_kind:     hidden_global_offset_z
      - .offset:         104
        .size:           2
        .value_kind:     hidden_grid_dims
      - .offset:         160
        .size:           4
        .value_kind:     hidden_dynamic_lds_size
    .group_segment_fixed_size: 0
    .kernarg_segment_align: 8
    .kernarg_segment_size: 296
    .language:       OpenCL C
    .language_version:
      - 2
      - 0
    .max_flat_workgroup_size: 1024
    .name:           _ZN2at6native12_GLOBAL__N_126cunn_SpatialSoftMaxForwardIdddlNS1_22SoftMaxForwardEpilogueEEEvPT1_PKT_T2_S9_S9_
    .private_segment_fixed_size: 0
    .sgpr_count:     60
    .sgpr_spill_count: 0
    .symbol:         _ZN2at6native12_GLOBAL__N_126cunn_SpatialSoftMaxForwardIdddlNS1_22SoftMaxForwardEpilogueEEEvPT1_PKT_T2_S9_S9_.kd
    .uniform_work_group_size: 1
    .uses_dynamic_stack: false
    .vgpr_count:     40
    .vgpr_spill_count: 0
    .wavefront_size: 32
    .workgroup_processor_mode: 1
  - .args:
      - .address_space:  global
        .offset:         0
        .size:           8
        .value_kind:     global_buffer
      - .address_space:  global
        .offset:         8
        .size:           8
        .value_kind:     global_buffer
      - .offset:         16
        .size:           4
        .value_kind:     by_value
      - .offset:         20
        .size:           4
        .value_kind:     by_value
      - .offset:         24
        .size:           4
        .value_kind:     by_value
      - .offset:         32
        .size:           4
        .value_kind:     hidden_block_count_x
      - .offset:         36
        .size:           4
        .value_kind:     hidden_block_count_y
      - .offset:         40
        .size:           4
        .value_kind:     hidden_block_count_z
      - .offset:         44
        .size:           2
        .value_kind:     hidden_group_size_x
      - .offset:         46
        .size:           2
        .value_kind:     hidden_group_size_y
      - .offset:         48
        .size:           2
        .value_kind:     hidden_group_size_z
      - .offset:         50
        .size:           2
        .value_kind:     hidden_remainder_x
      - .offset:         52
        .size:           2
        .value_kind:     hidden_remainder_y
      - .offset:         54
        .size:           2
        .value_kind:     hidden_remainder_z
      - .offset:         72
        .size:           8
        .value_kind:     hidden_global_offset_x
      - .offset:         80
        .size:           8
        .value_kind:     hidden_global_offset_y
      - .offset:         88
        .size:           8
        .value_kind:     hidden_global_offset_z
      - .offset:         96
        .size:           2
        .value_kind:     hidden_grid_dims
      - .offset:         152
        .size:           4
        .value_kind:     hidden_dynamic_lds_size
    .group_segment_fixed_size: 0
    .kernarg_segment_align: 8
    .kernarg_segment_size: 288
    .language:       OpenCL C
    .language_version:
      - 2
      - 0
    .max_flat_workgroup_size: 1024
    .name:           _ZN2at6native12_GLOBAL__N_126cunn_SpatialSoftMaxForwardIfffiNS1_22SoftMaxForwardEpilogueEEEvPT1_PKT_T2_S9_S9_
    .private_segment_fixed_size: 0
    .sgpr_count:     25
    .sgpr_spill_count: 0
    .symbol:         _ZN2at6native12_GLOBAL__N_126cunn_SpatialSoftMaxForwardIfffiNS1_22SoftMaxForwardEpilogueEEEvPT1_PKT_T2_S9_S9_.kd
    .uniform_work_group_size: 1
    .uses_dynamic_stack: false
    .vgpr_count:     20
    .vgpr_spill_count: 0
    .wavefront_size: 32
    .workgroup_processor_mode: 1
  - .args:
      - .address_space:  global
        .offset:         0
        .size:           8
        .value_kind:     global_buffer
      - .address_space:  global
        .offset:         8
        .size:           8
        .value_kind:     global_buffer
      - .offset:         16
        .size:           8
        .value_kind:     by_value
      - .offset:         24
        .size:           8
        .value_kind:     by_value
      - .offset:         32
        .size:           8
        .value_kind:     by_value
      - .offset:         40
        .size:           4
        .value_kind:     hidden_block_count_x
      - .offset:         44
        .size:           4
        .value_kind:     hidden_block_count_y
      - .offset:         48
        .size:           4
        .value_kind:     hidden_block_count_z
      - .offset:         52
        .size:           2
        .value_kind:     hidden_group_size_x
      - .offset:         54
        .size:           2
        .value_kind:     hidden_group_size_y
      - .offset:         56
        .size:           2
        .value_kind:     hidden_group_size_z
      - .offset:         58
        .size:           2
        .value_kind:     hidden_remainder_x
      - .offset:         60
        .size:           2
        .value_kind:     hidden_remainder_y
      - .offset:         62
        .size:           2
        .value_kind:     hidden_remainder_z
      - .offset:         80
        .size:           8
        .value_kind:     hidden_global_offset_x
      - .offset:         88
        .size:           8
        .value_kind:     hidden_global_offset_y
      - .offset:         96
        .size:           8
        .value_kind:     hidden_global_offset_z
      - .offset:         104
        .size:           2
        .value_kind:     hidden_grid_dims
      - .offset:         160
        .size:           4
        .value_kind:     hidden_dynamic_lds_size
    .group_segment_fixed_size: 0
    .kernarg_segment_align: 8
    .kernarg_segment_size: 296
    .language:       OpenCL C
    .language_version:
      - 2
      - 0
    .max_flat_workgroup_size: 1024
    .name:           _ZN2at6native12_GLOBAL__N_126cunn_SpatialSoftMaxForwardIffflNS1_22SoftMaxForwardEpilogueEEEvPT1_PKT_T2_S9_S9_
    .private_segment_fixed_size: 0
    .sgpr_count:     33
    .sgpr_spill_count: 0
    .symbol:         _ZN2at6native12_GLOBAL__N_126cunn_SpatialSoftMaxForwardIffflNS1_22SoftMaxForwardEpilogueEEEvPT1_PKT_T2_S9_S9_.kd
    .uniform_work_group_size: 1
    .uses_dynamic_stack: false
    .vgpr_count:     31
    .vgpr_spill_count: 0
    .wavefront_size: 32
    .workgroup_processor_mode: 1
  - .args:
      - .address_space:  global
        .offset:         0
        .size:           8
        .value_kind:     global_buffer
      - .address_space:  global
        .offset:         8
        .size:           8
        .value_kind:     global_buffer
      - .offset:         16
        .size:           4
        .value_kind:     by_value
      - .offset:         20
        .size:           4
        .value_kind:     by_value
      - .offset:         24
        .size:           4
        .value_kind:     by_value
      - .offset:         32
        .size:           4
        .value_kind:     hidden_block_count_x
      - .offset:         36
        .size:           4
        .value_kind:     hidden_block_count_y
      - .offset:         40
        .size:           4
        .value_kind:     hidden_block_count_z
      - .offset:         44
        .size:           2
        .value_kind:     hidden_group_size_x
      - .offset:         46
        .size:           2
        .value_kind:     hidden_group_size_y
      - .offset:         48
        .size:           2
        .value_kind:     hidden_group_size_z
      - .offset:         50
        .size:           2
        .value_kind:     hidden_remainder_x
      - .offset:         52
        .size:           2
        .value_kind:     hidden_remainder_y
      - .offset:         54
        .size:           2
        .value_kind:     hidden_remainder_z
      - .offset:         72
        .size:           8
        .value_kind:     hidden_global_offset_x
      - .offset:         80
        .size:           8
        .value_kind:     hidden_global_offset_y
      - .offset:         88
        .size:           8
        .value_kind:     hidden_global_offset_z
      - .offset:         96
        .size:           2
        .value_kind:     hidden_grid_dims
      - .offset:         152
        .size:           4
        .value_kind:     hidden_dynamic_lds_size
    .group_segment_fixed_size: 0
    .kernarg_segment_align: 8
    .kernarg_segment_size: 288
    .language:       OpenCL C
    .language_version:
      - 2
      - 0
    .max_flat_workgroup_size: 1024
    .name:           _ZN2at6native12_GLOBAL__N_126cunn_SpatialSoftMaxForwardIN3c104HalfEfS4_iNS1_22SoftMaxForwardEpilogueEEEvPT1_PKT_T2_SB_SB_
    .private_segment_fixed_size: 0
    .sgpr_count:     25
    .sgpr_spill_count: 0
    .symbol:         _ZN2at6native12_GLOBAL__N_126cunn_SpatialSoftMaxForwardIN3c104HalfEfS4_iNS1_22SoftMaxForwardEpilogueEEEvPT1_PKT_T2_SB_SB_.kd
    .uniform_work_group_size: 1
    .uses_dynamic_stack: false
    .vgpr_count:     20
    .vgpr_spill_count: 0
    .wavefront_size: 32
    .workgroup_processor_mode: 1
  - .args:
      - .address_space:  global
        .offset:         0
        .size:           8
        .value_kind:     global_buffer
      - .address_space:  global
        .offset:         8
        .size:           8
        .value_kind:     global_buffer
      - .offset:         16
        .size:           4
        .value_kind:     by_value
      - .offset:         20
        .size:           4
        .value_kind:     by_value
      - .offset:         24
        .size:           4
        .value_kind:     by_value
      - .offset:         32
        .size:           4
        .value_kind:     hidden_block_count_x
      - .offset:         36
        .size:           4
        .value_kind:     hidden_block_count_y
      - .offset:         40
        .size:           4
        .value_kind:     hidden_block_count_z
      - .offset:         44
        .size:           2
        .value_kind:     hidden_group_size_x
      - .offset:         46
        .size:           2
        .value_kind:     hidden_group_size_y
      - .offset:         48
        .size:           2
        .value_kind:     hidden_group_size_z
      - .offset:         50
        .size:           2
        .value_kind:     hidden_remainder_x
      - .offset:         52
        .size:           2
        .value_kind:     hidden_remainder_y
      - .offset:         54
        .size:           2
        .value_kind:     hidden_remainder_z
      - .offset:         72
        .size:           8
        .value_kind:     hidden_global_offset_x
      - .offset:         80
        .size:           8
        .value_kind:     hidden_global_offset_y
      - .offset:         88
        .size:           8
        .value_kind:     hidden_global_offset_z
      - .offset:         96
        .size:           2
        .value_kind:     hidden_grid_dims
      - .offset:         152
        .size:           4
        .value_kind:     hidden_dynamic_lds_size
    .group_segment_fixed_size: 0
    .kernarg_segment_align: 8
    .kernarg_segment_size: 288
    .language:       OpenCL C
    .language_version:
      - 2
      - 0
    .max_flat_workgroup_size: 1024
    .name:           _ZN2at6native12_GLOBAL__N_126cunn_SpatialSoftMaxForwardIN3c104HalfEffiNS1_22SoftMaxForwardEpilogueEEEvPT1_PKT_T2_SB_SB_
    .private_segment_fixed_size: 0
    .sgpr_count:     25
    .sgpr_spill_count: 0
    .symbol:         _ZN2at6native12_GLOBAL__N_126cunn_SpatialSoftMaxForwardIN3c104HalfEffiNS1_22SoftMaxForwardEpilogueEEEvPT1_PKT_T2_SB_SB_.kd
    .uniform_work_group_size: 1
    .uses_dynamic_stack: false
    .vgpr_count:     19
    .vgpr_spill_count: 0
    .wavefront_size: 32
    .workgroup_processor_mode: 1
  - .args:
      - .address_space:  global
        .offset:         0
        .size:           8
        .value_kind:     global_buffer
      - .address_space:  global
        .offset:         8
        .size:           8
        .value_kind:     global_buffer
      - .offset:         16
        .size:           8
        .value_kind:     by_value
      - .offset:         24
        .size:           8
        .value_kind:     by_value
      - .offset:         32
        .size:           8
        .value_kind:     by_value
      - .offset:         40
        .size:           4
        .value_kind:     hidden_block_count_x
      - .offset:         44
        .size:           4
        .value_kind:     hidden_block_count_y
      - .offset:         48
        .size:           4
        .value_kind:     hidden_block_count_z
      - .offset:         52
        .size:           2
        .value_kind:     hidden_group_size_x
      - .offset:         54
        .size:           2
        .value_kind:     hidden_group_size_y
      - .offset:         56
        .size:           2
        .value_kind:     hidden_group_size_z
      - .offset:         58
        .size:           2
        .value_kind:     hidden_remainder_x
      - .offset:         60
        .size:           2
        .value_kind:     hidden_remainder_y
      - .offset:         62
        .size:           2
        .value_kind:     hidden_remainder_z
      - .offset:         80
        .size:           8
        .value_kind:     hidden_global_offset_x
      - .offset:         88
        .size:           8
        .value_kind:     hidden_global_offset_y
      - .offset:         96
        .size:           8
        .value_kind:     hidden_global_offset_z
      - .offset:         104
        .size:           2
        .value_kind:     hidden_grid_dims
      - .offset:         160
        .size:           4
        .value_kind:     hidden_dynamic_lds_size
    .group_segment_fixed_size: 0
    .kernarg_segment_align: 8
    .kernarg_segment_size: 296
    .language:       OpenCL C
    .language_version:
      - 2
      - 0
    .max_flat_workgroup_size: 1024
    .name:           _ZN2at6native12_GLOBAL__N_126cunn_SpatialSoftMaxForwardIN3c104HalfEfS4_lNS1_22SoftMaxForwardEpilogueEEEvPT1_PKT_T2_SB_SB_
    .private_segment_fixed_size: 0
    .sgpr_count:     33
    .sgpr_spill_count: 0
    .symbol:         _ZN2at6native12_GLOBAL__N_126cunn_SpatialSoftMaxForwardIN3c104HalfEfS4_lNS1_22SoftMaxForwardEpilogueEEEvPT1_PKT_T2_SB_SB_.kd
    .uniform_work_group_size: 1
    .uses_dynamic_stack: false
    .vgpr_count:     31
    .vgpr_spill_count: 0
    .wavefront_size: 32
    .workgroup_processor_mode: 1
  - .args:
      - .address_space:  global
        .offset:         0
        .size:           8
        .value_kind:     global_buffer
      - .address_space:  global
        .offset:         8
        .size:           8
        .value_kind:     global_buffer
      - .offset:         16
        .size:           8
        .value_kind:     by_value
      - .offset:         24
        .size:           8
        .value_kind:     by_value
      - .offset:         32
        .size:           8
        .value_kind:     by_value
      - .offset:         40
        .size:           4
        .value_kind:     hidden_block_count_x
      - .offset:         44
        .size:           4
        .value_kind:     hidden_block_count_y
      - .offset:         48
        .size:           4
        .value_kind:     hidden_block_count_z
      - .offset:         52
        .size:           2
        .value_kind:     hidden_group_size_x
      - .offset:         54
        .size:           2
        .value_kind:     hidden_group_size_y
      - .offset:         56
        .size:           2
        .value_kind:     hidden_group_size_z
      - .offset:         58
        .size:           2
        .value_kind:     hidden_remainder_x
      - .offset:         60
        .size:           2
        .value_kind:     hidden_remainder_y
      - .offset:         62
        .size:           2
        .value_kind:     hidden_remainder_z
      - .offset:         80
        .size:           8
        .value_kind:     hidden_global_offset_x
      - .offset:         88
        .size:           8
        .value_kind:     hidden_global_offset_y
      - .offset:         96
        .size:           8
        .value_kind:     hidden_global_offset_z
      - .offset:         104
        .size:           2
        .value_kind:     hidden_grid_dims
      - .offset:         160
        .size:           4
        .value_kind:     hidden_dynamic_lds_size
    .group_segment_fixed_size: 0
    .kernarg_segment_align: 8
    .kernarg_segment_size: 296
    .language:       OpenCL C
    .language_version:
      - 2
      - 0
    .max_flat_workgroup_size: 1024
    .name:           _ZN2at6native12_GLOBAL__N_126cunn_SpatialSoftMaxForwardIN3c104HalfEfflNS1_22SoftMaxForwardEpilogueEEEvPT1_PKT_T2_SB_SB_
    .private_segment_fixed_size: 0
    .sgpr_count:     40
    .sgpr_spill_count: 0
    .symbol:         _ZN2at6native12_GLOBAL__N_126cunn_SpatialSoftMaxForwardIN3c104HalfEfflNS1_22SoftMaxForwardEpilogueEEEvPT1_PKT_T2_SB_SB_.kd
    .uniform_work_group_size: 1
    .uses_dynamic_stack: false
    .vgpr_count:     35
    .vgpr_spill_count: 0
    .wavefront_size: 32
    .workgroup_processor_mode: 1
  - .args:
      - .address_space:  global
        .offset:         0
        .size:           8
        .value_kind:     global_buffer
      - .address_space:  global
        .offset:         8
        .size:           8
        .value_kind:     global_buffer
      - .offset:         16
        .size:           4
        .value_kind:     by_value
      - .offset:         20
        .size:           4
        .value_kind:     by_value
      - .offset:         24
        .size:           4
        .value_kind:     by_value
      - .offset:         32
        .size:           4
        .value_kind:     hidden_block_count_x
      - .offset:         36
        .size:           4
        .value_kind:     hidden_block_count_y
      - .offset:         40
        .size:           4
        .value_kind:     hidden_block_count_z
      - .offset:         44
        .size:           2
        .value_kind:     hidden_group_size_x
      - .offset:         46
        .size:           2
        .value_kind:     hidden_group_size_y
      - .offset:         48
        .size:           2
        .value_kind:     hidden_group_size_z
      - .offset:         50
        .size:           2
        .value_kind:     hidden_remainder_x
      - .offset:         52
        .size:           2
        .value_kind:     hidden_remainder_y
      - .offset:         54
        .size:           2
        .value_kind:     hidden_remainder_z
      - .offset:         72
        .size:           8
        .value_kind:     hidden_global_offset_x
      - .offset:         80
        .size:           8
        .value_kind:     hidden_global_offset_y
      - .offset:         88
        .size:           8
        .value_kind:     hidden_global_offset_z
      - .offset:         96
        .size:           2
        .value_kind:     hidden_grid_dims
      - .offset:         152
        .size:           4
        .value_kind:     hidden_dynamic_lds_size
    .group_segment_fixed_size: 0
    .kernarg_segment_align: 8
    .kernarg_segment_size: 288
    .language:       OpenCL C
    .language_version:
      - 2
      - 0
    .max_flat_workgroup_size: 1024
    .name:           _ZN2at6native12_GLOBAL__N_126cunn_SpatialSoftMaxForwardIN3c108BFloat16EfS4_iNS1_22SoftMaxForwardEpilogueEEEvPT1_PKT_T2_SB_SB_
    .private_segment_fixed_size: 0
    .sgpr_count:     25
    .sgpr_spill_count: 0
    .symbol:         _ZN2at6native12_GLOBAL__N_126cunn_SpatialSoftMaxForwardIN3c108BFloat16EfS4_iNS1_22SoftMaxForwardEpilogueEEEvPT1_PKT_T2_SB_SB_.kd
    .uniform_work_group_size: 1
    .uses_dynamic_stack: false
    .vgpr_count:     20
    .vgpr_spill_count: 0
    .wavefront_size: 32
    .workgroup_processor_mode: 1
  - .args:
      - .address_space:  global
        .offset:         0
        .size:           8
        .value_kind:     global_buffer
      - .address_space:  global
        .offset:         8
        .size:           8
        .value_kind:     global_buffer
      - .offset:         16
        .size:           4
        .value_kind:     by_value
      - .offset:         20
        .size:           4
        .value_kind:     by_value
      - .offset:         24
        .size:           4
        .value_kind:     by_value
      - .offset:         32
        .size:           4
        .value_kind:     hidden_block_count_x
      - .offset:         36
        .size:           4
        .value_kind:     hidden_block_count_y
      - .offset:         40
        .size:           4
        .value_kind:     hidden_block_count_z
      - .offset:         44
        .size:           2
        .value_kind:     hidden_group_size_x
      - .offset:         46
        .size:           2
        .value_kind:     hidden_group_size_y
      - .offset:         48
        .size:           2
        .value_kind:     hidden_group_size_z
      - .offset:         50
        .size:           2
        .value_kind:     hidden_remainder_x
      - .offset:         52
        .size:           2
        .value_kind:     hidden_remainder_y
      - .offset:         54
        .size:           2
        .value_kind:     hidden_remainder_z
      - .offset:         72
        .size:           8
        .value_kind:     hidden_global_offset_x
      - .offset:         80
        .size:           8
        .value_kind:     hidden_global_offset_y
      - .offset:         88
        .size:           8
        .value_kind:     hidden_global_offset_z
      - .offset:         96
        .size:           2
        .value_kind:     hidden_grid_dims
      - .offset:         152
        .size:           4
        .value_kind:     hidden_dynamic_lds_size
    .group_segment_fixed_size: 0
    .kernarg_segment_align: 8
    .kernarg_segment_size: 288
    .language:       OpenCL C
    .language_version:
      - 2
      - 0
    .max_flat_workgroup_size: 1024
    .name:           _ZN2at6native12_GLOBAL__N_126cunn_SpatialSoftMaxForwardIN3c108BFloat16EffiNS1_22SoftMaxForwardEpilogueEEEvPT1_PKT_T2_SB_SB_
    .private_segment_fixed_size: 0
    .sgpr_count:     25
    .sgpr_spill_count: 0
    .symbol:         _ZN2at6native12_GLOBAL__N_126cunn_SpatialSoftMaxForwardIN3c108BFloat16EffiNS1_22SoftMaxForwardEpilogueEEEvPT1_PKT_T2_SB_SB_.kd
    .uniform_work_group_size: 1
    .uses_dynamic_stack: false
    .vgpr_count:     19
    .vgpr_spill_count: 0
    .wavefront_size: 32
    .workgroup_processor_mode: 1
  - .args:
      - .address_space:  global
        .offset:         0
        .size:           8
        .value_kind:     global_buffer
      - .address_space:  global
        .offset:         8
        .size:           8
        .value_kind:     global_buffer
      - .offset:         16
        .size:           8
        .value_kind:     by_value
      - .offset:         24
        .size:           8
        .value_kind:     by_value
      - .offset:         32
        .size:           8
        .value_kind:     by_value
      - .offset:         40
        .size:           4
        .value_kind:     hidden_block_count_x
      - .offset:         44
        .size:           4
        .value_kind:     hidden_block_count_y
      - .offset:         48
        .size:           4
        .value_kind:     hidden_block_count_z
      - .offset:         52
        .size:           2
        .value_kind:     hidden_group_size_x
      - .offset:         54
        .size:           2
        .value_kind:     hidden_group_size_y
      - .offset:         56
        .size:           2
        .value_kind:     hidden_group_size_z
      - .offset:         58
        .size:           2
        .value_kind:     hidden_remainder_x
      - .offset:         60
        .size:           2
        .value_kind:     hidden_remainder_y
      - .offset:         62
        .size:           2
        .value_kind:     hidden_remainder_z
      - .offset:         80
        .size:           8
        .value_kind:     hidden_global_offset_x
      - .offset:         88
        .size:           8
        .value_kind:     hidden_global_offset_y
      - .offset:         96
        .size:           8
        .value_kind:     hidden_global_offset_z
      - .offset:         104
        .size:           2
        .value_kind:     hidden_grid_dims
      - .offset:         160
        .size:           4
        .value_kind:     hidden_dynamic_lds_size
    .group_segment_fixed_size: 0
    .kernarg_segment_align: 8
    .kernarg_segment_size: 296
    .language:       OpenCL C
    .language_version:
      - 2
      - 0
    .max_flat_workgroup_size: 1024
    .name:           _ZN2at6native12_GLOBAL__N_126cunn_SpatialSoftMaxForwardIN3c108BFloat16EfS4_lNS1_22SoftMaxForwardEpilogueEEEvPT1_PKT_T2_SB_SB_
    .private_segment_fixed_size: 0
    .sgpr_count:     33
    .sgpr_spill_count: 0
    .symbol:         _ZN2at6native12_GLOBAL__N_126cunn_SpatialSoftMaxForwardIN3c108BFloat16EfS4_lNS1_22SoftMaxForwardEpilogueEEEvPT1_PKT_T2_SB_SB_.kd
    .uniform_work_group_size: 1
    .uses_dynamic_stack: false
    .vgpr_count:     31
    .vgpr_spill_count: 0
    .wavefront_size: 32
    .workgroup_processor_mode: 1
  - .args:
      - .address_space:  global
        .offset:         0
        .size:           8
        .value_kind:     global_buffer
      - .address_space:  global
        .offset:         8
        .size:           8
        .value_kind:     global_buffer
      - .offset:         16
        .size:           8
        .value_kind:     by_value
      - .offset:         24
        .size:           8
        .value_kind:     by_value
      - .offset:         32
        .size:           8
        .value_kind:     by_value
      - .offset:         40
        .size:           4
        .value_kind:     hidden_block_count_x
      - .offset:         44
        .size:           4
        .value_kind:     hidden_block_count_y
      - .offset:         48
        .size:           4
        .value_kind:     hidden_block_count_z
      - .offset:         52
        .size:           2
        .value_kind:     hidden_group_size_x
      - .offset:         54
        .size:           2
        .value_kind:     hidden_group_size_y
      - .offset:         56
        .size:           2
        .value_kind:     hidden_group_size_z
      - .offset:         58
        .size:           2
        .value_kind:     hidden_remainder_x
      - .offset:         60
        .size:           2
        .value_kind:     hidden_remainder_y
      - .offset:         62
        .size:           2
        .value_kind:     hidden_remainder_z
      - .offset:         80
        .size:           8
        .value_kind:     hidden_global_offset_x
      - .offset:         88
        .size:           8
        .value_kind:     hidden_global_offset_y
      - .offset:         96
        .size:           8
        .value_kind:     hidden_global_offset_z
      - .offset:         104
        .size:           2
        .value_kind:     hidden_grid_dims
      - .offset:         160
        .size:           4
        .value_kind:     hidden_dynamic_lds_size
    .group_segment_fixed_size: 0
    .kernarg_segment_align: 8
    .kernarg_segment_size: 296
    .language:       OpenCL C
    .language_version:
      - 2
      - 0
    .max_flat_workgroup_size: 1024
    .name:           _ZN2at6native12_GLOBAL__N_126cunn_SpatialSoftMaxForwardIN3c108BFloat16EfflNS1_22SoftMaxForwardEpilogueEEEvPT1_PKT_T2_SB_SB_
    .private_segment_fixed_size: 0
    .sgpr_count:     40
    .sgpr_spill_count: 0
    .symbol:         _ZN2at6native12_GLOBAL__N_126cunn_SpatialSoftMaxForwardIN3c108BFloat16EfflNS1_22SoftMaxForwardEpilogueEEEvPT1_PKT_T2_SB_SB_.kd
    .uniform_work_group_size: 1
    .uses_dynamic_stack: false
    .vgpr_count:     35
    .vgpr_spill_count: 0
    .wavefront_size: 32
    .workgroup_processor_mode: 1
  - .args:
      - .address_space:  global
        .offset:         0
        .size:           8
        .value_kind:     global_buffer
      - .address_space:  global
        .offset:         8
        .size:           8
        .value_kind:     global_buffer
      - .address_space:  global
        .offset:         16
        .size:           8
        .value_kind:     global_buffer
      - .offset:         24
        .size:           4
        .value_kind:     by_value
      - .offset:         28
        .size:           4
        .value_kind:     by_value
      - .offset:         32
        .size:           4
        .value_kind:     by_value
      - .address_space:  global
        .offset:         40
        .size:           8
        .value_kind:     global_buffer
      - .offset:         48
        .size:           4
        .value_kind:     hidden_block_count_x
      - .offset:         52
        .size:           4
        .value_kind:     hidden_block_count_y
      - .offset:         56
        .size:           4
        .value_kind:     hidden_block_count_z
      - .offset:         60
        .size:           2
        .value_kind:     hidden_group_size_x
      - .offset:         62
        .size:           2
        .value_kind:     hidden_group_size_y
      - .offset:         64
        .size:           2
        .value_kind:     hidden_group_size_z
      - .offset:         66
        .size:           2
        .value_kind:     hidden_remainder_x
      - .offset:         68
        .size:           2
        .value_kind:     hidden_remainder_y
      - .offset:         70
        .size:           2
        .value_kind:     hidden_remainder_z
      - .offset:         88
        .size:           8
        .value_kind:     hidden_global_offset_x
      - .offset:         96
        .size:           8
        .value_kind:     hidden_global_offset_y
      - .offset:         104
        .size:           8
        .value_kind:     hidden_global_offset_z
      - .offset:         112
        .size:           2
        .value_kind:     hidden_grid_dims
    .group_segment_fixed_size: 0
    .kernarg_segment_align: 8
    .kernarg_segment_size: 304
    .language:       OpenCL C
    .language_version:
      - 2
      - 0
    .max_flat_workgroup_size: 1024
    .name:           _ZN12_GLOBAL__N_121softmax_warp_backwardIdddLi0ELb0ELb0ELi64EEEvPT0_PKT_S5_iiiPKb
    .private_segment_fixed_size: 0
    .sgpr_count:     14
    .sgpr_spill_count: 0
    .symbol:         _ZN12_GLOBAL__N_121softmax_warp_backwardIdddLi0ELb0ELb0ELi64EEEvPT0_PKT_S5_iiiPKb.kd
    .uniform_work_group_size: 1
    .uses_dynamic_stack: false
    .vgpr_count:     15
    .vgpr_spill_count: 0
    .wavefront_size: 32
    .workgroup_processor_mode: 1
  - .args:
      - .address_space:  global
        .offset:         0
        .size:           8
        .value_kind:     global_buffer
      - .address_space:  global
        .offset:         8
        .size:           8
        .value_kind:     global_buffer
      - .address_space:  global
        .offset:         16
        .size:           8
        .value_kind:     global_buffer
      - .offset:         24
        .size:           4
        .value_kind:     by_value
      - .offset:         28
        .size:           4
        .value_kind:     by_value
      - .offset:         32
        .size:           4
        .value_kind:     by_value
      - .address_space:  global
        .offset:         40
        .size:           8
        .value_kind:     global_buffer
      - .offset:         48
        .size:           4
        .value_kind:     hidden_block_count_x
      - .offset:         52
        .size:           4
        .value_kind:     hidden_block_count_y
      - .offset:         56
        .size:           4
        .value_kind:     hidden_block_count_z
      - .offset:         60
        .size:           2
        .value_kind:     hidden_group_size_x
      - .offset:         62
        .size:           2
        .value_kind:     hidden_group_size_y
      - .offset:         64
        .size:           2
        .value_kind:     hidden_group_size_z
      - .offset:         66
        .size:           2
        .value_kind:     hidden_remainder_x
      - .offset:         68
        .size:           2
        .value_kind:     hidden_remainder_y
      - .offset:         70
        .size:           2
        .value_kind:     hidden_remainder_z
      - .offset:         88
        .size:           8
        .value_kind:     hidden_global_offset_x
      - .offset:         96
        .size:           8
        .value_kind:     hidden_global_offset_y
      - .offset:         104
        .size:           8
        .value_kind:     hidden_global_offset_z
      - .offset:         112
        .size:           2
        .value_kind:     hidden_grid_dims
    .group_segment_fixed_size: 0
    .kernarg_segment_align: 8
    .kernarg_segment_size: 304
    .language:       OpenCL C
    .language_version:
      - 2
      - 0
    .max_flat_workgroup_size: 1024
    .name:           _ZN12_GLOBAL__N_121softmax_warp_backwardIdddLi0ELb0ELb0ELi32EEEvPT0_PKT_S5_iiiPKb
    .private_segment_fixed_size: 0
    .sgpr_count:     14
    .sgpr_spill_count: 0
    .symbol:         _ZN12_GLOBAL__N_121softmax_warp_backwardIdddLi0ELb0ELb0ELi32EEEvPT0_PKT_S5_iiiPKb.kd
    .uniform_work_group_size: 1
    .uses_dynamic_stack: false
    .vgpr_count:     15
    .vgpr_spill_count: 0
    .wavefront_size: 32
    .workgroup_processor_mode: 1
  - .args:
      - .address_space:  global
        .offset:         0
        .size:           8
        .value_kind:     global_buffer
      - .address_space:  global
        .offset:         8
        .size:           8
        .value_kind:     global_buffer
      - .address_space:  global
        .offset:         16
        .size:           8
        .value_kind:     global_buffer
      - .offset:         24
        .size:           4
        .value_kind:     by_value
      - .offset:         28
        .size:           4
        .value_kind:     by_value
      - .offset:         32
        .size:           4
        .value_kind:     by_value
      - .address_space:  global
        .offset:         40
        .size:           8
        .value_kind:     global_buffer
      - .offset:         48
        .size:           4
        .value_kind:     hidden_block_count_x
      - .offset:         52
        .size:           4
        .value_kind:     hidden_block_count_y
      - .offset:         56
        .size:           4
        .value_kind:     hidden_block_count_z
      - .offset:         60
        .size:           2
        .value_kind:     hidden_group_size_x
      - .offset:         62
        .size:           2
        .value_kind:     hidden_group_size_y
      - .offset:         64
        .size:           2
        .value_kind:     hidden_group_size_z
      - .offset:         66
        .size:           2
        .value_kind:     hidden_remainder_x
      - .offset:         68
        .size:           2
        .value_kind:     hidden_remainder_y
      - .offset:         70
        .size:           2
        .value_kind:     hidden_remainder_z
      - .offset:         88
        .size:           8
        .value_kind:     hidden_global_offset_x
      - .offset:         96
        .size:           8
        .value_kind:     hidden_global_offset_y
      - .offset:         104
        .size:           8
        .value_kind:     hidden_global_offset_z
      - .offset:         112
        .size:           2
        .value_kind:     hidden_grid_dims
    .group_segment_fixed_size: 0
    .kernarg_segment_align: 8
    .kernarg_segment_size: 304
    .language:       OpenCL C
    .language_version:
      - 2
      - 0
    .max_flat_workgroup_size: 1024
    .name:           _ZN12_GLOBAL__N_121softmax_warp_backwardIdddLi1ELb0ELb0ELi64EEEvPT0_PKT_S5_iiiPKb
    .private_segment_fixed_size: 0
    .sgpr_count:     14
    .sgpr_spill_count: 0
    .symbol:         _ZN12_GLOBAL__N_121softmax_warp_backwardIdddLi1ELb0ELb0ELi64EEEvPT0_PKT_S5_iiiPKb.kd
    .uniform_work_group_size: 1
    .uses_dynamic_stack: false
    .vgpr_count:     19
    .vgpr_spill_count: 0
    .wavefront_size: 32
    .workgroup_processor_mode: 1
  - .args:
      - .address_space:  global
        .offset:         0
        .size:           8
        .value_kind:     global_buffer
      - .address_space:  global
        .offset:         8
        .size:           8
        .value_kind:     global_buffer
      - .address_space:  global
        .offset:         16
        .size:           8
        .value_kind:     global_buffer
      - .offset:         24
        .size:           4
        .value_kind:     by_value
      - .offset:         28
        .size:           4
        .value_kind:     by_value
      - .offset:         32
        .size:           4
        .value_kind:     by_value
      - .address_space:  global
        .offset:         40
        .size:           8
        .value_kind:     global_buffer
      - .offset:         48
        .size:           4
        .value_kind:     hidden_block_count_x
      - .offset:         52
        .size:           4
        .value_kind:     hidden_block_count_y
      - .offset:         56
        .size:           4
        .value_kind:     hidden_block_count_z
      - .offset:         60
        .size:           2
        .value_kind:     hidden_group_size_x
      - .offset:         62
        .size:           2
        .value_kind:     hidden_group_size_y
      - .offset:         64
        .size:           2
        .value_kind:     hidden_group_size_z
      - .offset:         66
        .size:           2
        .value_kind:     hidden_remainder_x
      - .offset:         68
        .size:           2
        .value_kind:     hidden_remainder_y
      - .offset:         70
        .size:           2
        .value_kind:     hidden_remainder_z
      - .offset:         88
        .size:           8
        .value_kind:     hidden_global_offset_x
      - .offset:         96
        .size:           8
        .value_kind:     hidden_global_offset_y
      - .offset:         104
        .size:           8
        .value_kind:     hidden_global_offset_z
      - .offset:         112
        .size:           2
        .value_kind:     hidden_grid_dims
    .group_segment_fixed_size: 0
    .kernarg_segment_align: 8
    .kernarg_segment_size: 304
    .language:       OpenCL C
    .language_version:
      - 2
      - 0
    .max_flat_workgroup_size: 1024
    .name:           _ZN12_GLOBAL__N_121softmax_warp_backwardIdddLi1ELb0ELb0ELi32EEEvPT0_PKT_S5_iiiPKb
    .private_segment_fixed_size: 0
    .sgpr_count:     14
    .sgpr_spill_count: 0
    .symbol:         _ZN12_GLOBAL__N_121softmax_warp_backwardIdddLi1ELb0ELb0ELi32EEEvPT0_PKT_S5_iiiPKb.kd
    .uniform_work_group_size: 1
    .uses_dynamic_stack: false
    .vgpr_count:     19
    .vgpr_spill_count: 0
    .wavefront_size: 32
    .workgroup_processor_mode: 1
  - .args:
      - .address_space:  global
        .offset:         0
        .size:           8
        .value_kind:     global_buffer
      - .address_space:  global
        .offset:         8
        .size:           8
        .value_kind:     global_buffer
      - .address_space:  global
        .offset:         16
        .size:           8
        .value_kind:     global_buffer
      - .offset:         24
        .size:           4
        .value_kind:     by_value
      - .offset:         28
        .size:           4
        .value_kind:     by_value
      - .offset:         32
        .size:           4
        .value_kind:     by_value
      - .address_space:  global
        .offset:         40
        .size:           8
        .value_kind:     global_buffer
      - .offset:         48
        .size:           4
        .value_kind:     hidden_block_count_x
      - .offset:         52
        .size:           4
        .value_kind:     hidden_block_count_y
      - .offset:         56
        .size:           4
        .value_kind:     hidden_block_count_z
      - .offset:         60
        .size:           2
        .value_kind:     hidden_group_size_x
      - .offset:         62
        .size:           2
        .value_kind:     hidden_group_size_y
      - .offset:         64
        .size:           2
        .value_kind:     hidden_group_size_z
      - .offset:         66
        .size:           2
        .value_kind:     hidden_remainder_x
      - .offset:         68
        .size:           2
        .value_kind:     hidden_remainder_y
      - .offset:         70
        .size:           2
        .value_kind:     hidden_remainder_z
      - .offset:         88
        .size:           8
        .value_kind:     hidden_global_offset_x
      - .offset:         96
        .size:           8
        .value_kind:     hidden_global_offset_y
      - .offset:         104
        .size:           8
        .value_kind:     hidden_global_offset_z
      - .offset:         112
        .size:           2
        .value_kind:     hidden_grid_dims
    .group_segment_fixed_size: 0
    .kernarg_segment_align: 8
    .kernarg_segment_size: 304
    .language:       OpenCL C
    .language_version:
      - 2
      - 0
    .max_flat_workgroup_size: 1024
    .name:           _ZN12_GLOBAL__N_121softmax_warp_backwardIdddLi2ELb0ELb0ELi64EEEvPT0_PKT_S5_iiiPKb
    .private_segment_fixed_size: 0
    .sgpr_count:     14
    .sgpr_spill_count: 0
    .symbol:         _ZN12_GLOBAL__N_121softmax_warp_backwardIdddLi2ELb0ELb0ELi64EEEvPT0_PKT_S5_iiiPKb.kd
    .uniform_work_group_size: 1
    .uses_dynamic_stack: false
    .vgpr_count:     21
    .vgpr_spill_count: 0
    .wavefront_size: 32
    .workgroup_processor_mode: 1
  - .args:
      - .address_space:  global
        .offset:         0
        .size:           8
        .value_kind:     global_buffer
      - .address_space:  global
        .offset:         8
        .size:           8
        .value_kind:     global_buffer
      - .address_space:  global
        .offset:         16
        .size:           8
        .value_kind:     global_buffer
      - .offset:         24
        .size:           4
        .value_kind:     by_value
      - .offset:         28
        .size:           4
        .value_kind:     by_value
      - .offset:         32
        .size:           4
        .value_kind:     by_value
      - .address_space:  global
        .offset:         40
        .size:           8
        .value_kind:     global_buffer
      - .offset:         48
        .size:           4
        .value_kind:     hidden_block_count_x
      - .offset:         52
        .size:           4
        .value_kind:     hidden_block_count_y
      - .offset:         56
        .size:           4
        .value_kind:     hidden_block_count_z
      - .offset:         60
        .size:           2
        .value_kind:     hidden_group_size_x
      - .offset:         62
        .size:           2
        .value_kind:     hidden_group_size_y
      - .offset:         64
        .size:           2
        .value_kind:     hidden_group_size_z
      - .offset:         66
        .size:           2
        .value_kind:     hidden_remainder_x
      - .offset:         68
        .size:           2
        .value_kind:     hidden_remainder_y
      - .offset:         70
        .size:           2
        .value_kind:     hidden_remainder_z
      - .offset:         88
        .size:           8
        .value_kind:     hidden_global_offset_x
      - .offset:         96
        .size:           8
        .value_kind:     hidden_global_offset_y
      - .offset:         104
        .size:           8
        .value_kind:     hidden_global_offset_z
      - .offset:         112
        .size:           2
        .value_kind:     hidden_grid_dims
    .group_segment_fixed_size: 0
    .kernarg_segment_align: 8
    .kernarg_segment_size: 304
    .language:       OpenCL C
    .language_version:
      - 2
      - 0
    .max_flat_workgroup_size: 1024
    .name:           _ZN12_GLOBAL__N_121softmax_warp_backwardIdddLi2ELb0ELb0ELi32EEEvPT0_PKT_S5_iiiPKb
    .private_segment_fixed_size: 0
    .sgpr_count:     14
    .sgpr_spill_count: 0
    .symbol:         _ZN12_GLOBAL__N_121softmax_warp_backwardIdddLi2ELb0ELb0ELi32EEEvPT0_PKT_S5_iiiPKb.kd
    .uniform_work_group_size: 1
    .uses_dynamic_stack: false
    .vgpr_count:     21
    .vgpr_spill_count: 0
    .wavefront_size: 32
    .workgroup_processor_mode: 1
  - .args:
      - .address_space:  global
        .offset:         0
        .size:           8
        .value_kind:     global_buffer
      - .address_space:  global
        .offset:         8
        .size:           8
        .value_kind:     global_buffer
      - .address_space:  global
        .offset:         16
        .size:           8
        .value_kind:     global_buffer
      - .offset:         24
        .size:           4
        .value_kind:     by_value
      - .offset:         28
        .size:           4
        .value_kind:     by_value
      - .offset:         32
        .size:           4
        .value_kind:     by_value
      - .address_space:  global
        .offset:         40
        .size:           8
        .value_kind:     global_buffer
      - .offset:         48
        .size:           4
        .value_kind:     hidden_block_count_x
      - .offset:         52
        .size:           4
        .value_kind:     hidden_block_count_y
      - .offset:         56
        .size:           4
        .value_kind:     hidden_block_count_z
      - .offset:         60
        .size:           2
        .value_kind:     hidden_group_size_x
      - .offset:         62
        .size:           2
        .value_kind:     hidden_group_size_y
      - .offset:         64
        .size:           2
        .value_kind:     hidden_group_size_z
      - .offset:         66
        .size:           2
        .value_kind:     hidden_remainder_x
      - .offset:         68
        .size:           2
        .value_kind:     hidden_remainder_y
      - .offset:         70
        .size:           2
        .value_kind:     hidden_remainder_z
      - .offset:         88
        .size:           8
        .value_kind:     hidden_global_offset_x
      - .offset:         96
        .size:           8
        .value_kind:     hidden_global_offset_y
      - .offset:         104
        .size:           8
        .value_kind:     hidden_global_offset_z
      - .offset:         112
        .size:           2
        .value_kind:     hidden_grid_dims
    .group_segment_fixed_size: 0
    .kernarg_segment_align: 8
    .kernarg_segment_size: 304
    .language:       OpenCL C
    .language_version:
      - 2
      - 0
    .max_flat_workgroup_size: 1024
    .name:           _ZN12_GLOBAL__N_121softmax_warp_backwardIdddLi3ELb0ELb0ELi64EEEvPT0_PKT_S5_iiiPKb
    .private_segment_fixed_size: 0
    .sgpr_count:     14
    .sgpr_spill_count: 0
    .symbol:         _ZN12_GLOBAL__N_121softmax_warp_backwardIdddLi3ELb0ELb0ELi64EEEvPT0_PKT_S5_iiiPKb.kd
    .uniform_work_group_size: 1
    .uses_dynamic_stack: false
    .vgpr_count:     21
    .vgpr_spill_count: 0
    .wavefront_size: 32
    .workgroup_processor_mode: 1
  - .args:
      - .address_space:  global
        .offset:         0
        .size:           8
        .value_kind:     global_buffer
      - .address_space:  global
        .offset:         8
        .size:           8
        .value_kind:     global_buffer
      - .address_space:  global
        .offset:         16
        .size:           8
        .value_kind:     global_buffer
      - .offset:         24
        .size:           4
        .value_kind:     by_value
      - .offset:         28
        .size:           4
        .value_kind:     by_value
      - .offset:         32
        .size:           4
        .value_kind:     by_value
      - .address_space:  global
        .offset:         40
        .size:           8
        .value_kind:     global_buffer
      - .offset:         48
        .size:           4
        .value_kind:     hidden_block_count_x
      - .offset:         52
        .size:           4
        .value_kind:     hidden_block_count_y
      - .offset:         56
        .size:           4
        .value_kind:     hidden_block_count_z
      - .offset:         60
        .size:           2
        .value_kind:     hidden_group_size_x
      - .offset:         62
        .size:           2
        .value_kind:     hidden_group_size_y
      - .offset:         64
        .size:           2
        .value_kind:     hidden_group_size_z
      - .offset:         66
        .size:           2
        .value_kind:     hidden_remainder_x
      - .offset:         68
        .size:           2
        .value_kind:     hidden_remainder_y
      - .offset:         70
        .size:           2
        .value_kind:     hidden_remainder_z
      - .offset:         88
        .size:           8
        .value_kind:     hidden_global_offset_x
      - .offset:         96
        .size:           8
        .value_kind:     hidden_global_offset_y
      - .offset:         104
        .size:           8
        .value_kind:     hidden_global_offset_z
      - .offset:         112
        .size:           2
        .value_kind:     hidden_grid_dims
    .group_segment_fixed_size: 0
    .kernarg_segment_align: 8
    .kernarg_segment_size: 304
    .language:       OpenCL C
    .language_version:
      - 2
      - 0
    .max_flat_workgroup_size: 1024
    .name:           _ZN12_GLOBAL__N_121softmax_warp_backwardIdddLi3ELb0ELb0ELi32EEEvPT0_PKT_S5_iiiPKb
    .private_segment_fixed_size: 0
    .sgpr_count:     14
    .sgpr_spill_count: 0
    .symbol:         _ZN12_GLOBAL__N_121softmax_warp_backwardIdddLi3ELb0ELb0ELi32EEEvPT0_PKT_S5_iiiPKb.kd
    .uniform_work_group_size: 1
    .uses_dynamic_stack: false
    .vgpr_count:     21
    .vgpr_spill_count: 0
    .wavefront_size: 32
    .workgroup_processor_mode: 1
  - .args:
      - .address_space:  global
        .offset:         0
        .size:           8
        .value_kind:     global_buffer
      - .address_space:  global
        .offset:         8
        .size:           8
        .value_kind:     global_buffer
      - .address_space:  global
        .offset:         16
        .size:           8
        .value_kind:     global_buffer
      - .offset:         24
        .size:           4
        .value_kind:     by_value
      - .offset:         28
        .size:           4
        .value_kind:     by_value
      - .offset:         32
        .size:           4
        .value_kind:     by_value
      - .address_space:  global
        .offset:         40
        .size:           8
        .value_kind:     global_buffer
      - .offset:         48
        .size:           4
        .value_kind:     hidden_block_count_x
      - .offset:         52
        .size:           4
        .value_kind:     hidden_block_count_y
      - .offset:         56
        .size:           4
        .value_kind:     hidden_block_count_z
      - .offset:         60
        .size:           2
        .value_kind:     hidden_group_size_x
      - .offset:         62
        .size:           2
        .value_kind:     hidden_group_size_y
      - .offset:         64
        .size:           2
        .value_kind:     hidden_group_size_z
      - .offset:         66
        .size:           2
        .value_kind:     hidden_remainder_x
      - .offset:         68
        .size:           2
        .value_kind:     hidden_remainder_y
      - .offset:         70
        .size:           2
        .value_kind:     hidden_remainder_z
      - .offset:         88
        .size:           8
        .value_kind:     hidden_global_offset_x
      - .offset:         96
        .size:           8
        .value_kind:     hidden_global_offset_y
      - .offset:         104
        .size:           8
        .value_kind:     hidden_global_offset_z
      - .offset:         112
        .size:           2
        .value_kind:     hidden_grid_dims
    .group_segment_fixed_size: 0
    .kernarg_segment_align: 8
    .kernarg_segment_size: 304
    .language:       OpenCL C
    .language_version:
      - 2
      - 0
    .max_flat_workgroup_size: 1024
    .name:           _ZN12_GLOBAL__N_121softmax_warp_backwardIdddLi4ELb0ELb0ELi64EEEvPT0_PKT_S5_iiiPKb
    .private_segment_fixed_size: 0
    .sgpr_count:     14
    .sgpr_spill_count: 0
    .symbol:         _ZN12_GLOBAL__N_121softmax_warp_backwardIdddLi4ELb0ELb0ELi64EEEvPT0_PKT_S5_iiiPKb.kd
    .uniform_work_group_size: 1
    .uses_dynamic_stack: false
    .vgpr_count:     21
    .vgpr_spill_count: 0
    .wavefront_size: 32
    .workgroup_processor_mode: 1
  - .args:
      - .address_space:  global
        .offset:         0
        .size:           8
        .value_kind:     global_buffer
      - .address_space:  global
        .offset:         8
        .size:           8
        .value_kind:     global_buffer
      - .address_space:  global
        .offset:         16
        .size:           8
        .value_kind:     global_buffer
      - .offset:         24
        .size:           4
        .value_kind:     by_value
      - .offset:         28
        .size:           4
        .value_kind:     by_value
      - .offset:         32
        .size:           4
        .value_kind:     by_value
      - .address_space:  global
        .offset:         40
        .size:           8
        .value_kind:     global_buffer
      - .offset:         48
        .size:           4
        .value_kind:     hidden_block_count_x
      - .offset:         52
        .size:           4
        .value_kind:     hidden_block_count_y
      - .offset:         56
        .size:           4
        .value_kind:     hidden_block_count_z
      - .offset:         60
        .size:           2
        .value_kind:     hidden_group_size_x
      - .offset:         62
        .size:           2
        .value_kind:     hidden_group_size_y
      - .offset:         64
        .size:           2
        .value_kind:     hidden_group_size_z
      - .offset:         66
        .size:           2
        .value_kind:     hidden_remainder_x
      - .offset:         68
        .size:           2
        .value_kind:     hidden_remainder_y
      - .offset:         70
        .size:           2
        .value_kind:     hidden_remainder_z
      - .offset:         88
        .size:           8
        .value_kind:     hidden_global_offset_x
      - .offset:         96
        .size:           8
        .value_kind:     hidden_global_offset_y
      - .offset:         104
        .size:           8
        .value_kind:     hidden_global_offset_z
      - .offset:         112
        .size:           2
        .value_kind:     hidden_grid_dims
    .group_segment_fixed_size: 0
    .kernarg_segment_align: 8
    .kernarg_segment_size: 304
    .language:       OpenCL C
    .language_version:
      - 2
      - 0
    .max_flat_workgroup_size: 1024
    .name:           _ZN12_GLOBAL__N_121softmax_warp_backwardIdddLi4ELb0ELb0ELi32EEEvPT0_PKT_S5_iiiPKb
    .private_segment_fixed_size: 0
    .sgpr_count:     14
    .sgpr_spill_count: 0
    .symbol:         _ZN12_GLOBAL__N_121softmax_warp_backwardIdddLi4ELb0ELb0ELi32EEEvPT0_PKT_S5_iiiPKb.kd
    .uniform_work_group_size: 1
    .uses_dynamic_stack: false
    .vgpr_count:     21
    .vgpr_spill_count: 0
    .wavefront_size: 32
    .workgroup_processor_mode: 1
  - .args:
      - .address_space:  global
        .offset:         0
        .size:           8
        .value_kind:     global_buffer
      - .address_space:  global
        .offset:         8
        .size:           8
        .value_kind:     global_buffer
      - .address_space:  global
        .offset:         16
        .size:           8
        .value_kind:     global_buffer
      - .offset:         24
        .size:           4
        .value_kind:     by_value
      - .offset:         28
        .size:           4
        .value_kind:     by_value
      - .offset:         32
        .size:           4
        .value_kind:     by_value
      - .address_space:  global
        .offset:         40
        .size:           8
        .value_kind:     global_buffer
      - .offset:         48
        .size:           4
        .value_kind:     hidden_block_count_x
      - .offset:         52
        .size:           4
        .value_kind:     hidden_block_count_y
      - .offset:         56
        .size:           4
        .value_kind:     hidden_block_count_z
      - .offset:         60
        .size:           2
        .value_kind:     hidden_group_size_x
      - .offset:         62
        .size:           2
        .value_kind:     hidden_group_size_y
      - .offset:         64
        .size:           2
        .value_kind:     hidden_group_size_z
      - .offset:         66
        .size:           2
        .value_kind:     hidden_remainder_x
      - .offset:         68
        .size:           2
        .value_kind:     hidden_remainder_y
      - .offset:         70
        .size:           2
        .value_kind:     hidden_remainder_z
      - .offset:         88
        .size:           8
        .value_kind:     hidden_global_offset_x
      - .offset:         96
        .size:           8
        .value_kind:     hidden_global_offset_y
      - .offset:         104
        .size:           8
        .value_kind:     hidden_global_offset_z
      - .offset:         112
        .size:           2
        .value_kind:     hidden_grid_dims
    .group_segment_fixed_size: 0
    .kernarg_segment_align: 8
    .kernarg_segment_size: 304
    .language:       OpenCL C
    .language_version:
      - 2
      - 0
    .max_flat_workgroup_size: 1024
    .name:           _ZN12_GLOBAL__N_121softmax_warp_backwardIdddLi5ELb0ELb0ELi64EEEvPT0_PKT_S5_iiiPKb
    .private_segment_fixed_size: 0
    .sgpr_count:     14
    .sgpr_spill_count: 0
    .symbol:         _ZN12_GLOBAL__N_121softmax_warp_backwardIdddLi5ELb0ELb0ELi64EEEvPT0_PKT_S5_iiiPKb.kd
    .uniform_work_group_size: 1
    .uses_dynamic_stack: false
    .vgpr_count:     20
    .vgpr_spill_count: 0
    .wavefront_size: 32
    .workgroup_processor_mode: 1
  - .args:
      - .address_space:  global
        .offset:         0
        .size:           8
        .value_kind:     global_buffer
      - .address_space:  global
        .offset:         8
        .size:           8
        .value_kind:     global_buffer
      - .address_space:  global
        .offset:         16
        .size:           8
        .value_kind:     global_buffer
      - .offset:         24
        .size:           4
        .value_kind:     by_value
      - .offset:         28
        .size:           4
        .value_kind:     by_value
      - .offset:         32
        .size:           4
        .value_kind:     by_value
      - .address_space:  global
        .offset:         40
        .size:           8
        .value_kind:     global_buffer
      - .offset:         48
        .size:           4
        .value_kind:     hidden_block_count_x
      - .offset:         52
        .size:           4
        .value_kind:     hidden_block_count_y
      - .offset:         56
        .size:           4
        .value_kind:     hidden_block_count_z
      - .offset:         60
        .size:           2
        .value_kind:     hidden_group_size_x
      - .offset:         62
        .size:           2
        .value_kind:     hidden_group_size_y
      - .offset:         64
        .size:           2
        .value_kind:     hidden_group_size_z
      - .offset:         66
        .size:           2
        .value_kind:     hidden_remainder_x
      - .offset:         68
        .size:           2
        .value_kind:     hidden_remainder_y
      - .offset:         70
        .size:           2
        .value_kind:     hidden_remainder_z
      - .offset:         88
        .size:           8
        .value_kind:     hidden_global_offset_x
      - .offset:         96
        .size:           8
        .value_kind:     hidden_global_offset_y
      - .offset:         104
        .size:           8
        .value_kind:     hidden_global_offset_z
      - .offset:         112
        .size:           2
        .value_kind:     hidden_grid_dims
    .group_segment_fixed_size: 0
    .kernarg_segment_align: 8
    .kernarg_segment_size: 304
    .language:       OpenCL C
    .language_version:
      - 2
      - 0
    .max_flat_workgroup_size: 1024
    .name:           _ZN12_GLOBAL__N_121softmax_warp_backwardIdddLi5ELb0ELb0ELi32EEEvPT0_PKT_S5_iiiPKb
    .private_segment_fixed_size: 0
    .sgpr_count:     14
    .sgpr_spill_count: 0
    .symbol:         _ZN12_GLOBAL__N_121softmax_warp_backwardIdddLi5ELb0ELb0ELi32EEEvPT0_PKT_S5_iiiPKb.kd
    .uniform_work_group_size: 1
    .uses_dynamic_stack: false
    .vgpr_count:     20
    .vgpr_spill_count: 0
    .wavefront_size: 32
    .workgroup_processor_mode: 1
  - .args:
      - .address_space:  global
        .offset:         0
        .size:           8
        .value_kind:     global_buffer
      - .address_space:  global
        .offset:         8
        .size:           8
        .value_kind:     global_buffer
      - .address_space:  global
        .offset:         16
        .size:           8
        .value_kind:     global_buffer
      - .offset:         24
        .size:           4
        .value_kind:     by_value
      - .offset:         28
        .size:           4
        .value_kind:     by_value
      - .offset:         32
        .size:           4
        .value_kind:     by_value
      - .address_space:  global
        .offset:         40
        .size:           8
        .value_kind:     global_buffer
      - .offset:         48
        .size:           4
        .value_kind:     hidden_block_count_x
      - .offset:         52
        .size:           4
        .value_kind:     hidden_block_count_y
      - .offset:         56
        .size:           4
        .value_kind:     hidden_block_count_z
      - .offset:         60
        .size:           2
        .value_kind:     hidden_group_size_x
      - .offset:         62
        .size:           2
        .value_kind:     hidden_group_size_y
      - .offset:         64
        .size:           2
        .value_kind:     hidden_group_size_z
      - .offset:         66
        .size:           2
        .value_kind:     hidden_remainder_x
      - .offset:         68
        .size:           2
        .value_kind:     hidden_remainder_y
      - .offset:         70
        .size:           2
        .value_kind:     hidden_remainder_z
      - .offset:         88
        .size:           8
        .value_kind:     hidden_global_offset_x
      - .offset:         96
        .size:           8
        .value_kind:     hidden_global_offset_y
      - .offset:         104
        .size:           8
        .value_kind:     hidden_global_offset_z
      - .offset:         112
        .size:           2
        .value_kind:     hidden_grid_dims
    .group_segment_fixed_size: 0
    .kernarg_segment_align: 8
    .kernarg_segment_size: 304
    .language:       OpenCL C
    .language_version:
      - 2
      - 0
    .max_flat_workgroup_size: 1024
    .name:           _ZN12_GLOBAL__N_121softmax_warp_backwardIdddLi6ELb0ELb0ELi64EEEvPT0_PKT_S5_iiiPKb
    .private_segment_fixed_size: 0
    .sgpr_count:     14
    .sgpr_spill_count: 0
    .symbol:         _ZN12_GLOBAL__N_121softmax_warp_backwardIdddLi6ELb0ELb0ELi64EEEvPT0_PKT_S5_iiiPKb.kd
    .uniform_work_group_size: 1
    .uses_dynamic_stack: false
    .vgpr_count:     20
    .vgpr_spill_count: 0
    .wavefront_size: 32
    .workgroup_processor_mode: 1
  - .args:
      - .address_space:  global
        .offset:         0
        .size:           8
        .value_kind:     global_buffer
      - .address_space:  global
        .offset:         8
        .size:           8
        .value_kind:     global_buffer
      - .address_space:  global
        .offset:         16
        .size:           8
        .value_kind:     global_buffer
      - .offset:         24
        .size:           4
        .value_kind:     by_value
      - .offset:         28
        .size:           4
        .value_kind:     by_value
      - .offset:         32
        .size:           4
        .value_kind:     by_value
      - .address_space:  global
        .offset:         40
        .size:           8
        .value_kind:     global_buffer
      - .offset:         48
        .size:           4
        .value_kind:     hidden_block_count_x
      - .offset:         52
        .size:           4
        .value_kind:     hidden_block_count_y
      - .offset:         56
        .size:           4
        .value_kind:     hidden_block_count_z
      - .offset:         60
        .size:           2
        .value_kind:     hidden_group_size_x
      - .offset:         62
        .size:           2
        .value_kind:     hidden_group_size_y
      - .offset:         64
        .size:           2
        .value_kind:     hidden_group_size_z
      - .offset:         66
        .size:           2
        .value_kind:     hidden_remainder_x
      - .offset:         68
        .size:           2
        .value_kind:     hidden_remainder_y
      - .offset:         70
        .size:           2
        .value_kind:     hidden_remainder_z
      - .offset:         88
        .size:           8
        .value_kind:     hidden_global_offset_x
      - .offset:         96
        .size:           8
        .value_kind:     hidden_global_offset_y
      - .offset:         104
        .size:           8
        .value_kind:     hidden_global_offset_z
      - .offset:         112
        .size:           2
        .value_kind:     hidden_grid_dims
    .group_segment_fixed_size: 0
    .kernarg_segment_align: 8
    .kernarg_segment_size: 304
    .language:       OpenCL C
    .language_version:
      - 2
      - 0
    .max_flat_workgroup_size: 1024
    .name:           _ZN12_GLOBAL__N_121softmax_warp_backwardIdddLi6ELb0ELb0ELi32EEEvPT0_PKT_S5_iiiPKb
    .private_segment_fixed_size: 0
    .sgpr_count:     18
    .sgpr_spill_count: 0
    .symbol:         _ZN12_GLOBAL__N_121softmax_warp_backwardIdddLi6ELb0ELb0ELi32EEEvPT0_PKT_S5_iiiPKb.kd
    .uniform_work_group_size: 1
    .uses_dynamic_stack: false
    .vgpr_count:     28
    .vgpr_spill_count: 0
    .wavefront_size: 32
    .workgroup_processor_mode: 1
  - .args:
      - .address_space:  global
        .offset:         0
        .size:           8
        .value_kind:     global_buffer
      - .address_space:  global
        .offset:         8
        .size:           8
        .value_kind:     global_buffer
      - .address_space:  global
        .offset:         16
        .size:           8
        .value_kind:     global_buffer
      - .offset:         24
        .size:           4
        .value_kind:     by_value
      - .offset:         28
        .size:           4
        .value_kind:     by_value
      - .offset:         32
        .size:           4
        .value_kind:     by_value
      - .address_space:  global
        .offset:         40
        .size:           8
        .value_kind:     global_buffer
      - .offset:         48
        .size:           4
        .value_kind:     hidden_block_count_x
      - .offset:         52
        .size:           4
        .value_kind:     hidden_block_count_y
      - .offset:         56
        .size:           4
        .value_kind:     hidden_block_count_z
      - .offset:         60
        .size:           2
        .value_kind:     hidden_group_size_x
      - .offset:         62
        .size:           2
        .value_kind:     hidden_group_size_y
      - .offset:         64
        .size:           2
        .value_kind:     hidden_group_size_z
      - .offset:         66
        .size:           2
        .value_kind:     hidden_remainder_x
      - .offset:         68
        .size:           2
        .value_kind:     hidden_remainder_y
      - .offset:         70
        .size:           2
        .value_kind:     hidden_remainder_z
      - .offset:         88
        .size:           8
        .value_kind:     hidden_global_offset_x
      - .offset:         96
        .size:           8
        .value_kind:     hidden_global_offset_y
      - .offset:         104
        .size:           8
        .value_kind:     hidden_global_offset_z
      - .offset:         112
        .size:           2
        .value_kind:     hidden_grid_dims
    .group_segment_fixed_size: 0
    .kernarg_segment_align: 8
    .kernarg_segment_size: 304
    .language:       OpenCL C
    .language_version:
      - 2
      - 0
    .max_flat_workgroup_size: 1024
    .name:           _ZN12_GLOBAL__N_121softmax_warp_backwardIdddLi7ELb0ELb0ELi64EEEvPT0_PKT_S5_iiiPKb
    .private_segment_fixed_size: 0
    .sgpr_count:     18
    .sgpr_spill_count: 0
    .symbol:         _ZN12_GLOBAL__N_121softmax_warp_backwardIdddLi7ELb0ELb0ELi64EEEvPT0_PKT_S5_iiiPKb.kd
    .uniform_work_group_size: 1
    .uses_dynamic_stack: false
    .vgpr_count:     28
    .vgpr_spill_count: 0
    .wavefront_size: 32
    .workgroup_processor_mode: 1
  - .args:
      - .address_space:  global
        .offset:         0
        .size:           8
        .value_kind:     global_buffer
      - .address_space:  global
        .offset:         8
        .size:           8
        .value_kind:     global_buffer
      - .address_space:  global
        .offset:         16
        .size:           8
        .value_kind:     global_buffer
      - .offset:         24
        .size:           4
        .value_kind:     by_value
      - .offset:         28
        .size:           4
        .value_kind:     by_value
      - .offset:         32
        .size:           4
        .value_kind:     by_value
      - .address_space:  global
        .offset:         40
        .size:           8
        .value_kind:     global_buffer
      - .offset:         48
        .size:           4
        .value_kind:     hidden_block_count_x
      - .offset:         52
        .size:           4
        .value_kind:     hidden_block_count_y
      - .offset:         56
        .size:           4
        .value_kind:     hidden_block_count_z
      - .offset:         60
        .size:           2
        .value_kind:     hidden_group_size_x
      - .offset:         62
        .size:           2
        .value_kind:     hidden_group_size_y
      - .offset:         64
        .size:           2
        .value_kind:     hidden_group_size_z
      - .offset:         66
        .size:           2
        .value_kind:     hidden_remainder_x
      - .offset:         68
        .size:           2
        .value_kind:     hidden_remainder_y
      - .offset:         70
        .size:           2
        .value_kind:     hidden_remainder_z
      - .offset:         88
        .size:           8
        .value_kind:     hidden_global_offset_x
      - .offset:         96
        .size:           8
        .value_kind:     hidden_global_offset_y
      - .offset:         104
        .size:           8
        .value_kind:     hidden_global_offset_z
      - .offset:         112
        .size:           2
        .value_kind:     hidden_grid_dims
    .group_segment_fixed_size: 0
    .kernarg_segment_align: 8
    .kernarg_segment_size: 304
    .language:       OpenCL C
    .language_version:
      - 2
      - 0
    .max_flat_workgroup_size: 1024
    .name:           _ZN12_GLOBAL__N_121softmax_warp_backwardIdddLi7ELb0ELb0ELi32EEEvPT0_PKT_S5_iiiPKb
    .private_segment_fixed_size: 0
    .sgpr_count:     18
    .sgpr_spill_count: 0
    .symbol:         _ZN12_GLOBAL__N_121softmax_warp_backwardIdddLi7ELb0ELb0ELi32EEEvPT0_PKT_S5_iiiPKb.kd
    .uniform_work_group_size: 1
    .uses_dynamic_stack: false
    .vgpr_count:     44
    .vgpr_spill_count: 0
    .wavefront_size: 32
    .workgroup_processor_mode: 1
  - .args:
      - .address_space:  global
        .offset:         0
        .size:           8
        .value_kind:     global_buffer
      - .address_space:  global
        .offset:         8
        .size:           8
        .value_kind:     global_buffer
      - .address_space:  global
        .offset:         16
        .size:           8
        .value_kind:     global_buffer
      - .offset:         24
        .size:           4
        .value_kind:     by_value
      - .offset:         28
        .size:           4
        .value_kind:     by_value
      - .offset:         32
        .size:           4
        .value_kind:     by_value
      - .address_space:  global
        .offset:         40
        .size:           8
        .value_kind:     global_buffer
      - .offset:         48
        .size:           4
        .value_kind:     hidden_block_count_x
      - .offset:         52
        .size:           4
        .value_kind:     hidden_block_count_y
      - .offset:         56
        .size:           4
        .value_kind:     hidden_block_count_z
      - .offset:         60
        .size:           2
        .value_kind:     hidden_group_size_x
      - .offset:         62
        .size:           2
        .value_kind:     hidden_group_size_y
      - .offset:         64
        .size:           2
        .value_kind:     hidden_group_size_z
      - .offset:         66
        .size:           2
        .value_kind:     hidden_remainder_x
      - .offset:         68
        .size:           2
        .value_kind:     hidden_remainder_y
      - .offset:         70
        .size:           2
        .value_kind:     hidden_remainder_z
      - .offset:         88
        .size:           8
        .value_kind:     hidden_global_offset_x
      - .offset:         96
        .size:           8
        .value_kind:     hidden_global_offset_y
      - .offset:         104
        .size:           8
        .value_kind:     hidden_global_offset_z
      - .offset:         112
        .size:           2
        .value_kind:     hidden_grid_dims
    .group_segment_fixed_size: 0
    .kernarg_segment_align: 8
    .kernarg_segment_size: 304
    .language:       OpenCL C
    .language_version:
      - 2
      - 0
    .max_flat_workgroup_size: 1024
    .name:           _ZN12_GLOBAL__N_121softmax_warp_backwardIdddLi8ELb0ELb0ELi64EEEvPT0_PKT_S5_iiiPKb
    .private_segment_fixed_size: 0
    .sgpr_count:     14
    .sgpr_spill_count: 0
    .symbol:         _ZN12_GLOBAL__N_121softmax_warp_backwardIdddLi8ELb0ELb0ELi64EEEvPT0_PKT_S5_iiiPKb.kd
    .uniform_work_group_size: 1
    .uses_dynamic_stack: false
    .vgpr_count:     24
    .vgpr_spill_count: 0
    .wavefront_size: 32
    .workgroup_processor_mode: 1
  - .args:
      - .address_space:  global
        .offset:         0
        .size:           8
        .value_kind:     global_buffer
      - .address_space:  global
        .offset:         8
        .size:           8
        .value_kind:     global_buffer
      - .address_space:  global
        .offset:         16
        .size:           8
        .value_kind:     global_buffer
      - .offset:         24
        .size:           4
        .value_kind:     by_value
      - .offset:         28
        .size:           4
        .value_kind:     by_value
      - .offset:         32
        .size:           4
        .value_kind:     by_value
      - .address_space:  global
        .offset:         40
        .size:           8
        .value_kind:     global_buffer
      - .offset:         48
        .size:           4
        .value_kind:     hidden_block_count_x
      - .offset:         52
        .size:           4
        .value_kind:     hidden_block_count_y
      - .offset:         56
        .size:           4
        .value_kind:     hidden_block_count_z
      - .offset:         60
        .size:           2
        .value_kind:     hidden_group_size_x
      - .offset:         62
        .size:           2
        .value_kind:     hidden_group_size_y
      - .offset:         64
        .size:           2
        .value_kind:     hidden_group_size_z
      - .offset:         66
        .size:           2
        .value_kind:     hidden_remainder_x
      - .offset:         68
        .size:           2
        .value_kind:     hidden_remainder_y
      - .offset:         70
        .size:           2
        .value_kind:     hidden_remainder_z
      - .offset:         88
        .size:           8
        .value_kind:     hidden_global_offset_x
      - .offset:         96
        .size:           8
        .value_kind:     hidden_global_offset_y
      - .offset:         104
        .size:           8
        .value_kind:     hidden_global_offset_z
      - .offset:         112
        .size:           2
        .value_kind:     hidden_grid_dims
    .group_segment_fixed_size: 0
    .kernarg_segment_align: 8
    .kernarg_segment_size: 304
    .language:       OpenCL C
    .language_version:
      - 2
      - 0
    .max_flat_workgroup_size: 1024
    .name:           _ZN12_GLOBAL__N_121softmax_warp_backwardIdddLi8ELb0ELb0ELi32EEEvPT0_PKT_S5_iiiPKb
    .private_segment_fixed_size: 0
    .sgpr_count:     18
    .sgpr_spill_count: 0
    .symbol:         _ZN12_GLOBAL__N_121softmax_warp_backwardIdddLi8ELb0ELb0ELi32EEEvPT0_PKT_S5_iiiPKb.kd
    .uniform_work_group_size: 1
    .uses_dynamic_stack: false
    .vgpr_count:     40
    .vgpr_spill_count: 0
    .wavefront_size: 32
    .workgroup_processor_mode: 1
  - .args:
      - .address_space:  global
        .offset:         0
        .size:           8
        .value_kind:     global_buffer
      - .address_space:  global
        .offset:         8
        .size:           8
        .value_kind:     global_buffer
      - .address_space:  global
        .offset:         16
        .size:           8
        .value_kind:     global_buffer
      - .offset:         24
        .size:           4
        .value_kind:     by_value
      - .offset:         28
        .size:           4
        .value_kind:     by_value
      - .offset:         32
        .size:           4
        .value_kind:     by_value
      - .address_space:  global
        .offset:         40
        .size:           8
        .value_kind:     global_buffer
      - .offset:         48
        .size:           4
        .value_kind:     hidden_block_count_x
      - .offset:         52
        .size:           4
        .value_kind:     hidden_block_count_y
      - .offset:         56
        .size:           4
        .value_kind:     hidden_block_count_z
      - .offset:         60
        .size:           2
        .value_kind:     hidden_group_size_x
      - .offset:         62
        .size:           2
        .value_kind:     hidden_group_size_y
      - .offset:         64
        .size:           2
        .value_kind:     hidden_group_size_z
      - .offset:         66
        .size:           2
        .value_kind:     hidden_remainder_x
      - .offset:         68
        .size:           2
        .value_kind:     hidden_remainder_y
      - .offset:         70
        .size:           2
        .value_kind:     hidden_remainder_z
      - .offset:         88
        .size:           8
        .value_kind:     hidden_global_offset_x
      - .offset:         96
        .size:           8
        .value_kind:     hidden_global_offset_y
      - .offset:         104
        .size:           8
        .value_kind:     hidden_global_offset_z
      - .offset:         112
        .size:           2
        .value_kind:     hidden_grid_dims
    .group_segment_fixed_size: 0
    .kernarg_segment_align: 8
    .kernarg_segment_size: 304
    .language:       OpenCL C
    .language_version:
      - 2
      - 0
    .max_flat_workgroup_size: 1024
    .name:           _ZN12_GLOBAL__N_121softmax_warp_backwardIdddLi9ELb0ELb0ELi64EEEvPT0_PKT_S5_iiiPKb
    .private_segment_fixed_size: 0
    .sgpr_count:     18
    .sgpr_spill_count: 0
    .symbol:         _ZN12_GLOBAL__N_121softmax_warp_backwardIdddLi9ELb0ELb0ELi64EEEvPT0_PKT_S5_iiiPKb.kd
    .uniform_work_group_size: 1
    .uses_dynamic_stack: false
    .vgpr_count:     40
    .vgpr_spill_count: 0
    .wavefront_size: 32
    .workgroup_processor_mode: 1
  - .args:
      - .address_space:  global
        .offset:         0
        .size:           8
        .value_kind:     global_buffer
      - .address_space:  global
        .offset:         8
        .size:           8
        .value_kind:     global_buffer
      - .address_space:  global
        .offset:         16
        .size:           8
        .value_kind:     global_buffer
      - .offset:         24
        .size:           4
        .value_kind:     by_value
      - .offset:         28
        .size:           4
        .value_kind:     by_value
      - .offset:         32
        .size:           4
        .value_kind:     by_value
      - .address_space:  global
        .offset:         40
        .size:           8
        .value_kind:     global_buffer
      - .offset:         48
        .size:           4
        .value_kind:     hidden_block_count_x
      - .offset:         52
        .size:           4
        .value_kind:     hidden_block_count_y
      - .offset:         56
        .size:           4
        .value_kind:     hidden_block_count_z
      - .offset:         60
        .size:           2
        .value_kind:     hidden_group_size_x
      - .offset:         62
        .size:           2
        .value_kind:     hidden_group_size_y
      - .offset:         64
        .size:           2
        .value_kind:     hidden_group_size_z
      - .offset:         66
        .size:           2
        .value_kind:     hidden_remainder_x
      - .offset:         68
        .size:           2
        .value_kind:     hidden_remainder_y
      - .offset:         70
        .size:           2
        .value_kind:     hidden_remainder_z
      - .offset:         88
        .size:           8
        .value_kind:     hidden_global_offset_x
      - .offset:         96
        .size:           8
        .value_kind:     hidden_global_offset_y
      - .offset:         104
        .size:           8
        .value_kind:     hidden_global_offset_z
      - .offset:         112
        .size:           2
        .value_kind:     hidden_grid_dims
    .group_segment_fixed_size: 0
    .kernarg_segment_align: 8
    .kernarg_segment_size: 304
    .language:       OpenCL C
    .language_version:
      - 2
      - 0
    .max_flat_workgroup_size: 1024
    .name:           _ZN12_GLOBAL__N_121softmax_warp_backwardIdddLi9ELb0ELb0ELi32EEEvPT0_PKT_S5_iiiPKb
    .private_segment_fixed_size: 0
    .sgpr_count:     26
    .sgpr_spill_count: 0
    .symbol:         _ZN12_GLOBAL__N_121softmax_warp_backwardIdddLi9ELb0ELb0ELi32EEEvPT0_PKT_S5_iiiPKb.kd
    .uniform_work_group_size: 1
    .uses_dynamic_stack: false
    .vgpr_count:     72
    .vgpr_spill_count: 0
    .wavefront_size: 32
    .workgroup_processor_mode: 1
  - .args:
      - .address_space:  global
        .offset:         0
        .size:           8
        .value_kind:     global_buffer
      - .address_space:  global
        .offset:         8
        .size:           8
        .value_kind:     global_buffer
      - .address_space:  global
        .offset:         16
        .size:           8
        .value_kind:     global_buffer
      - .offset:         24
        .size:           4
        .value_kind:     by_value
      - .offset:         28
        .size:           4
        .value_kind:     by_value
      - .offset:         32
        .size:           4
        .value_kind:     by_value
      - .address_space:  global
        .offset:         40
        .size:           8
        .value_kind:     global_buffer
      - .offset:         48
        .size:           4
        .value_kind:     hidden_block_count_x
      - .offset:         52
        .size:           4
        .value_kind:     hidden_block_count_y
      - .offset:         56
        .size:           4
        .value_kind:     hidden_block_count_z
      - .offset:         60
        .size:           2
        .value_kind:     hidden_group_size_x
      - .offset:         62
        .size:           2
        .value_kind:     hidden_group_size_y
      - .offset:         64
        .size:           2
        .value_kind:     hidden_group_size_z
      - .offset:         66
        .size:           2
        .value_kind:     hidden_remainder_x
      - .offset:         68
        .size:           2
        .value_kind:     hidden_remainder_y
      - .offset:         70
        .size:           2
        .value_kind:     hidden_remainder_z
      - .offset:         88
        .size:           8
        .value_kind:     hidden_global_offset_x
      - .offset:         96
        .size:           8
        .value_kind:     hidden_global_offset_y
      - .offset:         104
        .size:           8
        .value_kind:     hidden_global_offset_z
      - .offset:         112
        .size:           2
        .value_kind:     hidden_grid_dims
    .group_segment_fixed_size: 0
    .kernarg_segment_align: 8
    .kernarg_segment_size: 304
    .language:       OpenCL C
    .language_version:
      - 2
      - 0
    .max_flat_workgroup_size: 1024
    .name:           _ZN12_GLOBAL__N_121softmax_warp_backwardIdddLi10ELb0ELb0ELi64EEEvPT0_PKT_S5_iiiPKb
    .private_segment_fixed_size: 0
    .sgpr_count:     26
    .sgpr_spill_count: 0
    .symbol:         _ZN12_GLOBAL__N_121softmax_warp_backwardIdddLi10ELb0ELb0ELi64EEEvPT0_PKT_S5_iiiPKb.kd
    .uniform_work_group_size: 1
    .uses_dynamic_stack: false
    .vgpr_count:     73
    .vgpr_spill_count: 0
    .wavefront_size: 32
    .workgroup_processor_mode: 1
  - .args:
      - .address_space:  global
        .offset:         0
        .size:           8
        .value_kind:     global_buffer
      - .address_space:  global
        .offset:         8
        .size:           8
        .value_kind:     global_buffer
      - .address_space:  global
        .offset:         16
        .size:           8
        .value_kind:     global_buffer
      - .offset:         24
        .size:           4
        .value_kind:     by_value
      - .offset:         28
        .size:           4
        .value_kind:     by_value
      - .offset:         32
        .size:           4
        .value_kind:     by_value
      - .address_space:  global
        .offset:         40
        .size:           8
        .value_kind:     global_buffer
      - .offset:         48
        .size:           4
        .value_kind:     hidden_block_count_x
      - .offset:         52
        .size:           4
        .value_kind:     hidden_block_count_y
      - .offset:         56
        .size:           4
        .value_kind:     hidden_block_count_z
      - .offset:         60
        .size:           2
        .value_kind:     hidden_group_size_x
      - .offset:         62
        .size:           2
        .value_kind:     hidden_group_size_y
      - .offset:         64
        .size:           2
        .value_kind:     hidden_group_size_z
      - .offset:         66
        .size:           2
        .value_kind:     hidden_remainder_x
      - .offset:         68
        .size:           2
        .value_kind:     hidden_remainder_y
      - .offset:         70
        .size:           2
        .value_kind:     hidden_remainder_z
      - .offset:         88
        .size:           8
        .value_kind:     hidden_global_offset_x
      - .offset:         96
        .size:           8
        .value_kind:     hidden_global_offset_y
      - .offset:         104
        .size:           8
        .value_kind:     hidden_global_offset_z
      - .offset:         112
        .size:           2
        .value_kind:     hidden_grid_dims
    .group_segment_fixed_size: 0
    .kernarg_segment_align: 8
    .kernarg_segment_size: 304
    .language:       OpenCL C
    .language_version:
      - 2
      - 0
    .max_flat_workgroup_size: 1024
    .name:           _ZN12_GLOBAL__N_121softmax_warp_backwardIdddLi10ELb0ELb0ELi32EEEvPT0_PKT_S5_iiiPKb
    .private_segment_fixed_size: 44
    .sgpr_count:     50
    .sgpr_spill_count: 0
    .symbol:         _ZN12_GLOBAL__N_121softmax_warp_backwardIdddLi10ELb0ELb0ELi32EEEvPT0_PKT_S5_iiiPKb.kd
    .uniform_work_group_size: 1
    .uses_dynamic_stack: false
    .vgpr_count:     128
    .vgpr_spill_count: 20
    .wavefront_size: 32
    .workgroup_processor_mode: 1
  - .args:
      - .address_space:  global
        .offset:         0
        .size:           8
        .value_kind:     global_buffer
      - .address_space:  global
        .offset:         8
        .size:           8
        .value_kind:     global_buffer
      - .address_space:  global
        .offset:         16
        .size:           8
        .value_kind:     global_buffer
      - .offset:         24
        .size:           8
        .value_kind:     by_value
      - .offset:         32
        .size:           4
        .value_kind:     hidden_block_count_x
      - .offset:         36
        .size:           4
        .value_kind:     hidden_block_count_y
      - .offset:         40
        .size:           4
        .value_kind:     hidden_block_count_z
      - .offset:         44
        .size:           2
        .value_kind:     hidden_group_size_x
      - .offset:         46
        .size:           2
        .value_kind:     hidden_group_size_y
      - .offset:         48
        .size:           2
        .value_kind:     hidden_group_size_z
      - .offset:         50
        .size:           2
        .value_kind:     hidden_remainder_x
      - .offset:         52
        .size:           2
        .value_kind:     hidden_remainder_y
      - .offset:         54
        .size:           2
        .value_kind:     hidden_remainder_z
      - .offset:         72
        .size:           8
        .value_kind:     hidden_global_offset_x
      - .offset:         80
        .size:           8
        .value_kind:     hidden_global_offset_y
      - .offset:         88
        .size:           8
        .value_kind:     hidden_global_offset_z
      - .offset:         96
        .size:           2
        .value_kind:     hidden_grid_dims
      - .offset:         152
        .size:           4
        .value_kind:     hidden_dynamic_lds_size
    .group_segment_fixed_size: 0
    .kernarg_segment_align: 8
    .kernarg_segment_size: 288
    .language:       OpenCL C
    .language_version:
      - 2
      - 0
    .max_flat_workgroup_size: 1024
    .name:           _ZN2at6native12_GLOBAL__N_124cunn_SoftMaxBackwardSmemILi2EdddNS1_23SoftMaxBackwardEpilogueEEEvPT0_PKT2_S8_l
    .private_segment_fixed_size: 0
    .sgpr_count:     20
    .sgpr_spill_count: 0
    .symbol:         _ZN2at6native12_GLOBAL__N_124cunn_SoftMaxBackwardSmemILi2EdddNS1_23SoftMaxBackwardEpilogueEEEvPT0_PKT2_S8_l.kd
    .uniform_work_group_size: 1
    .uses_dynamic_stack: false
    .vgpr_count:     18
    .vgpr_spill_count: 0
    .wavefront_size: 32
    .workgroup_processor_mode: 1
  - .args:
      - .address_space:  global
        .offset:         0
        .size:           8
        .value_kind:     global_buffer
      - .address_space:  global
        .offset:         8
        .size:           8
        .value_kind:     global_buffer
      - .address_space:  global
        .offset:         16
        .size:           8
        .value_kind:     global_buffer
      - .offset:         24
        .size:           8
        .value_kind:     by_value
      - .offset:         32
        .size:           4
        .value_kind:     hidden_block_count_x
      - .offset:         36
        .size:           4
        .value_kind:     hidden_block_count_y
      - .offset:         40
        .size:           4
        .value_kind:     hidden_block_count_z
      - .offset:         44
        .size:           2
        .value_kind:     hidden_group_size_x
      - .offset:         46
        .size:           2
        .value_kind:     hidden_group_size_y
      - .offset:         48
        .size:           2
        .value_kind:     hidden_group_size_z
      - .offset:         50
        .size:           2
        .value_kind:     hidden_remainder_x
      - .offset:         52
        .size:           2
        .value_kind:     hidden_remainder_y
      - .offset:         54
        .size:           2
        .value_kind:     hidden_remainder_z
      - .offset:         72
        .size:           8
        .value_kind:     hidden_global_offset_x
      - .offset:         80
        .size:           8
        .value_kind:     hidden_global_offset_y
      - .offset:         88
        .size:           8
        .value_kind:     hidden_global_offset_z
      - .offset:         96
        .size:           2
        .value_kind:     hidden_grid_dims
      - .offset:         152
        .size:           4
        .value_kind:     hidden_dynamic_lds_size
    .group_segment_fixed_size: 0
    .kernarg_segment_align: 8
    .kernarg_segment_size: 288
    .language:       OpenCL C
    .language_version:
      - 2
      - 0
    .max_flat_workgroup_size: 1024
    .name:           _ZN2at6native12_GLOBAL__N_120cunn_SoftMaxBackwardILi2EdddNS1_23SoftMaxBackwardEpilogueEEEvPT0_PKT2_S8_l
    .private_segment_fixed_size: 0
    .sgpr_count:     49
    .sgpr_spill_count: 0
    .symbol:         _ZN2at6native12_GLOBAL__N_120cunn_SoftMaxBackwardILi2EdddNS1_23SoftMaxBackwardEpilogueEEEvPT0_PKT2_S8_l.kd
    .uniform_work_group_size: 1
    .uses_dynamic_stack: false
    .vgpr_count:     20
    .vgpr_spill_count: 0
    .wavefront_size: 32
    .workgroup_processor_mode: 1
  - .args:
      - .address_space:  global
        .offset:         0
        .size:           8
        .value_kind:     global_buffer
      - .address_space:  global
        .offset:         8
        .size:           8
        .value_kind:     global_buffer
      - .address_space:  global
        .offset:         16
        .size:           8
        .value_kind:     global_buffer
      - .offset:         24
        .size:           4
        .value_kind:     by_value
      - .offset:         28
        .size:           4
        .value_kind:     by_value
      - .offset:         32
        .size:           4
        .value_kind:     by_value
      - .address_space:  global
        .offset:         40
        .size:           8
        .value_kind:     global_buffer
      - .offset:         48
        .size:           4
        .value_kind:     hidden_block_count_x
      - .offset:         52
        .size:           4
        .value_kind:     hidden_block_count_y
      - .offset:         56
        .size:           4
        .value_kind:     hidden_block_count_z
      - .offset:         60
        .size:           2
        .value_kind:     hidden_group_size_x
      - .offset:         62
        .size:           2
        .value_kind:     hidden_group_size_y
      - .offset:         64
        .size:           2
        .value_kind:     hidden_group_size_z
      - .offset:         66
        .size:           2
        .value_kind:     hidden_remainder_x
      - .offset:         68
        .size:           2
        .value_kind:     hidden_remainder_y
      - .offset:         70
        .size:           2
        .value_kind:     hidden_remainder_z
      - .offset:         88
        .size:           8
        .value_kind:     hidden_global_offset_x
      - .offset:         96
        .size:           8
        .value_kind:     hidden_global_offset_y
      - .offset:         104
        .size:           8
        .value_kind:     hidden_global_offset_z
      - .offset:         112
        .size:           2
        .value_kind:     hidden_grid_dims
    .group_segment_fixed_size: 0
    .kernarg_segment_align: 8
    .kernarg_segment_size: 304
    .language:       OpenCL C
    .language_version:
      - 2
      - 0
    .max_flat_workgroup_size: 1024
    .name:           _ZN12_GLOBAL__N_121softmax_warp_backwardIfffLi0ELb0ELb0ELi64EEEvPT0_PKT_S5_iiiPKb
    .private_segment_fixed_size: 0
    .sgpr_count:     14
    .sgpr_spill_count: 0
    .symbol:         _ZN12_GLOBAL__N_121softmax_warp_backwardIfffLi0ELb0ELb0ELi64EEEvPT0_PKT_S5_iiiPKb.kd
    .uniform_work_group_size: 1
    .uses_dynamic_stack: false
    .vgpr_count:     11
    .vgpr_spill_count: 0
    .wavefront_size: 32
    .workgroup_processor_mode: 1
  - .args:
      - .address_space:  global
        .offset:         0
        .size:           8
        .value_kind:     global_buffer
      - .address_space:  global
        .offset:         8
        .size:           8
        .value_kind:     global_buffer
      - .address_space:  global
        .offset:         16
        .size:           8
        .value_kind:     global_buffer
      - .offset:         24
        .size:           4
        .value_kind:     by_value
      - .offset:         28
        .size:           4
        .value_kind:     by_value
      - .offset:         32
        .size:           4
        .value_kind:     by_value
      - .address_space:  global
        .offset:         40
        .size:           8
        .value_kind:     global_buffer
      - .offset:         48
        .size:           4
        .value_kind:     hidden_block_count_x
      - .offset:         52
        .size:           4
        .value_kind:     hidden_block_count_y
      - .offset:         56
        .size:           4
        .value_kind:     hidden_block_count_z
      - .offset:         60
        .size:           2
        .value_kind:     hidden_group_size_x
      - .offset:         62
        .size:           2
        .value_kind:     hidden_group_size_y
      - .offset:         64
        .size:           2
        .value_kind:     hidden_group_size_z
      - .offset:         66
        .size:           2
        .value_kind:     hidden_remainder_x
      - .offset:         68
        .size:           2
        .value_kind:     hidden_remainder_y
      - .offset:         70
        .size:           2
        .value_kind:     hidden_remainder_z
      - .offset:         88
        .size:           8
        .value_kind:     hidden_global_offset_x
      - .offset:         96
        .size:           8
        .value_kind:     hidden_global_offset_y
      - .offset:         104
        .size:           8
        .value_kind:     hidden_global_offset_z
      - .offset:         112
        .size:           2
        .value_kind:     hidden_grid_dims
    .group_segment_fixed_size: 0
    .kernarg_segment_align: 8
    .kernarg_segment_size: 304
    .language:       OpenCL C
    .language_version:
      - 2
      - 0
    .max_flat_workgroup_size: 1024
    .name:           _ZN12_GLOBAL__N_121softmax_warp_backwardIfffLi0ELb0ELb0ELi32EEEvPT0_PKT_S5_iiiPKb
    .private_segment_fixed_size: 0
    .sgpr_count:     14
    .sgpr_spill_count: 0
    .symbol:         _ZN12_GLOBAL__N_121softmax_warp_backwardIfffLi0ELb0ELb0ELi32EEEvPT0_PKT_S5_iiiPKb.kd
    .uniform_work_group_size: 1
    .uses_dynamic_stack: false
    .vgpr_count:     11
    .vgpr_spill_count: 0
    .wavefront_size: 32
    .workgroup_processor_mode: 1
  - .args:
      - .address_space:  global
        .offset:         0
        .size:           8
        .value_kind:     global_buffer
      - .address_space:  global
        .offset:         8
        .size:           8
        .value_kind:     global_buffer
      - .address_space:  global
        .offset:         16
        .size:           8
        .value_kind:     global_buffer
      - .offset:         24
        .size:           4
        .value_kind:     by_value
      - .offset:         28
        .size:           4
        .value_kind:     by_value
      - .offset:         32
        .size:           4
        .value_kind:     by_value
      - .address_space:  global
        .offset:         40
        .size:           8
        .value_kind:     global_buffer
      - .offset:         48
        .size:           4
        .value_kind:     hidden_block_count_x
      - .offset:         52
        .size:           4
        .value_kind:     hidden_block_count_y
      - .offset:         56
        .size:           4
        .value_kind:     hidden_block_count_z
      - .offset:         60
        .size:           2
        .value_kind:     hidden_group_size_x
      - .offset:         62
        .size:           2
        .value_kind:     hidden_group_size_y
      - .offset:         64
        .size:           2
        .value_kind:     hidden_group_size_z
      - .offset:         66
        .size:           2
        .value_kind:     hidden_remainder_x
      - .offset:         68
        .size:           2
        .value_kind:     hidden_remainder_y
      - .offset:         70
        .size:           2
        .value_kind:     hidden_remainder_z
      - .offset:         88
        .size:           8
        .value_kind:     hidden_global_offset_x
      - .offset:         96
        .size:           8
        .value_kind:     hidden_global_offset_y
      - .offset:         104
        .size:           8
        .value_kind:     hidden_global_offset_z
      - .offset:         112
        .size:           2
        .value_kind:     hidden_grid_dims
    .group_segment_fixed_size: 0
    .kernarg_segment_align: 8
    .kernarg_segment_size: 304
    .language:       OpenCL C
    .language_version:
      - 2
      - 0
    .max_flat_workgroup_size: 1024
    .name:           _ZN12_GLOBAL__N_121softmax_warp_backwardIfffLi1ELb0ELb0ELi64EEEvPT0_PKT_S5_iiiPKb
    .private_segment_fixed_size: 0
    .sgpr_count:     14
    .sgpr_spill_count: 0
    .symbol:         _ZN12_GLOBAL__N_121softmax_warp_backwardIfffLi1ELb0ELb0ELi64EEEvPT0_PKT_S5_iiiPKb.kd
    .uniform_work_group_size: 1
    .uses_dynamic_stack: false
    .vgpr_count:     11
    .vgpr_spill_count: 0
    .wavefront_size: 32
    .workgroup_processor_mode: 1
  - .args:
      - .address_space:  global
        .offset:         0
        .size:           8
        .value_kind:     global_buffer
      - .address_space:  global
        .offset:         8
        .size:           8
        .value_kind:     global_buffer
      - .address_space:  global
        .offset:         16
        .size:           8
        .value_kind:     global_buffer
      - .offset:         24
        .size:           4
        .value_kind:     by_value
      - .offset:         28
        .size:           4
        .value_kind:     by_value
      - .offset:         32
        .size:           4
        .value_kind:     by_value
      - .address_space:  global
        .offset:         40
        .size:           8
        .value_kind:     global_buffer
      - .offset:         48
        .size:           4
        .value_kind:     hidden_block_count_x
      - .offset:         52
        .size:           4
        .value_kind:     hidden_block_count_y
      - .offset:         56
        .size:           4
        .value_kind:     hidden_block_count_z
      - .offset:         60
        .size:           2
        .value_kind:     hidden_group_size_x
      - .offset:         62
        .size:           2
        .value_kind:     hidden_group_size_y
      - .offset:         64
        .size:           2
        .value_kind:     hidden_group_size_z
      - .offset:         66
        .size:           2
        .value_kind:     hidden_remainder_x
      - .offset:         68
        .size:           2
        .value_kind:     hidden_remainder_y
      - .offset:         70
        .size:           2
        .value_kind:     hidden_remainder_z
      - .offset:         88
        .size:           8
        .value_kind:     hidden_global_offset_x
      - .offset:         96
        .size:           8
        .value_kind:     hidden_global_offset_y
      - .offset:         104
        .size:           8
        .value_kind:     hidden_global_offset_z
      - .offset:         112
        .size:           2
        .value_kind:     hidden_grid_dims
    .group_segment_fixed_size: 0
    .kernarg_segment_align: 8
    .kernarg_segment_size: 304
    .language:       OpenCL C
    .language_version:
      - 2
      - 0
    .max_flat_workgroup_size: 1024
    .name:           _ZN12_GLOBAL__N_121softmax_warp_backwardIfffLi1ELb0ELb0ELi32EEEvPT0_PKT_S5_iiiPKb
    .private_segment_fixed_size: 0
    .sgpr_count:     14
    .sgpr_spill_count: 0
    .symbol:         _ZN12_GLOBAL__N_121softmax_warp_backwardIfffLi1ELb0ELb0ELi32EEEvPT0_PKT_S5_iiiPKb.kd
    .uniform_work_group_size: 1
    .uses_dynamic_stack: false
    .vgpr_count:     11
    .vgpr_spill_count: 0
    .wavefront_size: 32
    .workgroup_processor_mode: 1
  - .args:
      - .address_space:  global
        .offset:         0
        .size:           8
        .value_kind:     global_buffer
      - .address_space:  global
        .offset:         8
        .size:           8
        .value_kind:     global_buffer
      - .address_space:  global
        .offset:         16
        .size:           8
        .value_kind:     global_buffer
      - .offset:         24
        .size:           4
        .value_kind:     by_value
      - .offset:         28
        .size:           4
        .value_kind:     by_value
      - .offset:         32
        .size:           4
        .value_kind:     by_value
      - .address_space:  global
        .offset:         40
        .size:           8
        .value_kind:     global_buffer
      - .offset:         48
        .size:           4
        .value_kind:     hidden_block_count_x
      - .offset:         52
        .size:           4
        .value_kind:     hidden_block_count_y
      - .offset:         56
        .size:           4
        .value_kind:     hidden_block_count_z
      - .offset:         60
        .size:           2
        .value_kind:     hidden_group_size_x
      - .offset:         62
        .size:           2
        .value_kind:     hidden_group_size_y
      - .offset:         64
        .size:           2
        .value_kind:     hidden_group_size_z
      - .offset:         66
        .size:           2
        .value_kind:     hidden_remainder_x
      - .offset:         68
        .size:           2
        .value_kind:     hidden_remainder_y
      - .offset:         70
        .size:           2
        .value_kind:     hidden_remainder_z
      - .offset:         88
        .size:           8
        .value_kind:     hidden_global_offset_x
      - .offset:         96
        .size:           8
        .value_kind:     hidden_global_offset_y
      - .offset:         104
        .size:           8
        .value_kind:     hidden_global_offset_z
      - .offset:         112
        .size:           2
        .value_kind:     hidden_grid_dims
    .group_segment_fixed_size: 0
    .kernarg_segment_align: 8
    .kernarg_segment_size: 304
    .language:       OpenCL C
    .language_version:
      - 2
      - 0
    .max_flat_workgroup_size: 1024
    .name:           _ZN12_GLOBAL__N_121softmax_warp_backwardIfffLi2ELb0ELb0ELi64EEEvPT0_PKT_S5_iiiPKb
    .private_segment_fixed_size: 0
    .sgpr_count:     14
    .sgpr_spill_count: 0
    .symbol:         _ZN12_GLOBAL__N_121softmax_warp_backwardIfffLi2ELb0ELb0ELi64EEEvPT0_PKT_S5_iiiPKb.kd
    .uniform_work_group_size: 1
    .uses_dynamic_stack: false
    .vgpr_count:     14
    .vgpr_spill_count: 0
    .wavefront_size: 32
    .workgroup_processor_mode: 1
  - .args:
      - .address_space:  global
        .offset:         0
        .size:           8
        .value_kind:     global_buffer
      - .address_space:  global
        .offset:         8
        .size:           8
        .value_kind:     global_buffer
      - .address_space:  global
        .offset:         16
        .size:           8
        .value_kind:     global_buffer
      - .offset:         24
        .size:           4
        .value_kind:     by_value
      - .offset:         28
        .size:           4
        .value_kind:     by_value
      - .offset:         32
        .size:           4
        .value_kind:     by_value
      - .address_space:  global
        .offset:         40
        .size:           8
        .value_kind:     global_buffer
      - .offset:         48
        .size:           4
        .value_kind:     hidden_block_count_x
      - .offset:         52
        .size:           4
        .value_kind:     hidden_block_count_y
      - .offset:         56
        .size:           4
        .value_kind:     hidden_block_count_z
      - .offset:         60
        .size:           2
        .value_kind:     hidden_group_size_x
      - .offset:         62
        .size:           2
        .value_kind:     hidden_group_size_y
      - .offset:         64
        .size:           2
        .value_kind:     hidden_group_size_z
      - .offset:         66
        .size:           2
        .value_kind:     hidden_remainder_x
      - .offset:         68
        .size:           2
        .value_kind:     hidden_remainder_y
      - .offset:         70
        .size:           2
        .value_kind:     hidden_remainder_z
      - .offset:         88
        .size:           8
        .value_kind:     hidden_global_offset_x
      - .offset:         96
        .size:           8
        .value_kind:     hidden_global_offset_y
      - .offset:         104
        .size:           8
        .value_kind:     hidden_global_offset_z
      - .offset:         112
        .size:           2
        .value_kind:     hidden_grid_dims
    .group_segment_fixed_size: 0
    .kernarg_segment_align: 8
    .kernarg_segment_size: 304
    .language:       OpenCL C
    .language_version:
      - 2
      - 0
    .max_flat_workgroup_size: 1024
    .name:           _ZN12_GLOBAL__N_121softmax_warp_backwardIfffLi2ELb0ELb0ELi32EEEvPT0_PKT_S5_iiiPKb
    .private_segment_fixed_size: 0
    .sgpr_count:     14
    .sgpr_spill_count: 0
    .symbol:         _ZN12_GLOBAL__N_121softmax_warp_backwardIfffLi2ELb0ELb0ELi32EEEvPT0_PKT_S5_iiiPKb.kd
    .uniform_work_group_size: 1
    .uses_dynamic_stack: false
    .vgpr_count:     14
    .vgpr_spill_count: 0
    .wavefront_size: 32
    .workgroup_processor_mode: 1
  - .args:
      - .address_space:  global
        .offset:         0
        .size:           8
        .value_kind:     global_buffer
      - .address_space:  global
        .offset:         8
        .size:           8
        .value_kind:     global_buffer
      - .address_space:  global
        .offset:         16
        .size:           8
        .value_kind:     global_buffer
      - .offset:         24
        .size:           4
        .value_kind:     by_value
      - .offset:         28
        .size:           4
        .value_kind:     by_value
      - .offset:         32
        .size:           4
        .value_kind:     by_value
      - .address_space:  global
        .offset:         40
        .size:           8
        .value_kind:     global_buffer
      - .offset:         48
        .size:           4
        .value_kind:     hidden_block_count_x
      - .offset:         52
        .size:           4
        .value_kind:     hidden_block_count_y
      - .offset:         56
        .size:           4
        .value_kind:     hidden_block_count_z
      - .offset:         60
        .size:           2
        .value_kind:     hidden_group_size_x
      - .offset:         62
        .size:           2
        .value_kind:     hidden_group_size_y
      - .offset:         64
        .size:           2
        .value_kind:     hidden_group_size_z
      - .offset:         66
        .size:           2
        .value_kind:     hidden_remainder_x
      - .offset:         68
        .size:           2
        .value_kind:     hidden_remainder_y
      - .offset:         70
        .size:           2
        .value_kind:     hidden_remainder_z
      - .offset:         88
        .size:           8
        .value_kind:     hidden_global_offset_x
      - .offset:         96
        .size:           8
        .value_kind:     hidden_global_offset_y
      - .offset:         104
        .size:           8
        .value_kind:     hidden_global_offset_z
      - .offset:         112
        .size:           2
        .value_kind:     hidden_grid_dims
    .group_segment_fixed_size: 0
    .kernarg_segment_align: 8
    .kernarg_segment_size: 304
    .language:       OpenCL C
    .language_version:
      - 2
      - 0
    .max_flat_workgroup_size: 1024
    .name:           _ZN12_GLOBAL__N_121softmax_warp_backwardIfffLi3ELb0ELb0ELi64EEEvPT0_PKT_S5_iiiPKb
    .private_segment_fixed_size: 0
    .sgpr_count:     14
    .sgpr_spill_count: 0
    .symbol:         _ZN12_GLOBAL__N_121softmax_warp_backwardIfffLi3ELb0ELb0ELi64EEEvPT0_PKT_S5_iiiPKb.kd
    .uniform_work_group_size: 1
    .uses_dynamic_stack: false
    .vgpr_count:     14
    .vgpr_spill_count: 0
    .wavefront_size: 32
    .workgroup_processor_mode: 1
  - .args:
      - .address_space:  global
        .offset:         0
        .size:           8
        .value_kind:     global_buffer
      - .address_space:  global
        .offset:         8
        .size:           8
        .value_kind:     global_buffer
      - .address_space:  global
        .offset:         16
        .size:           8
        .value_kind:     global_buffer
      - .offset:         24
        .size:           4
        .value_kind:     by_value
      - .offset:         28
        .size:           4
        .value_kind:     by_value
      - .offset:         32
        .size:           4
        .value_kind:     by_value
      - .address_space:  global
        .offset:         40
        .size:           8
        .value_kind:     global_buffer
      - .offset:         48
        .size:           4
        .value_kind:     hidden_block_count_x
      - .offset:         52
        .size:           4
        .value_kind:     hidden_block_count_y
      - .offset:         56
        .size:           4
        .value_kind:     hidden_block_count_z
      - .offset:         60
        .size:           2
        .value_kind:     hidden_group_size_x
      - .offset:         62
        .size:           2
        .value_kind:     hidden_group_size_y
      - .offset:         64
        .size:           2
        .value_kind:     hidden_group_size_z
      - .offset:         66
        .size:           2
        .value_kind:     hidden_remainder_x
      - .offset:         68
        .size:           2
        .value_kind:     hidden_remainder_y
      - .offset:         70
        .size:           2
        .value_kind:     hidden_remainder_z
      - .offset:         88
        .size:           8
        .value_kind:     hidden_global_offset_x
      - .offset:         96
        .size:           8
        .value_kind:     hidden_global_offset_y
      - .offset:         104
        .size:           8
        .value_kind:     hidden_global_offset_z
      - .offset:         112
        .size:           2
        .value_kind:     hidden_grid_dims
    .group_segment_fixed_size: 0
    .kernarg_segment_align: 8
    .kernarg_segment_size: 304
    .language:       OpenCL C
    .language_version:
      - 2
      - 0
    .max_flat_workgroup_size: 1024
    .name:           _ZN12_GLOBAL__N_121softmax_warp_backwardIfffLi3ELb0ELb0ELi32EEEvPT0_PKT_S5_iiiPKb
    .private_segment_fixed_size: 0
    .sgpr_count:     14
    .sgpr_spill_count: 0
    .symbol:         _ZN12_GLOBAL__N_121softmax_warp_backwardIfffLi3ELb0ELb0ELi32EEEvPT0_PKT_S5_iiiPKb.kd
    .uniform_work_group_size: 1
    .uses_dynamic_stack: false
    .vgpr_count:     14
    .vgpr_spill_count: 0
    .wavefront_size: 32
    .workgroup_processor_mode: 1
  - .args:
      - .address_space:  global
        .offset:         0
        .size:           8
        .value_kind:     global_buffer
      - .address_space:  global
        .offset:         8
        .size:           8
        .value_kind:     global_buffer
      - .address_space:  global
        .offset:         16
        .size:           8
        .value_kind:     global_buffer
      - .offset:         24
        .size:           4
        .value_kind:     by_value
      - .offset:         28
        .size:           4
        .value_kind:     by_value
      - .offset:         32
        .size:           4
        .value_kind:     by_value
      - .address_space:  global
        .offset:         40
        .size:           8
        .value_kind:     global_buffer
      - .offset:         48
        .size:           4
        .value_kind:     hidden_block_count_x
      - .offset:         52
        .size:           4
        .value_kind:     hidden_block_count_y
      - .offset:         56
        .size:           4
        .value_kind:     hidden_block_count_z
      - .offset:         60
        .size:           2
        .value_kind:     hidden_group_size_x
      - .offset:         62
        .size:           2
        .value_kind:     hidden_group_size_y
      - .offset:         64
        .size:           2
        .value_kind:     hidden_group_size_z
      - .offset:         66
        .size:           2
        .value_kind:     hidden_remainder_x
      - .offset:         68
        .size:           2
        .value_kind:     hidden_remainder_y
      - .offset:         70
        .size:           2
        .value_kind:     hidden_remainder_z
      - .offset:         88
        .size:           8
        .value_kind:     hidden_global_offset_x
      - .offset:         96
        .size:           8
        .value_kind:     hidden_global_offset_y
      - .offset:         104
        .size:           8
        .value_kind:     hidden_global_offset_z
      - .offset:         112
        .size:           2
        .value_kind:     hidden_grid_dims
    .group_segment_fixed_size: 0
    .kernarg_segment_align: 8
    .kernarg_segment_size: 304
    .language:       OpenCL C
    .language_version:
      - 2
      - 0
    .max_flat_workgroup_size: 1024
    .name:           _ZN12_GLOBAL__N_121softmax_warp_backwardIfffLi4ELb0ELb0ELi64EEEvPT0_PKT_S5_iiiPKb
    .private_segment_fixed_size: 0
    .sgpr_count:     14
    .sgpr_spill_count: 0
    .symbol:         _ZN12_GLOBAL__N_121softmax_warp_backwardIfffLi4ELb0ELb0ELi64EEEvPT0_PKT_S5_iiiPKb.kd
    .uniform_work_group_size: 1
    .uses_dynamic_stack: false
    .vgpr_count:     14
    .vgpr_spill_count: 0
    .wavefront_size: 32
    .workgroup_processor_mode: 1
  - .args:
      - .address_space:  global
        .offset:         0
        .size:           8
        .value_kind:     global_buffer
      - .address_space:  global
        .offset:         8
        .size:           8
        .value_kind:     global_buffer
      - .address_space:  global
        .offset:         16
        .size:           8
        .value_kind:     global_buffer
      - .offset:         24
        .size:           4
        .value_kind:     by_value
      - .offset:         28
        .size:           4
        .value_kind:     by_value
      - .offset:         32
        .size:           4
        .value_kind:     by_value
      - .address_space:  global
        .offset:         40
        .size:           8
        .value_kind:     global_buffer
      - .offset:         48
        .size:           4
        .value_kind:     hidden_block_count_x
      - .offset:         52
        .size:           4
        .value_kind:     hidden_block_count_y
      - .offset:         56
        .size:           4
        .value_kind:     hidden_block_count_z
      - .offset:         60
        .size:           2
        .value_kind:     hidden_group_size_x
      - .offset:         62
        .size:           2
        .value_kind:     hidden_group_size_y
      - .offset:         64
        .size:           2
        .value_kind:     hidden_group_size_z
      - .offset:         66
        .size:           2
        .value_kind:     hidden_remainder_x
      - .offset:         68
        .size:           2
        .value_kind:     hidden_remainder_y
      - .offset:         70
        .size:           2
        .value_kind:     hidden_remainder_z
      - .offset:         88
        .size:           8
        .value_kind:     hidden_global_offset_x
      - .offset:         96
        .size:           8
        .value_kind:     hidden_global_offset_y
      - .offset:         104
        .size:           8
        .value_kind:     hidden_global_offset_z
      - .offset:         112
        .size:           2
        .value_kind:     hidden_grid_dims
    .group_segment_fixed_size: 0
    .kernarg_segment_align: 8
    .kernarg_segment_size: 304
    .language:       OpenCL C
    .language_version:
      - 2
      - 0
    .max_flat_workgroup_size: 1024
    .name:           _ZN12_GLOBAL__N_121softmax_warp_backwardIfffLi4ELb0ELb0ELi32EEEvPT0_PKT_S5_iiiPKb
    .private_segment_fixed_size: 0
    .sgpr_count:     14
    .sgpr_spill_count: 0
    .symbol:         _ZN12_GLOBAL__N_121softmax_warp_backwardIfffLi4ELb0ELb0ELi32EEEvPT0_PKT_S5_iiiPKb.kd
    .uniform_work_group_size: 1
    .uses_dynamic_stack: false
    .vgpr_count:     14
    .vgpr_spill_count: 0
    .wavefront_size: 32
    .workgroup_processor_mode: 1
  - .args:
      - .address_space:  global
        .offset:         0
        .size:           8
        .value_kind:     global_buffer
      - .address_space:  global
        .offset:         8
        .size:           8
        .value_kind:     global_buffer
      - .address_space:  global
        .offset:         16
        .size:           8
        .value_kind:     global_buffer
      - .offset:         24
        .size:           4
        .value_kind:     by_value
      - .offset:         28
        .size:           4
        .value_kind:     by_value
      - .offset:         32
        .size:           4
        .value_kind:     by_value
      - .address_space:  global
        .offset:         40
        .size:           8
        .value_kind:     global_buffer
      - .offset:         48
        .size:           4
        .value_kind:     hidden_block_count_x
      - .offset:         52
        .size:           4
        .value_kind:     hidden_block_count_y
      - .offset:         56
        .size:           4
        .value_kind:     hidden_block_count_z
      - .offset:         60
        .size:           2
        .value_kind:     hidden_group_size_x
      - .offset:         62
        .size:           2
        .value_kind:     hidden_group_size_y
      - .offset:         64
        .size:           2
        .value_kind:     hidden_group_size_z
      - .offset:         66
        .size:           2
        .value_kind:     hidden_remainder_x
      - .offset:         68
        .size:           2
        .value_kind:     hidden_remainder_y
      - .offset:         70
        .size:           2
        .value_kind:     hidden_remainder_z
      - .offset:         88
        .size:           8
        .value_kind:     hidden_global_offset_x
      - .offset:         96
        .size:           8
        .value_kind:     hidden_global_offset_y
      - .offset:         104
        .size:           8
        .value_kind:     hidden_global_offset_z
      - .offset:         112
        .size:           2
        .value_kind:     hidden_grid_dims
    .group_segment_fixed_size: 0
    .kernarg_segment_align: 8
    .kernarg_segment_size: 304
    .language:       OpenCL C
    .language_version:
      - 2
      - 0
    .max_flat_workgroup_size: 1024
    .name:           _ZN12_GLOBAL__N_121softmax_warp_backwardIfffLi5ELb0ELb0ELi64EEEvPT0_PKT_S5_iiiPKb
    .private_segment_fixed_size: 0
    .sgpr_count:     14
    .sgpr_spill_count: 0
    .symbol:         _ZN12_GLOBAL__N_121softmax_warp_backwardIfffLi5ELb0ELb0ELi64EEEvPT0_PKT_S5_iiiPKb.kd
    .uniform_work_group_size: 1
    .uses_dynamic_stack: false
    .vgpr_count:     13
    .vgpr_spill_count: 0
    .wavefront_size: 32
    .workgroup_processor_mode: 1
  - .args:
      - .address_space:  global
        .offset:         0
        .size:           8
        .value_kind:     global_buffer
      - .address_space:  global
        .offset:         8
        .size:           8
        .value_kind:     global_buffer
      - .address_space:  global
        .offset:         16
        .size:           8
        .value_kind:     global_buffer
      - .offset:         24
        .size:           4
        .value_kind:     by_value
      - .offset:         28
        .size:           4
        .value_kind:     by_value
      - .offset:         32
        .size:           4
        .value_kind:     by_value
      - .address_space:  global
        .offset:         40
        .size:           8
        .value_kind:     global_buffer
      - .offset:         48
        .size:           4
        .value_kind:     hidden_block_count_x
      - .offset:         52
        .size:           4
        .value_kind:     hidden_block_count_y
      - .offset:         56
        .size:           4
        .value_kind:     hidden_block_count_z
      - .offset:         60
        .size:           2
        .value_kind:     hidden_group_size_x
      - .offset:         62
        .size:           2
        .value_kind:     hidden_group_size_y
      - .offset:         64
        .size:           2
        .value_kind:     hidden_group_size_z
      - .offset:         66
        .size:           2
        .value_kind:     hidden_remainder_x
      - .offset:         68
        .size:           2
        .value_kind:     hidden_remainder_y
      - .offset:         70
        .size:           2
        .value_kind:     hidden_remainder_z
      - .offset:         88
        .size:           8
        .value_kind:     hidden_global_offset_x
      - .offset:         96
        .size:           8
        .value_kind:     hidden_global_offset_y
      - .offset:         104
        .size:           8
        .value_kind:     hidden_global_offset_z
      - .offset:         112
        .size:           2
        .value_kind:     hidden_grid_dims
    .group_segment_fixed_size: 0
    .kernarg_segment_align: 8
    .kernarg_segment_size: 304
    .language:       OpenCL C
    .language_version:
      - 2
      - 0
    .max_flat_workgroup_size: 1024
    .name:           _ZN12_GLOBAL__N_121softmax_warp_backwardIfffLi5ELb0ELb0ELi32EEEvPT0_PKT_S5_iiiPKb
    .private_segment_fixed_size: 0
    .sgpr_count:     14
    .sgpr_spill_count: 0
    .symbol:         _ZN12_GLOBAL__N_121softmax_warp_backwardIfffLi5ELb0ELb0ELi32EEEvPT0_PKT_S5_iiiPKb.kd
    .uniform_work_group_size: 1
    .uses_dynamic_stack: false
    .vgpr_count:     13
    .vgpr_spill_count: 0
    .wavefront_size: 32
    .workgroup_processor_mode: 1
  - .args:
      - .address_space:  global
        .offset:         0
        .size:           8
        .value_kind:     global_buffer
      - .address_space:  global
        .offset:         8
        .size:           8
        .value_kind:     global_buffer
      - .address_space:  global
        .offset:         16
        .size:           8
        .value_kind:     global_buffer
      - .offset:         24
        .size:           4
        .value_kind:     by_value
      - .offset:         28
        .size:           4
        .value_kind:     by_value
      - .offset:         32
        .size:           4
        .value_kind:     by_value
      - .address_space:  global
        .offset:         40
        .size:           8
        .value_kind:     global_buffer
      - .offset:         48
        .size:           4
        .value_kind:     hidden_block_count_x
      - .offset:         52
        .size:           4
        .value_kind:     hidden_block_count_y
      - .offset:         56
        .size:           4
        .value_kind:     hidden_block_count_z
      - .offset:         60
        .size:           2
        .value_kind:     hidden_group_size_x
      - .offset:         62
        .size:           2
        .value_kind:     hidden_group_size_y
      - .offset:         64
        .size:           2
        .value_kind:     hidden_group_size_z
      - .offset:         66
        .size:           2
        .value_kind:     hidden_remainder_x
      - .offset:         68
        .size:           2
        .value_kind:     hidden_remainder_y
      - .offset:         70
        .size:           2
        .value_kind:     hidden_remainder_z
      - .offset:         88
        .size:           8
        .value_kind:     hidden_global_offset_x
      - .offset:         96
        .size:           8
        .value_kind:     hidden_global_offset_y
      - .offset:         104
        .size:           8
        .value_kind:     hidden_global_offset_z
      - .offset:         112
        .size:           2
        .value_kind:     hidden_grid_dims
    .group_segment_fixed_size: 0
    .kernarg_segment_align: 8
    .kernarg_segment_size: 304
    .language:       OpenCL C
    .language_version:
      - 2
      - 0
    .max_flat_workgroup_size: 1024
    .name:           _ZN12_GLOBAL__N_121softmax_warp_backwardIfffLi6ELb0ELb0ELi64EEEvPT0_PKT_S5_iiiPKb
    .private_segment_fixed_size: 0
    .sgpr_count:     14
    .sgpr_spill_count: 0
    .symbol:         _ZN12_GLOBAL__N_121softmax_warp_backwardIfffLi6ELb0ELb0ELi64EEEvPT0_PKT_S5_iiiPKb.kd
    .uniform_work_group_size: 1
    .uses_dynamic_stack: false
    .vgpr_count:     13
    .vgpr_spill_count: 0
    .wavefront_size: 32
    .workgroup_processor_mode: 1
  - .args:
      - .address_space:  global
        .offset:         0
        .size:           8
        .value_kind:     global_buffer
      - .address_space:  global
        .offset:         8
        .size:           8
        .value_kind:     global_buffer
      - .address_space:  global
        .offset:         16
        .size:           8
        .value_kind:     global_buffer
      - .offset:         24
        .size:           4
        .value_kind:     by_value
      - .offset:         28
        .size:           4
        .value_kind:     by_value
      - .offset:         32
        .size:           4
        .value_kind:     by_value
      - .address_space:  global
        .offset:         40
        .size:           8
        .value_kind:     global_buffer
      - .offset:         48
        .size:           4
        .value_kind:     hidden_block_count_x
      - .offset:         52
        .size:           4
        .value_kind:     hidden_block_count_y
      - .offset:         56
        .size:           4
        .value_kind:     hidden_block_count_z
      - .offset:         60
        .size:           2
        .value_kind:     hidden_group_size_x
      - .offset:         62
        .size:           2
        .value_kind:     hidden_group_size_y
      - .offset:         64
        .size:           2
        .value_kind:     hidden_group_size_z
      - .offset:         66
        .size:           2
        .value_kind:     hidden_remainder_x
      - .offset:         68
        .size:           2
        .value_kind:     hidden_remainder_y
      - .offset:         70
        .size:           2
        .value_kind:     hidden_remainder_z
      - .offset:         88
        .size:           8
        .value_kind:     hidden_global_offset_x
      - .offset:         96
        .size:           8
        .value_kind:     hidden_global_offset_y
      - .offset:         104
        .size:           8
        .value_kind:     hidden_global_offset_z
      - .offset:         112
        .size:           2
        .value_kind:     hidden_grid_dims
    .group_segment_fixed_size: 0
    .kernarg_segment_align: 8
    .kernarg_segment_size: 304
    .language:       OpenCL C
    .language_version:
      - 2
      - 0
    .max_flat_workgroup_size: 1024
    .name:           _ZN12_GLOBAL__N_121softmax_warp_backwardIfffLi6ELb0ELb0ELi32EEEvPT0_PKT_S5_iiiPKb
    .private_segment_fixed_size: 0
    .sgpr_count:     18
    .sgpr_spill_count: 0
    .symbol:         _ZN12_GLOBAL__N_121softmax_warp_backwardIfffLi6ELb0ELb0ELi32EEEvPT0_PKT_S5_iiiPKb.kd
    .uniform_work_group_size: 1
    .uses_dynamic_stack: false
    .vgpr_count:     17
    .vgpr_spill_count: 0
    .wavefront_size: 32
    .workgroup_processor_mode: 1
  - .args:
      - .address_space:  global
        .offset:         0
        .size:           8
        .value_kind:     global_buffer
      - .address_space:  global
        .offset:         8
        .size:           8
        .value_kind:     global_buffer
      - .address_space:  global
        .offset:         16
        .size:           8
        .value_kind:     global_buffer
      - .offset:         24
        .size:           4
        .value_kind:     by_value
      - .offset:         28
        .size:           4
        .value_kind:     by_value
      - .offset:         32
        .size:           4
        .value_kind:     by_value
      - .address_space:  global
        .offset:         40
        .size:           8
        .value_kind:     global_buffer
      - .offset:         48
        .size:           4
        .value_kind:     hidden_block_count_x
      - .offset:         52
        .size:           4
        .value_kind:     hidden_block_count_y
      - .offset:         56
        .size:           4
        .value_kind:     hidden_block_count_z
      - .offset:         60
        .size:           2
        .value_kind:     hidden_group_size_x
      - .offset:         62
        .size:           2
        .value_kind:     hidden_group_size_y
      - .offset:         64
        .size:           2
        .value_kind:     hidden_group_size_z
      - .offset:         66
        .size:           2
        .value_kind:     hidden_remainder_x
      - .offset:         68
        .size:           2
        .value_kind:     hidden_remainder_y
      - .offset:         70
        .size:           2
        .value_kind:     hidden_remainder_z
      - .offset:         88
        .size:           8
        .value_kind:     hidden_global_offset_x
      - .offset:         96
        .size:           8
        .value_kind:     hidden_global_offset_y
      - .offset:         104
        .size:           8
        .value_kind:     hidden_global_offset_z
      - .offset:         112
        .size:           2
        .value_kind:     hidden_grid_dims
    .group_segment_fixed_size: 0
    .kernarg_segment_align: 8
    .kernarg_segment_size: 304
    .language:       OpenCL C
    .language_version:
      - 2
      - 0
    .max_flat_workgroup_size: 1024
    .name:           _ZN12_GLOBAL__N_121softmax_warp_backwardIfffLi7ELb0ELb0ELi64EEEvPT0_PKT_S5_iiiPKb
    .private_segment_fixed_size: 0
    .sgpr_count:     18
    .sgpr_spill_count: 0
    .symbol:         _ZN12_GLOBAL__N_121softmax_warp_backwardIfffLi7ELb0ELb0ELi64EEEvPT0_PKT_S5_iiiPKb.kd
    .uniform_work_group_size: 1
    .uses_dynamic_stack: false
    .vgpr_count:     17
    .vgpr_spill_count: 0
    .wavefront_size: 32
    .workgroup_processor_mode: 1
  - .args:
      - .address_space:  global
        .offset:         0
        .size:           8
        .value_kind:     global_buffer
      - .address_space:  global
        .offset:         8
        .size:           8
        .value_kind:     global_buffer
      - .address_space:  global
        .offset:         16
        .size:           8
        .value_kind:     global_buffer
      - .offset:         24
        .size:           4
        .value_kind:     by_value
      - .offset:         28
        .size:           4
        .value_kind:     by_value
      - .offset:         32
        .size:           4
        .value_kind:     by_value
      - .address_space:  global
        .offset:         40
        .size:           8
        .value_kind:     global_buffer
      - .offset:         48
        .size:           4
        .value_kind:     hidden_block_count_x
      - .offset:         52
        .size:           4
        .value_kind:     hidden_block_count_y
      - .offset:         56
        .size:           4
        .value_kind:     hidden_block_count_z
      - .offset:         60
        .size:           2
        .value_kind:     hidden_group_size_x
      - .offset:         62
        .size:           2
        .value_kind:     hidden_group_size_y
      - .offset:         64
        .size:           2
        .value_kind:     hidden_group_size_z
      - .offset:         66
        .size:           2
        .value_kind:     hidden_remainder_x
      - .offset:         68
        .size:           2
        .value_kind:     hidden_remainder_y
      - .offset:         70
        .size:           2
        .value_kind:     hidden_remainder_z
      - .offset:         88
        .size:           8
        .value_kind:     hidden_global_offset_x
      - .offset:         96
        .size:           8
        .value_kind:     hidden_global_offset_y
      - .offset:         104
        .size:           8
        .value_kind:     hidden_global_offset_z
      - .offset:         112
        .size:           2
        .value_kind:     hidden_grid_dims
    .group_segment_fixed_size: 0
    .kernarg_segment_align: 8
    .kernarg_segment_size: 304
    .language:       OpenCL C
    .language_version:
      - 2
      - 0
    .max_flat_workgroup_size: 1024
    .name:           _ZN12_GLOBAL__N_121softmax_warp_backwardIfffLi7ELb0ELb0ELi32EEEvPT0_PKT_S5_iiiPKb
    .private_segment_fixed_size: 0
    .sgpr_count:     18
    .sgpr_spill_count: 0
    .symbol:         _ZN12_GLOBAL__N_121softmax_warp_backwardIfffLi7ELb0ELb0ELi32EEEvPT0_PKT_S5_iiiPKb.kd
    .uniform_work_group_size: 1
    .uses_dynamic_stack: false
    .vgpr_count:     25
    .vgpr_spill_count: 0
    .wavefront_size: 32
    .workgroup_processor_mode: 1
  - .args:
      - .address_space:  global
        .offset:         0
        .size:           8
        .value_kind:     global_buffer
      - .address_space:  global
        .offset:         8
        .size:           8
        .value_kind:     global_buffer
      - .address_space:  global
        .offset:         16
        .size:           8
        .value_kind:     global_buffer
      - .offset:         24
        .size:           4
        .value_kind:     by_value
      - .offset:         28
        .size:           4
        .value_kind:     by_value
      - .offset:         32
        .size:           4
        .value_kind:     by_value
      - .address_space:  global
        .offset:         40
        .size:           8
        .value_kind:     global_buffer
      - .offset:         48
        .size:           4
        .value_kind:     hidden_block_count_x
      - .offset:         52
        .size:           4
        .value_kind:     hidden_block_count_y
      - .offset:         56
        .size:           4
        .value_kind:     hidden_block_count_z
      - .offset:         60
        .size:           2
        .value_kind:     hidden_group_size_x
      - .offset:         62
        .size:           2
        .value_kind:     hidden_group_size_y
      - .offset:         64
        .size:           2
        .value_kind:     hidden_group_size_z
      - .offset:         66
        .size:           2
        .value_kind:     hidden_remainder_x
      - .offset:         68
        .size:           2
        .value_kind:     hidden_remainder_y
      - .offset:         70
        .size:           2
        .value_kind:     hidden_remainder_z
      - .offset:         88
        .size:           8
        .value_kind:     hidden_global_offset_x
      - .offset:         96
        .size:           8
        .value_kind:     hidden_global_offset_y
      - .offset:         104
        .size:           8
        .value_kind:     hidden_global_offset_z
      - .offset:         112
        .size:           2
        .value_kind:     hidden_grid_dims
    .group_segment_fixed_size: 0
    .kernarg_segment_align: 8
    .kernarg_segment_size: 304
    .language:       OpenCL C
    .language_version:
      - 2
      - 0
    .max_flat_workgroup_size: 1024
    .name:           _ZN12_GLOBAL__N_121softmax_warp_backwardIfffLi8ELb0ELb0ELi64EEEvPT0_PKT_S5_iiiPKb
    .private_segment_fixed_size: 0
    .sgpr_count:     14
    .sgpr_spill_count: 0
    .symbol:         _ZN12_GLOBAL__N_121softmax_warp_backwardIfffLi8ELb0ELb0ELi64EEEvPT0_PKT_S5_iiiPKb.kd
    .uniform_work_group_size: 1
    .uses_dynamic_stack: false
    .vgpr_count:     15
    .vgpr_spill_count: 0
    .wavefront_size: 32
    .workgroup_processor_mode: 1
  - .args:
      - .address_space:  global
        .offset:         0
        .size:           8
        .value_kind:     global_buffer
      - .address_space:  global
        .offset:         8
        .size:           8
        .value_kind:     global_buffer
      - .address_space:  global
        .offset:         16
        .size:           8
        .value_kind:     global_buffer
      - .offset:         24
        .size:           4
        .value_kind:     by_value
      - .offset:         28
        .size:           4
        .value_kind:     by_value
      - .offset:         32
        .size:           4
        .value_kind:     by_value
      - .address_space:  global
        .offset:         40
        .size:           8
        .value_kind:     global_buffer
      - .offset:         48
        .size:           4
        .value_kind:     hidden_block_count_x
      - .offset:         52
        .size:           4
        .value_kind:     hidden_block_count_y
      - .offset:         56
        .size:           4
        .value_kind:     hidden_block_count_z
      - .offset:         60
        .size:           2
        .value_kind:     hidden_group_size_x
      - .offset:         62
        .size:           2
        .value_kind:     hidden_group_size_y
      - .offset:         64
        .size:           2
        .value_kind:     hidden_group_size_z
      - .offset:         66
        .size:           2
        .value_kind:     hidden_remainder_x
      - .offset:         68
        .size:           2
        .value_kind:     hidden_remainder_y
      - .offset:         70
        .size:           2
        .value_kind:     hidden_remainder_z
      - .offset:         88
        .size:           8
        .value_kind:     hidden_global_offset_x
      - .offset:         96
        .size:           8
        .value_kind:     hidden_global_offset_y
      - .offset:         104
        .size:           8
        .value_kind:     hidden_global_offset_z
      - .offset:         112
        .size:           2
        .value_kind:     hidden_grid_dims
    .group_segment_fixed_size: 0
    .kernarg_segment_align: 8
    .kernarg_segment_size: 304
    .language:       OpenCL C
    .language_version:
      - 2
      - 0
    .max_flat_workgroup_size: 1024
    .name:           _ZN12_GLOBAL__N_121softmax_warp_backwardIfffLi8ELb0ELb0ELi32EEEvPT0_PKT_S5_iiiPKb
    .private_segment_fixed_size: 0
    .sgpr_count:     18
    .sgpr_spill_count: 0
    .symbol:         _ZN12_GLOBAL__N_121softmax_warp_backwardIfffLi8ELb0ELb0ELi32EEEvPT0_PKT_S5_iiiPKb.kd
    .uniform_work_group_size: 1
    .uses_dynamic_stack: false
    .vgpr_count:     23
    .vgpr_spill_count: 0
    .wavefront_size: 32
    .workgroup_processor_mode: 1
  - .args:
      - .address_space:  global
        .offset:         0
        .size:           8
        .value_kind:     global_buffer
      - .address_space:  global
        .offset:         8
        .size:           8
        .value_kind:     global_buffer
      - .address_space:  global
        .offset:         16
        .size:           8
        .value_kind:     global_buffer
      - .offset:         24
        .size:           4
        .value_kind:     by_value
      - .offset:         28
        .size:           4
        .value_kind:     by_value
      - .offset:         32
        .size:           4
        .value_kind:     by_value
      - .address_space:  global
        .offset:         40
        .size:           8
        .value_kind:     global_buffer
      - .offset:         48
        .size:           4
        .value_kind:     hidden_block_count_x
      - .offset:         52
        .size:           4
        .value_kind:     hidden_block_count_y
      - .offset:         56
        .size:           4
        .value_kind:     hidden_block_count_z
      - .offset:         60
        .size:           2
        .value_kind:     hidden_group_size_x
      - .offset:         62
        .size:           2
        .value_kind:     hidden_group_size_y
      - .offset:         64
        .size:           2
        .value_kind:     hidden_group_size_z
      - .offset:         66
        .size:           2
        .value_kind:     hidden_remainder_x
      - .offset:         68
        .size:           2
        .value_kind:     hidden_remainder_y
      - .offset:         70
        .size:           2
        .value_kind:     hidden_remainder_z
      - .offset:         88
        .size:           8
        .value_kind:     hidden_global_offset_x
      - .offset:         96
        .size:           8
        .value_kind:     hidden_global_offset_y
      - .offset:         104
        .size:           8
        .value_kind:     hidden_global_offset_z
      - .offset:         112
        .size:           2
        .value_kind:     hidden_grid_dims
    .group_segment_fixed_size: 0
    .kernarg_segment_align: 8
    .kernarg_segment_size: 304
    .language:       OpenCL C
    .language_version:
      - 2
      - 0
    .max_flat_workgroup_size: 1024
    .name:           _ZN12_GLOBAL__N_121softmax_warp_backwardIfffLi9ELb0ELb0ELi64EEEvPT0_PKT_S5_iiiPKb
    .private_segment_fixed_size: 0
    .sgpr_count:     18
    .sgpr_spill_count: 0
    .symbol:         _ZN12_GLOBAL__N_121softmax_warp_backwardIfffLi9ELb0ELb0ELi64EEEvPT0_PKT_S5_iiiPKb.kd
    .uniform_work_group_size: 1
    .uses_dynamic_stack: false
    .vgpr_count:     23
    .vgpr_spill_count: 0
    .wavefront_size: 32
    .workgroup_processor_mode: 1
  - .args:
      - .address_space:  global
        .offset:         0
        .size:           8
        .value_kind:     global_buffer
      - .address_space:  global
        .offset:         8
        .size:           8
        .value_kind:     global_buffer
      - .address_space:  global
        .offset:         16
        .size:           8
        .value_kind:     global_buffer
      - .offset:         24
        .size:           4
        .value_kind:     by_value
      - .offset:         28
        .size:           4
        .value_kind:     by_value
      - .offset:         32
        .size:           4
        .value_kind:     by_value
      - .address_space:  global
        .offset:         40
        .size:           8
        .value_kind:     global_buffer
      - .offset:         48
        .size:           4
        .value_kind:     hidden_block_count_x
      - .offset:         52
        .size:           4
        .value_kind:     hidden_block_count_y
      - .offset:         56
        .size:           4
        .value_kind:     hidden_block_count_z
      - .offset:         60
        .size:           2
        .value_kind:     hidden_group_size_x
      - .offset:         62
        .size:           2
        .value_kind:     hidden_group_size_y
      - .offset:         64
        .size:           2
        .value_kind:     hidden_group_size_z
      - .offset:         66
        .size:           2
        .value_kind:     hidden_remainder_x
      - .offset:         68
        .size:           2
        .value_kind:     hidden_remainder_y
      - .offset:         70
        .size:           2
        .value_kind:     hidden_remainder_z
      - .offset:         88
        .size:           8
        .value_kind:     hidden_global_offset_x
      - .offset:         96
        .size:           8
        .value_kind:     hidden_global_offset_y
      - .offset:         104
        .size:           8
        .value_kind:     hidden_global_offset_z
      - .offset:         112
        .size:           2
        .value_kind:     hidden_grid_dims
    .group_segment_fixed_size: 0
    .kernarg_segment_align: 8
    .kernarg_segment_size: 304
    .language:       OpenCL C
    .language_version:
      - 2
      - 0
    .max_flat_workgroup_size: 1024
    .name:           _ZN12_GLOBAL__N_121softmax_warp_backwardIfffLi9ELb0ELb0ELi32EEEvPT0_PKT_S5_iiiPKb
    .private_segment_fixed_size: 0
    .sgpr_count:     26
    .sgpr_spill_count: 0
    .symbol:         _ZN12_GLOBAL__N_121softmax_warp_backwardIfffLi9ELb0ELb0ELi32EEEvPT0_PKT_S5_iiiPKb.kd
    .uniform_work_group_size: 1
    .uses_dynamic_stack: false
    .vgpr_count:     39
    .vgpr_spill_count: 0
    .wavefront_size: 32
    .workgroup_processor_mode: 1
  - .args:
      - .address_space:  global
        .offset:         0
        .size:           8
        .value_kind:     global_buffer
      - .address_space:  global
        .offset:         8
        .size:           8
        .value_kind:     global_buffer
      - .address_space:  global
        .offset:         16
        .size:           8
        .value_kind:     global_buffer
      - .offset:         24
        .size:           4
        .value_kind:     by_value
      - .offset:         28
        .size:           4
        .value_kind:     by_value
      - .offset:         32
        .size:           4
        .value_kind:     by_value
      - .address_space:  global
        .offset:         40
        .size:           8
        .value_kind:     global_buffer
      - .offset:         48
        .size:           4
        .value_kind:     hidden_block_count_x
      - .offset:         52
        .size:           4
        .value_kind:     hidden_block_count_y
      - .offset:         56
        .size:           4
        .value_kind:     hidden_block_count_z
      - .offset:         60
        .size:           2
        .value_kind:     hidden_group_size_x
      - .offset:         62
        .size:           2
        .value_kind:     hidden_group_size_y
      - .offset:         64
        .size:           2
        .value_kind:     hidden_group_size_z
      - .offset:         66
        .size:           2
        .value_kind:     hidden_remainder_x
      - .offset:         68
        .size:           2
        .value_kind:     hidden_remainder_y
      - .offset:         70
        .size:           2
        .value_kind:     hidden_remainder_z
      - .offset:         88
        .size:           8
        .value_kind:     hidden_global_offset_x
      - .offset:         96
        .size:           8
        .value_kind:     hidden_global_offset_y
      - .offset:         104
        .size:           8
        .value_kind:     hidden_global_offset_z
      - .offset:         112
        .size:           2
        .value_kind:     hidden_grid_dims
    .group_segment_fixed_size: 0
    .kernarg_segment_align: 8
    .kernarg_segment_size: 304
    .language:       OpenCL C
    .language_version:
      - 2
      - 0
    .max_flat_workgroup_size: 1024
    .name:           _ZN12_GLOBAL__N_121softmax_warp_backwardIfffLi10ELb0ELb0ELi64EEEvPT0_PKT_S5_iiiPKb
    .private_segment_fixed_size: 0
    .sgpr_count:     26
    .sgpr_spill_count: 0
    .symbol:         _ZN12_GLOBAL__N_121softmax_warp_backwardIfffLi10ELb0ELb0ELi64EEEvPT0_PKT_S5_iiiPKb.kd
    .uniform_work_group_size: 1
    .uses_dynamic_stack: false
    .vgpr_count:     42
    .vgpr_spill_count: 0
    .wavefront_size: 32
    .workgroup_processor_mode: 1
  - .args:
      - .address_space:  global
        .offset:         0
        .size:           8
        .value_kind:     global_buffer
      - .address_space:  global
        .offset:         8
        .size:           8
        .value_kind:     global_buffer
      - .address_space:  global
        .offset:         16
        .size:           8
        .value_kind:     global_buffer
      - .offset:         24
        .size:           4
        .value_kind:     by_value
      - .offset:         28
        .size:           4
        .value_kind:     by_value
      - .offset:         32
        .size:           4
        .value_kind:     by_value
      - .address_space:  global
        .offset:         40
        .size:           8
        .value_kind:     global_buffer
      - .offset:         48
        .size:           4
        .value_kind:     hidden_block_count_x
      - .offset:         52
        .size:           4
        .value_kind:     hidden_block_count_y
      - .offset:         56
        .size:           4
        .value_kind:     hidden_block_count_z
      - .offset:         60
        .size:           2
        .value_kind:     hidden_group_size_x
      - .offset:         62
        .size:           2
        .value_kind:     hidden_group_size_y
      - .offset:         64
        .size:           2
        .value_kind:     hidden_group_size_z
      - .offset:         66
        .size:           2
        .value_kind:     hidden_remainder_x
      - .offset:         68
        .size:           2
        .value_kind:     hidden_remainder_y
      - .offset:         70
        .size:           2
        .value_kind:     hidden_remainder_z
      - .offset:         88
        .size:           8
        .value_kind:     hidden_global_offset_x
      - .offset:         96
        .size:           8
        .value_kind:     hidden_global_offset_y
      - .offset:         104
        .size:           8
        .value_kind:     hidden_global_offset_z
      - .offset:         112
        .size:           2
        .value_kind:     hidden_grid_dims
    .group_segment_fixed_size: 0
    .kernarg_segment_align: 8
    .kernarg_segment_size: 304
    .language:       OpenCL C
    .language_version:
      - 2
      - 0
    .max_flat_workgroup_size: 1024
    .name:           _ZN12_GLOBAL__N_121softmax_warp_backwardIfffLi10ELb0ELb0ELi32EEEvPT0_PKT_S5_iiiPKb
    .private_segment_fixed_size: 0
    .sgpr_count:     46
    .sgpr_spill_count: 0
    .symbol:         _ZN12_GLOBAL__N_121softmax_warp_backwardIfffLi10ELb0ELb0ELi32EEEvPT0_PKT_S5_iiiPKb.kd
    .uniform_work_group_size: 1
    .uses_dynamic_stack: false
    .vgpr_count:     74
    .vgpr_spill_count: 0
    .wavefront_size: 32
    .workgroup_processor_mode: 1
  - .args:
      - .address_space:  global
        .offset:         0
        .size:           8
        .value_kind:     global_buffer
      - .address_space:  global
        .offset:         8
        .size:           8
        .value_kind:     global_buffer
      - .address_space:  global
        .offset:         16
        .size:           8
        .value_kind:     global_buffer
      - .offset:         24
        .size:           8
        .value_kind:     by_value
      - .offset:         32
        .size:           4
        .value_kind:     hidden_block_count_x
      - .offset:         36
        .size:           4
        .value_kind:     hidden_block_count_y
      - .offset:         40
        .size:           4
        .value_kind:     hidden_block_count_z
      - .offset:         44
        .size:           2
        .value_kind:     hidden_group_size_x
      - .offset:         46
        .size:           2
        .value_kind:     hidden_group_size_y
      - .offset:         48
        .size:           2
        .value_kind:     hidden_group_size_z
      - .offset:         50
        .size:           2
        .value_kind:     hidden_remainder_x
      - .offset:         52
        .size:           2
        .value_kind:     hidden_remainder_y
      - .offset:         54
        .size:           2
        .value_kind:     hidden_remainder_z
      - .offset:         72
        .size:           8
        .value_kind:     hidden_global_offset_x
      - .offset:         80
        .size:           8
        .value_kind:     hidden_global_offset_y
      - .offset:         88
        .size:           8
        .value_kind:     hidden_global_offset_z
      - .offset:         96
        .size:           2
        .value_kind:     hidden_grid_dims
      - .offset:         152
        .size:           4
        .value_kind:     hidden_dynamic_lds_size
    .group_segment_fixed_size: 0
    .kernarg_segment_align: 8
    .kernarg_segment_size: 288
    .language:       OpenCL C
    .language_version:
      - 2
      - 0
    .max_flat_workgroup_size: 1024
    .name:           _ZN2at6native12_GLOBAL__N_124cunn_SoftMaxBackwardSmemILi4EfffNS1_23SoftMaxBackwardEpilogueEEEvPT0_PKT2_S8_l
    .private_segment_fixed_size: 0
    .sgpr_count:     20
    .sgpr_spill_count: 0
    .symbol:         _ZN2at6native12_GLOBAL__N_124cunn_SoftMaxBackwardSmemILi4EfffNS1_23SoftMaxBackwardEpilogueEEEvPT0_PKT2_S8_l.kd
    .uniform_work_group_size: 1
    .uses_dynamic_stack: false
    .vgpr_count:     16
    .vgpr_spill_count: 0
    .wavefront_size: 32
    .workgroup_processor_mode: 1
  - .args:
      - .address_space:  global
        .offset:         0
        .size:           8
        .value_kind:     global_buffer
      - .address_space:  global
        .offset:         8
        .size:           8
        .value_kind:     global_buffer
      - .address_space:  global
        .offset:         16
        .size:           8
        .value_kind:     global_buffer
      - .offset:         24
        .size:           8
        .value_kind:     by_value
      - .offset:         32
        .size:           4
        .value_kind:     hidden_block_count_x
      - .offset:         36
        .size:           4
        .value_kind:     hidden_block_count_y
      - .offset:         40
        .size:           4
        .value_kind:     hidden_block_count_z
      - .offset:         44
        .size:           2
        .value_kind:     hidden_group_size_x
      - .offset:         46
        .size:           2
        .value_kind:     hidden_group_size_y
      - .offset:         48
        .size:           2
        .value_kind:     hidden_group_size_z
      - .offset:         50
        .size:           2
        .value_kind:     hidden_remainder_x
      - .offset:         52
        .size:           2
        .value_kind:     hidden_remainder_y
      - .offset:         54
        .size:           2
        .value_kind:     hidden_remainder_z
      - .offset:         72
        .size:           8
        .value_kind:     hidden_global_offset_x
      - .offset:         80
        .size:           8
        .value_kind:     hidden_global_offset_y
      - .offset:         88
        .size:           8
        .value_kind:     hidden_global_offset_z
      - .offset:         96
        .size:           2
        .value_kind:     hidden_grid_dims
      - .offset:         152
        .size:           4
        .value_kind:     hidden_dynamic_lds_size
    .group_segment_fixed_size: 0
    .kernarg_segment_align: 8
    .kernarg_segment_size: 288
    .language:       OpenCL C
    .language_version:
      - 2
      - 0
    .max_flat_workgroup_size: 1024
    .name:           _ZN2at6native12_GLOBAL__N_120cunn_SoftMaxBackwardILi4EfffNS1_23SoftMaxBackwardEpilogueEEEvPT0_PKT2_S8_l
    .private_segment_fixed_size: 0
    .sgpr_count:     60
    .sgpr_spill_count: 0
    .symbol:         _ZN2at6native12_GLOBAL__N_120cunn_SoftMaxBackwardILi4EfffNS1_23SoftMaxBackwardEpilogueEEEvPT0_PKT2_S8_l.kd
    .uniform_work_group_size: 1
    .uses_dynamic_stack: false
    .vgpr_count:     28
    .vgpr_spill_count: 0
    .wavefront_size: 32
    .workgroup_processor_mode: 1
  - .args:
      - .address_space:  global
        .offset:         0
        .size:           8
        .value_kind:     global_buffer
      - .address_space:  global
        .offset:         8
        .size:           8
        .value_kind:     global_buffer
      - .address_space:  global
        .offset:         16
        .size:           8
        .value_kind:     global_buffer
      - .offset:         24
        .size:           4
        .value_kind:     by_value
      - .offset:         28
        .size:           4
        .value_kind:     by_value
      - .offset:         32
        .size:           4
        .value_kind:     by_value
      - .address_space:  global
        .offset:         40
        .size:           8
        .value_kind:     global_buffer
      - .offset:         48
        .size:           4
        .value_kind:     hidden_block_count_x
      - .offset:         52
        .size:           4
        .value_kind:     hidden_block_count_y
      - .offset:         56
        .size:           4
        .value_kind:     hidden_block_count_z
      - .offset:         60
        .size:           2
        .value_kind:     hidden_group_size_x
      - .offset:         62
        .size:           2
        .value_kind:     hidden_group_size_y
      - .offset:         64
        .size:           2
        .value_kind:     hidden_group_size_z
      - .offset:         66
        .size:           2
        .value_kind:     hidden_remainder_x
      - .offset:         68
        .size:           2
        .value_kind:     hidden_remainder_y
      - .offset:         70
        .size:           2
        .value_kind:     hidden_remainder_z
      - .offset:         88
        .size:           8
        .value_kind:     hidden_global_offset_x
      - .offset:         96
        .size:           8
        .value_kind:     hidden_global_offset_y
      - .offset:         104
        .size:           8
        .value_kind:     hidden_global_offset_z
      - .offset:         112
        .size:           2
        .value_kind:     hidden_grid_dims
    .group_segment_fixed_size: 0
    .kernarg_segment_align: 8
    .kernarg_segment_size: 304
    .language:       OpenCL C
    .language_version:
      - 2
      - 0
    .max_flat_workgroup_size: 1024
    .name:           _ZN12_GLOBAL__N_121softmax_warp_backwardIN3c104HalfES2_fLi0ELb0ELb0ELi64EEEvPT0_PKT_S7_iiiPKb
    .private_segment_fixed_size: 0
    .sgpr_count:     14
    .sgpr_spill_count: 0
    .symbol:         _ZN12_GLOBAL__N_121softmax_warp_backwardIN3c104HalfES2_fLi0ELb0ELb0ELi64EEEvPT0_PKT_S7_iiiPKb.kd
    .uniform_work_group_size: 1
    .uses_dynamic_stack: false
    .vgpr_count:     11
    .vgpr_spill_count: 0
    .wavefront_size: 32
    .workgroup_processor_mode: 1
  - .args:
      - .address_space:  global
        .offset:         0
        .size:           8
        .value_kind:     global_buffer
      - .address_space:  global
        .offset:         8
        .size:           8
        .value_kind:     global_buffer
      - .address_space:  global
        .offset:         16
        .size:           8
        .value_kind:     global_buffer
      - .offset:         24
        .size:           4
        .value_kind:     by_value
      - .offset:         28
        .size:           4
        .value_kind:     by_value
      - .offset:         32
        .size:           4
        .value_kind:     by_value
      - .address_space:  global
        .offset:         40
        .size:           8
        .value_kind:     global_buffer
      - .offset:         48
        .size:           4
        .value_kind:     hidden_block_count_x
      - .offset:         52
        .size:           4
        .value_kind:     hidden_block_count_y
      - .offset:         56
        .size:           4
        .value_kind:     hidden_block_count_z
      - .offset:         60
        .size:           2
        .value_kind:     hidden_group_size_x
      - .offset:         62
        .size:           2
        .value_kind:     hidden_group_size_y
      - .offset:         64
        .size:           2
        .value_kind:     hidden_group_size_z
      - .offset:         66
        .size:           2
        .value_kind:     hidden_remainder_x
      - .offset:         68
        .size:           2
        .value_kind:     hidden_remainder_y
      - .offset:         70
        .size:           2
        .value_kind:     hidden_remainder_z
      - .offset:         88
        .size:           8
        .value_kind:     hidden_global_offset_x
      - .offset:         96
        .size:           8
        .value_kind:     hidden_global_offset_y
      - .offset:         104
        .size:           8
        .value_kind:     hidden_global_offset_z
      - .offset:         112
        .size:           2
        .value_kind:     hidden_grid_dims
    .group_segment_fixed_size: 0
    .kernarg_segment_align: 8
    .kernarg_segment_size: 304
    .language:       OpenCL C
    .language_version:
      - 2
      - 0
    .max_flat_workgroup_size: 1024
    .name:           _ZN12_GLOBAL__N_121softmax_warp_backwardIN3c104HalfES2_fLi0ELb0ELb0ELi32EEEvPT0_PKT_S7_iiiPKb
    .private_segment_fixed_size: 0
    .sgpr_count:     14
    .sgpr_spill_count: 0
    .symbol:         _ZN12_GLOBAL__N_121softmax_warp_backwardIN3c104HalfES2_fLi0ELb0ELb0ELi32EEEvPT0_PKT_S7_iiiPKb.kd
    .uniform_work_group_size: 1
    .uses_dynamic_stack: false
    .vgpr_count:     11
    .vgpr_spill_count: 0
    .wavefront_size: 32
    .workgroup_processor_mode: 1
  - .args:
      - .address_space:  global
        .offset:         0
        .size:           8
        .value_kind:     global_buffer
      - .address_space:  global
        .offset:         8
        .size:           8
        .value_kind:     global_buffer
      - .address_space:  global
        .offset:         16
        .size:           8
        .value_kind:     global_buffer
      - .offset:         24
        .size:           4
        .value_kind:     by_value
      - .offset:         28
        .size:           4
        .value_kind:     by_value
      - .offset:         32
        .size:           4
        .value_kind:     by_value
      - .address_space:  global
        .offset:         40
        .size:           8
        .value_kind:     global_buffer
      - .offset:         48
        .size:           4
        .value_kind:     hidden_block_count_x
      - .offset:         52
        .size:           4
        .value_kind:     hidden_block_count_y
      - .offset:         56
        .size:           4
        .value_kind:     hidden_block_count_z
      - .offset:         60
        .size:           2
        .value_kind:     hidden_group_size_x
      - .offset:         62
        .size:           2
        .value_kind:     hidden_group_size_y
      - .offset:         64
        .size:           2
        .value_kind:     hidden_group_size_z
      - .offset:         66
        .size:           2
        .value_kind:     hidden_remainder_x
      - .offset:         68
        .size:           2
        .value_kind:     hidden_remainder_y
      - .offset:         70
        .size:           2
        .value_kind:     hidden_remainder_z
      - .offset:         88
        .size:           8
        .value_kind:     hidden_global_offset_x
      - .offset:         96
        .size:           8
        .value_kind:     hidden_global_offset_y
      - .offset:         104
        .size:           8
        .value_kind:     hidden_global_offset_z
      - .offset:         112
        .size:           2
        .value_kind:     hidden_grid_dims
    .group_segment_fixed_size: 0
    .kernarg_segment_align: 8
    .kernarg_segment_size: 304
    .language:       OpenCL C
    .language_version:
      - 2
      - 0
    .max_flat_workgroup_size: 1024
    .name:           _ZN12_GLOBAL__N_121softmax_warp_backwardIN3c104HalfES2_fLi1ELb0ELb0ELi64EEEvPT0_PKT_S7_iiiPKb
    .private_segment_fixed_size: 0
    .sgpr_count:     14
    .sgpr_spill_count: 0
    .symbol:         _ZN12_GLOBAL__N_121softmax_warp_backwardIN3c104HalfES2_fLi1ELb0ELb0ELi64EEEvPT0_PKT_S7_iiiPKb.kd
    .uniform_work_group_size: 1
    .uses_dynamic_stack: false
    .vgpr_count:     11
    .vgpr_spill_count: 0
    .wavefront_size: 32
    .workgroup_processor_mode: 1
  - .args:
      - .address_space:  global
        .offset:         0
        .size:           8
        .value_kind:     global_buffer
      - .address_space:  global
        .offset:         8
        .size:           8
        .value_kind:     global_buffer
      - .address_space:  global
        .offset:         16
        .size:           8
        .value_kind:     global_buffer
      - .offset:         24
        .size:           4
        .value_kind:     by_value
      - .offset:         28
        .size:           4
        .value_kind:     by_value
      - .offset:         32
        .size:           4
        .value_kind:     by_value
      - .address_space:  global
        .offset:         40
        .size:           8
        .value_kind:     global_buffer
      - .offset:         48
        .size:           4
        .value_kind:     hidden_block_count_x
      - .offset:         52
        .size:           4
        .value_kind:     hidden_block_count_y
      - .offset:         56
        .size:           4
        .value_kind:     hidden_block_count_z
      - .offset:         60
        .size:           2
        .value_kind:     hidden_group_size_x
      - .offset:         62
        .size:           2
        .value_kind:     hidden_group_size_y
      - .offset:         64
        .size:           2
        .value_kind:     hidden_group_size_z
      - .offset:         66
        .size:           2
        .value_kind:     hidden_remainder_x
      - .offset:         68
        .size:           2
        .value_kind:     hidden_remainder_y
      - .offset:         70
        .size:           2
        .value_kind:     hidden_remainder_z
      - .offset:         88
        .size:           8
        .value_kind:     hidden_global_offset_x
      - .offset:         96
        .size:           8
        .value_kind:     hidden_global_offset_y
      - .offset:         104
        .size:           8
        .value_kind:     hidden_global_offset_z
      - .offset:         112
        .size:           2
        .value_kind:     hidden_grid_dims
    .group_segment_fixed_size: 0
    .kernarg_segment_align: 8
    .kernarg_segment_size: 304
    .language:       OpenCL C
    .language_version:
      - 2
      - 0
    .max_flat_workgroup_size: 1024
    .name:           _ZN12_GLOBAL__N_121softmax_warp_backwardIN3c104HalfES2_fLi1ELb0ELb0ELi32EEEvPT0_PKT_S7_iiiPKb
    .private_segment_fixed_size: 0
    .sgpr_count:     14
    .sgpr_spill_count: 0
    .symbol:         _ZN12_GLOBAL__N_121softmax_warp_backwardIN3c104HalfES2_fLi1ELb0ELb0ELi32EEEvPT0_PKT_S7_iiiPKb.kd
    .uniform_work_group_size: 1
    .uses_dynamic_stack: false
    .vgpr_count:     11
    .vgpr_spill_count: 0
    .wavefront_size: 32
    .workgroup_processor_mode: 1
  - .args:
      - .address_space:  global
        .offset:         0
        .size:           8
        .value_kind:     global_buffer
      - .address_space:  global
        .offset:         8
        .size:           8
        .value_kind:     global_buffer
      - .address_space:  global
        .offset:         16
        .size:           8
        .value_kind:     global_buffer
      - .offset:         24
        .size:           4
        .value_kind:     by_value
      - .offset:         28
        .size:           4
        .value_kind:     by_value
      - .offset:         32
        .size:           4
        .value_kind:     by_value
      - .address_space:  global
        .offset:         40
        .size:           8
        .value_kind:     global_buffer
      - .offset:         48
        .size:           4
        .value_kind:     hidden_block_count_x
      - .offset:         52
        .size:           4
        .value_kind:     hidden_block_count_y
      - .offset:         56
        .size:           4
        .value_kind:     hidden_block_count_z
      - .offset:         60
        .size:           2
        .value_kind:     hidden_group_size_x
      - .offset:         62
        .size:           2
        .value_kind:     hidden_group_size_y
      - .offset:         64
        .size:           2
        .value_kind:     hidden_group_size_z
      - .offset:         66
        .size:           2
        .value_kind:     hidden_remainder_x
      - .offset:         68
        .size:           2
        .value_kind:     hidden_remainder_y
      - .offset:         70
        .size:           2
        .value_kind:     hidden_remainder_z
      - .offset:         88
        .size:           8
        .value_kind:     hidden_global_offset_x
      - .offset:         96
        .size:           8
        .value_kind:     hidden_global_offset_y
      - .offset:         104
        .size:           8
        .value_kind:     hidden_global_offset_z
      - .offset:         112
        .size:           2
        .value_kind:     hidden_grid_dims
    .group_segment_fixed_size: 0
    .kernarg_segment_align: 8
    .kernarg_segment_size: 304
    .language:       OpenCL C
    .language_version:
      - 2
      - 0
    .max_flat_workgroup_size: 1024
    .name:           _ZN12_GLOBAL__N_121softmax_warp_backwardIN3c104HalfES2_fLi2ELb0ELb0ELi64EEEvPT0_PKT_S7_iiiPKb
    .private_segment_fixed_size: 0
    .sgpr_count:     14
    .sgpr_spill_count: 0
    .symbol:         _ZN12_GLOBAL__N_121softmax_warp_backwardIN3c104HalfES2_fLi2ELb0ELb0ELi64EEEvPT0_PKT_S7_iiiPKb.kd
    .uniform_work_group_size: 1
    .uses_dynamic_stack: false
    .vgpr_count:     14
    .vgpr_spill_count: 0
    .wavefront_size: 32
    .workgroup_processor_mode: 1
  - .args:
      - .address_space:  global
        .offset:         0
        .size:           8
        .value_kind:     global_buffer
      - .address_space:  global
        .offset:         8
        .size:           8
        .value_kind:     global_buffer
      - .address_space:  global
        .offset:         16
        .size:           8
        .value_kind:     global_buffer
      - .offset:         24
        .size:           4
        .value_kind:     by_value
      - .offset:         28
        .size:           4
        .value_kind:     by_value
      - .offset:         32
        .size:           4
        .value_kind:     by_value
      - .address_space:  global
        .offset:         40
        .size:           8
        .value_kind:     global_buffer
      - .offset:         48
        .size:           4
        .value_kind:     hidden_block_count_x
      - .offset:         52
        .size:           4
        .value_kind:     hidden_block_count_y
      - .offset:         56
        .size:           4
        .value_kind:     hidden_block_count_z
      - .offset:         60
        .size:           2
        .value_kind:     hidden_group_size_x
      - .offset:         62
        .size:           2
        .value_kind:     hidden_group_size_y
      - .offset:         64
        .size:           2
        .value_kind:     hidden_group_size_z
      - .offset:         66
        .size:           2
        .value_kind:     hidden_remainder_x
      - .offset:         68
        .size:           2
        .value_kind:     hidden_remainder_y
      - .offset:         70
        .size:           2
        .value_kind:     hidden_remainder_z
      - .offset:         88
        .size:           8
        .value_kind:     hidden_global_offset_x
      - .offset:         96
        .size:           8
        .value_kind:     hidden_global_offset_y
      - .offset:         104
        .size:           8
        .value_kind:     hidden_global_offset_z
      - .offset:         112
        .size:           2
        .value_kind:     hidden_grid_dims
    .group_segment_fixed_size: 0
    .kernarg_segment_align: 8
    .kernarg_segment_size: 304
    .language:       OpenCL C
    .language_version:
      - 2
      - 0
    .max_flat_workgroup_size: 1024
    .name:           _ZN12_GLOBAL__N_121softmax_warp_backwardIN3c104HalfES2_fLi2ELb0ELb0ELi32EEEvPT0_PKT_S7_iiiPKb
    .private_segment_fixed_size: 0
    .sgpr_count:     14
    .sgpr_spill_count: 0
    .symbol:         _ZN12_GLOBAL__N_121softmax_warp_backwardIN3c104HalfES2_fLi2ELb0ELb0ELi32EEEvPT0_PKT_S7_iiiPKb.kd
    .uniform_work_group_size: 1
    .uses_dynamic_stack: false
    .vgpr_count:     14
    .vgpr_spill_count: 0
    .wavefront_size: 32
    .workgroup_processor_mode: 1
  - .args:
      - .address_space:  global
        .offset:         0
        .size:           8
        .value_kind:     global_buffer
      - .address_space:  global
        .offset:         8
        .size:           8
        .value_kind:     global_buffer
      - .address_space:  global
        .offset:         16
        .size:           8
        .value_kind:     global_buffer
      - .offset:         24
        .size:           4
        .value_kind:     by_value
      - .offset:         28
        .size:           4
        .value_kind:     by_value
      - .offset:         32
        .size:           4
        .value_kind:     by_value
      - .address_space:  global
        .offset:         40
        .size:           8
        .value_kind:     global_buffer
      - .offset:         48
        .size:           4
        .value_kind:     hidden_block_count_x
      - .offset:         52
        .size:           4
        .value_kind:     hidden_block_count_y
      - .offset:         56
        .size:           4
        .value_kind:     hidden_block_count_z
      - .offset:         60
        .size:           2
        .value_kind:     hidden_group_size_x
      - .offset:         62
        .size:           2
        .value_kind:     hidden_group_size_y
      - .offset:         64
        .size:           2
        .value_kind:     hidden_group_size_z
      - .offset:         66
        .size:           2
        .value_kind:     hidden_remainder_x
      - .offset:         68
        .size:           2
        .value_kind:     hidden_remainder_y
      - .offset:         70
        .size:           2
        .value_kind:     hidden_remainder_z
      - .offset:         88
        .size:           8
        .value_kind:     hidden_global_offset_x
      - .offset:         96
        .size:           8
        .value_kind:     hidden_global_offset_y
      - .offset:         104
        .size:           8
        .value_kind:     hidden_global_offset_z
      - .offset:         112
        .size:           2
        .value_kind:     hidden_grid_dims
    .group_segment_fixed_size: 0
    .kernarg_segment_align: 8
    .kernarg_segment_size: 304
    .language:       OpenCL C
    .language_version:
      - 2
      - 0
    .max_flat_workgroup_size: 1024
    .name:           _ZN12_GLOBAL__N_121softmax_warp_backwardIN3c104HalfES2_fLi3ELb0ELb0ELi64EEEvPT0_PKT_S7_iiiPKb
    .private_segment_fixed_size: 0
    .sgpr_count:     14
    .sgpr_spill_count: 0
    .symbol:         _ZN12_GLOBAL__N_121softmax_warp_backwardIN3c104HalfES2_fLi3ELb0ELb0ELi64EEEvPT0_PKT_S7_iiiPKb.kd
    .uniform_work_group_size: 1
    .uses_dynamic_stack: false
    .vgpr_count:     14
    .vgpr_spill_count: 0
    .wavefront_size: 32
    .workgroup_processor_mode: 1
  - .args:
      - .address_space:  global
        .offset:         0
        .size:           8
        .value_kind:     global_buffer
      - .address_space:  global
        .offset:         8
        .size:           8
        .value_kind:     global_buffer
      - .address_space:  global
        .offset:         16
        .size:           8
        .value_kind:     global_buffer
      - .offset:         24
        .size:           4
        .value_kind:     by_value
      - .offset:         28
        .size:           4
        .value_kind:     by_value
      - .offset:         32
        .size:           4
        .value_kind:     by_value
      - .address_space:  global
        .offset:         40
        .size:           8
        .value_kind:     global_buffer
      - .offset:         48
        .size:           4
        .value_kind:     hidden_block_count_x
      - .offset:         52
        .size:           4
        .value_kind:     hidden_block_count_y
      - .offset:         56
        .size:           4
        .value_kind:     hidden_block_count_z
      - .offset:         60
        .size:           2
        .value_kind:     hidden_group_size_x
      - .offset:         62
        .size:           2
        .value_kind:     hidden_group_size_y
      - .offset:         64
        .size:           2
        .value_kind:     hidden_group_size_z
      - .offset:         66
        .size:           2
        .value_kind:     hidden_remainder_x
      - .offset:         68
        .size:           2
        .value_kind:     hidden_remainder_y
      - .offset:         70
        .size:           2
        .value_kind:     hidden_remainder_z
      - .offset:         88
        .size:           8
        .value_kind:     hidden_global_offset_x
      - .offset:         96
        .size:           8
        .value_kind:     hidden_global_offset_y
      - .offset:         104
        .size:           8
        .value_kind:     hidden_global_offset_z
      - .offset:         112
        .size:           2
        .value_kind:     hidden_grid_dims
    .group_segment_fixed_size: 0
    .kernarg_segment_align: 8
    .kernarg_segment_size: 304
    .language:       OpenCL C
    .language_version:
      - 2
      - 0
    .max_flat_workgroup_size: 1024
    .name:           _ZN12_GLOBAL__N_121softmax_warp_backwardIN3c104HalfES2_fLi3ELb0ELb0ELi32EEEvPT0_PKT_S7_iiiPKb
    .private_segment_fixed_size: 0
    .sgpr_count:     14
    .sgpr_spill_count: 0
    .symbol:         _ZN12_GLOBAL__N_121softmax_warp_backwardIN3c104HalfES2_fLi3ELb0ELb0ELi32EEEvPT0_PKT_S7_iiiPKb.kd
    .uniform_work_group_size: 1
    .uses_dynamic_stack: false
    .vgpr_count:     14
    .vgpr_spill_count: 0
    .wavefront_size: 32
    .workgroup_processor_mode: 1
  - .args:
      - .address_space:  global
        .offset:         0
        .size:           8
        .value_kind:     global_buffer
      - .address_space:  global
        .offset:         8
        .size:           8
        .value_kind:     global_buffer
      - .address_space:  global
        .offset:         16
        .size:           8
        .value_kind:     global_buffer
      - .offset:         24
        .size:           4
        .value_kind:     by_value
      - .offset:         28
        .size:           4
        .value_kind:     by_value
      - .offset:         32
        .size:           4
        .value_kind:     by_value
      - .address_space:  global
        .offset:         40
        .size:           8
        .value_kind:     global_buffer
      - .offset:         48
        .size:           4
        .value_kind:     hidden_block_count_x
      - .offset:         52
        .size:           4
        .value_kind:     hidden_block_count_y
      - .offset:         56
        .size:           4
        .value_kind:     hidden_block_count_z
      - .offset:         60
        .size:           2
        .value_kind:     hidden_group_size_x
      - .offset:         62
        .size:           2
        .value_kind:     hidden_group_size_y
      - .offset:         64
        .size:           2
        .value_kind:     hidden_group_size_z
      - .offset:         66
        .size:           2
        .value_kind:     hidden_remainder_x
      - .offset:         68
        .size:           2
        .value_kind:     hidden_remainder_y
      - .offset:         70
        .size:           2
        .value_kind:     hidden_remainder_z
      - .offset:         88
        .size:           8
        .value_kind:     hidden_global_offset_x
      - .offset:         96
        .size:           8
        .value_kind:     hidden_global_offset_y
      - .offset:         104
        .size:           8
        .value_kind:     hidden_global_offset_z
      - .offset:         112
        .size:           2
        .value_kind:     hidden_grid_dims
    .group_segment_fixed_size: 0
    .kernarg_segment_align: 8
    .kernarg_segment_size: 304
    .language:       OpenCL C
    .language_version:
      - 2
      - 0
    .max_flat_workgroup_size: 1024
    .name:           _ZN12_GLOBAL__N_121softmax_warp_backwardIN3c104HalfES2_fLi4ELb0ELb0ELi64EEEvPT0_PKT_S7_iiiPKb
    .private_segment_fixed_size: 0
    .sgpr_count:     14
    .sgpr_spill_count: 0
    .symbol:         _ZN12_GLOBAL__N_121softmax_warp_backwardIN3c104HalfES2_fLi4ELb0ELb0ELi64EEEvPT0_PKT_S7_iiiPKb.kd
    .uniform_work_group_size: 1
    .uses_dynamic_stack: false
    .vgpr_count:     14
    .vgpr_spill_count: 0
    .wavefront_size: 32
    .workgroup_processor_mode: 1
  - .args:
      - .address_space:  global
        .offset:         0
        .size:           8
        .value_kind:     global_buffer
      - .address_space:  global
        .offset:         8
        .size:           8
        .value_kind:     global_buffer
      - .address_space:  global
        .offset:         16
        .size:           8
        .value_kind:     global_buffer
      - .offset:         24
        .size:           4
        .value_kind:     by_value
      - .offset:         28
        .size:           4
        .value_kind:     by_value
      - .offset:         32
        .size:           4
        .value_kind:     by_value
      - .address_space:  global
        .offset:         40
        .size:           8
        .value_kind:     global_buffer
      - .offset:         48
        .size:           4
        .value_kind:     hidden_block_count_x
      - .offset:         52
        .size:           4
        .value_kind:     hidden_block_count_y
      - .offset:         56
        .size:           4
        .value_kind:     hidden_block_count_z
      - .offset:         60
        .size:           2
        .value_kind:     hidden_group_size_x
      - .offset:         62
        .size:           2
        .value_kind:     hidden_group_size_y
      - .offset:         64
        .size:           2
        .value_kind:     hidden_group_size_z
      - .offset:         66
        .size:           2
        .value_kind:     hidden_remainder_x
      - .offset:         68
        .size:           2
        .value_kind:     hidden_remainder_y
      - .offset:         70
        .size:           2
        .value_kind:     hidden_remainder_z
      - .offset:         88
        .size:           8
        .value_kind:     hidden_global_offset_x
      - .offset:         96
        .size:           8
        .value_kind:     hidden_global_offset_y
      - .offset:         104
        .size:           8
        .value_kind:     hidden_global_offset_z
      - .offset:         112
        .size:           2
        .value_kind:     hidden_grid_dims
    .group_segment_fixed_size: 0
    .kernarg_segment_align: 8
    .kernarg_segment_size: 304
    .language:       OpenCL C
    .language_version:
      - 2
      - 0
    .max_flat_workgroup_size: 1024
    .name:           _ZN12_GLOBAL__N_121softmax_warp_backwardIN3c104HalfES2_fLi4ELb0ELb0ELi32EEEvPT0_PKT_S7_iiiPKb
    .private_segment_fixed_size: 0
    .sgpr_count:     14
    .sgpr_spill_count: 0
    .symbol:         _ZN12_GLOBAL__N_121softmax_warp_backwardIN3c104HalfES2_fLi4ELb0ELb0ELi32EEEvPT0_PKT_S7_iiiPKb.kd
    .uniform_work_group_size: 1
    .uses_dynamic_stack: false
    .vgpr_count:     14
    .vgpr_spill_count: 0
    .wavefront_size: 32
    .workgroup_processor_mode: 1
  - .args:
      - .address_space:  global
        .offset:         0
        .size:           8
        .value_kind:     global_buffer
      - .address_space:  global
        .offset:         8
        .size:           8
        .value_kind:     global_buffer
      - .address_space:  global
        .offset:         16
        .size:           8
        .value_kind:     global_buffer
      - .offset:         24
        .size:           4
        .value_kind:     by_value
      - .offset:         28
        .size:           4
        .value_kind:     by_value
      - .offset:         32
        .size:           4
        .value_kind:     by_value
      - .address_space:  global
        .offset:         40
        .size:           8
        .value_kind:     global_buffer
      - .offset:         48
        .size:           4
        .value_kind:     hidden_block_count_x
      - .offset:         52
        .size:           4
        .value_kind:     hidden_block_count_y
      - .offset:         56
        .size:           4
        .value_kind:     hidden_block_count_z
      - .offset:         60
        .size:           2
        .value_kind:     hidden_group_size_x
      - .offset:         62
        .size:           2
        .value_kind:     hidden_group_size_y
      - .offset:         64
        .size:           2
        .value_kind:     hidden_group_size_z
      - .offset:         66
        .size:           2
        .value_kind:     hidden_remainder_x
      - .offset:         68
        .size:           2
        .value_kind:     hidden_remainder_y
      - .offset:         70
        .size:           2
        .value_kind:     hidden_remainder_z
      - .offset:         88
        .size:           8
        .value_kind:     hidden_global_offset_x
      - .offset:         96
        .size:           8
        .value_kind:     hidden_global_offset_y
      - .offset:         104
        .size:           8
        .value_kind:     hidden_global_offset_z
      - .offset:         112
        .size:           2
        .value_kind:     hidden_grid_dims
    .group_segment_fixed_size: 0
    .kernarg_segment_align: 8
    .kernarg_segment_size: 304
    .language:       OpenCL C
    .language_version:
      - 2
      - 0
    .max_flat_workgroup_size: 1024
    .name:           _ZN12_GLOBAL__N_121softmax_warp_backwardIN3c104HalfES2_fLi5ELb0ELb0ELi64EEEvPT0_PKT_S7_iiiPKb
    .private_segment_fixed_size: 0
    .sgpr_count:     14
    .sgpr_spill_count: 0
    .symbol:         _ZN12_GLOBAL__N_121softmax_warp_backwardIN3c104HalfES2_fLi5ELb0ELb0ELi64EEEvPT0_PKT_S7_iiiPKb.kd
    .uniform_work_group_size: 1
    .uses_dynamic_stack: false
    .vgpr_count:     13
    .vgpr_spill_count: 0
    .wavefront_size: 32
    .workgroup_processor_mode: 1
  - .args:
      - .address_space:  global
        .offset:         0
        .size:           8
        .value_kind:     global_buffer
      - .address_space:  global
        .offset:         8
        .size:           8
        .value_kind:     global_buffer
      - .address_space:  global
        .offset:         16
        .size:           8
        .value_kind:     global_buffer
      - .offset:         24
        .size:           4
        .value_kind:     by_value
      - .offset:         28
        .size:           4
        .value_kind:     by_value
      - .offset:         32
        .size:           4
        .value_kind:     by_value
      - .address_space:  global
        .offset:         40
        .size:           8
        .value_kind:     global_buffer
      - .offset:         48
        .size:           4
        .value_kind:     hidden_block_count_x
      - .offset:         52
        .size:           4
        .value_kind:     hidden_block_count_y
      - .offset:         56
        .size:           4
        .value_kind:     hidden_block_count_z
      - .offset:         60
        .size:           2
        .value_kind:     hidden_group_size_x
      - .offset:         62
        .size:           2
        .value_kind:     hidden_group_size_y
      - .offset:         64
        .size:           2
        .value_kind:     hidden_group_size_z
      - .offset:         66
        .size:           2
        .value_kind:     hidden_remainder_x
      - .offset:         68
        .size:           2
        .value_kind:     hidden_remainder_y
      - .offset:         70
        .size:           2
        .value_kind:     hidden_remainder_z
      - .offset:         88
        .size:           8
        .value_kind:     hidden_global_offset_x
      - .offset:         96
        .size:           8
        .value_kind:     hidden_global_offset_y
      - .offset:         104
        .size:           8
        .value_kind:     hidden_global_offset_z
      - .offset:         112
        .size:           2
        .value_kind:     hidden_grid_dims
    .group_segment_fixed_size: 0
    .kernarg_segment_align: 8
    .kernarg_segment_size: 304
    .language:       OpenCL C
    .language_version:
      - 2
      - 0
    .max_flat_workgroup_size: 1024
    .name:           _ZN12_GLOBAL__N_121softmax_warp_backwardIN3c104HalfES2_fLi5ELb0ELb0ELi32EEEvPT0_PKT_S7_iiiPKb
    .private_segment_fixed_size: 0
    .sgpr_count:     14
    .sgpr_spill_count: 0
    .symbol:         _ZN12_GLOBAL__N_121softmax_warp_backwardIN3c104HalfES2_fLi5ELb0ELb0ELi32EEEvPT0_PKT_S7_iiiPKb.kd
    .uniform_work_group_size: 1
    .uses_dynamic_stack: false
    .vgpr_count:     13
    .vgpr_spill_count: 0
    .wavefront_size: 32
    .workgroup_processor_mode: 1
  - .args:
      - .address_space:  global
        .offset:         0
        .size:           8
        .value_kind:     global_buffer
      - .address_space:  global
        .offset:         8
        .size:           8
        .value_kind:     global_buffer
      - .address_space:  global
        .offset:         16
        .size:           8
        .value_kind:     global_buffer
      - .offset:         24
        .size:           4
        .value_kind:     by_value
      - .offset:         28
        .size:           4
        .value_kind:     by_value
      - .offset:         32
        .size:           4
        .value_kind:     by_value
      - .address_space:  global
        .offset:         40
        .size:           8
        .value_kind:     global_buffer
      - .offset:         48
        .size:           4
        .value_kind:     hidden_block_count_x
      - .offset:         52
        .size:           4
        .value_kind:     hidden_block_count_y
      - .offset:         56
        .size:           4
        .value_kind:     hidden_block_count_z
      - .offset:         60
        .size:           2
        .value_kind:     hidden_group_size_x
      - .offset:         62
        .size:           2
        .value_kind:     hidden_group_size_y
      - .offset:         64
        .size:           2
        .value_kind:     hidden_group_size_z
      - .offset:         66
        .size:           2
        .value_kind:     hidden_remainder_x
      - .offset:         68
        .size:           2
        .value_kind:     hidden_remainder_y
      - .offset:         70
        .size:           2
        .value_kind:     hidden_remainder_z
      - .offset:         88
        .size:           8
        .value_kind:     hidden_global_offset_x
      - .offset:         96
        .size:           8
        .value_kind:     hidden_global_offset_y
      - .offset:         104
        .size:           8
        .value_kind:     hidden_global_offset_z
      - .offset:         112
        .size:           2
        .value_kind:     hidden_grid_dims
    .group_segment_fixed_size: 0
    .kernarg_segment_align: 8
    .kernarg_segment_size: 304
    .language:       OpenCL C
    .language_version:
      - 2
      - 0
    .max_flat_workgroup_size: 1024
    .name:           _ZN12_GLOBAL__N_121softmax_warp_backwardIN3c104HalfES2_fLi6ELb0ELb0ELi64EEEvPT0_PKT_S7_iiiPKb
    .private_segment_fixed_size: 0
    .sgpr_count:     14
    .sgpr_spill_count: 0
    .symbol:         _ZN12_GLOBAL__N_121softmax_warp_backwardIN3c104HalfES2_fLi6ELb0ELb0ELi64EEEvPT0_PKT_S7_iiiPKb.kd
    .uniform_work_group_size: 1
    .uses_dynamic_stack: false
    .vgpr_count:     13
    .vgpr_spill_count: 0
    .wavefront_size: 32
    .workgroup_processor_mode: 1
  - .args:
      - .address_space:  global
        .offset:         0
        .size:           8
        .value_kind:     global_buffer
      - .address_space:  global
        .offset:         8
        .size:           8
        .value_kind:     global_buffer
      - .address_space:  global
        .offset:         16
        .size:           8
        .value_kind:     global_buffer
      - .offset:         24
        .size:           4
        .value_kind:     by_value
      - .offset:         28
        .size:           4
        .value_kind:     by_value
      - .offset:         32
        .size:           4
        .value_kind:     by_value
      - .address_space:  global
        .offset:         40
        .size:           8
        .value_kind:     global_buffer
      - .offset:         48
        .size:           4
        .value_kind:     hidden_block_count_x
      - .offset:         52
        .size:           4
        .value_kind:     hidden_block_count_y
      - .offset:         56
        .size:           4
        .value_kind:     hidden_block_count_z
      - .offset:         60
        .size:           2
        .value_kind:     hidden_group_size_x
      - .offset:         62
        .size:           2
        .value_kind:     hidden_group_size_y
      - .offset:         64
        .size:           2
        .value_kind:     hidden_group_size_z
      - .offset:         66
        .size:           2
        .value_kind:     hidden_remainder_x
      - .offset:         68
        .size:           2
        .value_kind:     hidden_remainder_y
      - .offset:         70
        .size:           2
        .value_kind:     hidden_remainder_z
      - .offset:         88
        .size:           8
        .value_kind:     hidden_global_offset_x
      - .offset:         96
        .size:           8
        .value_kind:     hidden_global_offset_y
      - .offset:         104
        .size:           8
        .value_kind:     hidden_global_offset_z
      - .offset:         112
        .size:           2
        .value_kind:     hidden_grid_dims
    .group_segment_fixed_size: 0
    .kernarg_segment_align: 8
    .kernarg_segment_size: 304
    .language:       OpenCL C
    .language_version:
      - 2
      - 0
    .max_flat_workgroup_size: 1024
    .name:           _ZN12_GLOBAL__N_121softmax_warp_backwardIN3c104HalfES2_fLi6ELb0ELb0ELi32EEEvPT0_PKT_S7_iiiPKb
    .private_segment_fixed_size: 0
    .sgpr_count:     18
    .sgpr_spill_count: 0
    .symbol:         _ZN12_GLOBAL__N_121softmax_warp_backwardIN3c104HalfES2_fLi6ELb0ELb0ELi32EEEvPT0_PKT_S7_iiiPKb.kd
    .uniform_work_group_size: 1
    .uses_dynamic_stack: false
    .vgpr_count:     17
    .vgpr_spill_count: 0
    .wavefront_size: 32
    .workgroup_processor_mode: 1
  - .args:
      - .address_space:  global
        .offset:         0
        .size:           8
        .value_kind:     global_buffer
      - .address_space:  global
        .offset:         8
        .size:           8
        .value_kind:     global_buffer
      - .address_space:  global
        .offset:         16
        .size:           8
        .value_kind:     global_buffer
      - .offset:         24
        .size:           4
        .value_kind:     by_value
      - .offset:         28
        .size:           4
        .value_kind:     by_value
      - .offset:         32
        .size:           4
        .value_kind:     by_value
      - .address_space:  global
        .offset:         40
        .size:           8
        .value_kind:     global_buffer
      - .offset:         48
        .size:           4
        .value_kind:     hidden_block_count_x
      - .offset:         52
        .size:           4
        .value_kind:     hidden_block_count_y
      - .offset:         56
        .size:           4
        .value_kind:     hidden_block_count_z
      - .offset:         60
        .size:           2
        .value_kind:     hidden_group_size_x
      - .offset:         62
        .size:           2
        .value_kind:     hidden_group_size_y
      - .offset:         64
        .size:           2
        .value_kind:     hidden_group_size_z
      - .offset:         66
        .size:           2
        .value_kind:     hidden_remainder_x
      - .offset:         68
        .size:           2
        .value_kind:     hidden_remainder_y
      - .offset:         70
        .size:           2
        .value_kind:     hidden_remainder_z
      - .offset:         88
        .size:           8
        .value_kind:     hidden_global_offset_x
      - .offset:         96
        .size:           8
        .value_kind:     hidden_global_offset_y
      - .offset:         104
        .size:           8
        .value_kind:     hidden_global_offset_z
      - .offset:         112
        .size:           2
        .value_kind:     hidden_grid_dims
    .group_segment_fixed_size: 0
    .kernarg_segment_align: 8
    .kernarg_segment_size: 304
    .language:       OpenCL C
    .language_version:
      - 2
      - 0
    .max_flat_workgroup_size: 1024
    .name:           _ZN12_GLOBAL__N_121softmax_warp_backwardIN3c104HalfES2_fLi7ELb0ELb0ELi64EEEvPT0_PKT_S7_iiiPKb
    .private_segment_fixed_size: 0
    .sgpr_count:     18
    .sgpr_spill_count: 0
    .symbol:         _ZN12_GLOBAL__N_121softmax_warp_backwardIN3c104HalfES2_fLi7ELb0ELb0ELi64EEEvPT0_PKT_S7_iiiPKb.kd
    .uniform_work_group_size: 1
    .uses_dynamic_stack: false
    .vgpr_count:     17
    .vgpr_spill_count: 0
    .wavefront_size: 32
    .workgroup_processor_mode: 1
  - .args:
      - .address_space:  global
        .offset:         0
        .size:           8
        .value_kind:     global_buffer
      - .address_space:  global
        .offset:         8
        .size:           8
        .value_kind:     global_buffer
      - .address_space:  global
        .offset:         16
        .size:           8
        .value_kind:     global_buffer
      - .offset:         24
        .size:           4
        .value_kind:     by_value
      - .offset:         28
        .size:           4
        .value_kind:     by_value
      - .offset:         32
        .size:           4
        .value_kind:     by_value
      - .address_space:  global
        .offset:         40
        .size:           8
        .value_kind:     global_buffer
      - .offset:         48
        .size:           4
        .value_kind:     hidden_block_count_x
      - .offset:         52
        .size:           4
        .value_kind:     hidden_block_count_y
      - .offset:         56
        .size:           4
        .value_kind:     hidden_block_count_z
      - .offset:         60
        .size:           2
        .value_kind:     hidden_group_size_x
      - .offset:         62
        .size:           2
        .value_kind:     hidden_group_size_y
      - .offset:         64
        .size:           2
        .value_kind:     hidden_group_size_z
      - .offset:         66
        .size:           2
        .value_kind:     hidden_remainder_x
      - .offset:         68
        .size:           2
        .value_kind:     hidden_remainder_y
      - .offset:         70
        .size:           2
        .value_kind:     hidden_remainder_z
      - .offset:         88
        .size:           8
        .value_kind:     hidden_global_offset_x
      - .offset:         96
        .size:           8
        .value_kind:     hidden_global_offset_y
      - .offset:         104
        .size:           8
        .value_kind:     hidden_global_offset_z
      - .offset:         112
        .size:           2
        .value_kind:     hidden_grid_dims
    .group_segment_fixed_size: 0
    .kernarg_segment_align: 8
    .kernarg_segment_size: 304
    .language:       OpenCL C
    .language_version:
      - 2
      - 0
    .max_flat_workgroup_size: 1024
    .name:           _ZN12_GLOBAL__N_121softmax_warp_backwardIN3c104HalfES2_fLi7ELb0ELb0ELi32EEEvPT0_PKT_S7_iiiPKb
    .private_segment_fixed_size: 0
    .sgpr_count:     18
    .sgpr_spill_count: 0
    .symbol:         _ZN12_GLOBAL__N_121softmax_warp_backwardIN3c104HalfES2_fLi7ELb0ELb0ELi32EEEvPT0_PKT_S7_iiiPKb.kd
    .uniform_work_group_size: 1
    .uses_dynamic_stack: false
    .vgpr_count:     25
    .vgpr_spill_count: 0
    .wavefront_size: 32
    .workgroup_processor_mode: 1
  - .args:
      - .address_space:  global
        .offset:         0
        .size:           8
        .value_kind:     global_buffer
      - .address_space:  global
        .offset:         8
        .size:           8
        .value_kind:     global_buffer
      - .address_space:  global
        .offset:         16
        .size:           8
        .value_kind:     global_buffer
      - .offset:         24
        .size:           4
        .value_kind:     by_value
      - .offset:         28
        .size:           4
        .value_kind:     by_value
      - .offset:         32
        .size:           4
        .value_kind:     by_value
      - .address_space:  global
        .offset:         40
        .size:           8
        .value_kind:     global_buffer
      - .offset:         48
        .size:           4
        .value_kind:     hidden_block_count_x
      - .offset:         52
        .size:           4
        .value_kind:     hidden_block_count_y
      - .offset:         56
        .size:           4
        .value_kind:     hidden_block_count_z
      - .offset:         60
        .size:           2
        .value_kind:     hidden_group_size_x
      - .offset:         62
        .size:           2
        .value_kind:     hidden_group_size_y
      - .offset:         64
        .size:           2
        .value_kind:     hidden_group_size_z
      - .offset:         66
        .size:           2
        .value_kind:     hidden_remainder_x
      - .offset:         68
        .size:           2
        .value_kind:     hidden_remainder_y
      - .offset:         70
        .size:           2
        .value_kind:     hidden_remainder_z
      - .offset:         88
        .size:           8
        .value_kind:     hidden_global_offset_x
      - .offset:         96
        .size:           8
        .value_kind:     hidden_global_offset_y
      - .offset:         104
        .size:           8
        .value_kind:     hidden_global_offset_z
      - .offset:         112
        .size:           2
        .value_kind:     hidden_grid_dims
    .group_segment_fixed_size: 0
    .kernarg_segment_align: 8
    .kernarg_segment_size: 304
    .language:       OpenCL C
    .language_version:
      - 2
      - 0
    .max_flat_workgroup_size: 1024
    .name:           _ZN12_GLOBAL__N_121softmax_warp_backwardIN3c104HalfES2_fLi8ELb0ELb0ELi64EEEvPT0_PKT_S7_iiiPKb
    .private_segment_fixed_size: 0
    .sgpr_count:     14
    .sgpr_spill_count: 0
    .symbol:         _ZN12_GLOBAL__N_121softmax_warp_backwardIN3c104HalfES2_fLi8ELb0ELb0ELi64EEEvPT0_PKT_S7_iiiPKb.kd
    .uniform_work_group_size: 1
    .uses_dynamic_stack: false
    .vgpr_count:     15
    .vgpr_spill_count: 0
    .wavefront_size: 32
    .workgroup_processor_mode: 1
  - .args:
      - .address_space:  global
        .offset:         0
        .size:           8
        .value_kind:     global_buffer
      - .address_space:  global
        .offset:         8
        .size:           8
        .value_kind:     global_buffer
      - .address_space:  global
        .offset:         16
        .size:           8
        .value_kind:     global_buffer
      - .offset:         24
        .size:           4
        .value_kind:     by_value
      - .offset:         28
        .size:           4
        .value_kind:     by_value
      - .offset:         32
        .size:           4
        .value_kind:     by_value
      - .address_space:  global
        .offset:         40
        .size:           8
        .value_kind:     global_buffer
      - .offset:         48
        .size:           4
        .value_kind:     hidden_block_count_x
      - .offset:         52
        .size:           4
        .value_kind:     hidden_block_count_y
      - .offset:         56
        .size:           4
        .value_kind:     hidden_block_count_z
      - .offset:         60
        .size:           2
        .value_kind:     hidden_group_size_x
      - .offset:         62
        .size:           2
        .value_kind:     hidden_group_size_y
      - .offset:         64
        .size:           2
        .value_kind:     hidden_group_size_z
      - .offset:         66
        .size:           2
        .value_kind:     hidden_remainder_x
      - .offset:         68
        .size:           2
        .value_kind:     hidden_remainder_y
      - .offset:         70
        .size:           2
        .value_kind:     hidden_remainder_z
      - .offset:         88
        .size:           8
        .value_kind:     hidden_global_offset_x
      - .offset:         96
        .size:           8
        .value_kind:     hidden_global_offset_y
      - .offset:         104
        .size:           8
        .value_kind:     hidden_global_offset_z
      - .offset:         112
        .size:           2
        .value_kind:     hidden_grid_dims
    .group_segment_fixed_size: 0
    .kernarg_segment_align: 8
    .kernarg_segment_size: 304
    .language:       OpenCL C
    .language_version:
      - 2
      - 0
    .max_flat_workgroup_size: 1024
    .name:           _ZN12_GLOBAL__N_121softmax_warp_backwardIN3c104HalfES2_fLi8ELb0ELb0ELi32EEEvPT0_PKT_S7_iiiPKb
    .private_segment_fixed_size: 0
    .sgpr_count:     18
    .sgpr_spill_count: 0
    .symbol:         _ZN12_GLOBAL__N_121softmax_warp_backwardIN3c104HalfES2_fLi8ELb0ELb0ELi32EEEvPT0_PKT_S7_iiiPKb.kd
    .uniform_work_group_size: 1
    .uses_dynamic_stack: false
    .vgpr_count:     23
    .vgpr_spill_count: 0
    .wavefront_size: 32
    .workgroup_processor_mode: 1
  - .args:
      - .address_space:  global
        .offset:         0
        .size:           8
        .value_kind:     global_buffer
      - .address_space:  global
        .offset:         8
        .size:           8
        .value_kind:     global_buffer
      - .address_space:  global
        .offset:         16
        .size:           8
        .value_kind:     global_buffer
      - .offset:         24
        .size:           4
        .value_kind:     by_value
      - .offset:         28
        .size:           4
        .value_kind:     by_value
      - .offset:         32
        .size:           4
        .value_kind:     by_value
      - .address_space:  global
        .offset:         40
        .size:           8
        .value_kind:     global_buffer
      - .offset:         48
        .size:           4
        .value_kind:     hidden_block_count_x
      - .offset:         52
        .size:           4
        .value_kind:     hidden_block_count_y
      - .offset:         56
        .size:           4
        .value_kind:     hidden_block_count_z
      - .offset:         60
        .size:           2
        .value_kind:     hidden_group_size_x
      - .offset:         62
        .size:           2
        .value_kind:     hidden_group_size_y
      - .offset:         64
        .size:           2
        .value_kind:     hidden_group_size_z
      - .offset:         66
        .size:           2
        .value_kind:     hidden_remainder_x
      - .offset:         68
        .size:           2
        .value_kind:     hidden_remainder_y
      - .offset:         70
        .size:           2
        .value_kind:     hidden_remainder_z
      - .offset:         88
        .size:           8
        .value_kind:     hidden_global_offset_x
      - .offset:         96
        .size:           8
        .value_kind:     hidden_global_offset_y
      - .offset:         104
        .size:           8
        .value_kind:     hidden_global_offset_z
      - .offset:         112
        .size:           2
        .value_kind:     hidden_grid_dims
    .group_segment_fixed_size: 0
    .kernarg_segment_align: 8
    .kernarg_segment_size: 304
    .language:       OpenCL C
    .language_version:
      - 2
      - 0
    .max_flat_workgroup_size: 1024
    .name:           _ZN12_GLOBAL__N_121softmax_warp_backwardIN3c104HalfES2_fLi9ELb0ELb0ELi64EEEvPT0_PKT_S7_iiiPKb
    .private_segment_fixed_size: 0
    .sgpr_count:     18
    .sgpr_spill_count: 0
    .symbol:         _ZN12_GLOBAL__N_121softmax_warp_backwardIN3c104HalfES2_fLi9ELb0ELb0ELi64EEEvPT0_PKT_S7_iiiPKb.kd
    .uniform_work_group_size: 1
    .uses_dynamic_stack: false
    .vgpr_count:     23
    .vgpr_spill_count: 0
    .wavefront_size: 32
    .workgroup_processor_mode: 1
  - .args:
      - .address_space:  global
        .offset:         0
        .size:           8
        .value_kind:     global_buffer
      - .address_space:  global
        .offset:         8
        .size:           8
        .value_kind:     global_buffer
      - .address_space:  global
        .offset:         16
        .size:           8
        .value_kind:     global_buffer
      - .offset:         24
        .size:           4
        .value_kind:     by_value
      - .offset:         28
        .size:           4
        .value_kind:     by_value
      - .offset:         32
        .size:           4
        .value_kind:     by_value
      - .address_space:  global
        .offset:         40
        .size:           8
        .value_kind:     global_buffer
      - .offset:         48
        .size:           4
        .value_kind:     hidden_block_count_x
      - .offset:         52
        .size:           4
        .value_kind:     hidden_block_count_y
      - .offset:         56
        .size:           4
        .value_kind:     hidden_block_count_z
      - .offset:         60
        .size:           2
        .value_kind:     hidden_group_size_x
      - .offset:         62
        .size:           2
        .value_kind:     hidden_group_size_y
      - .offset:         64
        .size:           2
        .value_kind:     hidden_group_size_z
      - .offset:         66
        .size:           2
        .value_kind:     hidden_remainder_x
      - .offset:         68
        .size:           2
        .value_kind:     hidden_remainder_y
      - .offset:         70
        .size:           2
        .value_kind:     hidden_remainder_z
      - .offset:         88
        .size:           8
        .value_kind:     hidden_global_offset_x
      - .offset:         96
        .size:           8
        .value_kind:     hidden_global_offset_y
      - .offset:         104
        .size:           8
        .value_kind:     hidden_global_offset_z
      - .offset:         112
        .size:           2
        .value_kind:     hidden_grid_dims
    .group_segment_fixed_size: 0
    .kernarg_segment_align: 8
    .kernarg_segment_size: 304
    .language:       OpenCL C
    .language_version:
      - 2
      - 0
    .max_flat_workgroup_size: 1024
    .name:           _ZN12_GLOBAL__N_121softmax_warp_backwardIN3c104HalfES2_fLi9ELb0ELb0ELi32EEEvPT0_PKT_S7_iiiPKb
    .private_segment_fixed_size: 0
    .sgpr_count:     26
    .sgpr_spill_count: 0
    .symbol:         _ZN12_GLOBAL__N_121softmax_warp_backwardIN3c104HalfES2_fLi9ELb0ELb0ELi32EEEvPT0_PKT_S7_iiiPKb.kd
    .uniform_work_group_size: 1
    .uses_dynamic_stack: false
    .vgpr_count:     39
    .vgpr_spill_count: 0
    .wavefront_size: 32
    .workgroup_processor_mode: 1
  - .args:
      - .address_space:  global
        .offset:         0
        .size:           8
        .value_kind:     global_buffer
      - .address_space:  global
        .offset:         8
        .size:           8
        .value_kind:     global_buffer
      - .address_space:  global
        .offset:         16
        .size:           8
        .value_kind:     global_buffer
      - .offset:         24
        .size:           4
        .value_kind:     by_value
      - .offset:         28
        .size:           4
        .value_kind:     by_value
      - .offset:         32
        .size:           4
        .value_kind:     by_value
      - .address_space:  global
        .offset:         40
        .size:           8
        .value_kind:     global_buffer
      - .offset:         48
        .size:           4
        .value_kind:     hidden_block_count_x
      - .offset:         52
        .size:           4
        .value_kind:     hidden_block_count_y
      - .offset:         56
        .size:           4
        .value_kind:     hidden_block_count_z
      - .offset:         60
        .size:           2
        .value_kind:     hidden_group_size_x
      - .offset:         62
        .size:           2
        .value_kind:     hidden_group_size_y
      - .offset:         64
        .size:           2
        .value_kind:     hidden_group_size_z
      - .offset:         66
        .size:           2
        .value_kind:     hidden_remainder_x
      - .offset:         68
        .size:           2
        .value_kind:     hidden_remainder_y
      - .offset:         70
        .size:           2
        .value_kind:     hidden_remainder_z
      - .offset:         88
        .size:           8
        .value_kind:     hidden_global_offset_x
      - .offset:         96
        .size:           8
        .value_kind:     hidden_global_offset_y
      - .offset:         104
        .size:           8
        .value_kind:     hidden_global_offset_z
      - .offset:         112
        .size:           2
        .value_kind:     hidden_grid_dims
    .group_segment_fixed_size: 0
    .kernarg_segment_align: 8
    .kernarg_segment_size: 304
    .language:       OpenCL C
    .language_version:
      - 2
      - 0
    .max_flat_workgroup_size: 1024
    .name:           _ZN12_GLOBAL__N_121softmax_warp_backwardIN3c104HalfES2_fLi10ELb0ELb0ELi64EEEvPT0_PKT_S7_iiiPKb
    .private_segment_fixed_size: 0
    .sgpr_count:     26
    .sgpr_spill_count: 0
    .symbol:         _ZN12_GLOBAL__N_121softmax_warp_backwardIN3c104HalfES2_fLi10ELb0ELb0ELi64EEEvPT0_PKT_S7_iiiPKb.kd
    .uniform_work_group_size: 1
    .uses_dynamic_stack: false
    .vgpr_count:     40
    .vgpr_spill_count: 0
    .wavefront_size: 32
    .workgroup_processor_mode: 1
  - .args:
      - .address_space:  global
        .offset:         0
        .size:           8
        .value_kind:     global_buffer
      - .address_space:  global
        .offset:         8
        .size:           8
        .value_kind:     global_buffer
      - .address_space:  global
        .offset:         16
        .size:           8
        .value_kind:     global_buffer
      - .offset:         24
        .size:           4
        .value_kind:     by_value
      - .offset:         28
        .size:           4
        .value_kind:     by_value
      - .offset:         32
        .size:           4
        .value_kind:     by_value
      - .address_space:  global
        .offset:         40
        .size:           8
        .value_kind:     global_buffer
      - .offset:         48
        .size:           4
        .value_kind:     hidden_block_count_x
      - .offset:         52
        .size:           4
        .value_kind:     hidden_block_count_y
      - .offset:         56
        .size:           4
        .value_kind:     hidden_block_count_z
      - .offset:         60
        .size:           2
        .value_kind:     hidden_group_size_x
      - .offset:         62
        .size:           2
        .value_kind:     hidden_group_size_y
      - .offset:         64
        .size:           2
        .value_kind:     hidden_group_size_z
      - .offset:         66
        .size:           2
        .value_kind:     hidden_remainder_x
      - .offset:         68
        .size:           2
        .value_kind:     hidden_remainder_y
      - .offset:         70
        .size:           2
        .value_kind:     hidden_remainder_z
      - .offset:         88
        .size:           8
        .value_kind:     hidden_global_offset_x
      - .offset:         96
        .size:           8
        .value_kind:     hidden_global_offset_y
      - .offset:         104
        .size:           8
        .value_kind:     hidden_global_offset_z
      - .offset:         112
        .size:           2
        .value_kind:     hidden_grid_dims
    .group_segment_fixed_size: 0
    .kernarg_segment_align: 8
    .kernarg_segment_size: 304
    .language:       OpenCL C
    .language_version:
      - 2
      - 0
    .max_flat_workgroup_size: 1024
    .name:           _ZN12_GLOBAL__N_121softmax_warp_backwardIN3c104HalfES2_fLi10ELb0ELb0ELi32EEEvPT0_PKT_S7_iiiPKb
    .private_segment_fixed_size: 0
    .sgpr_count:     46
    .sgpr_spill_count: 0
    .symbol:         _ZN12_GLOBAL__N_121softmax_warp_backwardIN3c104HalfES2_fLi10ELb0ELb0ELi32EEEvPT0_PKT_S7_iiiPKb.kd
    .uniform_work_group_size: 1
    .uses_dynamic_stack: false
    .vgpr_count:     72
    .vgpr_spill_count: 0
    .wavefront_size: 32
    .workgroup_processor_mode: 1
  - .args:
      - .address_space:  global
        .offset:         0
        .size:           8
        .value_kind:     global_buffer
      - .address_space:  global
        .offset:         8
        .size:           8
        .value_kind:     global_buffer
      - .address_space:  global
        .offset:         16
        .size:           8
        .value_kind:     global_buffer
      - .offset:         24
        .size:           8
        .value_kind:     by_value
      - .offset:         32
        .size:           4
        .value_kind:     hidden_block_count_x
      - .offset:         36
        .size:           4
        .value_kind:     hidden_block_count_y
      - .offset:         40
        .size:           4
        .value_kind:     hidden_block_count_z
      - .offset:         44
        .size:           2
        .value_kind:     hidden_group_size_x
      - .offset:         46
        .size:           2
        .value_kind:     hidden_group_size_y
      - .offset:         48
        .size:           2
        .value_kind:     hidden_group_size_z
      - .offset:         50
        .size:           2
        .value_kind:     hidden_remainder_x
      - .offset:         52
        .size:           2
        .value_kind:     hidden_remainder_y
      - .offset:         54
        .size:           2
        .value_kind:     hidden_remainder_z
      - .offset:         72
        .size:           8
        .value_kind:     hidden_global_offset_x
      - .offset:         80
        .size:           8
        .value_kind:     hidden_global_offset_y
      - .offset:         88
        .size:           8
        .value_kind:     hidden_global_offset_z
      - .offset:         96
        .size:           2
        .value_kind:     hidden_grid_dims
      - .offset:         152
        .size:           4
        .value_kind:     hidden_dynamic_lds_size
    .group_segment_fixed_size: 0
    .kernarg_segment_align: 8
    .kernarg_segment_size: 288
    .language:       OpenCL C
    .language_version:
      - 2
      - 0
    .max_flat_workgroup_size: 1024
    .name:           _ZN2at6native12_GLOBAL__N_124cunn_SoftMaxBackwardSmemILi8EN3c104HalfEfS4_NS1_23SoftMaxBackwardEpilogueEEEvPT0_PKT2_SA_l
    .private_segment_fixed_size: 0
    .sgpr_count:     20
    .sgpr_spill_count: 0
    .symbol:         _ZN2at6native12_GLOBAL__N_124cunn_SoftMaxBackwardSmemILi8EN3c104HalfEfS4_NS1_23SoftMaxBackwardEpilogueEEEvPT0_PKT2_SA_l.kd
    .uniform_work_group_size: 1
    .uses_dynamic_stack: false
    .vgpr_count:     21
    .vgpr_spill_count: 0
    .wavefront_size: 32
    .workgroup_processor_mode: 1
  - .args:
      - .address_space:  global
        .offset:         0
        .size:           8
        .value_kind:     global_buffer
      - .address_space:  global
        .offset:         8
        .size:           8
        .value_kind:     global_buffer
      - .address_space:  global
        .offset:         16
        .size:           8
        .value_kind:     global_buffer
      - .offset:         24
        .size:           8
        .value_kind:     by_value
      - .offset:         32
        .size:           4
        .value_kind:     hidden_block_count_x
      - .offset:         36
        .size:           4
        .value_kind:     hidden_block_count_y
      - .offset:         40
        .size:           4
        .value_kind:     hidden_block_count_z
      - .offset:         44
        .size:           2
        .value_kind:     hidden_group_size_x
      - .offset:         46
        .size:           2
        .value_kind:     hidden_group_size_y
      - .offset:         48
        .size:           2
        .value_kind:     hidden_group_size_z
      - .offset:         50
        .size:           2
        .value_kind:     hidden_remainder_x
      - .offset:         52
        .size:           2
        .value_kind:     hidden_remainder_y
      - .offset:         54
        .size:           2
        .value_kind:     hidden_remainder_z
      - .offset:         72
        .size:           8
        .value_kind:     hidden_global_offset_x
      - .offset:         80
        .size:           8
        .value_kind:     hidden_global_offset_y
      - .offset:         88
        .size:           8
        .value_kind:     hidden_global_offset_z
      - .offset:         96
        .size:           2
        .value_kind:     hidden_grid_dims
      - .offset:         152
        .size:           4
        .value_kind:     hidden_dynamic_lds_size
    .group_segment_fixed_size: 0
    .kernarg_segment_align: 8
    .kernarg_segment_size: 288
    .language:       OpenCL C
    .language_version:
      - 2
      - 0
    .max_flat_workgroup_size: 1024
    .name:           _ZN2at6native12_GLOBAL__N_120cunn_SoftMaxBackwardILi8EN3c104HalfEfS4_NS1_23SoftMaxBackwardEpilogueEEEvPT0_PKT2_SA_l
    .private_segment_fixed_size: 0
    .sgpr_count:     41
    .sgpr_spill_count: 0
    .symbol:         _ZN2at6native12_GLOBAL__N_120cunn_SoftMaxBackwardILi8EN3c104HalfEfS4_NS1_23SoftMaxBackwardEpilogueEEEvPT0_PKT2_SA_l.kd
    .uniform_work_group_size: 1
    .uses_dynamic_stack: false
    .vgpr_count:     52
    .vgpr_spill_count: 0
    .wavefront_size: 32
    .workgroup_processor_mode: 1
  - .args:
      - .address_space:  global
        .offset:         0
        .size:           8
        .value_kind:     global_buffer
      - .address_space:  global
        .offset:         8
        .size:           8
        .value_kind:     global_buffer
      - .address_space:  global
        .offset:         16
        .size:           8
        .value_kind:     global_buffer
      - .offset:         24
        .size:           4
        .value_kind:     by_value
      - .offset:         28
        .size:           4
        .value_kind:     by_value
      - .offset:         32
        .size:           4
        .value_kind:     by_value
      - .address_space:  global
        .offset:         40
        .size:           8
        .value_kind:     global_buffer
      - .offset:         48
        .size:           4
        .value_kind:     hidden_block_count_x
      - .offset:         52
        .size:           4
        .value_kind:     hidden_block_count_y
      - .offset:         56
        .size:           4
        .value_kind:     hidden_block_count_z
      - .offset:         60
        .size:           2
        .value_kind:     hidden_group_size_x
      - .offset:         62
        .size:           2
        .value_kind:     hidden_group_size_y
      - .offset:         64
        .size:           2
        .value_kind:     hidden_group_size_z
      - .offset:         66
        .size:           2
        .value_kind:     hidden_remainder_x
      - .offset:         68
        .size:           2
        .value_kind:     hidden_remainder_y
      - .offset:         70
        .size:           2
        .value_kind:     hidden_remainder_z
      - .offset:         88
        .size:           8
        .value_kind:     hidden_global_offset_x
      - .offset:         96
        .size:           8
        .value_kind:     hidden_global_offset_y
      - .offset:         104
        .size:           8
        .value_kind:     hidden_global_offset_z
      - .offset:         112
        .size:           2
        .value_kind:     hidden_grid_dims
    .group_segment_fixed_size: 0
    .kernarg_segment_align: 8
    .kernarg_segment_size: 304
    .language:       OpenCL C
    .language_version:
      - 2
      - 0
    .max_flat_workgroup_size: 1024
    .name:           _ZN12_GLOBAL__N_121softmax_warp_backwardIfN3c104HalfEfLi0ELb0ELb0ELi64EEEvPT0_PKT_S7_iiiPKb
    .private_segment_fixed_size: 0
    .sgpr_count:     14
    .sgpr_spill_count: 0
    .symbol:         _ZN12_GLOBAL__N_121softmax_warp_backwardIfN3c104HalfEfLi0ELb0ELb0ELi64EEEvPT0_PKT_S7_iiiPKb.kd
    .uniform_work_group_size: 1
    .uses_dynamic_stack: false
    .vgpr_count:     11
    .vgpr_spill_count: 0
    .wavefront_size: 32
    .workgroup_processor_mode: 1
  - .args:
      - .address_space:  global
        .offset:         0
        .size:           8
        .value_kind:     global_buffer
      - .address_space:  global
        .offset:         8
        .size:           8
        .value_kind:     global_buffer
      - .address_space:  global
        .offset:         16
        .size:           8
        .value_kind:     global_buffer
      - .offset:         24
        .size:           4
        .value_kind:     by_value
      - .offset:         28
        .size:           4
        .value_kind:     by_value
      - .offset:         32
        .size:           4
        .value_kind:     by_value
      - .address_space:  global
        .offset:         40
        .size:           8
        .value_kind:     global_buffer
      - .offset:         48
        .size:           4
        .value_kind:     hidden_block_count_x
      - .offset:         52
        .size:           4
        .value_kind:     hidden_block_count_y
      - .offset:         56
        .size:           4
        .value_kind:     hidden_block_count_z
      - .offset:         60
        .size:           2
        .value_kind:     hidden_group_size_x
      - .offset:         62
        .size:           2
        .value_kind:     hidden_group_size_y
      - .offset:         64
        .size:           2
        .value_kind:     hidden_group_size_z
      - .offset:         66
        .size:           2
        .value_kind:     hidden_remainder_x
      - .offset:         68
        .size:           2
        .value_kind:     hidden_remainder_y
      - .offset:         70
        .size:           2
        .value_kind:     hidden_remainder_z
      - .offset:         88
        .size:           8
        .value_kind:     hidden_global_offset_x
      - .offset:         96
        .size:           8
        .value_kind:     hidden_global_offset_y
      - .offset:         104
        .size:           8
        .value_kind:     hidden_global_offset_z
      - .offset:         112
        .size:           2
        .value_kind:     hidden_grid_dims
    .group_segment_fixed_size: 0
    .kernarg_segment_align: 8
    .kernarg_segment_size: 304
    .language:       OpenCL C
    .language_version:
      - 2
      - 0
    .max_flat_workgroup_size: 1024
    .name:           _ZN12_GLOBAL__N_121softmax_warp_backwardIfN3c104HalfEfLi0ELb0ELb0ELi32EEEvPT0_PKT_S7_iiiPKb
    .private_segment_fixed_size: 0
    .sgpr_count:     14
    .sgpr_spill_count: 0
    .symbol:         _ZN12_GLOBAL__N_121softmax_warp_backwardIfN3c104HalfEfLi0ELb0ELb0ELi32EEEvPT0_PKT_S7_iiiPKb.kd
    .uniform_work_group_size: 1
    .uses_dynamic_stack: false
    .vgpr_count:     11
    .vgpr_spill_count: 0
    .wavefront_size: 32
    .workgroup_processor_mode: 1
  - .args:
      - .address_space:  global
        .offset:         0
        .size:           8
        .value_kind:     global_buffer
      - .address_space:  global
        .offset:         8
        .size:           8
        .value_kind:     global_buffer
      - .address_space:  global
        .offset:         16
        .size:           8
        .value_kind:     global_buffer
      - .offset:         24
        .size:           4
        .value_kind:     by_value
      - .offset:         28
        .size:           4
        .value_kind:     by_value
      - .offset:         32
        .size:           4
        .value_kind:     by_value
      - .address_space:  global
        .offset:         40
        .size:           8
        .value_kind:     global_buffer
      - .offset:         48
        .size:           4
        .value_kind:     hidden_block_count_x
      - .offset:         52
        .size:           4
        .value_kind:     hidden_block_count_y
      - .offset:         56
        .size:           4
        .value_kind:     hidden_block_count_z
      - .offset:         60
        .size:           2
        .value_kind:     hidden_group_size_x
      - .offset:         62
        .size:           2
        .value_kind:     hidden_group_size_y
      - .offset:         64
        .size:           2
        .value_kind:     hidden_group_size_z
      - .offset:         66
        .size:           2
        .value_kind:     hidden_remainder_x
      - .offset:         68
        .size:           2
        .value_kind:     hidden_remainder_y
      - .offset:         70
        .size:           2
        .value_kind:     hidden_remainder_z
      - .offset:         88
        .size:           8
        .value_kind:     hidden_global_offset_x
      - .offset:         96
        .size:           8
        .value_kind:     hidden_global_offset_y
      - .offset:         104
        .size:           8
        .value_kind:     hidden_global_offset_z
      - .offset:         112
        .size:           2
        .value_kind:     hidden_grid_dims
    .group_segment_fixed_size: 0
    .kernarg_segment_align: 8
    .kernarg_segment_size: 304
    .language:       OpenCL C
    .language_version:
      - 2
      - 0
    .max_flat_workgroup_size: 1024
    .name:           _ZN12_GLOBAL__N_121softmax_warp_backwardIfN3c104HalfEfLi1ELb0ELb0ELi64EEEvPT0_PKT_S7_iiiPKb
    .private_segment_fixed_size: 0
    .sgpr_count:     14
    .sgpr_spill_count: 0
    .symbol:         _ZN12_GLOBAL__N_121softmax_warp_backwardIfN3c104HalfEfLi1ELb0ELb0ELi64EEEvPT0_PKT_S7_iiiPKb.kd
    .uniform_work_group_size: 1
    .uses_dynamic_stack: false
    .vgpr_count:     11
    .vgpr_spill_count: 0
    .wavefront_size: 32
    .workgroup_processor_mode: 1
  - .args:
      - .address_space:  global
        .offset:         0
        .size:           8
        .value_kind:     global_buffer
      - .address_space:  global
        .offset:         8
        .size:           8
        .value_kind:     global_buffer
      - .address_space:  global
        .offset:         16
        .size:           8
        .value_kind:     global_buffer
      - .offset:         24
        .size:           4
        .value_kind:     by_value
      - .offset:         28
        .size:           4
        .value_kind:     by_value
      - .offset:         32
        .size:           4
        .value_kind:     by_value
      - .address_space:  global
        .offset:         40
        .size:           8
        .value_kind:     global_buffer
      - .offset:         48
        .size:           4
        .value_kind:     hidden_block_count_x
      - .offset:         52
        .size:           4
        .value_kind:     hidden_block_count_y
      - .offset:         56
        .size:           4
        .value_kind:     hidden_block_count_z
      - .offset:         60
        .size:           2
        .value_kind:     hidden_group_size_x
      - .offset:         62
        .size:           2
        .value_kind:     hidden_group_size_y
      - .offset:         64
        .size:           2
        .value_kind:     hidden_group_size_z
      - .offset:         66
        .size:           2
        .value_kind:     hidden_remainder_x
      - .offset:         68
        .size:           2
        .value_kind:     hidden_remainder_y
      - .offset:         70
        .size:           2
        .value_kind:     hidden_remainder_z
      - .offset:         88
        .size:           8
        .value_kind:     hidden_global_offset_x
      - .offset:         96
        .size:           8
        .value_kind:     hidden_global_offset_y
      - .offset:         104
        .size:           8
        .value_kind:     hidden_global_offset_z
      - .offset:         112
        .size:           2
        .value_kind:     hidden_grid_dims
    .group_segment_fixed_size: 0
    .kernarg_segment_align: 8
    .kernarg_segment_size: 304
    .language:       OpenCL C
    .language_version:
      - 2
      - 0
    .max_flat_workgroup_size: 1024
    .name:           _ZN12_GLOBAL__N_121softmax_warp_backwardIfN3c104HalfEfLi1ELb0ELb0ELi32EEEvPT0_PKT_S7_iiiPKb
    .private_segment_fixed_size: 0
    .sgpr_count:     14
    .sgpr_spill_count: 0
    .symbol:         _ZN12_GLOBAL__N_121softmax_warp_backwardIfN3c104HalfEfLi1ELb0ELb0ELi32EEEvPT0_PKT_S7_iiiPKb.kd
    .uniform_work_group_size: 1
    .uses_dynamic_stack: false
    .vgpr_count:     11
    .vgpr_spill_count: 0
    .wavefront_size: 32
    .workgroup_processor_mode: 1
  - .args:
      - .address_space:  global
        .offset:         0
        .size:           8
        .value_kind:     global_buffer
      - .address_space:  global
        .offset:         8
        .size:           8
        .value_kind:     global_buffer
      - .address_space:  global
        .offset:         16
        .size:           8
        .value_kind:     global_buffer
      - .offset:         24
        .size:           4
        .value_kind:     by_value
      - .offset:         28
        .size:           4
        .value_kind:     by_value
      - .offset:         32
        .size:           4
        .value_kind:     by_value
      - .address_space:  global
        .offset:         40
        .size:           8
        .value_kind:     global_buffer
      - .offset:         48
        .size:           4
        .value_kind:     hidden_block_count_x
      - .offset:         52
        .size:           4
        .value_kind:     hidden_block_count_y
      - .offset:         56
        .size:           4
        .value_kind:     hidden_block_count_z
      - .offset:         60
        .size:           2
        .value_kind:     hidden_group_size_x
      - .offset:         62
        .size:           2
        .value_kind:     hidden_group_size_y
      - .offset:         64
        .size:           2
        .value_kind:     hidden_group_size_z
      - .offset:         66
        .size:           2
        .value_kind:     hidden_remainder_x
      - .offset:         68
        .size:           2
        .value_kind:     hidden_remainder_y
      - .offset:         70
        .size:           2
        .value_kind:     hidden_remainder_z
      - .offset:         88
        .size:           8
        .value_kind:     hidden_global_offset_x
      - .offset:         96
        .size:           8
        .value_kind:     hidden_global_offset_y
      - .offset:         104
        .size:           8
        .value_kind:     hidden_global_offset_z
      - .offset:         112
        .size:           2
        .value_kind:     hidden_grid_dims
    .group_segment_fixed_size: 0
    .kernarg_segment_align: 8
    .kernarg_segment_size: 304
    .language:       OpenCL C
    .language_version:
      - 2
      - 0
    .max_flat_workgroup_size: 1024
    .name:           _ZN12_GLOBAL__N_121softmax_warp_backwardIfN3c104HalfEfLi2ELb0ELb0ELi64EEEvPT0_PKT_S7_iiiPKb
    .private_segment_fixed_size: 0
    .sgpr_count:     14
    .sgpr_spill_count: 0
    .symbol:         _ZN12_GLOBAL__N_121softmax_warp_backwardIfN3c104HalfEfLi2ELb0ELb0ELi64EEEvPT0_PKT_S7_iiiPKb.kd
    .uniform_work_group_size: 1
    .uses_dynamic_stack: false
    .vgpr_count:     14
    .vgpr_spill_count: 0
    .wavefront_size: 32
    .workgroup_processor_mode: 1
  - .args:
      - .address_space:  global
        .offset:         0
        .size:           8
        .value_kind:     global_buffer
      - .address_space:  global
        .offset:         8
        .size:           8
        .value_kind:     global_buffer
      - .address_space:  global
        .offset:         16
        .size:           8
        .value_kind:     global_buffer
      - .offset:         24
        .size:           4
        .value_kind:     by_value
      - .offset:         28
        .size:           4
        .value_kind:     by_value
      - .offset:         32
        .size:           4
        .value_kind:     by_value
      - .address_space:  global
        .offset:         40
        .size:           8
        .value_kind:     global_buffer
      - .offset:         48
        .size:           4
        .value_kind:     hidden_block_count_x
      - .offset:         52
        .size:           4
        .value_kind:     hidden_block_count_y
      - .offset:         56
        .size:           4
        .value_kind:     hidden_block_count_z
      - .offset:         60
        .size:           2
        .value_kind:     hidden_group_size_x
      - .offset:         62
        .size:           2
        .value_kind:     hidden_group_size_y
      - .offset:         64
        .size:           2
        .value_kind:     hidden_group_size_z
      - .offset:         66
        .size:           2
        .value_kind:     hidden_remainder_x
      - .offset:         68
        .size:           2
        .value_kind:     hidden_remainder_y
      - .offset:         70
        .size:           2
        .value_kind:     hidden_remainder_z
      - .offset:         88
        .size:           8
        .value_kind:     hidden_global_offset_x
      - .offset:         96
        .size:           8
        .value_kind:     hidden_global_offset_y
      - .offset:         104
        .size:           8
        .value_kind:     hidden_global_offset_z
      - .offset:         112
        .size:           2
        .value_kind:     hidden_grid_dims
    .group_segment_fixed_size: 0
    .kernarg_segment_align: 8
    .kernarg_segment_size: 304
    .language:       OpenCL C
    .language_version:
      - 2
      - 0
    .max_flat_workgroup_size: 1024
    .name:           _ZN12_GLOBAL__N_121softmax_warp_backwardIfN3c104HalfEfLi2ELb0ELb0ELi32EEEvPT0_PKT_S7_iiiPKb
    .private_segment_fixed_size: 0
    .sgpr_count:     14
    .sgpr_spill_count: 0
    .symbol:         _ZN12_GLOBAL__N_121softmax_warp_backwardIfN3c104HalfEfLi2ELb0ELb0ELi32EEEvPT0_PKT_S7_iiiPKb.kd
    .uniform_work_group_size: 1
    .uses_dynamic_stack: false
    .vgpr_count:     14
    .vgpr_spill_count: 0
    .wavefront_size: 32
    .workgroup_processor_mode: 1
  - .args:
      - .address_space:  global
        .offset:         0
        .size:           8
        .value_kind:     global_buffer
      - .address_space:  global
        .offset:         8
        .size:           8
        .value_kind:     global_buffer
      - .address_space:  global
        .offset:         16
        .size:           8
        .value_kind:     global_buffer
      - .offset:         24
        .size:           4
        .value_kind:     by_value
      - .offset:         28
        .size:           4
        .value_kind:     by_value
      - .offset:         32
        .size:           4
        .value_kind:     by_value
      - .address_space:  global
        .offset:         40
        .size:           8
        .value_kind:     global_buffer
      - .offset:         48
        .size:           4
        .value_kind:     hidden_block_count_x
      - .offset:         52
        .size:           4
        .value_kind:     hidden_block_count_y
      - .offset:         56
        .size:           4
        .value_kind:     hidden_block_count_z
      - .offset:         60
        .size:           2
        .value_kind:     hidden_group_size_x
      - .offset:         62
        .size:           2
        .value_kind:     hidden_group_size_y
      - .offset:         64
        .size:           2
        .value_kind:     hidden_group_size_z
      - .offset:         66
        .size:           2
        .value_kind:     hidden_remainder_x
      - .offset:         68
        .size:           2
        .value_kind:     hidden_remainder_y
      - .offset:         70
        .size:           2
        .value_kind:     hidden_remainder_z
      - .offset:         88
        .size:           8
        .value_kind:     hidden_global_offset_x
      - .offset:         96
        .size:           8
        .value_kind:     hidden_global_offset_y
      - .offset:         104
        .size:           8
        .value_kind:     hidden_global_offset_z
      - .offset:         112
        .size:           2
        .value_kind:     hidden_grid_dims
    .group_segment_fixed_size: 0
    .kernarg_segment_align: 8
    .kernarg_segment_size: 304
    .language:       OpenCL C
    .language_version:
      - 2
      - 0
    .max_flat_workgroup_size: 1024
    .name:           _ZN12_GLOBAL__N_121softmax_warp_backwardIfN3c104HalfEfLi3ELb0ELb0ELi64EEEvPT0_PKT_S7_iiiPKb
    .private_segment_fixed_size: 0
    .sgpr_count:     14
    .sgpr_spill_count: 0
    .symbol:         _ZN12_GLOBAL__N_121softmax_warp_backwardIfN3c104HalfEfLi3ELb0ELb0ELi64EEEvPT0_PKT_S7_iiiPKb.kd
    .uniform_work_group_size: 1
    .uses_dynamic_stack: false
    .vgpr_count:     14
    .vgpr_spill_count: 0
    .wavefront_size: 32
    .workgroup_processor_mode: 1
  - .args:
      - .address_space:  global
        .offset:         0
        .size:           8
        .value_kind:     global_buffer
      - .address_space:  global
        .offset:         8
        .size:           8
        .value_kind:     global_buffer
      - .address_space:  global
        .offset:         16
        .size:           8
        .value_kind:     global_buffer
      - .offset:         24
        .size:           4
        .value_kind:     by_value
      - .offset:         28
        .size:           4
        .value_kind:     by_value
      - .offset:         32
        .size:           4
        .value_kind:     by_value
      - .address_space:  global
        .offset:         40
        .size:           8
        .value_kind:     global_buffer
      - .offset:         48
        .size:           4
        .value_kind:     hidden_block_count_x
      - .offset:         52
        .size:           4
        .value_kind:     hidden_block_count_y
      - .offset:         56
        .size:           4
        .value_kind:     hidden_block_count_z
      - .offset:         60
        .size:           2
        .value_kind:     hidden_group_size_x
      - .offset:         62
        .size:           2
        .value_kind:     hidden_group_size_y
      - .offset:         64
        .size:           2
        .value_kind:     hidden_group_size_z
      - .offset:         66
        .size:           2
        .value_kind:     hidden_remainder_x
      - .offset:         68
        .size:           2
        .value_kind:     hidden_remainder_y
      - .offset:         70
        .size:           2
        .value_kind:     hidden_remainder_z
      - .offset:         88
        .size:           8
        .value_kind:     hidden_global_offset_x
      - .offset:         96
        .size:           8
        .value_kind:     hidden_global_offset_y
      - .offset:         104
        .size:           8
        .value_kind:     hidden_global_offset_z
      - .offset:         112
        .size:           2
        .value_kind:     hidden_grid_dims
    .group_segment_fixed_size: 0
    .kernarg_segment_align: 8
    .kernarg_segment_size: 304
    .language:       OpenCL C
    .language_version:
      - 2
      - 0
    .max_flat_workgroup_size: 1024
    .name:           _ZN12_GLOBAL__N_121softmax_warp_backwardIfN3c104HalfEfLi3ELb0ELb0ELi32EEEvPT0_PKT_S7_iiiPKb
    .private_segment_fixed_size: 0
    .sgpr_count:     14
    .sgpr_spill_count: 0
    .symbol:         _ZN12_GLOBAL__N_121softmax_warp_backwardIfN3c104HalfEfLi3ELb0ELb0ELi32EEEvPT0_PKT_S7_iiiPKb.kd
    .uniform_work_group_size: 1
    .uses_dynamic_stack: false
    .vgpr_count:     14
    .vgpr_spill_count: 0
    .wavefront_size: 32
    .workgroup_processor_mode: 1
  - .args:
      - .address_space:  global
        .offset:         0
        .size:           8
        .value_kind:     global_buffer
      - .address_space:  global
        .offset:         8
        .size:           8
        .value_kind:     global_buffer
      - .address_space:  global
        .offset:         16
        .size:           8
        .value_kind:     global_buffer
      - .offset:         24
        .size:           4
        .value_kind:     by_value
      - .offset:         28
        .size:           4
        .value_kind:     by_value
      - .offset:         32
        .size:           4
        .value_kind:     by_value
      - .address_space:  global
        .offset:         40
        .size:           8
        .value_kind:     global_buffer
      - .offset:         48
        .size:           4
        .value_kind:     hidden_block_count_x
      - .offset:         52
        .size:           4
        .value_kind:     hidden_block_count_y
      - .offset:         56
        .size:           4
        .value_kind:     hidden_block_count_z
      - .offset:         60
        .size:           2
        .value_kind:     hidden_group_size_x
      - .offset:         62
        .size:           2
        .value_kind:     hidden_group_size_y
      - .offset:         64
        .size:           2
        .value_kind:     hidden_group_size_z
      - .offset:         66
        .size:           2
        .value_kind:     hidden_remainder_x
      - .offset:         68
        .size:           2
        .value_kind:     hidden_remainder_y
      - .offset:         70
        .size:           2
        .value_kind:     hidden_remainder_z
      - .offset:         88
        .size:           8
        .value_kind:     hidden_global_offset_x
      - .offset:         96
        .size:           8
        .value_kind:     hidden_global_offset_y
      - .offset:         104
        .size:           8
        .value_kind:     hidden_global_offset_z
      - .offset:         112
        .size:           2
        .value_kind:     hidden_grid_dims
    .group_segment_fixed_size: 0
    .kernarg_segment_align: 8
    .kernarg_segment_size: 304
    .language:       OpenCL C
    .language_version:
      - 2
      - 0
    .max_flat_workgroup_size: 1024
    .name:           _ZN12_GLOBAL__N_121softmax_warp_backwardIfN3c104HalfEfLi4ELb0ELb0ELi64EEEvPT0_PKT_S7_iiiPKb
    .private_segment_fixed_size: 0
    .sgpr_count:     14
    .sgpr_spill_count: 0
    .symbol:         _ZN12_GLOBAL__N_121softmax_warp_backwardIfN3c104HalfEfLi4ELb0ELb0ELi64EEEvPT0_PKT_S7_iiiPKb.kd
    .uniform_work_group_size: 1
    .uses_dynamic_stack: false
    .vgpr_count:     14
    .vgpr_spill_count: 0
    .wavefront_size: 32
    .workgroup_processor_mode: 1
  - .args:
      - .address_space:  global
        .offset:         0
        .size:           8
        .value_kind:     global_buffer
      - .address_space:  global
        .offset:         8
        .size:           8
        .value_kind:     global_buffer
      - .address_space:  global
        .offset:         16
        .size:           8
        .value_kind:     global_buffer
      - .offset:         24
        .size:           4
        .value_kind:     by_value
      - .offset:         28
        .size:           4
        .value_kind:     by_value
      - .offset:         32
        .size:           4
        .value_kind:     by_value
      - .address_space:  global
        .offset:         40
        .size:           8
        .value_kind:     global_buffer
      - .offset:         48
        .size:           4
        .value_kind:     hidden_block_count_x
      - .offset:         52
        .size:           4
        .value_kind:     hidden_block_count_y
      - .offset:         56
        .size:           4
        .value_kind:     hidden_block_count_z
      - .offset:         60
        .size:           2
        .value_kind:     hidden_group_size_x
      - .offset:         62
        .size:           2
        .value_kind:     hidden_group_size_y
      - .offset:         64
        .size:           2
        .value_kind:     hidden_group_size_z
      - .offset:         66
        .size:           2
        .value_kind:     hidden_remainder_x
      - .offset:         68
        .size:           2
        .value_kind:     hidden_remainder_y
      - .offset:         70
        .size:           2
        .value_kind:     hidden_remainder_z
      - .offset:         88
        .size:           8
        .value_kind:     hidden_global_offset_x
      - .offset:         96
        .size:           8
        .value_kind:     hidden_global_offset_y
      - .offset:         104
        .size:           8
        .value_kind:     hidden_global_offset_z
      - .offset:         112
        .size:           2
        .value_kind:     hidden_grid_dims
    .group_segment_fixed_size: 0
    .kernarg_segment_align: 8
    .kernarg_segment_size: 304
    .language:       OpenCL C
    .language_version:
      - 2
      - 0
    .max_flat_workgroup_size: 1024
    .name:           _ZN12_GLOBAL__N_121softmax_warp_backwardIfN3c104HalfEfLi4ELb0ELb0ELi32EEEvPT0_PKT_S7_iiiPKb
    .private_segment_fixed_size: 0
    .sgpr_count:     14
    .sgpr_spill_count: 0
    .symbol:         _ZN12_GLOBAL__N_121softmax_warp_backwardIfN3c104HalfEfLi4ELb0ELb0ELi32EEEvPT0_PKT_S7_iiiPKb.kd
    .uniform_work_group_size: 1
    .uses_dynamic_stack: false
    .vgpr_count:     14
    .vgpr_spill_count: 0
    .wavefront_size: 32
    .workgroup_processor_mode: 1
  - .args:
      - .address_space:  global
        .offset:         0
        .size:           8
        .value_kind:     global_buffer
      - .address_space:  global
        .offset:         8
        .size:           8
        .value_kind:     global_buffer
      - .address_space:  global
        .offset:         16
        .size:           8
        .value_kind:     global_buffer
      - .offset:         24
        .size:           4
        .value_kind:     by_value
      - .offset:         28
        .size:           4
        .value_kind:     by_value
      - .offset:         32
        .size:           4
        .value_kind:     by_value
      - .address_space:  global
        .offset:         40
        .size:           8
        .value_kind:     global_buffer
      - .offset:         48
        .size:           4
        .value_kind:     hidden_block_count_x
      - .offset:         52
        .size:           4
        .value_kind:     hidden_block_count_y
      - .offset:         56
        .size:           4
        .value_kind:     hidden_block_count_z
      - .offset:         60
        .size:           2
        .value_kind:     hidden_group_size_x
      - .offset:         62
        .size:           2
        .value_kind:     hidden_group_size_y
      - .offset:         64
        .size:           2
        .value_kind:     hidden_group_size_z
      - .offset:         66
        .size:           2
        .value_kind:     hidden_remainder_x
      - .offset:         68
        .size:           2
        .value_kind:     hidden_remainder_y
      - .offset:         70
        .size:           2
        .value_kind:     hidden_remainder_z
      - .offset:         88
        .size:           8
        .value_kind:     hidden_global_offset_x
      - .offset:         96
        .size:           8
        .value_kind:     hidden_global_offset_y
      - .offset:         104
        .size:           8
        .value_kind:     hidden_global_offset_z
      - .offset:         112
        .size:           2
        .value_kind:     hidden_grid_dims
    .group_segment_fixed_size: 0
    .kernarg_segment_align: 8
    .kernarg_segment_size: 304
    .language:       OpenCL C
    .language_version:
      - 2
      - 0
    .max_flat_workgroup_size: 1024
    .name:           _ZN12_GLOBAL__N_121softmax_warp_backwardIfN3c104HalfEfLi5ELb0ELb0ELi64EEEvPT0_PKT_S7_iiiPKb
    .private_segment_fixed_size: 0
    .sgpr_count:     14
    .sgpr_spill_count: 0
    .symbol:         _ZN12_GLOBAL__N_121softmax_warp_backwardIfN3c104HalfEfLi5ELb0ELb0ELi64EEEvPT0_PKT_S7_iiiPKb.kd
    .uniform_work_group_size: 1
    .uses_dynamic_stack: false
    .vgpr_count:     13
    .vgpr_spill_count: 0
    .wavefront_size: 32
    .workgroup_processor_mode: 1
  - .args:
      - .address_space:  global
        .offset:         0
        .size:           8
        .value_kind:     global_buffer
      - .address_space:  global
        .offset:         8
        .size:           8
        .value_kind:     global_buffer
      - .address_space:  global
        .offset:         16
        .size:           8
        .value_kind:     global_buffer
      - .offset:         24
        .size:           4
        .value_kind:     by_value
      - .offset:         28
        .size:           4
        .value_kind:     by_value
      - .offset:         32
        .size:           4
        .value_kind:     by_value
      - .address_space:  global
        .offset:         40
        .size:           8
        .value_kind:     global_buffer
      - .offset:         48
        .size:           4
        .value_kind:     hidden_block_count_x
      - .offset:         52
        .size:           4
        .value_kind:     hidden_block_count_y
      - .offset:         56
        .size:           4
        .value_kind:     hidden_block_count_z
      - .offset:         60
        .size:           2
        .value_kind:     hidden_group_size_x
      - .offset:         62
        .size:           2
        .value_kind:     hidden_group_size_y
      - .offset:         64
        .size:           2
        .value_kind:     hidden_group_size_z
      - .offset:         66
        .size:           2
        .value_kind:     hidden_remainder_x
      - .offset:         68
        .size:           2
        .value_kind:     hidden_remainder_y
      - .offset:         70
        .size:           2
        .value_kind:     hidden_remainder_z
      - .offset:         88
        .size:           8
        .value_kind:     hidden_global_offset_x
      - .offset:         96
        .size:           8
        .value_kind:     hidden_global_offset_y
      - .offset:         104
        .size:           8
        .value_kind:     hidden_global_offset_z
      - .offset:         112
        .size:           2
        .value_kind:     hidden_grid_dims
    .group_segment_fixed_size: 0
    .kernarg_segment_align: 8
    .kernarg_segment_size: 304
    .language:       OpenCL C
    .language_version:
      - 2
      - 0
    .max_flat_workgroup_size: 1024
    .name:           _ZN12_GLOBAL__N_121softmax_warp_backwardIfN3c104HalfEfLi5ELb0ELb0ELi32EEEvPT0_PKT_S7_iiiPKb
    .private_segment_fixed_size: 0
    .sgpr_count:     14
    .sgpr_spill_count: 0
    .symbol:         _ZN12_GLOBAL__N_121softmax_warp_backwardIfN3c104HalfEfLi5ELb0ELb0ELi32EEEvPT0_PKT_S7_iiiPKb.kd
    .uniform_work_group_size: 1
    .uses_dynamic_stack: false
    .vgpr_count:     13
    .vgpr_spill_count: 0
    .wavefront_size: 32
    .workgroup_processor_mode: 1
  - .args:
      - .address_space:  global
        .offset:         0
        .size:           8
        .value_kind:     global_buffer
      - .address_space:  global
        .offset:         8
        .size:           8
        .value_kind:     global_buffer
      - .address_space:  global
        .offset:         16
        .size:           8
        .value_kind:     global_buffer
      - .offset:         24
        .size:           4
        .value_kind:     by_value
      - .offset:         28
        .size:           4
        .value_kind:     by_value
      - .offset:         32
        .size:           4
        .value_kind:     by_value
      - .address_space:  global
        .offset:         40
        .size:           8
        .value_kind:     global_buffer
      - .offset:         48
        .size:           4
        .value_kind:     hidden_block_count_x
      - .offset:         52
        .size:           4
        .value_kind:     hidden_block_count_y
      - .offset:         56
        .size:           4
        .value_kind:     hidden_block_count_z
      - .offset:         60
        .size:           2
        .value_kind:     hidden_group_size_x
      - .offset:         62
        .size:           2
        .value_kind:     hidden_group_size_y
      - .offset:         64
        .size:           2
        .value_kind:     hidden_group_size_z
      - .offset:         66
        .size:           2
        .value_kind:     hidden_remainder_x
      - .offset:         68
        .size:           2
        .value_kind:     hidden_remainder_y
      - .offset:         70
        .size:           2
        .value_kind:     hidden_remainder_z
      - .offset:         88
        .size:           8
        .value_kind:     hidden_global_offset_x
      - .offset:         96
        .size:           8
        .value_kind:     hidden_global_offset_y
      - .offset:         104
        .size:           8
        .value_kind:     hidden_global_offset_z
      - .offset:         112
        .size:           2
        .value_kind:     hidden_grid_dims
    .group_segment_fixed_size: 0
    .kernarg_segment_align: 8
    .kernarg_segment_size: 304
    .language:       OpenCL C
    .language_version:
      - 2
      - 0
    .max_flat_workgroup_size: 1024
    .name:           _ZN12_GLOBAL__N_121softmax_warp_backwardIfN3c104HalfEfLi6ELb0ELb0ELi64EEEvPT0_PKT_S7_iiiPKb
    .private_segment_fixed_size: 0
    .sgpr_count:     14
    .sgpr_spill_count: 0
    .symbol:         _ZN12_GLOBAL__N_121softmax_warp_backwardIfN3c104HalfEfLi6ELb0ELb0ELi64EEEvPT0_PKT_S7_iiiPKb.kd
    .uniform_work_group_size: 1
    .uses_dynamic_stack: false
    .vgpr_count:     13
    .vgpr_spill_count: 0
    .wavefront_size: 32
    .workgroup_processor_mode: 1
  - .args:
      - .address_space:  global
        .offset:         0
        .size:           8
        .value_kind:     global_buffer
      - .address_space:  global
        .offset:         8
        .size:           8
        .value_kind:     global_buffer
      - .address_space:  global
        .offset:         16
        .size:           8
        .value_kind:     global_buffer
      - .offset:         24
        .size:           4
        .value_kind:     by_value
      - .offset:         28
        .size:           4
        .value_kind:     by_value
      - .offset:         32
        .size:           4
        .value_kind:     by_value
      - .address_space:  global
        .offset:         40
        .size:           8
        .value_kind:     global_buffer
      - .offset:         48
        .size:           4
        .value_kind:     hidden_block_count_x
      - .offset:         52
        .size:           4
        .value_kind:     hidden_block_count_y
      - .offset:         56
        .size:           4
        .value_kind:     hidden_block_count_z
      - .offset:         60
        .size:           2
        .value_kind:     hidden_group_size_x
      - .offset:         62
        .size:           2
        .value_kind:     hidden_group_size_y
      - .offset:         64
        .size:           2
        .value_kind:     hidden_group_size_z
      - .offset:         66
        .size:           2
        .value_kind:     hidden_remainder_x
      - .offset:         68
        .size:           2
        .value_kind:     hidden_remainder_y
      - .offset:         70
        .size:           2
        .value_kind:     hidden_remainder_z
      - .offset:         88
        .size:           8
        .value_kind:     hidden_global_offset_x
      - .offset:         96
        .size:           8
        .value_kind:     hidden_global_offset_y
      - .offset:         104
        .size:           8
        .value_kind:     hidden_global_offset_z
      - .offset:         112
        .size:           2
        .value_kind:     hidden_grid_dims
    .group_segment_fixed_size: 0
    .kernarg_segment_align: 8
    .kernarg_segment_size: 304
    .language:       OpenCL C
    .language_version:
      - 2
      - 0
    .max_flat_workgroup_size: 1024
    .name:           _ZN12_GLOBAL__N_121softmax_warp_backwardIfN3c104HalfEfLi6ELb0ELb0ELi32EEEvPT0_PKT_S7_iiiPKb
    .private_segment_fixed_size: 0
    .sgpr_count:     18
    .sgpr_spill_count: 0
    .symbol:         _ZN12_GLOBAL__N_121softmax_warp_backwardIfN3c104HalfEfLi6ELb0ELb0ELi32EEEvPT0_PKT_S7_iiiPKb.kd
    .uniform_work_group_size: 1
    .uses_dynamic_stack: false
    .vgpr_count:     17
    .vgpr_spill_count: 0
    .wavefront_size: 32
    .workgroup_processor_mode: 1
  - .args:
      - .address_space:  global
        .offset:         0
        .size:           8
        .value_kind:     global_buffer
      - .address_space:  global
        .offset:         8
        .size:           8
        .value_kind:     global_buffer
      - .address_space:  global
        .offset:         16
        .size:           8
        .value_kind:     global_buffer
      - .offset:         24
        .size:           4
        .value_kind:     by_value
      - .offset:         28
        .size:           4
        .value_kind:     by_value
      - .offset:         32
        .size:           4
        .value_kind:     by_value
      - .address_space:  global
        .offset:         40
        .size:           8
        .value_kind:     global_buffer
      - .offset:         48
        .size:           4
        .value_kind:     hidden_block_count_x
      - .offset:         52
        .size:           4
        .value_kind:     hidden_block_count_y
      - .offset:         56
        .size:           4
        .value_kind:     hidden_block_count_z
      - .offset:         60
        .size:           2
        .value_kind:     hidden_group_size_x
      - .offset:         62
        .size:           2
        .value_kind:     hidden_group_size_y
      - .offset:         64
        .size:           2
        .value_kind:     hidden_group_size_z
      - .offset:         66
        .size:           2
        .value_kind:     hidden_remainder_x
      - .offset:         68
        .size:           2
        .value_kind:     hidden_remainder_y
      - .offset:         70
        .size:           2
        .value_kind:     hidden_remainder_z
      - .offset:         88
        .size:           8
        .value_kind:     hidden_global_offset_x
      - .offset:         96
        .size:           8
        .value_kind:     hidden_global_offset_y
      - .offset:         104
        .size:           8
        .value_kind:     hidden_global_offset_z
      - .offset:         112
        .size:           2
        .value_kind:     hidden_grid_dims
    .group_segment_fixed_size: 0
    .kernarg_segment_align: 8
    .kernarg_segment_size: 304
    .language:       OpenCL C
    .language_version:
      - 2
      - 0
    .max_flat_workgroup_size: 1024
    .name:           _ZN12_GLOBAL__N_121softmax_warp_backwardIfN3c104HalfEfLi7ELb0ELb0ELi64EEEvPT0_PKT_S7_iiiPKb
    .private_segment_fixed_size: 0
    .sgpr_count:     18
    .sgpr_spill_count: 0
    .symbol:         _ZN12_GLOBAL__N_121softmax_warp_backwardIfN3c104HalfEfLi7ELb0ELb0ELi64EEEvPT0_PKT_S7_iiiPKb.kd
    .uniform_work_group_size: 1
    .uses_dynamic_stack: false
    .vgpr_count:     17
    .vgpr_spill_count: 0
    .wavefront_size: 32
    .workgroup_processor_mode: 1
  - .args:
      - .address_space:  global
        .offset:         0
        .size:           8
        .value_kind:     global_buffer
      - .address_space:  global
        .offset:         8
        .size:           8
        .value_kind:     global_buffer
      - .address_space:  global
        .offset:         16
        .size:           8
        .value_kind:     global_buffer
      - .offset:         24
        .size:           4
        .value_kind:     by_value
      - .offset:         28
        .size:           4
        .value_kind:     by_value
      - .offset:         32
        .size:           4
        .value_kind:     by_value
      - .address_space:  global
        .offset:         40
        .size:           8
        .value_kind:     global_buffer
      - .offset:         48
        .size:           4
        .value_kind:     hidden_block_count_x
      - .offset:         52
        .size:           4
        .value_kind:     hidden_block_count_y
      - .offset:         56
        .size:           4
        .value_kind:     hidden_block_count_z
      - .offset:         60
        .size:           2
        .value_kind:     hidden_group_size_x
      - .offset:         62
        .size:           2
        .value_kind:     hidden_group_size_y
      - .offset:         64
        .size:           2
        .value_kind:     hidden_group_size_z
      - .offset:         66
        .size:           2
        .value_kind:     hidden_remainder_x
      - .offset:         68
        .size:           2
        .value_kind:     hidden_remainder_y
      - .offset:         70
        .size:           2
        .value_kind:     hidden_remainder_z
      - .offset:         88
        .size:           8
        .value_kind:     hidden_global_offset_x
      - .offset:         96
        .size:           8
        .value_kind:     hidden_global_offset_y
      - .offset:         104
        .size:           8
        .value_kind:     hidden_global_offset_z
      - .offset:         112
        .size:           2
        .value_kind:     hidden_grid_dims
    .group_segment_fixed_size: 0
    .kernarg_segment_align: 8
    .kernarg_segment_size: 304
    .language:       OpenCL C
    .language_version:
      - 2
      - 0
    .max_flat_workgroup_size: 1024
    .name:           _ZN12_GLOBAL__N_121softmax_warp_backwardIfN3c104HalfEfLi7ELb0ELb0ELi32EEEvPT0_PKT_S7_iiiPKb
    .private_segment_fixed_size: 0
    .sgpr_count:     18
    .sgpr_spill_count: 0
    .symbol:         _ZN12_GLOBAL__N_121softmax_warp_backwardIfN3c104HalfEfLi7ELb0ELb0ELi32EEEvPT0_PKT_S7_iiiPKb.kd
    .uniform_work_group_size: 1
    .uses_dynamic_stack: false
    .vgpr_count:     25
    .vgpr_spill_count: 0
    .wavefront_size: 32
    .workgroup_processor_mode: 1
  - .args:
      - .address_space:  global
        .offset:         0
        .size:           8
        .value_kind:     global_buffer
      - .address_space:  global
        .offset:         8
        .size:           8
        .value_kind:     global_buffer
      - .address_space:  global
        .offset:         16
        .size:           8
        .value_kind:     global_buffer
      - .offset:         24
        .size:           4
        .value_kind:     by_value
      - .offset:         28
        .size:           4
        .value_kind:     by_value
      - .offset:         32
        .size:           4
        .value_kind:     by_value
      - .address_space:  global
        .offset:         40
        .size:           8
        .value_kind:     global_buffer
      - .offset:         48
        .size:           4
        .value_kind:     hidden_block_count_x
      - .offset:         52
        .size:           4
        .value_kind:     hidden_block_count_y
      - .offset:         56
        .size:           4
        .value_kind:     hidden_block_count_z
      - .offset:         60
        .size:           2
        .value_kind:     hidden_group_size_x
      - .offset:         62
        .size:           2
        .value_kind:     hidden_group_size_y
      - .offset:         64
        .size:           2
        .value_kind:     hidden_group_size_z
      - .offset:         66
        .size:           2
        .value_kind:     hidden_remainder_x
      - .offset:         68
        .size:           2
        .value_kind:     hidden_remainder_y
      - .offset:         70
        .size:           2
        .value_kind:     hidden_remainder_z
      - .offset:         88
        .size:           8
        .value_kind:     hidden_global_offset_x
      - .offset:         96
        .size:           8
        .value_kind:     hidden_global_offset_y
      - .offset:         104
        .size:           8
        .value_kind:     hidden_global_offset_z
      - .offset:         112
        .size:           2
        .value_kind:     hidden_grid_dims
    .group_segment_fixed_size: 0
    .kernarg_segment_align: 8
    .kernarg_segment_size: 304
    .language:       OpenCL C
    .language_version:
      - 2
      - 0
    .max_flat_workgroup_size: 1024
    .name:           _ZN12_GLOBAL__N_121softmax_warp_backwardIfN3c104HalfEfLi8ELb0ELb0ELi64EEEvPT0_PKT_S7_iiiPKb
    .private_segment_fixed_size: 0
    .sgpr_count:     14
    .sgpr_spill_count: 0
    .symbol:         _ZN12_GLOBAL__N_121softmax_warp_backwardIfN3c104HalfEfLi8ELb0ELb0ELi64EEEvPT0_PKT_S7_iiiPKb.kd
    .uniform_work_group_size: 1
    .uses_dynamic_stack: false
    .vgpr_count:     15
    .vgpr_spill_count: 0
    .wavefront_size: 32
    .workgroup_processor_mode: 1
  - .args:
      - .address_space:  global
        .offset:         0
        .size:           8
        .value_kind:     global_buffer
      - .address_space:  global
        .offset:         8
        .size:           8
        .value_kind:     global_buffer
      - .address_space:  global
        .offset:         16
        .size:           8
        .value_kind:     global_buffer
      - .offset:         24
        .size:           4
        .value_kind:     by_value
      - .offset:         28
        .size:           4
        .value_kind:     by_value
      - .offset:         32
        .size:           4
        .value_kind:     by_value
      - .address_space:  global
        .offset:         40
        .size:           8
        .value_kind:     global_buffer
      - .offset:         48
        .size:           4
        .value_kind:     hidden_block_count_x
      - .offset:         52
        .size:           4
        .value_kind:     hidden_block_count_y
      - .offset:         56
        .size:           4
        .value_kind:     hidden_block_count_z
      - .offset:         60
        .size:           2
        .value_kind:     hidden_group_size_x
      - .offset:         62
        .size:           2
        .value_kind:     hidden_group_size_y
      - .offset:         64
        .size:           2
        .value_kind:     hidden_group_size_z
      - .offset:         66
        .size:           2
        .value_kind:     hidden_remainder_x
      - .offset:         68
        .size:           2
        .value_kind:     hidden_remainder_y
      - .offset:         70
        .size:           2
        .value_kind:     hidden_remainder_z
      - .offset:         88
        .size:           8
        .value_kind:     hidden_global_offset_x
      - .offset:         96
        .size:           8
        .value_kind:     hidden_global_offset_y
      - .offset:         104
        .size:           8
        .value_kind:     hidden_global_offset_z
      - .offset:         112
        .size:           2
        .value_kind:     hidden_grid_dims
    .group_segment_fixed_size: 0
    .kernarg_segment_align: 8
    .kernarg_segment_size: 304
    .language:       OpenCL C
    .language_version:
      - 2
      - 0
    .max_flat_workgroup_size: 1024
    .name:           _ZN12_GLOBAL__N_121softmax_warp_backwardIfN3c104HalfEfLi8ELb0ELb0ELi32EEEvPT0_PKT_S7_iiiPKb
    .private_segment_fixed_size: 0
    .sgpr_count:     18
    .sgpr_spill_count: 0
    .symbol:         _ZN12_GLOBAL__N_121softmax_warp_backwardIfN3c104HalfEfLi8ELb0ELb0ELi32EEEvPT0_PKT_S7_iiiPKb.kd
    .uniform_work_group_size: 1
    .uses_dynamic_stack: false
    .vgpr_count:     23
    .vgpr_spill_count: 0
    .wavefront_size: 32
    .workgroup_processor_mode: 1
  - .args:
      - .address_space:  global
        .offset:         0
        .size:           8
        .value_kind:     global_buffer
      - .address_space:  global
        .offset:         8
        .size:           8
        .value_kind:     global_buffer
      - .address_space:  global
        .offset:         16
        .size:           8
        .value_kind:     global_buffer
      - .offset:         24
        .size:           4
        .value_kind:     by_value
      - .offset:         28
        .size:           4
        .value_kind:     by_value
      - .offset:         32
        .size:           4
        .value_kind:     by_value
      - .address_space:  global
        .offset:         40
        .size:           8
        .value_kind:     global_buffer
      - .offset:         48
        .size:           4
        .value_kind:     hidden_block_count_x
      - .offset:         52
        .size:           4
        .value_kind:     hidden_block_count_y
      - .offset:         56
        .size:           4
        .value_kind:     hidden_block_count_z
      - .offset:         60
        .size:           2
        .value_kind:     hidden_group_size_x
      - .offset:         62
        .size:           2
        .value_kind:     hidden_group_size_y
      - .offset:         64
        .size:           2
        .value_kind:     hidden_group_size_z
      - .offset:         66
        .size:           2
        .value_kind:     hidden_remainder_x
      - .offset:         68
        .size:           2
        .value_kind:     hidden_remainder_y
      - .offset:         70
        .size:           2
        .value_kind:     hidden_remainder_z
      - .offset:         88
        .size:           8
        .value_kind:     hidden_global_offset_x
      - .offset:         96
        .size:           8
        .value_kind:     hidden_global_offset_y
      - .offset:         104
        .size:           8
        .value_kind:     hidden_global_offset_z
      - .offset:         112
        .size:           2
        .value_kind:     hidden_grid_dims
    .group_segment_fixed_size: 0
    .kernarg_segment_align: 8
    .kernarg_segment_size: 304
    .language:       OpenCL C
    .language_version:
      - 2
      - 0
    .max_flat_workgroup_size: 1024
    .name:           _ZN12_GLOBAL__N_121softmax_warp_backwardIfN3c104HalfEfLi9ELb0ELb0ELi64EEEvPT0_PKT_S7_iiiPKb
    .private_segment_fixed_size: 0
    .sgpr_count:     18
    .sgpr_spill_count: 0
    .symbol:         _ZN12_GLOBAL__N_121softmax_warp_backwardIfN3c104HalfEfLi9ELb0ELb0ELi64EEEvPT0_PKT_S7_iiiPKb.kd
    .uniform_work_group_size: 1
    .uses_dynamic_stack: false
    .vgpr_count:     23
    .vgpr_spill_count: 0
    .wavefront_size: 32
    .workgroup_processor_mode: 1
  - .args:
      - .address_space:  global
        .offset:         0
        .size:           8
        .value_kind:     global_buffer
      - .address_space:  global
        .offset:         8
        .size:           8
        .value_kind:     global_buffer
      - .address_space:  global
        .offset:         16
        .size:           8
        .value_kind:     global_buffer
      - .offset:         24
        .size:           4
        .value_kind:     by_value
      - .offset:         28
        .size:           4
        .value_kind:     by_value
      - .offset:         32
        .size:           4
        .value_kind:     by_value
      - .address_space:  global
        .offset:         40
        .size:           8
        .value_kind:     global_buffer
      - .offset:         48
        .size:           4
        .value_kind:     hidden_block_count_x
      - .offset:         52
        .size:           4
        .value_kind:     hidden_block_count_y
      - .offset:         56
        .size:           4
        .value_kind:     hidden_block_count_z
      - .offset:         60
        .size:           2
        .value_kind:     hidden_group_size_x
      - .offset:         62
        .size:           2
        .value_kind:     hidden_group_size_y
      - .offset:         64
        .size:           2
        .value_kind:     hidden_group_size_z
      - .offset:         66
        .size:           2
        .value_kind:     hidden_remainder_x
      - .offset:         68
        .size:           2
        .value_kind:     hidden_remainder_y
      - .offset:         70
        .size:           2
        .value_kind:     hidden_remainder_z
      - .offset:         88
        .size:           8
        .value_kind:     hidden_global_offset_x
      - .offset:         96
        .size:           8
        .value_kind:     hidden_global_offset_y
      - .offset:         104
        .size:           8
        .value_kind:     hidden_global_offset_z
      - .offset:         112
        .size:           2
        .value_kind:     hidden_grid_dims
    .group_segment_fixed_size: 0
    .kernarg_segment_align: 8
    .kernarg_segment_size: 304
    .language:       OpenCL C
    .language_version:
      - 2
      - 0
    .max_flat_workgroup_size: 1024
    .name:           _ZN12_GLOBAL__N_121softmax_warp_backwardIfN3c104HalfEfLi9ELb0ELb0ELi32EEEvPT0_PKT_S7_iiiPKb
    .private_segment_fixed_size: 0
    .sgpr_count:     26
    .sgpr_spill_count: 0
    .symbol:         _ZN12_GLOBAL__N_121softmax_warp_backwardIfN3c104HalfEfLi9ELb0ELb0ELi32EEEvPT0_PKT_S7_iiiPKb.kd
    .uniform_work_group_size: 1
    .uses_dynamic_stack: false
    .vgpr_count:     39
    .vgpr_spill_count: 0
    .wavefront_size: 32
    .workgroup_processor_mode: 1
  - .args:
      - .address_space:  global
        .offset:         0
        .size:           8
        .value_kind:     global_buffer
      - .address_space:  global
        .offset:         8
        .size:           8
        .value_kind:     global_buffer
      - .address_space:  global
        .offset:         16
        .size:           8
        .value_kind:     global_buffer
      - .offset:         24
        .size:           4
        .value_kind:     by_value
      - .offset:         28
        .size:           4
        .value_kind:     by_value
      - .offset:         32
        .size:           4
        .value_kind:     by_value
      - .address_space:  global
        .offset:         40
        .size:           8
        .value_kind:     global_buffer
      - .offset:         48
        .size:           4
        .value_kind:     hidden_block_count_x
      - .offset:         52
        .size:           4
        .value_kind:     hidden_block_count_y
      - .offset:         56
        .size:           4
        .value_kind:     hidden_block_count_z
      - .offset:         60
        .size:           2
        .value_kind:     hidden_group_size_x
      - .offset:         62
        .size:           2
        .value_kind:     hidden_group_size_y
      - .offset:         64
        .size:           2
        .value_kind:     hidden_group_size_z
      - .offset:         66
        .size:           2
        .value_kind:     hidden_remainder_x
      - .offset:         68
        .size:           2
        .value_kind:     hidden_remainder_y
      - .offset:         70
        .size:           2
        .value_kind:     hidden_remainder_z
      - .offset:         88
        .size:           8
        .value_kind:     hidden_global_offset_x
      - .offset:         96
        .size:           8
        .value_kind:     hidden_global_offset_y
      - .offset:         104
        .size:           8
        .value_kind:     hidden_global_offset_z
      - .offset:         112
        .size:           2
        .value_kind:     hidden_grid_dims
    .group_segment_fixed_size: 0
    .kernarg_segment_align: 8
    .kernarg_segment_size: 304
    .language:       OpenCL C
    .language_version:
      - 2
      - 0
    .max_flat_workgroup_size: 1024
    .name:           _ZN12_GLOBAL__N_121softmax_warp_backwardIfN3c104HalfEfLi10ELb0ELb0ELi64EEEvPT0_PKT_S7_iiiPKb
    .private_segment_fixed_size: 0
    .sgpr_count:     26
    .sgpr_spill_count: 0
    .symbol:         _ZN12_GLOBAL__N_121softmax_warp_backwardIfN3c104HalfEfLi10ELb0ELb0ELi64EEEvPT0_PKT_S7_iiiPKb.kd
    .uniform_work_group_size: 1
    .uses_dynamic_stack: false
    .vgpr_count:     42
    .vgpr_spill_count: 0
    .wavefront_size: 32
    .workgroup_processor_mode: 1
  - .args:
      - .address_space:  global
        .offset:         0
        .size:           8
        .value_kind:     global_buffer
      - .address_space:  global
        .offset:         8
        .size:           8
        .value_kind:     global_buffer
      - .address_space:  global
        .offset:         16
        .size:           8
        .value_kind:     global_buffer
      - .offset:         24
        .size:           4
        .value_kind:     by_value
      - .offset:         28
        .size:           4
        .value_kind:     by_value
      - .offset:         32
        .size:           4
        .value_kind:     by_value
      - .address_space:  global
        .offset:         40
        .size:           8
        .value_kind:     global_buffer
      - .offset:         48
        .size:           4
        .value_kind:     hidden_block_count_x
      - .offset:         52
        .size:           4
        .value_kind:     hidden_block_count_y
      - .offset:         56
        .size:           4
        .value_kind:     hidden_block_count_z
      - .offset:         60
        .size:           2
        .value_kind:     hidden_group_size_x
      - .offset:         62
        .size:           2
        .value_kind:     hidden_group_size_y
      - .offset:         64
        .size:           2
        .value_kind:     hidden_group_size_z
      - .offset:         66
        .size:           2
        .value_kind:     hidden_remainder_x
      - .offset:         68
        .size:           2
        .value_kind:     hidden_remainder_y
      - .offset:         70
        .size:           2
        .value_kind:     hidden_remainder_z
      - .offset:         88
        .size:           8
        .value_kind:     hidden_global_offset_x
      - .offset:         96
        .size:           8
        .value_kind:     hidden_global_offset_y
      - .offset:         104
        .size:           8
        .value_kind:     hidden_global_offset_z
      - .offset:         112
        .size:           2
        .value_kind:     hidden_grid_dims
    .group_segment_fixed_size: 0
    .kernarg_segment_align: 8
    .kernarg_segment_size: 304
    .language:       OpenCL C
    .language_version:
      - 2
      - 0
    .max_flat_workgroup_size: 1024
    .name:           _ZN12_GLOBAL__N_121softmax_warp_backwardIfN3c104HalfEfLi10ELb0ELb0ELi32EEEvPT0_PKT_S7_iiiPKb
    .private_segment_fixed_size: 0
    .sgpr_count:     46
    .sgpr_spill_count: 0
    .symbol:         _ZN12_GLOBAL__N_121softmax_warp_backwardIfN3c104HalfEfLi10ELb0ELb0ELi32EEEvPT0_PKT_S7_iiiPKb.kd
    .uniform_work_group_size: 1
    .uses_dynamic_stack: false
    .vgpr_count:     74
    .vgpr_spill_count: 0
    .wavefront_size: 32
    .workgroup_processor_mode: 1
  - .args:
      - .address_space:  global
        .offset:         0
        .size:           8
        .value_kind:     global_buffer
      - .address_space:  global
        .offset:         8
        .size:           8
        .value_kind:     global_buffer
      - .address_space:  global
        .offset:         16
        .size:           8
        .value_kind:     global_buffer
      - .offset:         24
        .size:           8
        .value_kind:     by_value
      - .offset:         32
        .size:           4
        .value_kind:     hidden_block_count_x
      - .offset:         36
        .size:           4
        .value_kind:     hidden_block_count_y
      - .offset:         40
        .size:           4
        .value_kind:     hidden_block_count_z
      - .offset:         44
        .size:           2
        .value_kind:     hidden_group_size_x
      - .offset:         46
        .size:           2
        .value_kind:     hidden_group_size_y
      - .offset:         48
        .size:           2
        .value_kind:     hidden_group_size_z
      - .offset:         50
        .size:           2
        .value_kind:     hidden_remainder_x
      - .offset:         52
        .size:           2
        .value_kind:     hidden_remainder_y
      - .offset:         54
        .size:           2
        .value_kind:     hidden_remainder_z
      - .offset:         72
        .size:           8
        .value_kind:     hidden_global_offset_x
      - .offset:         80
        .size:           8
        .value_kind:     hidden_global_offset_y
      - .offset:         88
        .size:           8
        .value_kind:     hidden_global_offset_z
      - .offset:         96
        .size:           2
        .value_kind:     hidden_grid_dims
      - .offset:         152
        .size:           4
        .value_kind:     hidden_dynamic_lds_size
    .group_segment_fixed_size: 0
    .kernarg_segment_align: 8
    .kernarg_segment_size: 288
    .language:       OpenCL C
    .language_version:
      - 2
      - 0
    .max_flat_workgroup_size: 1024
    .name:           _ZN2at6native12_GLOBAL__N_124cunn_SoftMaxBackwardSmemILi4EN3c104HalfEffNS1_23SoftMaxBackwardEpilogueEEEvPT0_PKT2_SA_l
    .private_segment_fixed_size: 0
    .sgpr_count:     20
    .sgpr_spill_count: 0
    .symbol:         _ZN2at6native12_GLOBAL__N_124cunn_SoftMaxBackwardSmemILi4EN3c104HalfEffNS1_23SoftMaxBackwardEpilogueEEEvPT0_PKT2_SA_l.kd
    .uniform_work_group_size: 1
    .uses_dynamic_stack: false
    .vgpr_count:     18
    .vgpr_spill_count: 0
    .wavefront_size: 32
    .workgroup_processor_mode: 1
  - .args:
      - .address_space:  global
        .offset:         0
        .size:           8
        .value_kind:     global_buffer
      - .address_space:  global
        .offset:         8
        .size:           8
        .value_kind:     global_buffer
      - .address_space:  global
        .offset:         16
        .size:           8
        .value_kind:     global_buffer
      - .offset:         24
        .size:           8
        .value_kind:     by_value
      - .offset:         32
        .size:           4
        .value_kind:     hidden_block_count_x
      - .offset:         36
        .size:           4
        .value_kind:     hidden_block_count_y
      - .offset:         40
        .size:           4
        .value_kind:     hidden_block_count_z
      - .offset:         44
        .size:           2
        .value_kind:     hidden_group_size_x
      - .offset:         46
        .size:           2
        .value_kind:     hidden_group_size_y
      - .offset:         48
        .size:           2
        .value_kind:     hidden_group_size_z
      - .offset:         50
        .size:           2
        .value_kind:     hidden_remainder_x
      - .offset:         52
        .size:           2
        .value_kind:     hidden_remainder_y
      - .offset:         54
        .size:           2
        .value_kind:     hidden_remainder_z
      - .offset:         72
        .size:           8
        .value_kind:     hidden_global_offset_x
      - .offset:         80
        .size:           8
        .value_kind:     hidden_global_offset_y
      - .offset:         88
        .size:           8
        .value_kind:     hidden_global_offset_z
      - .offset:         96
        .size:           2
        .value_kind:     hidden_grid_dims
      - .offset:         152
        .size:           4
        .value_kind:     hidden_dynamic_lds_size
    .group_segment_fixed_size: 0
    .kernarg_segment_align: 8
    .kernarg_segment_size: 288
    .language:       OpenCL C
    .language_version:
      - 2
      - 0
    .max_flat_workgroup_size: 1024
    .name:           _ZN2at6native12_GLOBAL__N_120cunn_SoftMaxBackwardILi4EN3c104HalfEffNS1_23SoftMaxBackwardEpilogueEEEvPT0_PKT2_SA_l
    .private_segment_fixed_size: 0
    .sgpr_count:     58
    .sgpr_spill_count: 0
    .symbol:         _ZN2at6native12_GLOBAL__N_120cunn_SoftMaxBackwardILi4EN3c104HalfEffNS1_23SoftMaxBackwardEpilogueEEEvPT0_PKT2_SA_l.kd
    .uniform_work_group_size: 1
    .uses_dynamic_stack: false
    .vgpr_count:     27
    .vgpr_spill_count: 0
    .wavefront_size: 32
    .workgroup_processor_mode: 1
  - .args:
      - .address_space:  global
        .offset:         0
        .size:           8
        .value_kind:     global_buffer
      - .address_space:  global
        .offset:         8
        .size:           8
        .value_kind:     global_buffer
      - .address_space:  global
        .offset:         16
        .size:           8
        .value_kind:     global_buffer
      - .offset:         24
        .size:           4
        .value_kind:     by_value
      - .offset:         28
        .size:           4
        .value_kind:     by_value
      - .offset:         32
        .size:           4
        .value_kind:     by_value
      - .address_space:  global
        .offset:         40
        .size:           8
        .value_kind:     global_buffer
      - .offset:         48
        .size:           4
        .value_kind:     hidden_block_count_x
      - .offset:         52
        .size:           4
        .value_kind:     hidden_block_count_y
      - .offset:         56
        .size:           4
        .value_kind:     hidden_block_count_z
      - .offset:         60
        .size:           2
        .value_kind:     hidden_group_size_x
      - .offset:         62
        .size:           2
        .value_kind:     hidden_group_size_y
      - .offset:         64
        .size:           2
        .value_kind:     hidden_group_size_z
      - .offset:         66
        .size:           2
        .value_kind:     hidden_remainder_x
      - .offset:         68
        .size:           2
        .value_kind:     hidden_remainder_y
      - .offset:         70
        .size:           2
        .value_kind:     hidden_remainder_z
      - .offset:         88
        .size:           8
        .value_kind:     hidden_global_offset_x
      - .offset:         96
        .size:           8
        .value_kind:     hidden_global_offset_y
      - .offset:         104
        .size:           8
        .value_kind:     hidden_global_offset_z
      - .offset:         112
        .size:           2
        .value_kind:     hidden_grid_dims
    .group_segment_fixed_size: 0
    .kernarg_segment_align: 8
    .kernarg_segment_size: 304
    .language:       OpenCL C
    .language_version:
      - 2
      - 0
    .max_flat_workgroup_size: 1024
    .name:           _ZN12_GLOBAL__N_121softmax_warp_backwardIN3c108BFloat16ES2_fLi0ELb0ELb0ELi64EEEvPT0_PKT_S7_iiiPKb
    .private_segment_fixed_size: 0
    .sgpr_count:     14
    .sgpr_spill_count: 0
    .symbol:         _ZN12_GLOBAL__N_121softmax_warp_backwardIN3c108BFloat16ES2_fLi0ELb0ELb0ELi64EEEvPT0_PKT_S7_iiiPKb.kd
    .uniform_work_group_size: 1
    .uses_dynamic_stack: false
    .vgpr_count:     11
    .vgpr_spill_count: 0
    .wavefront_size: 32
    .workgroup_processor_mode: 1
  - .args:
      - .address_space:  global
        .offset:         0
        .size:           8
        .value_kind:     global_buffer
      - .address_space:  global
        .offset:         8
        .size:           8
        .value_kind:     global_buffer
      - .address_space:  global
        .offset:         16
        .size:           8
        .value_kind:     global_buffer
      - .offset:         24
        .size:           4
        .value_kind:     by_value
      - .offset:         28
        .size:           4
        .value_kind:     by_value
      - .offset:         32
        .size:           4
        .value_kind:     by_value
      - .address_space:  global
        .offset:         40
        .size:           8
        .value_kind:     global_buffer
      - .offset:         48
        .size:           4
        .value_kind:     hidden_block_count_x
      - .offset:         52
        .size:           4
        .value_kind:     hidden_block_count_y
      - .offset:         56
        .size:           4
        .value_kind:     hidden_block_count_z
      - .offset:         60
        .size:           2
        .value_kind:     hidden_group_size_x
      - .offset:         62
        .size:           2
        .value_kind:     hidden_group_size_y
      - .offset:         64
        .size:           2
        .value_kind:     hidden_group_size_z
      - .offset:         66
        .size:           2
        .value_kind:     hidden_remainder_x
      - .offset:         68
        .size:           2
        .value_kind:     hidden_remainder_y
      - .offset:         70
        .size:           2
        .value_kind:     hidden_remainder_z
      - .offset:         88
        .size:           8
        .value_kind:     hidden_global_offset_x
      - .offset:         96
        .size:           8
        .value_kind:     hidden_global_offset_y
      - .offset:         104
        .size:           8
        .value_kind:     hidden_global_offset_z
      - .offset:         112
        .size:           2
        .value_kind:     hidden_grid_dims
    .group_segment_fixed_size: 0
    .kernarg_segment_align: 8
    .kernarg_segment_size: 304
    .language:       OpenCL C
    .language_version:
      - 2
      - 0
    .max_flat_workgroup_size: 1024
    .name:           _ZN12_GLOBAL__N_121softmax_warp_backwardIN3c108BFloat16ES2_fLi0ELb0ELb0ELi32EEEvPT0_PKT_S7_iiiPKb
    .private_segment_fixed_size: 0
    .sgpr_count:     14
    .sgpr_spill_count: 0
    .symbol:         _ZN12_GLOBAL__N_121softmax_warp_backwardIN3c108BFloat16ES2_fLi0ELb0ELb0ELi32EEEvPT0_PKT_S7_iiiPKb.kd
    .uniform_work_group_size: 1
    .uses_dynamic_stack: false
    .vgpr_count:     11
    .vgpr_spill_count: 0
    .wavefront_size: 32
    .workgroup_processor_mode: 1
  - .args:
      - .address_space:  global
        .offset:         0
        .size:           8
        .value_kind:     global_buffer
      - .address_space:  global
        .offset:         8
        .size:           8
        .value_kind:     global_buffer
      - .address_space:  global
        .offset:         16
        .size:           8
        .value_kind:     global_buffer
      - .offset:         24
        .size:           4
        .value_kind:     by_value
      - .offset:         28
        .size:           4
        .value_kind:     by_value
      - .offset:         32
        .size:           4
        .value_kind:     by_value
      - .address_space:  global
        .offset:         40
        .size:           8
        .value_kind:     global_buffer
      - .offset:         48
        .size:           4
        .value_kind:     hidden_block_count_x
      - .offset:         52
        .size:           4
        .value_kind:     hidden_block_count_y
      - .offset:         56
        .size:           4
        .value_kind:     hidden_block_count_z
      - .offset:         60
        .size:           2
        .value_kind:     hidden_group_size_x
      - .offset:         62
        .size:           2
        .value_kind:     hidden_group_size_y
      - .offset:         64
        .size:           2
        .value_kind:     hidden_group_size_z
      - .offset:         66
        .size:           2
        .value_kind:     hidden_remainder_x
      - .offset:         68
        .size:           2
        .value_kind:     hidden_remainder_y
      - .offset:         70
        .size:           2
        .value_kind:     hidden_remainder_z
      - .offset:         88
        .size:           8
        .value_kind:     hidden_global_offset_x
      - .offset:         96
        .size:           8
        .value_kind:     hidden_global_offset_y
      - .offset:         104
        .size:           8
        .value_kind:     hidden_global_offset_z
      - .offset:         112
        .size:           2
        .value_kind:     hidden_grid_dims
    .group_segment_fixed_size: 0
    .kernarg_segment_align: 8
    .kernarg_segment_size: 304
    .language:       OpenCL C
    .language_version:
      - 2
      - 0
    .max_flat_workgroup_size: 1024
    .name:           _ZN12_GLOBAL__N_121softmax_warp_backwardIN3c108BFloat16ES2_fLi1ELb0ELb0ELi64EEEvPT0_PKT_S7_iiiPKb
    .private_segment_fixed_size: 0
    .sgpr_count:     14
    .sgpr_spill_count: 0
    .symbol:         _ZN12_GLOBAL__N_121softmax_warp_backwardIN3c108BFloat16ES2_fLi1ELb0ELb0ELi64EEEvPT0_PKT_S7_iiiPKb.kd
    .uniform_work_group_size: 1
    .uses_dynamic_stack: false
    .vgpr_count:     11
    .vgpr_spill_count: 0
    .wavefront_size: 32
    .workgroup_processor_mode: 1
  - .args:
      - .address_space:  global
        .offset:         0
        .size:           8
        .value_kind:     global_buffer
      - .address_space:  global
        .offset:         8
        .size:           8
        .value_kind:     global_buffer
      - .address_space:  global
        .offset:         16
        .size:           8
        .value_kind:     global_buffer
      - .offset:         24
        .size:           4
        .value_kind:     by_value
      - .offset:         28
        .size:           4
        .value_kind:     by_value
      - .offset:         32
        .size:           4
        .value_kind:     by_value
      - .address_space:  global
        .offset:         40
        .size:           8
        .value_kind:     global_buffer
      - .offset:         48
        .size:           4
        .value_kind:     hidden_block_count_x
      - .offset:         52
        .size:           4
        .value_kind:     hidden_block_count_y
      - .offset:         56
        .size:           4
        .value_kind:     hidden_block_count_z
      - .offset:         60
        .size:           2
        .value_kind:     hidden_group_size_x
      - .offset:         62
        .size:           2
        .value_kind:     hidden_group_size_y
      - .offset:         64
        .size:           2
        .value_kind:     hidden_group_size_z
      - .offset:         66
        .size:           2
        .value_kind:     hidden_remainder_x
      - .offset:         68
        .size:           2
        .value_kind:     hidden_remainder_y
      - .offset:         70
        .size:           2
        .value_kind:     hidden_remainder_z
      - .offset:         88
        .size:           8
        .value_kind:     hidden_global_offset_x
      - .offset:         96
        .size:           8
        .value_kind:     hidden_global_offset_y
      - .offset:         104
        .size:           8
        .value_kind:     hidden_global_offset_z
      - .offset:         112
        .size:           2
        .value_kind:     hidden_grid_dims
    .group_segment_fixed_size: 0
    .kernarg_segment_align: 8
    .kernarg_segment_size: 304
    .language:       OpenCL C
    .language_version:
      - 2
      - 0
    .max_flat_workgroup_size: 1024
    .name:           _ZN12_GLOBAL__N_121softmax_warp_backwardIN3c108BFloat16ES2_fLi1ELb0ELb0ELi32EEEvPT0_PKT_S7_iiiPKb
    .private_segment_fixed_size: 0
    .sgpr_count:     14
    .sgpr_spill_count: 0
    .symbol:         _ZN12_GLOBAL__N_121softmax_warp_backwardIN3c108BFloat16ES2_fLi1ELb0ELb0ELi32EEEvPT0_PKT_S7_iiiPKb.kd
    .uniform_work_group_size: 1
    .uses_dynamic_stack: false
    .vgpr_count:     11
    .vgpr_spill_count: 0
    .wavefront_size: 32
    .workgroup_processor_mode: 1
  - .args:
      - .address_space:  global
        .offset:         0
        .size:           8
        .value_kind:     global_buffer
      - .address_space:  global
        .offset:         8
        .size:           8
        .value_kind:     global_buffer
      - .address_space:  global
        .offset:         16
        .size:           8
        .value_kind:     global_buffer
      - .offset:         24
        .size:           4
        .value_kind:     by_value
      - .offset:         28
        .size:           4
        .value_kind:     by_value
      - .offset:         32
        .size:           4
        .value_kind:     by_value
      - .address_space:  global
        .offset:         40
        .size:           8
        .value_kind:     global_buffer
      - .offset:         48
        .size:           4
        .value_kind:     hidden_block_count_x
      - .offset:         52
        .size:           4
        .value_kind:     hidden_block_count_y
      - .offset:         56
        .size:           4
        .value_kind:     hidden_block_count_z
      - .offset:         60
        .size:           2
        .value_kind:     hidden_group_size_x
      - .offset:         62
        .size:           2
        .value_kind:     hidden_group_size_y
      - .offset:         64
        .size:           2
        .value_kind:     hidden_group_size_z
      - .offset:         66
        .size:           2
        .value_kind:     hidden_remainder_x
      - .offset:         68
        .size:           2
        .value_kind:     hidden_remainder_y
      - .offset:         70
        .size:           2
        .value_kind:     hidden_remainder_z
      - .offset:         88
        .size:           8
        .value_kind:     hidden_global_offset_x
      - .offset:         96
        .size:           8
        .value_kind:     hidden_global_offset_y
      - .offset:         104
        .size:           8
        .value_kind:     hidden_global_offset_z
      - .offset:         112
        .size:           2
        .value_kind:     hidden_grid_dims
    .group_segment_fixed_size: 0
    .kernarg_segment_align: 8
    .kernarg_segment_size: 304
    .language:       OpenCL C
    .language_version:
      - 2
      - 0
    .max_flat_workgroup_size: 1024
    .name:           _ZN12_GLOBAL__N_121softmax_warp_backwardIN3c108BFloat16ES2_fLi2ELb0ELb0ELi64EEEvPT0_PKT_S7_iiiPKb
    .private_segment_fixed_size: 0
    .sgpr_count:     14
    .sgpr_spill_count: 0
    .symbol:         _ZN12_GLOBAL__N_121softmax_warp_backwardIN3c108BFloat16ES2_fLi2ELb0ELb0ELi64EEEvPT0_PKT_S7_iiiPKb.kd
    .uniform_work_group_size: 1
    .uses_dynamic_stack: false
    .vgpr_count:     14
    .vgpr_spill_count: 0
    .wavefront_size: 32
    .workgroup_processor_mode: 1
  - .args:
      - .address_space:  global
        .offset:         0
        .size:           8
        .value_kind:     global_buffer
      - .address_space:  global
        .offset:         8
        .size:           8
        .value_kind:     global_buffer
      - .address_space:  global
        .offset:         16
        .size:           8
        .value_kind:     global_buffer
      - .offset:         24
        .size:           4
        .value_kind:     by_value
      - .offset:         28
        .size:           4
        .value_kind:     by_value
      - .offset:         32
        .size:           4
        .value_kind:     by_value
      - .address_space:  global
        .offset:         40
        .size:           8
        .value_kind:     global_buffer
      - .offset:         48
        .size:           4
        .value_kind:     hidden_block_count_x
      - .offset:         52
        .size:           4
        .value_kind:     hidden_block_count_y
      - .offset:         56
        .size:           4
        .value_kind:     hidden_block_count_z
      - .offset:         60
        .size:           2
        .value_kind:     hidden_group_size_x
      - .offset:         62
        .size:           2
        .value_kind:     hidden_group_size_y
      - .offset:         64
        .size:           2
        .value_kind:     hidden_group_size_z
      - .offset:         66
        .size:           2
        .value_kind:     hidden_remainder_x
      - .offset:         68
        .size:           2
        .value_kind:     hidden_remainder_y
      - .offset:         70
        .size:           2
        .value_kind:     hidden_remainder_z
      - .offset:         88
        .size:           8
        .value_kind:     hidden_global_offset_x
      - .offset:         96
        .size:           8
        .value_kind:     hidden_global_offset_y
      - .offset:         104
        .size:           8
        .value_kind:     hidden_global_offset_z
      - .offset:         112
        .size:           2
        .value_kind:     hidden_grid_dims
    .group_segment_fixed_size: 0
    .kernarg_segment_align: 8
    .kernarg_segment_size: 304
    .language:       OpenCL C
    .language_version:
      - 2
      - 0
    .max_flat_workgroup_size: 1024
    .name:           _ZN12_GLOBAL__N_121softmax_warp_backwardIN3c108BFloat16ES2_fLi2ELb0ELb0ELi32EEEvPT0_PKT_S7_iiiPKb
    .private_segment_fixed_size: 0
    .sgpr_count:     14
    .sgpr_spill_count: 0
    .symbol:         _ZN12_GLOBAL__N_121softmax_warp_backwardIN3c108BFloat16ES2_fLi2ELb0ELb0ELi32EEEvPT0_PKT_S7_iiiPKb.kd
    .uniform_work_group_size: 1
    .uses_dynamic_stack: false
    .vgpr_count:     14
    .vgpr_spill_count: 0
    .wavefront_size: 32
    .workgroup_processor_mode: 1
  - .args:
      - .address_space:  global
        .offset:         0
        .size:           8
        .value_kind:     global_buffer
      - .address_space:  global
        .offset:         8
        .size:           8
        .value_kind:     global_buffer
      - .address_space:  global
        .offset:         16
        .size:           8
        .value_kind:     global_buffer
      - .offset:         24
        .size:           4
        .value_kind:     by_value
      - .offset:         28
        .size:           4
        .value_kind:     by_value
      - .offset:         32
        .size:           4
        .value_kind:     by_value
      - .address_space:  global
        .offset:         40
        .size:           8
        .value_kind:     global_buffer
      - .offset:         48
        .size:           4
        .value_kind:     hidden_block_count_x
      - .offset:         52
        .size:           4
        .value_kind:     hidden_block_count_y
      - .offset:         56
        .size:           4
        .value_kind:     hidden_block_count_z
      - .offset:         60
        .size:           2
        .value_kind:     hidden_group_size_x
      - .offset:         62
        .size:           2
        .value_kind:     hidden_group_size_y
      - .offset:         64
        .size:           2
        .value_kind:     hidden_group_size_z
      - .offset:         66
        .size:           2
        .value_kind:     hidden_remainder_x
      - .offset:         68
        .size:           2
        .value_kind:     hidden_remainder_y
      - .offset:         70
        .size:           2
        .value_kind:     hidden_remainder_z
      - .offset:         88
        .size:           8
        .value_kind:     hidden_global_offset_x
      - .offset:         96
        .size:           8
        .value_kind:     hidden_global_offset_y
      - .offset:         104
        .size:           8
        .value_kind:     hidden_global_offset_z
      - .offset:         112
        .size:           2
        .value_kind:     hidden_grid_dims
    .group_segment_fixed_size: 0
    .kernarg_segment_align: 8
    .kernarg_segment_size: 304
    .language:       OpenCL C
    .language_version:
      - 2
      - 0
    .max_flat_workgroup_size: 1024
    .name:           _ZN12_GLOBAL__N_121softmax_warp_backwardIN3c108BFloat16ES2_fLi3ELb0ELb0ELi64EEEvPT0_PKT_S7_iiiPKb
    .private_segment_fixed_size: 0
    .sgpr_count:     14
    .sgpr_spill_count: 0
    .symbol:         _ZN12_GLOBAL__N_121softmax_warp_backwardIN3c108BFloat16ES2_fLi3ELb0ELb0ELi64EEEvPT0_PKT_S7_iiiPKb.kd
    .uniform_work_group_size: 1
    .uses_dynamic_stack: false
    .vgpr_count:     14
    .vgpr_spill_count: 0
    .wavefront_size: 32
    .workgroup_processor_mode: 1
  - .args:
      - .address_space:  global
        .offset:         0
        .size:           8
        .value_kind:     global_buffer
      - .address_space:  global
        .offset:         8
        .size:           8
        .value_kind:     global_buffer
      - .address_space:  global
        .offset:         16
        .size:           8
        .value_kind:     global_buffer
      - .offset:         24
        .size:           4
        .value_kind:     by_value
      - .offset:         28
        .size:           4
        .value_kind:     by_value
      - .offset:         32
        .size:           4
        .value_kind:     by_value
      - .address_space:  global
        .offset:         40
        .size:           8
        .value_kind:     global_buffer
      - .offset:         48
        .size:           4
        .value_kind:     hidden_block_count_x
      - .offset:         52
        .size:           4
        .value_kind:     hidden_block_count_y
      - .offset:         56
        .size:           4
        .value_kind:     hidden_block_count_z
      - .offset:         60
        .size:           2
        .value_kind:     hidden_group_size_x
      - .offset:         62
        .size:           2
        .value_kind:     hidden_group_size_y
      - .offset:         64
        .size:           2
        .value_kind:     hidden_group_size_z
      - .offset:         66
        .size:           2
        .value_kind:     hidden_remainder_x
      - .offset:         68
        .size:           2
        .value_kind:     hidden_remainder_y
      - .offset:         70
        .size:           2
        .value_kind:     hidden_remainder_z
      - .offset:         88
        .size:           8
        .value_kind:     hidden_global_offset_x
      - .offset:         96
        .size:           8
        .value_kind:     hidden_global_offset_y
      - .offset:         104
        .size:           8
        .value_kind:     hidden_global_offset_z
      - .offset:         112
        .size:           2
        .value_kind:     hidden_grid_dims
    .group_segment_fixed_size: 0
    .kernarg_segment_align: 8
    .kernarg_segment_size: 304
    .language:       OpenCL C
    .language_version:
      - 2
      - 0
    .max_flat_workgroup_size: 1024
    .name:           _ZN12_GLOBAL__N_121softmax_warp_backwardIN3c108BFloat16ES2_fLi3ELb0ELb0ELi32EEEvPT0_PKT_S7_iiiPKb
    .private_segment_fixed_size: 0
    .sgpr_count:     14
    .sgpr_spill_count: 0
    .symbol:         _ZN12_GLOBAL__N_121softmax_warp_backwardIN3c108BFloat16ES2_fLi3ELb0ELb0ELi32EEEvPT0_PKT_S7_iiiPKb.kd
    .uniform_work_group_size: 1
    .uses_dynamic_stack: false
    .vgpr_count:     14
    .vgpr_spill_count: 0
    .wavefront_size: 32
    .workgroup_processor_mode: 1
  - .args:
      - .address_space:  global
        .offset:         0
        .size:           8
        .value_kind:     global_buffer
      - .address_space:  global
        .offset:         8
        .size:           8
        .value_kind:     global_buffer
      - .address_space:  global
        .offset:         16
        .size:           8
        .value_kind:     global_buffer
      - .offset:         24
        .size:           4
        .value_kind:     by_value
      - .offset:         28
        .size:           4
        .value_kind:     by_value
      - .offset:         32
        .size:           4
        .value_kind:     by_value
      - .address_space:  global
        .offset:         40
        .size:           8
        .value_kind:     global_buffer
      - .offset:         48
        .size:           4
        .value_kind:     hidden_block_count_x
      - .offset:         52
        .size:           4
        .value_kind:     hidden_block_count_y
      - .offset:         56
        .size:           4
        .value_kind:     hidden_block_count_z
      - .offset:         60
        .size:           2
        .value_kind:     hidden_group_size_x
      - .offset:         62
        .size:           2
        .value_kind:     hidden_group_size_y
      - .offset:         64
        .size:           2
        .value_kind:     hidden_group_size_z
      - .offset:         66
        .size:           2
        .value_kind:     hidden_remainder_x
      - .offset:         68
        .size:           2
        .value_kind:     hidden_remainder_y
      - .offset:         70
        .size:           2
        .value_kind:     hidden_remainder_z
      - .offset:         88
        .size:           8
        .value_kind:     hidden_global_offset_x
      - .offset:         96
        .size:           8
        .value_kind:     hidden_global_offset_y
      - .offset:         104
        .size:           8
        .value_kind:     hidden_global_offset_z
      - .offset:         112
        .size:           2
        .value_kind:     hidden_grid_dims
    .group_segment_fixed_size: 0
    .kernarg_segment_align: 8
    .kernarg_segment_size: 304
    .language:       OpenCL C
    .language_version:
      - 2
      - 0
    .max_flat_workgroup_size: 1024
    .name:           _ZN12_GLOBAL__N_121softmax_warp_backwardIN3c108BFloat16ES2_fLi4ELb0ELb0ELi64EEEvPT0_PKT_S7_iiiPKb
    .private_segment_fixed_size: 0
    .sgpr_count:     14
    .sgpr_spill_count: 0
    .symbol:         _ZN12_GLOBAL__N_121softmax_warp_backwardIN3c108BFloat16ES2_fLi4ELb0ELb0ELi64EEEvPT0_PKT_S7_iiiPKb.kd
    .uniform_work_group_size: 1
    .uses_dynamic_stack: false
    .vgpr_count:     14
    .vgpr_spill_count: 0
    .wavefront_size: 32
    .workgroup_processor_mode: 1
  - .args:
      - .address_space:  global
        .offset:         0
        .size:           8
        .value_kind:     global_buffer
      - .address_space:  global
        .offset:         8
        .size:           8
        .value_kind:     global_buffer
      - .address_space:  global
        .offset:         16
        .size:           8
        .value_kind:     global_buffer
      - .offset:         24
        .size:           4
        .value_kind:     by_value
      - .offset:         28
        .size:           4
        .value_kind:     by_value
      - .offset:         32
        .size:           4
        .value_kind:     by_value
      - .address_space:  global
        .offset:         40
        .size:           8
        .value_kind:     global_buffer
      - .offset:         48
        .size:           4
        .value_kind:     hidden_block_count_x
      - .offset:         52
        .size:           4
        .value_kind:     hidden_block_count_y
      - .offset:         56
        .size:           4
        .value_kind:     hidden_block_count_z
      - .offset:         60
        .size:           2
        .value_kind:     hidden_group_size_x
      - .offset:         62
        .size:           2
        .value_kind:     hidden_group_size_y
      - .offset:         64
        .size:           2
        .value_kind:     hidden_group_size_z
      - .offset:         66
        .size:           2
        .value_kind:     hidden_remainder_x
      - .offset:         68
        .size:           2
        .value_kind:     hidden_remainder_y
      - .offset:         70
        .size:           2
        .value_kind:     hidden_remainder_z
      - .offset:         88
        .size:           8
        .value_kind:     hidden_global_offset_x
      - .offset:         96
        .size:           8
        .value_kind:     hidden_global_offset_y
      - .offset:         104
        .size:           8
        .value_kind:     hidden_global_offset_z
      - .offset:         112
        .size:           2
        .value_kind:     hidden_grid_dims
    .group_segment_fixed_size: 0
    .kernarg_segment_align: 8
    .kernarg_segment_size: 304
    .language:       OpenCL C
    .language_version:
      - 2
      - 0
    .max_flat_workgroup_size: 1024
    .name:           _ZN12_GLOBAL__N_121softmax_warp_backwardIN3c108BFloat16ES2_fLi4ELb0ELb0ELi32EEEvPT0_PKT_S7_iiiPKb
    .private_segment_fixed_size: 0
    .sgpr_count:     14
    .sgpr_spill_count: 0
    .symbol:         _ZN12_GLOBAL__N_121softmax_warp_backwardIN3c108BFloat16ES2_fLi4ELb0ELb0ELi32EEEvPT0_PKT_S7_iiiPKb.kd
    .uniform_work_group_size: 1
    .uses_dynamic_stack: false
    .vgpr_count:     14
    .vgpr_spill_count: 0
    .wavefront_size: 32
    .workgroup_processor_mode: 1
  - .args:
      - .address_space:  global
        .offset:         0
        .size:           8
        .value_kind:     global_buffer
      - .address_space:  global
        .offset:         8
        .size:           8
        .value_kind:     global_buffer
      - .address_space:  global
        .offset:         16
        .size:           8
        .value_kind:     global_buffer
      - .offset:         24
        .size:           4
        .value_kind:     by_value
      - .offset:         28
        .size:           4
        .value_kind:     by_value
      - .offset:         32
        .size:           4
        .value_kind:     by_value
      - .address_space:  global
        .offset:         40
        .size:           8
        .value_kind:     global_buffer
      - .offset:         48
        .size:           4
        .value_kind:     hidden_block_count_x
      - .offset:         52
        .size:           4
        .value_kind:     hidden_block_count_y
      - .offset:         56
        .size:           4
        .value_kind:     hidden_block_count_z
      - .offset:         60
        .size:           2
        .value_kind:     hidden_group_size_x
      - .offset:         62
        .size:           2
        .value_kind:     hidden_group_size_y
      - .offset:         64
        .size:           2
        .value_kind:     hidden_group_size_z
      - .offset:         66
        .size:           2
        .value_kind:     hidden_remainder_x
      - .offset:         68
        .size:           2
        .value_kind:     hidden_remainder_y
      - .offset:         70
        .size:           2
        .value_kind:     hidden_remainder_z
      - .offset:         88
        .size:           8
        .value_kind:     hidden_global_offset_x
      - .offset:         96
        .size:           8
        .value_kind:     hidden_global_offset_y
      - .offset:         104
        .size:           8
        .value_kind:     hidden_global_offset_z
      - .offset:         112
        .size:           2
        .value_kind:     hidden_grid_dims
    .group_segment_fixed_size: 0
    .kernarg_segment_align: 8
    .kernarg_segment_size: 304
    .language:       OpenCL C
    .language_version:
      - 2
      - 0
    .max_flat_workgroup_size: 1024
    .name:           _ZN12_GLOBAL__N_121softmax_warp_backwardIN3c108BFloat16ES2_fLi5ELb0ELb0ELi64EEEvPT0_PKT_S7_iiiPKb
    .private_segment_fixed_size: 0
    .sgpr_count:     14
    .sgpr_spill_count: 0
    .symbol:         _ZN12_GLOBAL__N_121softmax_warp_backwardIN3c108BFloat16ES2_fLi5ELb0ELb0ELi64EEEvPT0_PKT_S7_iiiPKb.kd
    .uniform_work_group_size: 1
    .uses_dynamic_stack: false
    .vgpr_count:     13
    .vgpr_spill_count: 0
    .wavefront_size: 32
    .workgroup_processor_mode: 1
  - .args:
      - .address_space:  global
        .offset:         0
        .size:           8
        .value_kind:     global_buffer
      - .address_space:  global
        .offset:         8
        .size:           8
        .value_kind:     global_buffer
      - .address_space:  global
        .offset:         16
        .size:           8
        .value_kind:     global_buffer
      - .offset:         24
        .size:           4
        .value_kind:     by_value
      - .offset:         28
        .size:           4
        .value_kind:     by_value
      - .offset:         32
        .size:           4
        .value_kind:     by_value
      - .address_space:  global
        .offset:         40
        .size:           8
        .value_kind:     global_buffer
      - .offset:         48
        .size:           4
        .value_kind:     hidden_block_count_x
      - .offset:         52
        .size:           4
        .value_kind:     hidden_block_count_y
      - .offset:         56
        .size:           4
        .value_kind:     hidden_block_count_z
      - .offset:         60
        .size:           2
        .value_kind:     hidden_group_size_x
      - .offset:         62
        .size:           2
        .value_kind:     hidden_group_size_y
      - .offset:         64
        .size:           2
        .value_kind:     hidden_group_size_z
      - .offset:         66
        .size:           2
        .value_kind:     hidden_remainder_x
      - .offset:         68
        .size:           2
        .value_kind:     hidden_remainder_y
      - .offset:         70
        .size:           2
        .value_kind:     hidden_remainder_z
      - .offset:         88
        .size:           8
        .value_kind:     hidden_global_offset_x
      - .offset:         96
        .size:           8
        .value_kind:     hidden_global_offset_y
      - .offset:         104
        .size:           8
        .value_kind:     hidden_global_offset_z
      - .offset:         112
        .size:           2
        .value_kind:     hidden_grid_dims
    .group_segment_fixed_size: 0
    .kernarg_segment_align: 8
    .kernarg_segment_size: 304
    .language:       OpenCL C
    .language_version:
      - 2
      - 0
    .max_flat_workgroup_size: 1024
    .name:           _ZN12_GLOBAL__N_121softmax_warp_backwardIN3c108BFloat16ES2_fLi5ELb0ELb0ELi32EEEvPT0_PKT_S7_iiiPKb
    .private_segment_fixed_size: 0
    .sgpr_count:     14
    .sgpr_spill_count: 0
    .symbol:         _ZN12_GLOBAL__N_121softmax_warp_backwardIN3c108BFloat16ES2_fLi5ELb0ELb0ELi32EEEvPT0_PKT_S7_iiiPKb.kd
    .uniform_work_group_size: 1
    .uses_dynamic_stack: false
    .vgpr_count:     13
    .vgpr_spill_count: 0
    .wavefront_size: 32
    .workgroup_processor_mode: 1
  - .args:
      - .address_space:  global
        .offset:         0
        .size:           8
        .value_kind:     global_buffer
      - .address_space:  global
        .offset:         8
        .size:           8
        .value_kind:     global_buffer
      - .address_space:  global
        .offset:         16
        .size:           8
        .value_kind:     global_buffer
      - .offset:         24
        .size:           4
        .value_kind:     by_value
      - .offset:         28
        .size:           4
        .value_kind:     by_value
      - .offset:         32
        .size:           4
        .value_kind:     by_value
      - .address_space:  global
        .offset:         40
        .size:           8
        .value_kind:     global_buffer
      - .offset:         48
        .size:           4
        .value_kind:     hidden_block_count_x
      - .offset:         52
        .size:           4
        .value_kind:     hidden_block_count_y
      - .offset:         56
        .size:           4
        .value_kind:     hidden_block_count_z
      - .offset:         60
        .size:           2
        .value_kind:     hidden_group_size_x
      - .offset:         62
        .size:           2
        .value_kind:     hidden_group_size_y
      - .offset:         64
        .size:           2
        .value_kind:     hidden_group_size_z
      - .offset:         66
        .size:           2
        .value_kind:     hidden_remainder_x
      - .offset:         68
        .size:           2
        .value_kind:     hidden_remainder_y
      - .offset:         70
        .size:           2
        .value_kind:     hidden_remainder_z
      - .offset:         88
        .size:           8
        .value_kind:     hidden_global_offset_x
      - .offset:         96
        .size:           8
        .value_kind:     hidden_global_offset_y
      - .offset:         104
        .size:           8
        .value_kind:     hidden_global_offset_z
      - .offset:         112
        .size:           2
        .value_kind:     hidden_grid_dims
    .group_segment_fixed_size: 0
    .kernarg_segment_align: 8
    .kernarg_segment_size: 304
    .language:       OpenCL C
    .language_version:
      - 2
      - 0
    .max_flat_workgroup_size: 1024
    .name:           _ZN12_GLOBAL__N_121softmax_warp_backwardIN3c108BFloat16ES2_fLi6ELb0ELb0ELi64EEEvPT0_PKT_S7_iiiPKb
    .private_segment_fixed_size: 0
    .sgpr_count:     14
    .sgpr_spill_count: 0
    .symbol:         _ZN12_GLOBAL__N_121softmax_warp_backwardIN3c108BFloat16ES2_fLi6ELb0ELb0ELi64EEEvPT0_PKT_S7_iiiPKb.kd
    .uniform_work_group_size: 1
    .uses_dynamic_stack: false
    .vgpr_count:     13
    .vgpr_spill_count: 0
    .wavefront_size: 32
    .workgroup_processor_mode: 1
  - .args:
      - .address_space:  global
        .offset:         0
        .size:           8
        .value_kind:     global_buffer
      - .address_space:  global
        .offset:         8
        .size:           8
        .value_kind:     global_buffer
      - .address_space:  global
        .offset:         16
        .size:           8
        .value_kind:     global_buffer
      - .offset:         24
        .size:           4
        .value_kind:     by_value
      - .offset:         28
        .size:           4
        .value_kind:     by_value
      - .offset:         32
        .size:           4
        .value_kind:     by_value
      - .address_space:  global
        .offset:         40
        .size:           8
        .value_kind:     global_buffer
      - .offset:         48
        .size:           4
        .value_kind:     hidden_block_count_x
      - .offset:         52
        .size:           4
        .value_kind:     hidden_block_count_y
      - .offset:         56
        .size:           4
        .value_kind:     hidden_block_count_z
      - .offset:         60
        .size:           2
        .value_kind:     hidden_group_size_x
      - .offset:         62
        .size:           2
        .value_kind:     hidden_group_size_y
      - .offset:         64
        .size:           2
        .value_kind:     hidden_group_size_z
      - .offset:         66
        .size:           2
        .value_kind:     hidden_remainder_x
      - .offset:         68
        .size:           2
        .value_kind:     hidden_remainder_y
      - .offset:         70
        .size:           2
        .value_kind:     hidden_remainder_z
      - .offset:         88
        .size:           8
        .value_kind:     hidden_global_offset_x
      - .offset:         96
        .size:           8
        .value_kind:     hidden_global_offset_y
      - .offset:         104
        .size:           8
        .value_kind:     hidden_global_offset_z
      - .offset:         112
        .size:           2
        .value_kind:     hidden_grid_dims
    .group_segment_fixed_size: 0
    .kernarg_segment_align: 8
    .kernarg_segment_size: 304
    .language:       OpenCL C
    .language_version:
      - 2
      - 0
    .max_flat_workgroup_size: 1024
    .name:           _ZN12_GLOBAL__N_121softmax_warp_backwardIN3c108BFloat16ES2_fLi6ELb0ELb0ELi32EEEvPT0_PKT_S7_iiiPKb
    .private_segment_fixed_size: 0
    .sgpr_count:     18
    .sgpr_spill_count: 0
    .symbol:         _ZN12_GLOBAL__N_121softmax_warp_backwardIN3c108BFloat16ES2_fLi6ELb0ELb0ELi32EEEvPT0_PKT_S7_iiiPKb.kd
    .uniform_work_group_size: 1
    .uses_dynamic_stack: false
    .vgpr_count:     17
    .vgpr_spill_count: 0
    .wavefront_size: 32
    .workgroup_processor_mode: 1
  - .args:
      - .address_space:  global
        .offset:         0
        .size:           8
        .value_kind:     global_buffer
      - .address_space:  global
        .offset:         8
        .size:           8
        .value_kind:     global_buffer
      - .address_space:  global
        .offset:         16
        .size:           8
        .value_kind:     global_buffer
      - .offset:         24
        .size:           4
        .value_kind:     by_value
      - .offset:         28
        .size:           4
        .value_kind:     by_value
      - .offset:         32
        .size:           4
        .value_kind:     by_value
      - .address_space:  global
        .offset:         40
        .size:           8
        .value_kind:     global_buffer
      - .offset:         48
        .size:           4
        .value_kind:     hidden_block_count_x
      - .offset:         52
        .size:           4
        .value_kind:     hidden_block_count_y
      - .offset:         56
        .size:           4
        .value_kind:     hidden_block_count_z
      - .offset:         60
        .size:           2
        .value_kind:     hidden_group_size_x
      - .offset:         62
        .size:           2
        .value_kind:     hidden_group_size_y
      - .offset:         64
        .size:           2
        .value_kind:     hidden_group_size_z
      - .offset:         66
        .size:           2
        .value_kind:     hidden_remainder_x
      - .offset:         68
        .size:           2
        .value_kind:     hidden_remainder_y
      - .offset:         70
        .size:           2
        .value_kind:     hidden_remainder_z
      - .offset:         88
        .size:           8
        .value_kind:     hidden_global_offset_x
      - .offset:         96
        .size:           8
        .value_kind:     hidden_global_offset_y
      - .offset:         104
        .size:           8
        .value_kind:     hidden_global_offset_z
      - .offset:         112
        .size:           2
        .value_kind:     hidden_grid_dims
    .group_segment_fixed_size: 0
    .kernarg_segment_align: 8
    .kernarg_segment_size: 304
    .language:       OpenCL C
    .language_version:
      - 2
      - 0
    .max_flat_workgroup_size: 1024
    .name:           _ZN12_GLOBAL__N_121softmax_warp_backwardIN3c108BFloat16ES2_fLi7ELb0ELb0ELi64EEEvPT0_PKT_S7_iiiPKb
    .private_segment_fixed_size: 0
    .sgpr_count:     18
    .sgpr_spill_count: 0
    .symbol:         _ZN12_GLOBAL__N_121softmax_warp_backwardIN3c108BFloat16ES2_fLi7ELb0ELb0ELi64EEEvPT0_PKT_S7_iiiPKb.kd
    .uniform_work_group_size: 1
    .uses_dynamic_stack: false
    .vgpr_count:     17
    .vgpr_spill_count: 0
    .wavefront_size: 32
    .workgroup_processor_mode: 1
  - .args:
      - .address_space:  global
        .offset:         0
        .size:           8
        .value_kind:     global_buffer
      - .address_space:  global
        .offset:         8
        .size:           8
        .value_kind:     global_buffer
      - .address_space:  global
        .offset:         16
        .size:           8
        .value_kind:     global_buffer
      - .offset:         24
        .size:           4
        .value_kind:     by_value
      - .offset:         28
        .size:           4
        .value_kind:     by_value
      - .offset:         32
        .size:           4
        .value_kind:     by_value
      - .address_space:  global
        .offset:         40
        .size:           8
        .value_kind:     global_buffer
      - .offset:         48
        .size:           4
        .value_kind:     hidden_block_count_x
      - .offset:         52
        .size:           4
        .value_kind:     hidden_block_count_y
      - .offset:         56
        .size:           4
        .value_kind:     hidden_block_count_z
      - .offset:         60
        .size:           2
        .value_kind:     hidden_group_size_x
      - .offset:         62
        .size:           2
        .value_kind:     hidden_group_size_y
      - .offset:         64
        .size:           2
        .value_kind:     hidden_group_size_z
      - .offset:         66
        .size:           2
        .value_kind:     hidden_remainder_x
      - .offset:         68
        .size:           2
        .value_kind:     hidden_remainder_y
      - .offset:         70
        .size:           2
        .value_kind:     hidden_remainder_z
      - .offset:         88
        .size:           8
        .value_kind:     hidden_global_offset_x
      - .offset:         96
        .size:           8
        .value_kind:     hidden_global_offset_y
      - .offset:         104
        .size:           8
        .value_kind:     hidden_global_offset_z
      - .offset:         112
        .size:           2
        .value_kind:     hidden_grid_dims
    .group_segment_fixed_size: 0
    .kernarg_segment_align: 8
    .kernarg_segment_size: 304
    .language:       OpenCL C
    .language_version:
      - 2
      - 0
    .max_flat_workgroup_size: 1024
    .name:           _ZN12_GLOBAL__N_121softmax_warp_backwardIN3c108BFloat16ES2_fLi7ELb0ELb0ELi32EEEvPT0_PKT_S7_iiiPKb
    .private_segment_fixed_size: 0
    .sgpr_count:     18
    .sgpr_spill_count: 0
    .symbol:         _ZN12_GLOBAL__N_121softmax_warp_backwardIN3c108BFloat16ES2_fLi7ELb0ELb0ELi32EEEvPT0_PKT_S7_iiiPKb.kd
    .uniform_work_group_size: 1
    .uses_dynamic_stack: false
    .vgpr_count:     25
    .vgpr_spill_count: 0
    .wavefront_size: 32
    .workgroup_processor_mode: 1
  - .args:
      - .address_space:  global
        .offset:         0
        .size:           8
        .value_kind:     global_buffer
      - .address_space:  global
        .offset:         8
        .size:           8
        .value_kind:     global_buffer
      - .address_space:  global
        .offset:         16
        .size:           8
        .value_kind:     global_buffer
      - .offset:         24
        .size:           4
        .value_kind:     by_value
      - .offset:         28
        .size:           4
        .value_kind:     by_value
      - .offset:         32
        .size:           4
        .value_kind:     by_value
      - .address_space:  global
        .offset:         40
        .size:           8
        .value_kind:     global_buffer
      - .offset:         48
        .size:           4
        .value_kind:     hidden_block_count_x
      - .offset:         52
        .size:           4
        .value_kind:     hidden_block_count_y
      - .offset:         56
        .size:           4
        .value_kind:     hidden_block_count_z
      - .offset:         60
        .size:           2
        .value_kind:     hidden_group_size_x
      - .offset:         62
        .size:           2
        .value_kind:     hidden_group_size_y
      - .offset:         64
        .size:           2
        .value_kind:     hidden_group_size_z
      - .offset:         66
        .size:           2
        .value_kind:     hidden_remainder_x
      - .offset:         68
        .size:           2
        .value_kind:     hidden_remainder_y
      - .offset:         70
        .size:           2
        .value_kind:     hidden_remainder_z
      - .offset:         88
        .size:           8
        .value_kind:     hidden_global_offset_x
      - .offset:         96
        .size:           8
        .value_kind:     hidden_global_offset_y
      - .offset:         104
        .size:           8
        .value_kind:     hidden_global_offset_z
      - .offset:         112
        .size:           2
        .value_kind:     hidden_grid_dims
    .group_segment_fixed_size: 0
    .kernarg_segment_align: 8
    .kernarg_segment_size: 304
    .language:       OpenCL C
    .language_version:
      - 2
      - 0
    .max_flat_workgroup_size: 1024
    .name:           _ZN12_GLOBAL__N_121softmax_warp_backwardIN3c108BFloat16ES2_fLi8ELb0ELb0ELi64EEEvPT0_PKT_S7_iiiPKb
    .private_segment_fixed_size: 0
    .sgpr_count:     14
    .sgpr_spill_count: 0
    .symbol:         _ZN12_GLOBAL__N_121softmax_warp_backwardIN3c108BFloat16ES2_fLi8ELb0ELb0ELi64EEEvPT0_PKT_S7_iiiPKb.kd
    .uniform_work_group_size: 1
    .uses_dynamic_stack: false
    .vgpr_count:     15
    .vgpr_spill_count: 0
    .wavefront_size: 32
    .workgroup_processor_mode: 1
  - .args:
      - .address_space:  global
        .offset:         0
        .size:           8
        .value_kind:     global_buffer
      - .address_space:  global
        .offset:         8
        .size:           8
        .value_kind:     global_buffer
      - .address_space:  global
        .offset:         16
        .size:           8
        .value_kind:     global_buffer
      - .offset:         24
        .size:           4
        .value_kind:     by_value
      - .offset:         28
        .size:           4
        .value_kind:     by_value
      - .offset:         32
        .size:           4
        .value_kind:     by_value
      - .address_space:  global
        .offset:         40
        .size:           8
        .value_kind:     global_buffer
      - .offset:         48
        .size:           4
        .value_kind:     hidden_block_count_x
      - .offset:         52
        .size:           4
        .value_kind:     hidden_block_count_y
      - .offset:         56
        .size:           4
        .value_kind:     hidden_block_count_z
      - .offset:         60
        .size:           2
        .value_kind:     hidden_group_size_x
      - .offset:         62
        .size:           2
        .value_kind:     hidden_group_size_y
      - .offset:         64
        .size:           2
        .value_kind:     hidden_group_size_z
      - .offset:         66
        .size:           2
        .value_kind:     hidden_remainder_x
      - .offset:         68
        .size:           2
        .value_kind:     hidden_remainder_y
      - .offset:         70
        .size:           2
        .value_kind:     hidden_remainder_z
      - .offset:         88
        .size:           8
        .value_kind:     hidden_global_offset_x
      - .offset:         96
        .size:           8
        .value_kind:     hidden_global_offset_y
      - .offset:         104
        .size:           8
        .value_kind:     hidden_global_offset_z
      - .offset:         112
        .size:           2
        .value_kind:     hidden_grid_dims
    .group_segment_fixed_size: 0
    .kernarg_segment_align: 8
    .kernarg_segment_size: 304
    .language:       OpenCL C
    .language_version:
      - 2
      - 0
    .max_flat_workgroup_size: 1024
    .name:           _ZN12_GLOBAL__N_121softmax_warp_backwardIN3c108BFloat16ES2_fLi8ELb0ELb0ELi32EEEvPT0_PKT_S7_iiiPKb
    .private_segment_fixed_size: 0
    .sgpr_count:     18
    .sgpr_spill_count: 0
    .symbol:         _ZN12_GLOBAL__N_121softmax_warp_backwardIN3c108BFloat16ES2_fLi8ELb0ELb0ELi32EEEvPT0_PKT_S7_iiiPKb.kd
    .uniform_work_group_size: 1
    .uses_dynamic_stack: false
    .vgpr_count:     23
    .vgpr_spill_count: 0
    .wavefront_size: 32
    .workgroup_processor_mode: 1
  - .args:
      - .address_space:  global
        .offset:         0
        .size:           8
        .value_kind:     global_buffer
      - .address_space:  global
        .offset:         8
        .size:           8
        .value_kind:     global_buffer
      - .address_space:  global
        .offset:         16
        .size:           8
        .value_kind:     global_buffer
      - .offset:         24
        .size:           4
        .value_kind:     by_value
      - .offset:         28
        .size:           4
        .value_kind:     by_value
      - .offset:         32
        .size:           4
        .value_kind:     by_value
      - .address_space:  global
        .offset:         40
        .size:           8
        .value_kind:     global_buffer
      - .offset:         48
        .size:           4
        .value_kind:     hidden_block_count_x
      - .offset:         52
        .size:           4
        .value_kind:     hidden_block_count_y
      - .offset:         56
        .size:           4
        .value_kind:     hidden_block_count_z
      - .offset:         60
        .size:           2
        .value_kind:     hidden_group_size_x
      - .offset:         62
        .size:           2
        .value_kind:     hidden_group_size_y
      - .offset:         64
        .size:           2
        .value_kind:     hidden_group_size_z
      - .offset:         66
        .size:           2
        .value_kind:     hidden_remainder_x
      - .offset:         68
        .size:           2
        .value_kind:     hidden_remainder_y
      - .offset:         70
        .size:           2
        .value_kind:     hidden_remainder_z
      - .offset:         88
        .size:           8
        .value_kind:     hidden_global_offset_x
      - .offset:         96
        .size:           8
        .value_kind:     hidden_global_offset_y
      - .offset:         104
        .size:           8
        .value_kind:     hidden_global_offset_z
      - .offset:         112
        .size:           2
        .value_kind:     hidden_grid_dims
    .group_segment_fixed_size: 0
    .kernarg_segment_align: 8
    .kernarg_segment_size: 304
    .language:       OpenCL C
    .language_version:
      - 2
      - 0
    .max_flat_workgroup_size: 1024
    .name:           _ZN12_GLOBAL__N_121softmax_warp_backwardIN3c108BFloat16ES2_fLi9ELb0ELb0ELi64EEEvPT0_PKT_S7_iiiPKb
    .private_segment_fixed_size: 0
    .sgpr_count:     18
    .sgpr_spill_count: 0
    .symbol:         _ZN12_GLOBAL__N_121softmax_warp_backwardIN3c108BFloat16ES2_fLi9ELb0ELb0ELi64EEEvPT0_PKT_S7_iiiPKb.kd
    .uniform_work_group_size: 1
    .uses_dynamic_stack: false
    .vgpr_count:     23
    .vgpr_spill_count: 0
    .wavefront_size: 32
    .workgroup_processor_mode: 1
  - .args:
      - .address_space:  global
        .offset:         0
        .size:           8
        .value_kind:     global_buffer
      - .address_space:  global
        .offset:         8
        .size:           8
        .value_kind:     global_buffer
      - .address_space:  global
        .offset:         16
        .size:           8
        .value_kind:     global_buffer
      - .offset:         24
        .size:           4
        .value_kind:     by_value
      - .offset:         28
        .size:           4
        .value_kind:     by_value
      - .offset:         32
        .size:           4
        .value_kind:     by_value
      - .address_space:  global
        .offset:         40
        .size:           8
        .value_kind:     global_buffer
      - .offset:         48
        .size:           4
        .value_kind:     hidden_block_count_x
      - .offset:         52
        .size:           4
        .value_kind:     hidden_block_count_y
      - .offset:         56
        .size:           4
        .value_kind:     hidden_block_count_z
      - .offset:         60
        .size:           2
        .value_kind:     hidden_group_size_x
      - .offset:         62
        .size:           2
        .value_kind:     hidden_group_size_y
      - .offset:         64
        .size:           2
        .value_kind:     hidden_group_size_z
      - .offset:         66
        .size:           2
        .value_kind:     hidden_remainder_x
      - .offset:         68
        .size:           2
        .value_kind:     hidden_remainder_y
      - .offset:         70
        .size:           2
        .value_kind:     hidden_remainder_z
      - .offset:         88
        .size:           8
        .value_kind:     hidden_global_offset_x
      - .offset:         96
        .size:           8
        .value_kind:     hidden_global_offset_y
      - .offset:         104
        .size:           8
        .value_kind:     hidden_global_offset_z
      - .offset:         112
        .size:           2
        .value_kind:     hidden_grid_dims
    .group_segment_fixed_size: 0
    .kernarg_segment_align: 8
    .kernarg_segment_size: 304
    .language:       OpenCL C
    .language_version:
      - 2
      - 0
    .max_flat_workgroup_size: 1024
    .name:           _ZN12_GLOBAL__N_121softmax_warp_backwardIN3c108BFloat16ES2_fLi9ELb0ELb0ELi32EEEvPT0_PKT_S7_iiiPKb
    .private_segment_fixed_size: 0
    .sgpr_count:     26
    .sgpr_spill_count: 0
    .symbol:         _ZN12_GLOBAL__N_121softmax_warp_backwardIN3c108BFloat16ES2_fLi9ELb0ELb0ELi32EEEvPT0_PKT_S7_iiiPKb.kd
    .uniform_work_group_size: 1
    .uses_dynamic_stack: false
    .vgpr_count:     39
    .vgpr_spill_count: 0
    .wavefront_size: 32
    .workgroup_processor_mode: 1
  - .args:
      - .address_space:  global
        .offset:         0
        .size:           8
        .value_kind:     global_buffer
      - .address_space:  global
        .offset:         8
        .size:           8
        .value_kind:     global_buffer
      - .address_space:  global
        .offset:         16
        .size:           8
        .value_kind:     global_buffer
      - .offset:         24
        .size:           4
        .value_kind:     by_value
      - .offset:         28
        .size:           4
        .value_kind:     by_value
      - .offset:         32
        .size:           4
        .value_kind:     by_value
      - .address_space:  global
        .offset:         40
        .size:           8
        .value_kind:     global_buffer
      - .offset:         48
        .size:           4
        .value_kind:     hidden_block_count_x
      - .offset:         52
        .size:           4
        .value_kind:     hidden_block_count_y
      - .offset:         56
        .size:           4
        .value_kind:     hidden_block_count_z
      - .offset:         60
        .size:           2
        .value_kind:     hidden_group_size_x
      - .offset:         62
        .size:           2
        .value_kind:     hidden_group_size_y
      - .offset:         64
        .size:           2
        .value_kind:     hidden_group_size_z
      - .offset:         66
        .size:           2
        .value_kind:     hidden_remainder_x
      - .offset:         68
        .size:           2
        .value_kind:     hidden_remainder_y
      - .offset:         70
        .size:           2
        .value_kind:     hidden_remainder_z
      - .offset:         88
        .size:           8
        .value_kind:     hidden_global_offset_x
      - .offset:         96
        .size:           8
        .value_kind:     hidden_global_offset_y
      - .offset:         104
        .size:           8
        .value_kind:     hidden_global_offset_z
      - .offset:         112
        .size:           2
        .value_kind:     hidden_grid_dims
    .group_segment_fixed_size: 0
    .kernarg_segment_align: 8
    .kernarg_segment_size: 304
    .language:       OpenCL C
    .language_version:
      - 2
      - 0
    .max_flat_workgroup_size: 1024
    .name:           _ZN12_GLOBAL__N_121softmax_warp_backwardIN3c108BFloat16ES2_fLi10ELb0ELb0ELi64EEEvPT0_PKT_S7_iiiPKb
    .private_segment_fixed_size: 0
    .sgpr_count:     26
    .sgpr_spill_count: 0
    .symbol:         _ZN12_GLOBAL__N_121softmax_warp_backwardIN3c108BFloat16ES2_fLi10ELb0ELb0ELi64EEEvPT0_PKT_S7_iiiPKb.kd
    .uniform_work_group_size: 1
    .uses_dynamic_stack: false
    .vgpr_count:     40
    .vgpr_spill_count: 0
    .wavefront_size: 32
    .workgroup_processor_mode: 1
  - .args:
      - .address_space:  global
        .offset:         0
        .size:           8
        .value_kind:     global_buffer
      - .address_space:  global
        .offset:         8
        .size:           8
        .value_kind:     global_buffer
      - .address_space:  global
        .offset:         16
        .size:           8
        .value_kind:     global_buffer
      - .offset:         24
        .size:           4
        .value_kind:     by_value
      - .offset:         28
        .size:           4
        .value_kind:     by_value
      - .offset:         32
        .size:           4
        .value_kind:     by_value
      - .address_space:  global
        .offset:         40
        .size:           8
        .value_kind:     global_buffer
      - .offset:         48
        .size:           4
        .value_kind:     hidden_block_count_x
      - .offset:         52
        .size:           4
        .value_kind:     hidden_block_count_y
      - .offset:         56
        .size:           4
        .value_kind:     hidden_block_count_z
      - .offset:         60
        .size:           2
        .value_kind:     hidden_group_size_x
      - .offset:         62
        .size:           2
        .value_kind:     hidden_group_size_y
      - .offset:         64
        .size:           2
        .value_kind:     hidden_group_size_z
      - .offset:         66
        .size:           2
        .value_kind:     hidden_remainder_x
      - .offset:         68
        .size:           2
        .value_kind:     hidden_remainder_y
      - .offset:         70
        .size:           2
        .value_kind:     hidden_remainder_z
      - .offset:         88
        .size:           8
        .value_kind:     hidden_global_offset_x
      - .offset:         96
        .size:           8
        .value_kind:     hidden_global_offset_y
      - .offset:         104
        .size:           8
        .value_kind:     hidden_global_offset_z
      - .offset:         112
        .size:           2
        .value_kind:     hidden_grid_dims
    .group_segment_fixed_size: 0
    .kernarg_segment_align: 8
    .kernarg_segment_size: 304
    .language:       OpenCL C
    .language_version:
      - 2
      - 0
    .max_flat_workgroup_size: 1024
    .name:           _ZN12_GLOBAL__N_121softmax_warp_backwardIN3c108BFloat16ES2_fLi10ELb0ELb0ELi32EEEvPT0_PKT_S7_iiiPKb
    .private_segment_fixed_size: 0
    .sgpr_count:     46
    .sgpr_spill_count: 0
    .symbol:         _ZN12_GLOBAL__N_121softmax_warp_backwardIN3c108BFloat16ES2_fLi10ELb0ELb0ELi32EEEvPT0_PKT_S7_iiiPKb.kd
    .uniform_work_group_size: 1
    .uses_dynamic_stack: false
    .vgpr_count:     72
    .vgpr_spill_count: 0
    .wavefront_size: 32
    .workgroup_processor_mode: 1
  - .args:
      - .address_space:  global
        .offset:         0
        .size:           8
        .value_kind:     global_buffer
      - .address_space:  global
        .offset:         8
        .size:           8
        .value_kind:     global_buffer
      - .address_space:  global
        .offset:         16
        .size:           8
        .value_kind:     global_buffer
      - .offset:         24
        .size:           8
        .value_kind:     by_value
      - .offset:         32
        .size:           4
        .value_kind:     hidden_block_count_x
      - .offset:         36
        .size:           4
        .value_kind:     hidden_block_count_y
      - .offset:         40
        .size:           4
        .value_kind:     hidden_block_count_z
      - .offset:         44
        .size:           2
        .value_kind:     hidden_group_size_x
      - .offset:         46
        .size:           2
        .value_kind:     hidden_group_size_y
      - .offset:         48
        .size:           2
        .value_kind:     hidden_group_size_z
      - .offset:         50
        .size:           2
        .value_kind:     hidden_remainder_x
      - .offset:         52
        .size:           2
        .value_kind:     hidden_remainder_y
      - .offset:         54
        .size:           2
        .value_kind:     hidden_remainder_z
      - .offset:         72
        .size:           8
        .value_kind:     hidden_global_offset_x
      - .offset:         80
        .size:           8
        .value_kind:     hidden_global_offset_y
      - .offset:         88
        .size:           8
        .value_kind:     hidden_global_offset_z
      - .offset:         96
        .size:           2
        .value_kind:     hidden_grid_dims
      - .offset:         152
        .size:           4
        .value_kind:     hidden_dynamic_lds_size
    .group_segment_fixed_size: 0
    .kernarg_segment_align: 8
    .kernarg_segment_size: 288
    .language:       OpenCL C
    .language_version:
      - 2
      - 0
    .max_flat_workgroup_size: 1024
    .name:           _ZN2at6native12_GLOBAL__N_124cunn_SoftMaxBackwardSmemILi8EN3c108BFloat16EfS4_NS1_23SoftMaxBackwardEpilogueEEEvPT0_PKT2_SA_l
    .private_segment_fixed_size: 0
    .sgpr_count:     21
    .sgpr_spill_count: 0
    .symbol:         _ZN2at6native12_GLOBAL__N_124cunn_SoftMaxBackwardSmemILi8EN3c108BFloat16EfS4_NS1_23SoftMaxBackwardEpilogueEEEvPT0_PKT2_SA_l.kd
    .uniform_work_group_size: 1
    .uses_dynamic_stack: false
    .vgpr_count:     23
    .vgpr_spill_count: 0
    .wavefront_size: 32
    .workgroup_processor_mode: 1
  - .args:
      - .address_space:  global
        .offset:         0
        .size:           8
        .value_kind:     global_buffer
      - .address_space:  global
        .offset:         8
        .size:           8
        .value_kind:     global_buffer
      - .address_space:  global
        .offset:         16
        .size:           8
        .value_kind:     global_buffer
      - .offset:         24
        .size:           8
        .value_kind:     by_value
      - .offset:         32
        .size:           4
        .value_kind:     hidden_block_count_x
      - .offset:         36
        .size:           4
        .value_kind:     hidden_block_count_y
      - .offset:         40
        .size:           4
        .value_kind:     hidden_block_count_z
      - .offset:         44
        .size:           2
        .value_kind:     hidden_group_size_x
      - .offset:         46
        .size:           2
        .value_kind:     hidden_group_size_y
      - .offset:         48
        .size:           2
        .value_kind:     hidden_group_size_z
      - .offset:         50
        .size:           2
        .value_kind:     hidden_remainder_x
      - .offset:         52
        .size:           2
        .value_kind:     hidden_remainder_y
      - .offset:         54
        .size:           2
        .value_kind:     hidden_remainder_z
      - .offset:         72
        .size:           8
        .value_kind:     hidden_global_offset_x
      - .offset:         80
        .size:           8
        .value_kind:     hidden_global_offset_y
      - .offset:         88
        .size:           8
        .value_kind:     hidden_global_offset_z
      - .offset:         96
        .size:           2
        .value_kind:     hidden_grid_dims
      - .offset:         152
        .size:           4
        .value_kind:     hidden_dynamic_lds_size
    .group_segment_fixed_size: 0
    .kernarg_segment_align: 8
    .kernarg_segment_size: 288
    .language:       OpenCL C
    .language_version:
      - 2
      - 0
    .max_flat_workgroup_size: 1024
    .name:           _ZN2at6native12_GLOBAL__N_120cunn_SoftMaxBackwardILi8EN3c108BFloat16EfS4_NS1_23SoftMaxBackwardEpilogueEEEvPT0_PKT2_SA_l
    .private_segment_fixed_size: 0
    .sgpr_count:     42
    .sgpr_spill_count: 0
    .symbol:         _ZN2at6native12_GLOBAL__N_120cunn_SoftMaxBackwardILi8EN3c108BFloat16EfS4_NS1_23SoftMaxBackwardEpilogueEEEvPT0_PKT2_SA_l.kd
    .uniform_work_group_size: 1
    .uses_dynamic_stack: false
    .vgpr_count:     53
    .vgpr_spill_count: 0
    .wavefront_size: 32
    .workgroup_processor_mode: 1
  - .args:
      - .address_space:  global
        .offset:         0
        .size:           8
        .value_kind:     global_buffer
      - .address_space:  global
        .offset:         8
        .size:           8
        .value_kind:     global_buffer
      - .address_space:  global
        .offset:         16
        .size:           8
        .value_kind:     global_buffer
      - .offset:         24
        .size:           4
        .value_kind:     by_value
      - .offset:         28
        .size:           4
        .value_kind:     by_value
      - .offset:         32
        .size:           4
        .value_kind:     by_value
      - .address_space:  global
        .offset:         40
        .size:           8
        .value_kind:     global_buffer
      - .offset:         48
        .size:           4
        .value_kind:     hidden_block_count_x
      - .offset:         52
        .size:           4
        .value_kind:     hidden_block_count_y
      - .offset:         56
        .size:           4
        .value_kind:     hidden_block_count_z
      - .offset:         60
        .size:           2
        .value_kind:     hidden_group_size_x
      - .offset:         62
        .size:           2
        .value_kind:     hidden_group_size_y
      - .offset:         64
        .size:           2
        .value_kind:     hidden_group_size_z
      - .offset:         66
        .size:           2
        .value_kind:     hidden_remainder_x
      - .offset:         68
        .size:           2
        .value_kind:     hidden_remainder_y
      - .offset:         70
        .size:           2
        .value_kind:     hidden_remainder_z
      - .offset:         88
        .size:           8
        .value_kind:     hidden_global_offset_x
      - .offset:         96
        .size:           8
        .value_kind:     hidden_global_offset_y
      - .offset:         104
        .size:           8
        .value_kind:     hidden_global_offset_z
      - .offset:         112
        .size:           2
        .value_kind:     hidden_grid_dims
    .group_segment_fixed_size: 0
    .kernarg_segment_align: 8
    .kernarg_segment_size: 304
    .language:       OpenCL C
    .language_version:
      - 2
      - 0
    .max_flat_workgroup_size: 1024
    .name:           _ZN12_GLOBAL__N_121softmax_warp_backwardIfN3c108BFloat16EfLi0ELb0ELb0ELi64EEEvPT0_PKT_S7_iiiPKb
    .private_segment_fixed_size: 0
    .sgpr_count:     14
    .sgpr_spill_count: 0
    .symbol:         _ZN12_GLOBAL__N_121softmax_warp_backwardIfN3c108BFloat16EfLi0ELb0ELb0ELi64EEEvPT0_PKT_S7_iiiPKb.kd
    .uniform_work_group_size: 1
    .uses_dynamic_stack: false
    .vgpr_count:     11
    .vgpr_spill_count: 0
    .wavefront_size: 32
    .workgroup_processor_mode: 1
  - .args:
      - .address_space:  global
        .offset:         0
        .size:           8
        .value_kind:     global_buffer
      - .address_space:  global
        .offset:         8
        .size:           8
        .value_kind:     global_buffer
      - .address_space:  global
        .offset:         16
        .size:           8
        .value_kind:     global_buffer
      - .offset:         24
        .size:           4
        .value_kind:     by_value
      - .offset:         28
        .size:           4
        .value_kind:     by_value
      - .offset:         32
        .size:           4
        .value_kind:     by_value
      - .address_space:  global
        .offset:         40
        .size:           8
        .value_kind:     global_buffer
      - .offset:         48
        .size:           4
        .value_kind:     hidden_block_count_x
      - .offset:         52
        .size:           4
        .value_kind:     hidden_block_count_y
      - .offset:         56
        .size:           4
        .value_kind:     hidden_block_count_z
      - .offset:         60
        .size:           2
        .value_kind:     hidden_group_size_x
      - .offset:         62
        .size:           2
        .value_kind:     hidden_group_size_y
      - .offset:         64
        .size:           2
        .value_kind:     hidden_group_size_z
      - .offset:         66
        .size:           2
        .value_kind:     hidden_remainder_x
      - .offset:         68
        .size:           2
        .value_kind:     hidden_remainder_y
      - .offset:         70
        .size:           2
        .value_kind:     hidden_remainder_z
      - .offset:         88
        .size:           8
        .value_kind:     hidden_global_offset_x
      - .offset:         96
        .size:           8
        .value_kind:     hidden_global_offset_y
      - .offset:         104
        .size:           8
        .value_kind:     hidden_global_offset_z
      - .offset:         112
        .size:           2
        .value_kind:     hidden_grid_dims
    .group_segment_fixed_size: 0
    .kernarg_segment_align: 8
    .kernarg_segment_size: 304
    .language:       OpenCL C
    .language_version:
      - 2
      - 0
    .max_flat_workgroup_size: 1024
    .name:           _ZN12_GLOBAL__N_121softmax_warp_backwardIfN3c108BFloat16EfLi0ELb0ELb0ELi32EEEvPT0_PKT_S7_iiiPKb
    .private_segment_fixed_size: 0
    .sgpr_count:     14
    .sgpr_spill_count: 0
    .symbol:         _ZN12_GLOBAL__N_121softmax_warp_backwardIfN3c108BFloat16EfLi0ELb0ELb0ELi32EEEvPT0_PKT_S7_iiiPKb.kd
    .uniform_work_group_size: 1
    .uses_dynamic_stack: false
    .vgpr_count:     11
    .vgpr_spill_count: 0
    .wavefront_size: 32
    .workgroup_processor_mode: 1
  - .args:
      - .address_space:  global
        .offset:         0
        .size:           8
        .value_kind:     global_buffer
      - .address_space:  global
        .offset:         8
        .size:           8
        .value_kind:     global_buffer
      - .address_space:  global
        .offset:         16
        .size:           8
        .value_kind:     global_buffer
      - .offset:         24
        .size:           4
        .value_kind:     by_value
      - .offset:         28
        .size:           4
        .value_kind:     by_value
      - .offset:         32
        .size:           4
        .value_kind:     by_value
      - .address_space:  global
        .offset:         40
        .size:           8
        .value_kind:     global_buffer
      - .offset:         48
        .size:           4
        .value_kind:     hidden_block_count_x
      - .offset:         52
        .size:           4
        .value_kind:     hidden_block_count_y
      - .offset:         56
        .size:           4
        .value_kind:     hidden_block_count_z
      - .offset:         60
        .size:           2
        .value_kind:     hidden_group_size_x
      - .offset:         62
        .size:           2
        .value_kind:     hidden_group_size_y
      - .offset:         64
        .size:           2
        .value_kind:     hidden_group_size_z
      - .offset:         66
        .size:           2
        .value_kind:     hidden_remainder_x
      - .offset:         68
        .size:           2
        .value_kind:     hidden_remainder_y
      - .offset:         70
        .size:           2
        .value_kind:     hidden_remainder_z
      - .offset:         88
        .size:           8
        .value_kind:     hidden_global_offset_x
      - .offset:         96
        .size:           8
        .value_kind:     hidden_global_offset_y
      - .offset:         104
        .size:           8
        .value_kind:     hidden_global_offset_z
      - .offset:         112
        .size:           2
        .value_kind:     hidden_grid_dims
    .group_segment_fixed_size: 0
    .kernarg_segment_align: 8
    .kernarg_segment_size: 304
    .language:       OpenCL C
    .language_version:
      - 2
      - 0
    .max_flat_workgroup_size: 1024
    .name:           _ZN12_GLOBAL__N_121softmax_warp_backwardIfN3c108BFloat16EfLi1ELb0ELb0ELi64EEEvPT0_PKT_S7_iiiPKb
    .private_segment_fixed_size: 0
    .sgpr_count:     14
    .sgpr_spill_count: 0
    .symbol:         _ZN12_GLOBAL__N_121softmax_warp_backwardIfN3c108BFloat16EfLi1ELb0ELb0ELi64EEEvPT0_PKT_S7_iiiPKb.kd
    .uniform_work_group_size: 1
    .uses_dynamic_stack: false
    .vgpr_count:     11
    .vgpr_spill_count: 0
    .wavefront_size: 32
    .workgroup_processor_mode: 1
  - .args:
      - .address_space:  global
        .offset:         0
        .size:           8
        .value_kind:     global_buffer
      - .address_space:  global
        .offset:         8
        .size:           8
        .value_kind:     global_buffer
      - .address_space:  global
        .offset:         16
        .size:           8
        .value_kind:     global_buffer
      - .offset:         24
        .size:           4
        .value_kind:     by_value
      - .offset:         28
        .size:           4
        .value_kind:     by_value
      - .offset:         32
        .size:           4
        .value_kind:     by_value
      - .address_space:  global
        .offset:         40
        .size:           8
        .value_kind:     global_buffer
      - .offset:         48
        .size:           4
        .value_kind:     hidden_block_count_x
      - .offset:         52
        .size:           4
        .value_kind:     hidden_block_count_y
      - .offset:         56
        .size:           4
        .value_kind:     hidden_block_count_z
      - .offset:         60
        .size:           2
        .value_kind:     hidden_group_size_x
      - .offset:         62
        .size:           2
        .value_kind:     hidden_group_size_y
      - .offset:         64
        .size:           2
        .value_kind:     hidden_group_size_z
      - .offset:         66
        .size:           2
        .value_kind:     hidden_remainder_x
      - .offset:         68
        .size:           2
        .value_kind:     hidden_remainder_y
      - .offset:         70
        .size:           2
        .value_kind:     hidden_remainder_z
      - .offset:         88
        .size:           8
        .value_kind:     hidden_global_offset_x
      - .offset:         96
        .size:           8
        .value_kind:     hidden_global_offset_y
      - .offset:         104
        .size:           8
        .value_kind:     hidden_global_offset_z
      - .offset:         112
        .size:           2
        .value_kind:     hidden_grid_dims
    .group_segment_fixed_size: 0
    .kernarg_segment_align: 8
    .kernarg_segment_size: 304
    .language:       OpenCL C
    .language_version:
      - 2
      - 0
    .max_flat_workgroup_size: 1024
    .name:           _ZN12_GLOBAL__N_121softmax_warp_backwardIfN3c108BFloat16EfLi1ELb0ELb0ELi32EEEvPT0_PKT_S7_iiiPKb
    .private_segment_fixed_size: 0
    .sgpr_count:     14
    .sgpr_spill_count: 0
    .symbol:         _ZN12_GLOBAL__N_121softmax_warp_backwardIfN3c108BFloat16EfLi1ELb0ELb0ELi32EEEvPT0_PKT_S7_iiiPKb.kd
    .uniform_work_group_size: 1
    .uses_dynamic_stack: false
    .vgpr_count:     11
    .vgpr_spill_count: 0
    .wavefront_size: 32
    .workgroup_processor_mode: 1
  - .args:
      - .address_space:  global
        .offset:         0
        .size:           8
        .value_kind:     global_buffer
      - .address_space:  global
        .offset:         8
        .size:           8
        .value_kind:     global_buffer
      - .address_space:  global
        .offset:         16
        .size:           8
        .value_kind:     global_buffer
      - .offset:         24
        .size:           4
        .value_kind:     by_value
      - .offset:         28
        .size:           4
        .value_kind:     by_value
      - .offset:         32
        .size:           4
        .value_kind:     by_value
      - .address_space:  global
        .offset:         40
        .size:           8
        .value_kind:     global_buffer
      - .offset:         48
        .size:           4
        .value_kind:     hidden_block_count_x
      - .offset:         52
        .size:           4
        .value_kind:     hidden_block_count_y
      - .offset:         56
        .size:           4
        .value_kind:     hidden_block_count_z
      - .offset:         60
        .size:           2
        .value_kind:     hidden_group_size_x
      - .offset:         62
        .size:           2
        .value_kind:     hidden_group_size_y
      - .offset:         64
        .size:           2
        .value_kind:     hidden_group_size_z
      - .offset:         66
        .size:           2
        .value_kind:     hidden_remainder_x
      - .offset:         68
        .size:           2
        .value_kind:     hidden_remainder_y
      - .offset:         70
        .size:           2
        .value_kind:     hidden_remainder_z
      - .offset:         88
        .size:           8
        .value_kind:     hidden_global_offset_x
      - .offset:         96
        .size:           8
        .value_kind:     hidden_global_offset_y
      - .offset:         104
        .size:           8
        .value_kind:     hidden_global_offset_z
      - .offset:         112
        .size:           2
        .value_kind:     hidden_grid_dims
    .group_segment_fixed_size: 0
    .kernarg_segment_align: 8
    .kernarg_segment_size: 304
    .language:       OpenCL C
    .language_version:
      - 2
      - 0
    .max_flat_workgroup_size: 1024
    .name:           _ZN12_GLOBAL__N_121softmax_warp_backwardIfN3c108BFloat16EfLi2ELb0ELb0ELi64EEEvPT0_PKT_S7_iiiPKb
    .private_segment_fixed_size: 0
    .sgpr_count:     14
    .sgpr_spill_count: 0
    .symbol:         _ZN12_GLOBAL__N_121softmax_warp_backwardIfN3c108BFloat16EfLi2ELb0ELb0ELi64EEEvPT0_PKT_S7_iiiPKb.kd
    .uniform_work_group_size: 1
    .uses_dynamic_stack: false
    .vgpr_count:     14
    .vgpr_spill_count: 0
    .wavefront_size: 32
    .workgroup_processor_mode: 1
  - .args:
      - .address_space:  global
        .offset:         0
        .size:           8
        .value_kind:     global_buffer
      - .address_space:  global
        .offset:         8
        .size:           8
        .value_kind:     global_buffer
      - .address_space:  global
        .offset:         16
        .size:           8
        .value_kind:     global_buffer
      - .offset:         24
        .size:           4
        .value_kind:     by_value
      - .offset:         28
        .size:           4
        .value_kind:     by_value
      - .offset:         32
        .size:           4
        .value_kind:     by_value
      - .address_space:  global
        .offset:         40
        .size:           8
        .value_kind:     global_buffer
      - .offset:         48
        .size:           4
        .value_kind:     hidden_block_count_x
      - .offset:         52
        .size:           4
        .value_kind:     hidden_block_count_y
      - .offset:         56
        .size:           4
        .value_kind:     hidden_block_count_z
      - .offset:         60
        .size:           2
        .value_kind:     hidden_group_size_x
      - .offset:         62
        .size:           2
        .value_kind:     hidden_group_size_y
      - .offset:         64
        .size:           2
        .value_kind:     hidden_group_size_z
      - .offset:         66
        .size:           2
        .value_kind:     hidden_remainder_x
      - .offset:         68
        .size:           2
        .value_kind:     hidden_remainder_y
      - .offset:         70
        .size:           2
        .value_kind:     hidden_remainder_z
      - .offset:         88
        .size:           8
        .value_kind:     hidden_global_offset_x
      - .offset:         96
        .size:           8
        .value_kind:     hidden_global_offset_y
      - .offset:         104
        .size:           8
        .value_kind:     hidden_global_offset_z
      - .offset:         112
        .size:           2
        .value_kind:     hidden_grid_dims
    .group_segment_fixed_size: 0
    .kernarg_segment_align: 8
    .kernarg_segment_size: 304
    .language:       OpenCL C
    .language_version:
      - 2
      - 0
    .max_flat_workgroup_size: 1024
    .name:           _ZN12_GLOBAL__N_121softmax_warp_backwardIfN3c108BFloat16EfLi2ELb0ELb0ELi32EEEvPT0_PKT_S7_iiiPKb
    .private_segment_fixed_size: 0
    .sgpr_count:     14
    .sgpr_spill_count: 0
    .symbol:         _ZN12_GLOBAL__N_121softmax_warp_backwardIfN3c108BFloat16EfLi2ELb0ELb0ELi32EEEvPT0_PKT_S7_iiiPKb.kd
    .uniform_work_group_size: 1
    .uses_dynamic_stack: false
    .vgpr_count:     14
    .vgpr_spill_count: 0
    .wavefront_size: 32
    .workgroup_processor_mode: 1
  - .args:
      - .address_space:  global
        .offset:         0
        .size:           8
        .value_kind:     global_buffer
      - .address_space:  global
        .offset:         8
        .size:           8
        .value_kind:     global_buffer
      - .address_space:  global
        .offset:         16
        .size:           8
        .value_kind:     global_buffer
      - .offset:         24
        .size:           4
        .value_kind:     by_value
      - .offset:         28
        .size:           4
        .value_kind:     by_value
      - .offset:         32
        .size:           4
        .value_kind:     by_value
      - .address_space:  global
        .offset:         40
        .size:           8
        .value_kind:     global_buffer
      - .offset:         48
        .size:           4
        .value_kind:     hidden_block_count_x
      - .offset:         52
        .size:           4
        .value_kind:     hidden_block_count_y
      - .offset:         56
        .size:           4
        .value_kind:     hidden_block_count_z
      - .offset:         60
        .size:           2
        .value_kind:     hidden_group_size_x
      - .offset:         62
        .size:           2
        .value_kind:     hidden_group_size_y
      - .offset:         64
        .size:           2
        .value_kind:     hidden_group_size_z
      - .offset:         66
        .size:           2
        .value_kind:     hidden_remainder_x
      - .offset:         68
        .size:           2
        .value_kind:     hidden_remainder_y
      - .offset:         70
        .size:           2
        .value_kind:     hidden_remainder_z
      - .offset:         88
        .size:           8
        .value_kind:     hidden_global_offset_x
      - .offset:         96
        .size:           8
        .value_kind:     hidden_global_offset_y
      - .offset:         104
        .size:           8
        .value_kind:     hidden_global_offset_z
      - .offset:         112
        .size:           2
        .value_kind:     hidden_grid_dims
    .group_segment_fixed_size: 0
    .kernarg_segment_align: 8
    .kernarg_segment_size: 304
    .language:       OpenCL C
    .language_version:
      - 2
      - 0
    .max_flat_workgroup_size: 1024
    .name:           _ZN12_GLOBAL__N_121softmax_warp_backwardIfN3c108BFloat16EfLi3ELb0ELb0ELi64EEEvPT0_PKT_S7_iiiPKb
    .private_segment_fixed_size: 0
    .sgpr_count:     14
    .sgpr_spill_count: 0
    .symbol:         _ZN12_GLOBAL__N_121softmax_warp_backwardIfN3c108BFloat16EfLi3ELb0ELb0ELi64EEEvPT0_PKT_S7_iiiPKb.kd
    .uniform_work_group_size: 1
    .uses_dynamic_stack: false
    .vgpr_count:     14
    .vgpr_spill_count: 0
    .wavefront_size: 32
    .workgroup_processor_mode: 1
  - .args:
      - .address_space:  global
        .offset:         0
        .size:           8
        .value_kind:     global_buffer
      - .address_space:  global
        .offset:         8
        .size:           8
        .value_kind:     global_buffer
      - .address_space:  global
        .offset:         16
        .size:           8
        .value_kind:     global_buffer
      - .offset:         24
        .size:           4
        .value_kind:     by_value
      - .offset:         28
        .size:           4
        .value_kind:     by_value
      - .offset:         32
        .size:           4
        .value_kind:     by_value
      - .address_space:  global
        .offset:         40
        .size:           8
        .value_kind:     global_buffer
      - .offset:         48
        .size:           4
        .value_kind:     hidden_block_count_x
      - .offset:         52
        .size:           4
        .value_kind:     hidden_block_count_y
      - .offset:         56
        .size:           4
        .value_kind:     hidden_block_count_z
      - .offset:         60
        .size:           2
        .value_kind:     hidden_group_size_x
      - .offset:         62
        .size:           2
        .value_kind:     hidden_group_size_y
      - .offset:         64
        .size:           2
        .value_kind:     hidden_group_size_z
      - .offset:         66
        .size:           2
        .value_kind:     hidden_remainder_x
      - .offset:         68
        .size:           2
        .value_kind:     hidden_remainder_y
      - .offset:         70
        .size:           2
        .value_kind:     hidden_remainder_z
      - .offset:         88
        .size:           8
        .value_kind:     hidden_global_offset_x
      - .offset:         96
        .size:           8
        .value_kind:     hidden_global_offset_y
      - .offset:         104
        .size:           8
        .value_kind:     hidden_global_offset_z
      - .offset:         112
        .size:           2
        .value_kind:     hidden_grid_dims
    .group_segment_fixed_size: 0
    .kernarg_segment_align: 8
    .kernarg_segment_size: 304
    .language:       OpenCL C
    .language_version:
      - 2
      - 0
    .max_flat_workgroup_size: 1024
    .name:           _ZN12_GLOBAL__N_121softmax_warp_backwardIfN3c108BFloat16EfLi3ELb0ELb0ELi32EEEvPT0_PKT_S7_iiiPKb
    .private_segment_fixed_size: 0
    .sgpr_count:     14
    .sgpr_spill_count: 0
    .symbol:         _ZN12_GLOBAL__N_121softmax_warp_backwardIfN3c108BFloat16EfLi3ELb0ELb0ELi32EEEvPT0_PKT_S7_iiiPKb.kd
    .uniform_work_group_size: 1
    .uses_dynamic_stack: false
    .vgpr_count:     14
    .vgpr_spill_count: 0
    .wavefront_size: 32
    .workgroup_processor_mode: 1
  - .args:
      - .address_space:  global
        .offset:         0
        .size:           8
        .value_kind:     global_buffer
      - .address_space:  global
        .offset:         8
        .size:           8
        .value_kind:     global_buffer
      - .address_space:  global
        .offset:         16
        .size:           8
        .value_kind:     global_buffer
      - .offset:         24
        .size:           4
        .value_kind:     by_value
      - .offset:         28
        .size:           4
        .value_kind:     by_value
      - .offset:         32
        .size:           4
        .value_kind:     by_value
      - .address_space:  global
        .offset:         40
        .size:           8
        .value_kind:     global_buffer
      - .offset:         48
        .size:           4
        .value_kind:     hidden_block_count_x
      - .offset:         52
        .size:           4
        .value_kind:     hidden_block_count_y
      - .offset:         56
        .size:           4
        .value_kind:     hidden_block_count_z
      - .offset:         60
        .size:           2
        .value_kind:     hidden_group_size_x
      - .offset:         62
        .size:           2
        .value_kind:     hidden_group_size_y
      - .offset:         64
        .size:           2
        .value_kind:     hidden_group_size_z
      - .offset:         66
        .size:           2
        .value_kind:     hidden_remainder_x
      - .offset:         68
        .size:           2
        .value_kind:     hidden_remainder_y
      - .offset:         70
        .size:           2
        .value_kind:     hidden_remainder_z
      - .offset:         88
        .size:           8
        .value_kind:     hidden_global_offset_x
      - .offset:         96
        .size:           8
        .value_kind:     hidden_global_offset_y
      - .offset:         104
        .size:           8
        .value_kind:     hidden_global_offset_z
      - .offset:         112
        .size:           2
        .value_kind:     hidden_grid_dims
    .group_segment_fixed_size: 0
    .kernarg_segment_align: 8
    .kernarg_segment_size: 304
    .language:       OpenCL C
    .language_version:
      - 2
      - 0
    .max_flat_workgroup_size: 1024
    .name:           _ZN12_GLOBAL__N_121softmax_warp_backwardIfN3c108BFloat16EfLi4ELb0ELb0ELi64EEEvPT0_PKT_S7_iiiPKb
    .private_segment_fixed_size: 0
    .sgpr_count:     14
    .sgpr_spill_count: 0
    .symbol:         _ZN12_GLOBAL__N_121softmax_warp_backwardIfN3c108BFloat16EfLi4ELb0ELb0ELi64EEEvPT0_PKT_S7_iiiPKb.kd
    .uniform_work_group_size: 1
    .uses_dynamic_stack: false
    .vgpr_count:     14
    .vgpr_spill_count: 0
    .wavefront_size: 32
    .workgroup_processor_mode: 1
  - .args:
      - .address_space:  global
        .offset:         0
        .size:           8
        .value_kind:     global_buffer
      - .address_space:  global
        .offset:         8
        .size:           8
        .value_kind:     global_buffer
      - .address_space:  global
        .offset:         16
        .size:           8
        .value_kind:     global_buffer
      - .offset:         24
        .size:           4
        .value_kind:     by_value
      - .offset:         28
        .size:           4
        .value_kind:     by_value
      - .offset:         32
        .size:           4
        .value_kind:     by_value
      - .address_space:  global
        .offset:         40
        .size:           8
        .value_kind:     global_buffer
      - .offset:         48
        .size:           4
        .value_kind:     hidden_block_count_x
      - .offset:         52
        .size:           4
        .value_kind:     hidden_block_count_y
      - .offset:         56
        .size:           4
        .value_kind:     hidden_block_count_z
      - .offset:         60
        .size:           2
        .value_kind:     hidden_group_size_x
      - .offset:         62
        .size:           2
        .value_kind:     hidden_group_size_y
      - .offset:         64
        .size:           2
        .value_kind:     hidden_group_size_z
      - .offset:         66
        .size:           2
        .value_kind:     hidden_remainder_x
      - .offset:         68
        .size:           2
        .value_kind:     hidden_remainder_y
      - .offset:         70
        .size:           2
        .value_kind:     hidden_remainder_z
      - .offset:         88
        .size:           8
        .value_kind:     hidden_global_offset_x
      - .offset:         96
        .size:           8
        .value_kind:     hidden_global_offset_y
      - .offset:         104
        .size:           8
        .value_kind:     hidden_global_offset_z
      - .offset:         112
        .size:           2
        .value_kind:     hidden_grid_dims
    .group_segment_fixed_size: 0
    .kernarg_segment_align: 8
    .kernarg_segment_size: 304
    .language:       OpenCL C
    .language_version:
      - 2
      - 0
    .max_flat_workgroup_size: 1024
    .name:           _ZN12_GLOBAL__N_121softmax_warp_backwardIfN3c108BFloat16EfLi4ELb0ELb0ELi32EEEvPT0_PKT_S7_iiiPKb
    .private_segment_fixed_size: 0
    .sgpr_count:     14
    .sgpr_spill_count: 0
    .symbol:         _ZN12_GLOBAL__N_121softmax_warp_backwardIfN3c108BFloat16EfLi4ELb0ELb0ELi32EEEvPT0_PKT_S7_iiiPKb.kd
    .uniform_work_group_size: 1
    .uses_dynamic_stack: false
    .vgpr_count:     14
    .vgpr_spill_count: 0
    .wavefront_size: 32
    .workgroup_processor_mode: 1
  - .args:
      - .address_space:  global
        .offset:         0
        .size:           8
        .value_kind:     global_buffer
      - .address_space:  global
        .offset:         8
        .size:           8
        .value_kind:     global_buffer
      - .address_space:  global
        .offset:         16
        .size:           8
        .value_kind:     global_buffer
      - .offset:         24
        .size:           4
        .value_kind:     by_value
      - .offset:         28
        .size:           4
        .value_kind:     by_value
      - .offset:         32
        .size:           4
        .value_kind:     by_value
      - .address_space:  global
        .offset:         40
        .size:           8
        .value_kind:     global_buffer
      - .offset:         48
        .size:           4
        .value_kind:     hidden_block_count_x
      - .offset:         52
        .size:           4
        .value_kind:     hidden_block_count_y
      - .offset:         56
        .size:           4
        .value_kind:     hidden_block_count_z
      - .offset:         60
        .size:           2
        .value_kind:     hidden_group_size_x
      - .offset:         62
        .size:           2
        .value_kind:     hidden_group_size_y
      - .offset:         64
        .size:           2
        .value_kind:     hidden_group_size_z
      - .offset:         66
        .size:           2
        .value_kind:     hidden_remainder_x
      - .offset:         68
        .size:           2
        .value_kind:     hidden_remainder_y
      - .offset:         70
        .size:           2
        .value_kind:     hidden_remainder_z
      - .offset:         88
        .size:           8
        .value_kind:     hidden_global_offset_x
      - .offset:         96
        .size:           8
        .value_kind:     hidden_global_offset_y
      - .offset:         104
        .size:           8
        .value_kind:     hidden_global_offset_z
      - .offset:         112
        .size:           2
        .value_kind:     hidden_grid_dims
    .group_segment_fixed_size: 0
    .kernarg_segment_align: 8
    .kernarg_segment_size: 304
    .language:       OpenCL C
    .language_version:
      - 2
      - 0
    .max_flat_workgroup_size: 1024
    .name:           _ZN12_GLOBAL__N_121softmax_warp_backwardIfN3c108BFloat16EfLi5ELb0ELb0ELi64EEEvPT0_PKT_S7_iiiPKb
    .private_segment_fixed_size: 0
    .sgpr_count:     14
    .sgpr_spill_count: 0
    .symbol:         _ZN12_GLOBAL__N_121softmax_warp_backwardIfN3c108BFloat16EfLi5ELb0ELb0ELi64EEEvPT0_PKT_S7_iiiPKb.kd
    .uniform_work_group_size: 1
    .uses_dynamic_stack: false
    .vgpr_count:     13
    .vgpr_spill_count: 0
    .wavefront_size: 32
    .workgroup_processor_mode: 1
  - .args:
      - .address_space:  global
        .offset:         0
        .size:           8
        .value_kind:     global_buffer
      - .address_space:  global
        .offset:         8
        .size:           8
        .value_kind:     global_buffer
      - .address_space:  global
        .offset:         16
        .size:           8
        .value_kind:     global_buffer
      - .offset:         24
        .size:           4
        .value_kind:     by_value
      - .offset:         28
        .size:           4
        .value_kind:     by_value
      - .offset:         32
        .size:           4
        .value_kind:     by_value
      - .address_space:  global
        .offset:         40
        .size:           8
        .value_kind:     global_buffer
      - .offset:         48
        .size:           4
        .value_kind:     hidden_block_count_x
      - .offset:         52
        .size:           4
        .value_kind:     hidden_block_count_y
      - .offset:         56
        .size:           4
        .value_kind:     hidden_block_count_z
      - .offset:         60
        .size:           2
        .value_kind:     hidden_group_size_x
      - .offset:         62
        .size:           2
        .value_kind:     hidden_group_size_y
      - .offset:         64
        .size:           2
        .value_kind:     hidden_group_size_z
      - .offset:         66
        .size:           2
        .value_kind:     hidden_remainder_x
      - .offset:         68
        .size:           2
        .value_kind:     hidden_remainder_y
      - .offset:         70
        .size:           2
        .value_kind:     hidden_remainder_z
      - .offset:         88
        .size:           8
        .value_kind:     hidden_global_offset_x
      - .offset:         96
        .size:           8
        .value_kind:     hidden_global_offset_y
      - .offset:         104
        .size:           8
        .value_kind:     hidden_global_offset_z
      - .offset:         112
        .size:           2
        .value_kind:     hidden_grid_dims
    .group_segment_fixed_size: 0
    .kernarg_segment_align: 8
    .kernarg_segment_size: 304
    .language:       OpenCL C
    .language_version:
      - 2
      - 0
    .max_flat_workgroup_size: 1024
    .name:           _ZN12_GLOBAL__N_121softmax_warp_backwardIfN3c108BFloat16EfLi5ELb0ELb0ELi32EEEvPT0_PKT_S7_iiiPKb
    .private_segment_fixed_size: 0
    .sgpr_count:     14
    .sgpr_spill_count: 0
    .symbol:         _ZN12_GLOBAL__N_121softmax_warp_backwardIfN3c108BFloat16EfLi5ELb0ELb0ELi32EEEvPT0_PKT_S7_iiiPKb.kd
    .uniform_work_group_size: 1
    .uses_dynamic_stack: false
    .vgpr_count:     13
    .vgpr_spill_count: 0
    .wavefront_size: 32
    .workgroup_processor_mode: 1
  - .args:
      - .address_space:  global
        .offset:         0
        .size:           8
        .value_kind:     global_buffer
      - .address_space:  global
        .offset:         8
        .size:           8
        .value_kind:     global_buffer
      - .address_space:  global
        .offset:         16
        .size:           8
        .value_kind:     global_buffer
      - .offset:         24
        .size:           4
        .value_kind:     by_value
      - .offset:         28
        .size:           4
        .value_kind:     by_value
      - .offset:         32
        .size:           4
        .value_kind:     by_value
      - .address_space:  global
        .offset:         40
        .size:           8
        .value_kind:     global_buffer
      - .offset:         48
        .size:           4
        .value_kind:     hidden_block_count_x
      - .offset:         52
        .size:           4
        .value_kind:     hidden_block_count_y
      - .offset:         56
        .size:           4
        .value_kind:     hidden_block_count_z
      - .offset:         60
        .size:           2
        .value_kind:     hidden_group_size_x
      - .offset:         62
        .size:           2
        .value_kind:     hidden_group_size_y
      - .offset:         64
        .size:           2
        .value_kind:     hidden_group_size_z
      - .offset:         66
        .size:           2
        .value_kind:     hidden_remainder_x
      - .offset:         68
        .size:           2
        .value_kind:     hidden_remainder_y
      - .offset:         70
        .size:           2
        .value_kind:     hidden_remainder_z
      - .offset:         88
        .size:           8
        .value_kind:     hidden_global_offset_x
      - .offset:         96
        .size:           8
        .value_kind:     hidden_global_offset_y
      - .offset:         104
        .size:           8
        .value_kind:     hidden_global_offset_z
      - .offset:         112
        .size:           2
        .value_kind:     hidden_grid_dims
    .group_segment_fixed_size: 0
    .kernarg_segment_align: 8
    .kernarg_segment_size: 304
    .language:       OpenCL C
    .language_version:
      - 2
      - 0
    .max_flat_workgroup_size: 1024
    .name:           _ZN12_GLOBAL__N_121softmax_warp_backwardIfN3c108BFloat16EfLi6ELb0ELb0ELi64EEEvPT0_PKT_S7_iiiPKb
    .private_segment_fixed_size: 0
    .sgpr_count:     14
    .sgpr_spill_count: 0
    .symbol:         _ZN12_GLOBAL__N_121softmax_warp_backwardIfN3c108BFloat16EfLi6ELb0ELb0ELi64EEEvPT0_PKT_S7_iiiPKb.kd
    .uniform_work_group_size: 1
    .uses_dynamic_stack: false
    .vgpr_count:     13
    .vgpr_spill_count: 0
    .wavefront_size: 32
    .workgroup_processor_mode: 1
  - .args:
      - .address_space:  global
        .offset:         0
        .size:           8
        .value_kind:     global_buffer
      - .address_space:  global
        .offset:         8
        .size:           8
        .value_kind:     global_buffer
      - .address_space:  global
        .offset:         16
        .size:           8
        .value_kind:     global_buffer
      - .offset:         24
        .size:           4
        .value_kind:     by_value
      - .offset:         28
        .size:           4
        .value_kind:     by_value
      - .offset:         32
        .size:           4
        .value_kind:     by_value
      - .address_space:  global
        .offset:         40
        .size:           8
        .value_kind:     global_buffer
      - .offset:         48
        .size:           4
        .value_kind:     hidden_block_count_x
      - .offset:         52
        .size:           4
        .value_kind:     hidden_block_count_y
      - .offset:         56
        .size:           4
        .value_kind:     hidden_block_count_z
      - .offset:         60
        .size:           2
        .value_kind:     hidden_group_size_x
      - .offset:         62
        .size:           2
        .value_kind:     hidden_group_size_y
      - .offset:         64
        .size:           2
        .value_kind:     hidden_group_size_z
      - .offset:         66
        .size:           2
        .value_kind:     hidden_remainder_x
      - .offset:         68
        .size:           2
        .value_kind:     hidden_remainder_y
      - .offset:         70
        .size:           2
        .value_kind:     hidden_remainder_z
      - .offset:         88
        .size:           8
        .value_kind:     hidden_global_offset_x
      - .offset:         96
        .size:           8
        .value_kind:     hidden_global_offset_y
      - .offset:         104
        .size:           8
        .value_kind:     hidden_global_offset_z
      - .offset:         112
        .size:           2
        .value_kind:     hidden_grid_dims
    .group_segment_fixed_size: 0
    .kernarg_segment_align: 8
    .kernarg_segment_size: 304
    .language:       OpenCL C
    .language_version:
      - 2
      - 0
    .max_flat_workgroup_size: 1024
    .name:           _ZN12_GLOBAL__N_121softmax_warp_backwardIfN3c108BFloat16EfLi6ELb0ELb0ELi32EEEvPT0_PKT_S7_iiiPKb
    .private_segment_fixed_size: 0
    .sgpr_count:     18
    .sgpr_spill_count: 0
    .symbol:         _ZN12_GLOBAL__N_121softmax_warp_backwardIfN3c108BFloat16EfLi6ELb0ELb0ELi32EEEvPT0_PKT_S7_iiiPKb.kd
    .uniform_work_group_size: 1
    .uses_dynamic_stack: false
    .vgpr_count:     17
    .vgpr_spill_count: 0
    .wavefront_size: 32
    .workgroup_processor_mode: 1
  - .args:
      - .address_space:  global
        .offset:         0
        .size:           8
        .value_kind:     global_buffer
      - .address_space:  global
        .offset:         8
        .size:           8
        .value_kind:     global_buffer
      - .address_space:  global
        .offset:         16
        .size:           8
        .value_kind:     global_buffer
      - .offset:         24
        .size:           4
        .value_kind:     by_value
      - .offset:         28
        .size:           4
        .value_kind:     by_value
      - .offset:         32
        .size:           4
        .value_kind:     by_value
      - .address_space:  global
        .offset:         40
        .size:           8
        .value_kind:     global_buffer
      - .offset:         48
        .size:           4
        .value_kind:     hidden_block_count_x
      - .offset:         52
        .size:           4
        .value_kind:     hidden_block_count_y
      - .offset:         56
        .size:           4
        .value_kind:     hidden_block_count_z
      - .offset:         60
        .size:           2
        .value_kind:     hidden_group_size_x
      - .offset:         62
        .size:           2
        .value_kind:     hidden_group_size_y
      - .offset:         64
        .size:           2
        .value_kind:     hidden_group_size_z
      - .offset:         66
        .size:           2
        .value_kind:     hidden_remainder_x
      - .offset:         68
        .size:           2
        .value_kind:     hidden_remainder_y
      - .offset:         70
        .size:           2
        .value_kind:     hidden_remainder_z
      - .offset:         88
        .size:           8
        .value_kind:     hidden_global_offset_x
      - .offset:         96
        .size:           8
        .value_kind:     hidden_global_offset_y
      - .offset:         104
        .size:           8
        .value_kind:     hidden_global_offset_z
      - .offset:         112
        .size:           2
        .value_kind:     hidden_grid_dims
    .group_segment_fixed_size: 0
    .kernarg_segment_align: 8
    .kernarg_segment_size: 304
    .language:       OpenCL C
    .language_version:
      - 2
      - 0
    .max_flat_workgroup_size: 1024
    .name:           _ZN12_GLOBAL__N_121softmax_warp_backwardIfN3c108BFloat16EfLi7ELb0ELb0ELi64EEEvPT0_PKT_S7_iiiPKb
    .private_segment_fixed_size: 0
    .sgpr_count:     18
    .sgpr_spill_count: 0
    .symbol:         _ZN12_GLOBAL__N_121softmax_warp_backwardIfN3c108BFloat16EfLi7ELb0ELb0ELi64EEEvPT0_PKT_S7_iiiPKb.kd
    .uniform_work_group_size: 1
    .uses_dynamic_stack: false
    .vgpr_count:     17
    .vgpr_spill_count: 0
    .wavefront_size: 32
    .workgroup_processor_mode: 1
  - .args:
      - .address_space:  global
        .offset:         0
        .size:           8
        .value_kind:     global_buffer
      - .address_space:  global
        .offset:         8
        .size:           8
        .value_kind:     global_buffer
      - .address_space:  global
        .offset:         16
        .size:           8
        .value_kind:     global_buffer
      - .offset:         24
        .size:           4
        .value_kind:     by_value
      - .offset:         28
        .size:           4
        .value_kind:     by_value
      - .offset:         32
        .size:           4
        .value_kind:     by_value
      - .address_space:  global
        .offset:         40
        .size:           8
        .value_kind:     global_buffer
      - .offset:         48
        .size:           4
        .value_kind:     hidden_block_count_x
      - .offset:         52
        .size:           4
        .value_kind:     hidden_block_count_y
      - .offset:         56
        .size:           4
        .value_kind:     hidden_block_count_z
      - .offset:         60
        .size:           2
        .value_kind:     hidden_group_size_x
      - .offset:         62
        .size:           2
        .value_kind:     hidden_group_size_y
      - .offset:         64
        .size:           2
        .value_kind:     hidden_group_size_z
      - .offset:         66
        .size:           2
        .value_kind:     hidden_remainder_x
      - .offset:         68
        .size:           2
        .value_kind:     hidden_remainder_y
      - .offset:         70
        .size:           2
        .value_kind:     hidden_remainder_z
      - .offset:         88
        .size:           8
        .value_kind:     hidden_global_offset_x
      - .offset:         96
        .size:           8
        .value_kind:     hidden_global_offset_y
      - .offset:         104
        .size:           8
        .value_kind:     hidden_global_offset_z
      - .offset:         112
        .size:           2
        .value_kind:     hidden_grid_dims
    .group_segment_fixed_size: 0
    .kernarg_segment_align: 8
    .kernarg_segment_size: 304
    .language:       OpenCL C
    .language_version:
      - 2
      - 0
    .max_flat_workgroup_size: 1024
    .name:           _ZN12_GLOBAL__N_121softmax_warp_backwardIfN3c108BFloat16EfLi7ELb0ELb0ELi32EEEvPT0_PKT_S7_iiiPKb
    .private_segment_fixed_size: 0
    .sgpr_count:     18
    .sgpr_spill_count: 0
    .symbol:         _ZN12_GLOBAL__N_121softmax_warp_backwardIfN3c108BFloat16EfLi7ELb0ELb0ELi32EEEvPT0_PKT_S7_iiiPKb.kd
    .uniform_work_group_size: 1
    .uses_dynamic_stack: false
    .vgpr_count:     25
    .vgpr_spill_count: 0
    .wavefront_size: 32
    .workgroup_processor_mode: 1
  - .args:
      - .address_space:  global
        .offset:         0
        .size:           8
        .value_kind:     global_buffer
      - .address_space:  global
        .offset:         8
        .size:           8
        .value_kind:     global_buffer
      - .address_space:  global
        .offset:         16
        .size:           8
        .value_kind:     global_buffer
      - .offset:         24
        .size:           4
        .value_kind:     by_value
      - .offset:         28
        .size:           4
        .value_kind:     by_value
      - .offset:         32
        .size:           4
        .value_kind:     by_value
      - .address_space:  global
        .offset:         40
        .size:           8
        .value_kind:     global_buffer
      - .offset:         48
        .size:           4
        .value_kind:     hidden_block_count_x
      - .offset:         52
        .size:           4
        .value_kind:     hidden_block_count_y
      - .offset:         56
        .size:           4
        .value_kind:     hidden_block_count_z
      - .offset:         60
        .size:           2
        .value_kind:     hidden_group_size_x
      - .offset:         62
        .size:           2
        .value_kind:     hidden_group_size_y
      - .offset:         64
        .size:           2
        .value_kind:     hidden_group_size_z
      - .offset:         66
        .size:           2
        .value_kind:     hidden_remainder_x
      - .offset:         68
        .size:           2
        .value_kind:     hidden_remainder_y
      - .offset:         70
        .size:           2
        .value_kind:     hidden_remainder_z
      - .offset:         88
        .size:           8
        .value_kind:     hidden_global_offset_x
      - .offset:         96
        .size:           8
        .value_kind:     hidden_global_offset_y
      - .offset:         104
        .size:           8
        .value_kind:     hidden_global_offset_z
      - .offset:         112
        .size:           2
        .value_kind:     hidden_grid_dims
    .group_segment_fixed_size: 0
    .kernarg_segment_align: 8
    .kernarg_segment_size: 304
    .language:       OpenCL C
    .language_version:
      - 2
      - 0
    .max_flat_workgroup_size: 1024
    .name:           _ZN12_GLOBAL__N_121softmax_warp_backwardIfN3c108BFloat16EfLi8ELb0ELb0ELi64EEEvPT0_PKT_S7_iiiPKb
    .private_segment_fixed_size: 0
    .sgpr_count:     14
    .sgpr_spill_count: 0
    .symbol:         _ZN12_GLOBAL__N_121softmax_warp_backwardIfN3c108BFloat16EfLi8ELb0ELb0ELi64EEEvPT0_PKT_S7_iiiPKb.kd
    .uniform_work_group_size: 1
    .uses_dynamic_stack: false
    .vgpr_count:     15
    .vgpr_spill_count: 0
    .wavefront_size: 32
    .workgroup_processor_mode: 1
  - .args:
      - .address_space:  global
        .offset:         0
        .size:           8
        .value_kind:     global_buffer
      - .address_space:  global
        .offset:         8
        .size:           8
        .value_kind:     global_buffer
      - .address_space:  global
        .offset:         16
        .size:           8
        .value_kind:     global_buffer
      - .offset:         24
        .size:           4
        .value_kind:     by_value
      - .offset:         28
        .size:           4
        .value_kind:     by_value
      - .offset:         32
        .size:           4
        .value_kind:     by_value
      - .address_space:  global
        .offset:         40
        .size:           8
        .value_kind:     global_buffer
      - .offset:         48
        .size:           4
        .value_kind:     hidden_block_count_x
      - .offset:         52
        .size:           4
        .value_kind:     hidden_block_count_y
      - .offset:         56
        .size:           4
        .value_kind:     hidden_block_count_z
      - .offset:         60
        .size:           2
        .value_kind:     hidden_group_size_x
      - .offset:         62
        .size:           2
        .value_kind:     hidden_group_size_y
      - .offset:         64
        .size:           2
        .value_kind:     hidden_group_size_z
      - .offset:         66
        .size:           2
        .value_kind:     hidden_remainder_x
      - .offset:         68
        .size:           2
        .value_kind:     hidden_remainder_y
      - .offset:         70
        .size:           2
        .value_kind:     hidden_remainder_z
      - .offset:         88
        .size:           8
        .value_kind:     hidden_global_offset_x
      - .offset:         96
        .size:           8
        .value_kind:     hidden_global_offset_y
      - .offset:         104
        .size:           8
        .value_kind:     hidden_global_offset_z
      - .offset:         112
        .size:           2
        .value_kind:     hidden_grid_dims
    .group_segment_fixed_size: 0
    .kernarg_segment_align: 8
    .kernarg_segment_size: 304
    .language:       OpenCL C
    .language_version:
      - 2
      - 0
    .max_flat_workgroup_size: 1024
    .name:           _ZN12_GLOBAL__N_121softmax_warp_backwardIfN3c108BFloat16EfLi8ELb0ELb0ELi32EEEvPT0_PKT_S7_iiiPKb
    .private_segment_fixed_size: 0
    .sgpr_count:     18
    .sgpr_spill_count: 0
    .symbol:         _ZN12_GLOBAL__N_121softmax_warp_backwardIfN3c108BFloat16EfLi8ELb0ELb0ELi32EEEvPT0_PKT_S7_iiiPKb.kd
    .uniform_work_group_size: 1
    .uses_dynamic_stack: false
    .vgpr_count:     23
    .vgpr_spill_count: 0
    .wavefront_size: 32
    .workgroup_processor_mode: 1
  - .args:
      - .address_space:  global
        .offset:         0
        .size:           8
        .value_kind:     global_buffer
      - .address_space:  global
        .offset:         8
        .size:           8
        .value_kind:     global_buffer
      - .address_space:  global
        .offset:         16
        .size:           8
        .value_kind:     global_buffer
      - .offset:         24
        .size:           4
        .value_kind:     by_value
      - .offset:         28
        .size:           4
        .value_kind:     by_value
      - .offset:         32
        .size:           4
        .value_kind:     by_value
      - .address_space:  global
        .offset:         40
        .size:           8
        .value_kind:     global_buffer
      - .offset:         48
        .size:           4
        .value_kind:     hidden_block_count_x
      - .offset:         52
        .size:           4
        .value_kind:     hidden_block_count_y
      - .offset:         56
        .size:           4
        .value_kind:     hidden_block_count_z
      - .offset:         60
        .size:           2
        .value_kind:     hidden_group_size_x
      - .offset:         62
        .size:           2
        .value_kind:     hidden_group_size_y
      - .offset:         64
        .size:           2
        .value_kind:     hidden_group_size_z
      - .offset:         66
        .size:           2
        .value_kind:     hidden_remainder_x
      - .offset:         68
        .size:           2
        .value_kind:     hidden_remainder_y
      - .offset:         70
        .size:           2
        .value_kind:     hidden_remainder_z
      - .offset:         88
        .size:           8
        .value_kind:     hidden_global_offset_x
      - .offset:         96
        .size:           8
        .value_kind:     hidden_global_offset_y
      - .offset:         104
        .size:           8
        .value_kind:     hidden_global_offset_z
      - .offset:         112
        .size:           2
        .value_kind:     hidden_grid_dims
    .group_segment_fixed_size: 0
    .kernarg_segment_align: 8
    .kernarg_segment_size: 304
    .language:       OpenCL C
    .language_version:
      - 2
      - 0
    .max_flat_workgroup_size: 1024
    .name:           _ZN12_GLOBAL__N_121softmax_warp_backwardIfN3c108BFloat16EfLi9ELb0ELb0ELi64EEEvPT0_PKT_S7_iiiPKb
    .private_segment_fixed_size: 0
    .sgpr_count:     18
    .sgpr_spill_count: 0
    .symbol:         _ZN12_GLOBAL__N_121softmax_warp_backwardIfN3c108BFloat16EfLi9ELb0ELb0ELi64EEEvPT0_PKT_S7_iiiPKb.kd
    .uniform_work_group_size: 1
    .uses_dynamic_stack: false
    .vgpr_count:     23
    .vgpr_spill_count: 0
    .wavefront_size: 32
    .workgroup_processor_mode: 1
  - .args:
      - .address_space:  global
        .offset:         0
        .size:           8
        .value_kind:     global_buffer
      - .address_space:  global
        .offset:         8
        .size:           8
        .value_kind:     global_buffer
      - .address_space:  global
        .offset:         16
        .size:           8
        .value_kind:     global_buffer
      - .offset:         24
        .size:           4
        .value_kind:     by_value
      - .offset:         28
        .size:           4
        .value_kind:     by_value
      - .offset:         32
        .size:           4
        .value_kind:     by_value
      - .address_space:  global
        .offset:         40
        .size:           8
        .value_kind:     global_buffer
      - .offset:         48
        .size:           4
        .value_kind:     hidden_block_count_x
      - .offset:         52
        .size:           4
        .value_kind:     hidden_block_count_y
      - .offset:         56
        .size:           4
        .value_kind:     hidden_block_count_z
      - .offset:         60
        .size:           2
        .value_kind:     hidden_group_size_x
      - .offset:         62
        .size:           2
        .value_kind:     hidden_group_size_y
      - .offset:         64
        .size:           2
        .value_kind:     hidden_group_size_z
      - .offset:         66
        .size:           2
        .value_kind:     hidden_remainder_x
      - .offset:         68
        .size:           2
        .value_kind:     hidden_remainder_y
      - .offset:         70
        .size:           2
        .value_kind:     hidden_remainder_z
      - .offset:         88
        .size:           8
        .value_kind:     hidden_global_offset_x
      - .offset:         96
        .size:           8
        .value_kind:     hidden_global_offset_y
      - .offset:         104
        .size:           8
        .value_kind:     hidden_global_offset_z
      - .offset:         112
        .size:           2
        .value_kind:     hidden_grid_dims
    .group_segment_fixed_size: 0
    .kernarg_segment_align: 8
    .kernarg_segment_size: 304
    .language:       OpenCL C
    .language_version:
      - 2
      - 0
    .max_flat_workgroup_size: 1024
    .name:           _ZN12_GLOBAL__N_121softmax_warp_backwardIfN3c108BFloat16EfLi9ELb0ELb0ELi32EEEvPT0_PKT_S7_iiiPKb
    .private_segment_fixed_size: 0
    .sgpr_count:     26
    .sgpr_spill_count: 0
    .symbol:         _ZN12_GLOBAL__N_121softmax_warp_backwardIfN3c108BFloat16EfLi9ELb0ELb0ELi32EEEvPT0_PKT_S7_iiiPKb.kd
    .uniform_work_group_size: 1
    .uses_dynamic_stack: false
    .vgpr_count:     39
    .vgpr_spill_count: 0
    .wavefront_size: 32
    .workgroup_processor_mode: 1
  - .args:
      - .address_space:  global
        .offset:         0
        .size:           8
        .value_kind:     global_buffer
      - .address_space:  global
        .offset:         8
        .size:           8
        .value_kind:     global_buffer
      - .address_space:  global
        .offset:         16
        .size:           8
        .value_kind:     global_buffer
      - .offset:         24
        .size:           4
        .value_kind:     by_value
      - .offset:         28
        .size:           4
        .value_kind:     by_value
      - .offset:         32
        .size:           4
        .value_kind:     by_value
      - .address_space:  global
        .offset:         40
        .size:           8
        .value_kind:     global_buffer
      - .offset:         48
        .size:           4
        .value_kind:     hidden_block_count_x
      - .offset:         52
        .size:           4
        .value_kind:     hidden_block_count_y
      - .offset:         56
        .size:           4
        .value_kind:     hidden_block_count_z
      - .offset:         60
        .size:           2
        .value_kind:     hidden_group_size_x
      - .offset:         62
        .size:           2
        .value_kind:     hidden_group_size_y
      - .offset:         64
        .size:           2
        .value_kind:     hidden_group_size_z
      - .offset:         66
        .size:           2
        .value_kind:     hidden_remainder_x
      - .offset:         68
        .size:           2
        .value_kind:     hidden_remainder_y
      - .offset:         70
        .size:           2
        .value_kind:     hidden_remainder_z
      - .offset:         88
        .size:           8
        .value_kind:     hidden_global_offset_x
      - .offset:         96
        .size:           8
        .value_kind:     hidden_global_offset_y
      - .offset:         104
        .size:           8
        .value_kind:     hidden_global_offset_z
      - .offset:         112
        .size:           2
        .value_kind:     hidden_grid_dims
    .group_segment_fixed_size: 0
    .kernarg_segment_align: 8
    .kernarg_segment_size: 304
    .language:       OpenCL C
    .language_version:
      - 2
      - 0
    .max_flat_workgroup_size: 1024
    .name:           _ZN12_GLOBAL__N_121softmax_warp_backwardIfN3c108BFloat16EfLi10ELb0ELb0ELi64EEEvPT0_PKT_S7_iiiPKb
    .private_segment_fixed_size: 0
    .sgpr_count:     26
    .sgpr_spill_count: 0
    .symbol:         _ZN12_GLOBAL__N_121softmax_warp_backwardIfN3c108BFloat16EfLi10ELb0ELb0ELi64EEEvPT0_PKT_S7_iiiPKb.kd
    .uniform_work_group_size: 1
    .uses_dynamic_stack: false
    .vgpr_count:     42
    .vgpr_spill_count: 0
    .wavefront_size: 32
    .workgroup_processor_mode: 1
  - .args:
      - .address_space:  global
        .offset:         0
        .size:           8
        .value_kind:     global_buffer
      - .address_space:  global
        .offset:         8
        .size:           8
        .value_kind:     global_buffer
      - .address_space:  global
        .offset:         16
        .size:           8
        .value_kind:     global_buffer
      - .offset:         24
        .size:           4
        .value_kind:     by_value
      - .offset:         28
        .size:           4
        .value_kind:     by_value
      - .offset:         32
        .size:           4
        .value_kind:     by_value
      - .address_space:  global
        .offset:         40
        .size:           8
        .value_kind:     global_buffer
      - .offset:         48
        .size:           4
        .value_kind:     hidden_block_count_x
      - .offset:         52
        .size:           4
        .value_kind:     hidden_block_count_y
      - .offset:         56
        .size:           4
        .value_kind:     hidden_block_count_z
      - .offset:         60
        .size:           2
        .value_kind:     hidden_group_size_x
      - .offset:         62
        .size:           2
        .value_kind:     hidden_group_size_y
      - .offset:         64
        .size:           2
        .value_kind:     hidden_group_size_z
      - .offset:         66
        .size:           2
        .value_kind:     hidden_remainder_x
      - .offset:         68
        .size:           2
        .value_kind:     hidden_remainder_y
      - .offset:         70
        .size:           2
        .value_kind:     hidden_remainder_z
      - .offset:         88
        .size:           8
        .value_kind:     hidden_global_offset_x
      - .offset:         96
        .size:           8
        .value_kind:     hidden_global_offset_y
      - .offset:         104
        .size:           8
        .value_kind:     hidden_global_offset_z
      - .offset:         112
        .size:           2
        .value_kind:     hidden_grid_dims
    .group_segment_fixed_size: 0
    .kernarg_segment_align: 8
    .kernarg_segment_size: 304
    .language:       OpenCL C
    .language_version:
      - 2
      - 0
    .max_flat_workgroup_size: 1024
    .name:           _ZN12_GLOBAL__N_121softmax_warp_backwardIfN3c108BFloat16EfLi10ELb0ELb0ELi32EEEvPT0_PKT_S7_iiiPKb
    .private_segment_fixed_size: 0
    .sgpr_count:     46
    .sgpr_spill_count: 0
    .symbol:         _ZN12_GLOBAL__N_121softmax_warp_backwardIfN3c108BFloat16EfLi10ELb0ELb0ELi32EEEvPT0_PKT_S7_iiiPKb.kd
    .uniform_work_group_size: 1
    .uses_dynamic_stack: false
    .vgpr_count:     74
    .vgpr_spill_count: 0
    .wavefront_size: 32
    .workgroup_processor_mode: 1
  - .args:
      - .address_space:  global
        .offset:         0
        .size:           8
        .value_kind:     global_buffer
      - .address_space:  global
        .offset:         8
        .size:           8
        .value_kind:     global_buffer
      - .address_space:  global
        .offset:         16
        .size:           8
        .value_kind:     global_buffer
      - .offset:         24
        .size:           8
        .value_kind:     by_value
      - .offset:         32
        .size:           4
        .value_kind:     hidden_block_count_x
      - .offset:         36
        .size:           4
        .value_kind:     hidden_block_count_y
      - .offset:         40
        .size:           4
        .value_kind:     hidden_block_count_z
      - .offset:         44
        .size:           2
        .value_kind:     hidden_group_size_x
      - .offset:         46
        .size:           2
        .value_kind:     hidden_group_size_y
      - .offset:         48
        .size:           2
        .value_kind:     hidden_group_size_z
      - .offset:         50
        .size:           2
        .value_kind:     hidden_remainder_x
      - .offset:         52
        .size:           2
        .value_kind:     hidden_remainder_y
      - .offset:         54
        .size:           2
        .value_kind:     hidden_remainder_z
      - .offset:         72
        .size:           8
        .value_kind:     hidden_global_offset_x
      - .offset:         80
        .size:           8
        .value_kind:     hidden_global_offset_y
      - .offset:         88
        .size:           8
        .value_kind:     hidden_global_offset_z
      - .offset:         96
        .size:           2
        .value_kind:     hidden_grid_dims
      - .offset:         152
        .size:           4
        .value_kind:     hidden_dynamic_lds_size
    .group_segment_fixed_size: 0
    .kernarg_segment_align: 8
    .kernarg_segment_size: 288
    .language:       OpenCL C
    .language_version:
      - 2
      - 0
    .max_flat_workgroup_size: 1024
    .name:           _ZN2at6native12_GLOBAL__N_124cunn_SoftMaxBackwardSmemILi4EN3c108BFloat16EffNS1_23SoftMaxBackwardEpilogueEEEvPT0_PKT2_SA_l
    .private_segment_fixed_size: 0
    .sgpr_count:     20
    .sgpr_spill_count: 0
    .symbol:         _ZN2at6native12_GLOBAL__N_124cunn_SoftMaxBackwardSmemILi4EN3c108BFloat16EffNS1_23SoftMaxBackwardEpilogueEEEvPT0_PKT2_SA_l.kd
    .uniform_work_group_size: 1
    .uses_dynamic_stack: false
    .vgpr_count:     16
    .vgpr_spill_count: 0
    .wavefront_size: 32
    .workgroup_processor_mode: 1
  - .args:
      - .address_space:  global
        .offset:         0
        .size:           8
        .value_kind:     global_buffer
      - .address_space:  global
        .offset:         8
        .size:           8
        .value_kind:     global_buffer
      - .address_space:  global
        .offset:         16
        .size:           8
        .value_kind:     global_buffer
      - .offset:         24
        .size:           8
        .value_kind:     by_value
      - .offset:         32
        .size:           4
        .value_kind:     hidden_block_count_x
      - .offset:         36
        .size:           4
        .value_kind:     hidden_block_count_y
      - .offset:         40
        .size:           4
        .value_kind:     hidden_block_count_z
      - .offset:         44
        .size:           2
        .value_kind:     hidden_group_size_x
      - .offset:         46
        .size:           2
        .value_kind:     hidden_group_size_y
      - .offset:         48
        .size:           2
        .value_kind:     hidden_group_size_z
      - .offset:         50
        .size:           2
        .value_kind:     hidden_remainder_x
      - .offset:         52
        .size:           2
        .value_kind:     hidden_remainder_y
      - .offset:         54
        .size:           2
        .value_kind:     hidden_remainder_z
      - .offset:         72
        .size:           8
        .value_kind:     hidden_global_offset_x
      - .offset:         80
        .size:           8
        .value_kind:     hidden_global_offset_y
      - .offset:         88
        .size:           8
        .value_kind:     hidden_global_offset_z
      - .offset:         96
        .size:           2
        .value_kind:     hidden_grid_dims
      - .offset:         152
        .size:           4
        .value_kind:     hidden_dynamic_lds_size
    .group_segment_fixed_size: 0
    .kernarg_segment_align: 8
    .kernarg_segment_size: 288
    .language:       OpenCL C
    .language_version:
      - 2
      - 0
    .max_flat_workgroup_size: 1024
    .name:           _ZN2at6native12_GLOBAL__N_120cunn_SoftMaxBackwardILi4EN3c108BFloat16EffNS1_23SoftMaxBackwardEpilogueEEEvPT0_PKT2_SA_l
    .private_segment_fixed_size: 0
    .sgpr_count:     61
    .sgpr_spill_count: 0
    .symbol:         _ZN2at6native12_GLOBAL__N_120cunn_SoftMaxBackwardILi4EN3c108BFloat16EffNS1_23SoftMaxBackwardEpilogueEEEvPT0_PKT2_SA_l.kd
    .uniform_work_group_size: 1
    .uses_dynamic_stack: false
    .vgpr_count:     27
    .vgpr_spill_count: 0
    .wavefront_size: 32
    .workgroup_processor_mode: 1
  - .args:
      - .address_space:  global
        .offset:         0
        .size:           8
        .value_kind:     global_buffer
      - .address_space:  global
        .offset:         8
        .size:           8
        .value_kind:     global_buffer
      - .address_space:  global
        .offset:         16
        .size:           8
        .value_kind:     global_buffer
      - .offset:         24
        .size:           4
        .value_kind:     by_value
      - .offset:         28
        .size:           4
        .value_kind:     by_value
      - .offset:         32
        .size:           4
        .value_kind:     by_value
      - .offset:         40
        .size:           4
        .value_kind:     hidden_block_count_x
      - .offset:         44
        .size:           4
        .value_kind:     hidden_block_count_y
      - .offset:         48
        .size:           4
        .value_kind:     hidden_block_count_z
      - .offset:         52
        .size:           2
        .value_kind:     hidden_group_size_x
      - .offset:         54
        .size:           2
        .value_kind:     hidden_group_size_y
      - .offset:         56
        .size:           2
        .value_kind:     hidden_group_size_z
      - .offset:         58
        .size:           2
        .value_kind:     hidden_remainder_x
      - .offset:         60
        .size:           2
        .value_kind:     hidden_remainder_y
      - .offset:         62
        .size:           2
        .value_kind:     hidden_remainder_z
      - .offset:         80
        .size:           8
        .value_kind:     hidden_global_offset_x
      - .offset:         88
        .size:           8
        .value_kind:     hidden_global_offset_y
      - .offset:         96
        .size:           8
        .value_kind:     hidden_global_offset_z
      - .offset:         104
        .size:           2
        .value_kind:     hidden_grid_dims
      - .offset:         160
        .size:           4
        .value_kind:     hidden_dynamic_lds_size
    .group_segment_fixed_size: 0
    .kernarg_segment_align: 8
    .kernarg_segment_size: 296
    .language:       OpenCL C
    .language_version:
      - 2
      - 0
    .max_flat_workgroup_size: 1024
    .name:           _ZN2at6native12_GLOBAL__N_127cunn_SpatialSoftMaxBackwardIdddNS1_23SoftMaxBackwardEpilogueEEEvPT_PKT1_S8_jjj
    .private_segment_fixed_size: 0
    .sgpr_count:     28
    .sgpr_spill_count: 0
    .symbol:         _ZN2at6native12_GLOBAL__N_127cunn_SpatialSoftMaxBackwardIdddNS1_23SoftMaxBackwardEpilogueEEEvPT_PKT1_S8_jjj.kd
    .uniform_work_group_size: 1
    .uses_dynamic_stack: false
    .vgpr_count:     21
    .vgpr_spill_count: 0
    .wavefront_size: 32
    .workgroup_processor_mode: 1
  - .args:
      - .address_space:  global
        .offset:         0
        .size:           8
        .value_kind:     global_buffer
      - .address_space:  global
        .offset:         8
        .size:           8
        .value_kind:     global_buffer
      - .address_space:  global
        .offset:         16
        .size:           8
        .value_kind:     global_buffer
      - .offset:         24
        .size:           4
        .value_kind:     by_value
      - .offset:         28
        .size:           4
        .value_kind:     by_value
      - .offset:         32
        .size:           4
        .value_kind:     by_value
      - .offset:         40
        .size:           4
        .value_kind:     hidden_block_count_x
      - .offset:         44
        .size:           4
        .value_kind:     hidden_block_count_y
      - .offset:         48
        .size:           4
        .value_kind:     hidden_block_count_z
      - .offset:         52
        .size:           2
        .value_kind:     hidden_group_size_x
      - .offset:         54
        .size:           2
        .value_kind:     hidden_group_size_y
      - .offset:         56
        .size:           2
        .value_kind:     hidden_group_size_z
      - .offset:         58
        .size:           2
        .value_kind:     hidden_remainder_x
      - .offset:         60
        .size:           2
        .value_kind:     hidden_remainder_y
      - .offset:         62
        .size:           2
        .value_kind:     hidden_remainder_z
      - .offset:         80
        .size:           8
        .value_kind:     hidden_global_offset_x
      - .offset:         88
        .size:           8
        .value_kind:     hidden_global_offset_y
      - .offset:         96
        .size:           8
        .value_kind:     hidden_global_offset_z
      - .offset:         104
        .size:           2
        .value_kind:     hidden_grid_dims
      - .offset:         160
        .size:           4
        .value_kind:     hidden_dynamic_lds_size
    .group_segment_fixed_size: 0
    .kernarg_segment_align: 8
    .kernarg_segment_size: 296
    .language:       OpenCL C
    .language_version:
      - 2
      - 0
    .max_flat_workgroup_size: 1024
    .name:           _ZN2at6native12_GLOBAL__N_127cunn_SpatialSoftMaxBackwardIfffNS1_23SoftMaxBackwardEpilogueEEEvPT_PKT1_S8_jjj
    .private_segment_fixed_size: 0
    .sgpr_count:     28
    .sgpr_spill_count: 0
    .symbol:         _ZN2at6native12_GLOBAL__N_127cunn_SpatialSoftMaxBackwardIfffNS1_23SoftMaxBackwardEpilogueEEEvPT_PKT1_S8_jjj.kd
    .uniform_work_group_size: 1
    .uses_dynamic_stack: false
    .vgpr_count:     20
    .vgpr_spill_count: 0
    .wavefront_size: 32
    .workgroup_processor_mode: 1
  - .args:
      - .address_space:  global
        .offset:         0
        .size:           8
        .value_kind:     global_buffer
      - .address_space:  global
        .offset:         8
        .size:           8
        .value_kind:     global_buffer
      - .address_space:  global
        .offset:         16
        .size:           8
        .value_kind:     global_buffer
      - .offset:         24
        .size:           4
        .value_kind:     by_value
      - .offset:         28
        .size:           4
        .value_kind:     by_value
      - .offset:         32
        .size:           4
        .value_kind:     by_value
      - .offset:         40
        .size:           4
        .value_kind:     hidden_block_count_x
      - .offset:         44
        .size:           4
        .value_kind:     hidden_block_count_y
      - .offset:         48
        .size:           4
        .value_kind:     hidden_block_count_z
      - .offset:         52
        .size:           2
        .value_kind:     hidden_group_size_x
      - .offset:         54
        .size:           2
        .value_kind:     hidden_group_size_y
      - .offset:         56
        .size:           2
        .value_kind:     hidden_group_size_z
      - .offset:         58
        .size:           2
        .value_kind:     hidden_remainder_x
      - .offset:         60
        .size:           2
        .value_kind:     hidden_remainder_y
      - .offset:         62
        .size:           2
        .value_kind:     hidden_remainder_z
      - .offset:         80
        .size:           8
        .value_kind:     hidden_global_offset_x
      - .offset:         88
        .size:           8
        .value_kind:     hidden_global_offset_y
      - .offset:         96
        .size:           8
        .value_kind:     hidden_global_offset_z
      - .offset:         104
        .size:           2
        .value_kind:     hidden_grid_dims
      - .offset:         160
        .size:           4
        .value_kind:     hidden_dynamic_lds_size
    .group_segment_fixed_size: 0
    .kernarg_segment_align: 8
    .kernarg_segment_size: 296
    .language:       OpenCL C
    .language_version:
      - 2
      - 0
    .max_flat_workgroup_size: 1024
    .name:           _ZN2at6native12_GLOBAL__N_127cunn_SpatialSoftMaxBackwardIN3c104HalfEfS4_NS1_23SoftMaxBackwardEpilogueEEEvPT_PKT1_SA_jjj
    .private_segment_fixed_size: 0
    .sgpr_count:     28
    .sgpr_spill_count: 0
    .symbol:         _ZN2at6native12_GLOBAL__N_127cunn_SpatialSoftMaxBackwardIN3c104HalfEfS4_NS1_23SoftMaxBackwardEpilogueEEEvPT_PKT1_SA_jjj.kd
    .uniform_work_group_size: 1
    .uses_dynamic_stack: false
    .vgpr_count:     20
    .vgpr_spill_count: 0
    .wavefront_size: 32
    .workgroup_processor_mode: 1
  - .args:
      - .address_space:  global
        .offset:         0
        .size:           8
        .value_kind:     global_buffer
      - .address_space:  global
        .offset:         8
        .size:           8
        .value_kind:     global_buffer
      - .address_space:  global
        .offset:         16
        .size:           8
        .value_kind:     global_buffer
      - .offset:         24
        .size:           4
        .value_kind:     by_value
      - .offset:         28
        .size:           4
        .value_kind:     by_value
      - .offset:         32
        .size:           4
        .value_kind:     by_value
      - .offset:         40
        .size:           4
        .value_kind:     hidden_block_count_x
      - .offset:         44
        .size:           4
        .value_kind:     hidden_block_count_y
      - .offset:         48
        .size:           4
        .value_kind:     hidden_block_count_z
      - .offset:         52
        .size:           2
        .value_kind:     hidden_group_size_x
      - .offset:         54
        .size:           2
        .value_kind:     hidden_group_size_y
      - .offset:         56
        .size:           2
        .value_kind:     hidden_group_size_z
      - .offset:         58
        .size:           2
        .value_kind:     hidden_remainder_x
      - .offset:         60
        .size:           2
        .value_kind:     hidden_remainder_y
      - .offset:         62
        .size:           2
        .value_kind:     hidden_remainder_z
      - .offset:         80
        .size:           8
        .value_kind:     hidden_global_offset_x
      - .offset:         88
        .size:           8
        .value_kind:     hidden_global_offset_y
      - .offset:         96
        .size:           8
        .value_kind:     hidden_global_offset_z
      - .offset:         104
        .size:           2
        .value_kind:     hidden_grid_dims
      - .offset:         160
        .size:           4
        .value_kind:     hidden_dynamic_lds_size
    .group_segment_fixed_size: 0
    .kernarg_segment_align: 8
    .kernarg_segment_size: 296
    .language:       OpenCL C
    .language_version:
      - 2
      - 0
    .max_flat_workgroup_size: 1024
    .name:           _ZN2at6native12_GLOBAL__N_127cunn_SpatialSoftMaxBackwardIN3c104HalfEffNS1_23SoftMaxBackwardEpilogueEEEvPT_PKT1_SA_jjj
    .private_segment_fixed_size: 0
    .sgpr_count:     28
    .sgpr_spill_count: 0
    .symbol:         _ZN2at6native12_GLOBAL__N_127cunn_SpatialSoftMaxBackwardIN3c104HalfEffNS1_23SoftMaxBackwardEpilogueEEEvPT_PKT1_SA_jjj.kd
    .uniform_work_group_size: 1
    .uses_dynamic_stack: false
    .vgpr_count:     18
    .vgpr_spill_count: 0
    .wavefront_size: 32
    .workgroup_processor_mode: 1
  - .args:
      - .address_space:  global
        .offset:         0
        .size:           8
        .value_kind:     global_buffer
      - .address_space:  global
        .offset:         8
        .size:           8
        .value_kind:     global_buffer
      - .address_space:  global
        .offset:         16
        .size:           8
        .value_kind:     global_buffer
      - .offset:         24
        .size:           4
        .value_kind:     by_value
      - .offset:         28
        .size:           4
        .value_kind:     by_value
      - .offset:         32
        .size:           4
        .value_kind:     by_value
      - .offset:         40
        .size:           4
        .value_kind:     hidden_block_count_x
      - .offset:         44
        .size:           4
        .value_kind:     hidden_block_count_y
      - .offset:         48
        .size:           4
        .value_kind:     hidden_block_count_z
      - .offset:         52
        .size:           2
        .value_kind:     hidden_group_size_x
      - .offset:         54
        .size:           2
        .value_kind:     hidden_group_size_y
      - .offset:         56
        .size:           2
        .value_kind:     hidden_group_size_z
      - .offset:         58
        .size:           2
        .value_kind:     hidden_remainder_x
      - .offset:         60
        .size:           2
        .value_kind:     hidden_remainder_y
      - .offset:         62
        .size:           2
        .value_kind:     hidden_remainder_z
      - .offset:         80
        .size:           8
        .value_kind:     hidden_global_offset_x
      - .offset:         88
        .size:           8
        .value_kind:     hidden_global_offset_y
      - .offset:         96
        .size:           8
        .value_kind:     hidden_global_offset_z
      - .offset:         104
        .size:           2
        .value_kind:     hidden_grid_dims
      - .offset:         160
        .size:           4
        .value_kind:     hidden_dynamic_lds_size
    .group_segment_fixed_size: 0
    .kernarg_segment_align: 8
    .kernarg_segment_size: 296
    .language:       OpenCL C
    .language_version:
      - 2
      - 0
    .max_flat_workgroup_size: 1024
    .name:           _ZN2at6native12_GLOBAL__N_127cunn_SpatialSoftMaxBackwardIN3c108BFloat16EfS4_NS1_23SoftMaxBackwardEpilogueEEEvPT_PKT1_SA_jjj
    .private_segment_fixed_size: 0
    .sgpr_count:     28
    .sgpr_spill_count: 0
    .symbol:         _ZN2at6native12_GLOBAL__N_127cunn_SpatialSoftMaxBackwardIN3c108BFloat16EfS4_NS1_23SoftMaxBackwardEpilogueEEEvPT_PKT1_SA_jjj.kd
    .uniform_work_group_size: 1
    .uses_dynamic_stack: false
    .vgpr_count:     21
    .vgpr_spill_count: 0
    .wavefront_size: 32
    .workgroup_processor_mode: 1
  - .args:
      - .address_space:  global
        .offset:         0
        .size:           8
        .value_kind:     global_buffer
      - .address_space:  global
        .offset:         8
        .size:           8
        .value_kind:     global_buffer
      - .address_space:  global
        .offset:         16
        .size:           8
        .value_kind:     global_buffer
      - .offset:         24
        .size:           4
        .value_kind:     by_value
      - .offset:         28
        .size:           4
        .value_kind:     by_value
      - .offset:         32
        .size:           4
        .value_kind:     by_value
      - .offset:         40
        .size:           4
        .value_kind:     hidden_block_count_x
      - .offset:         44
        .size:           4
        .value_kind:     hidden_block_count_y
      - .offset:         48
        .size:           4
        .value_kind:     hidden_block_count_z
      - .offset:         52
        .size:           2
        .value_kind:     hidden_group_size_x
      - .offset:         54
        .size:           2
        .value_kind:     hidden_group_size_y
      - .offset:         56
        .size:           2
        .value_kind:     hidden_group_size_z
      - .offset:         58
        .size:           2
        .value_kind:     hidden_remainder_x
      - .offset:         60
        .size:           2
        .value_kind:     hidden_remainder_y
      - .offset:         62
        .size:           2
        .value_kind:     hidden_remainder_z
      - .offset:         80
        .size:           8
        .value_kind:     hidden_global_offset_x
      - .offset:         88
        .size:           8
        .value_kind:     hidden_global_offset_y
      - .offset:         96
        .size:           8
        .value_kind:     hidden_global_offset_z
      - .offset:         104
        .size:           2
        .value_kind:     hidden_grid_dims
      - .offset:         160
        .size:           4
        .value_kind:     hidden_dynamic_lds_size
    .group_segment_fixed_size: 0
    .kernarg_segment_align: 8
    .kernarg_segment_size: 296
    .language:       OpenCL C
    .language_version:
      - 2
      - 0
    .max_flat_workgroup_size: 1024
    .name:           _ZN2at6native12_GLOBAL__N_127cunn_SpatialSoftMaxBackwardIN3c108BFloat16EffNS1_23SoftMaxBackwardEpilogueEEEvPT_PKT1_SA_jjj
    .private_segment_fixed_size: 0
    .sgpr_count:     28
    .sgpr_spill_count: 0
    .symbol:         _ZN2at6native12_GLOBAL__N_127cunn_SpatialSoftMaxBackwardIN3c108BFloat16EffNS1_23SoftMaxBackwardEpilogueEEEvPT_PKT1_SA_jjj.kd
    .uniform_work_group_size: 1
    .uses_dynamic_stack: false
    .vgpr_count:     18
    .vgpr_spill_count: 0
    .wavefront_size: 32
    .workgroup_processor_mode: 1
  - .args:
      - .address_space:  global
        .offset:         0
        .size:           8
        .value_kind:     global_buffer
      - .address_space:  global
        .offset:         8
        .size:           8
        .value_kind:     global_buffer
      - .offset:         16
        .size:           4
        .value_kind:     by_value
      - .offset:         20
        .size:           4
        .value_kind:     by_value
      - .offset:         24
        .size:           4
        .value_kind:     by_value
      - .address_space:  global
        .offset:         32
        .size:           8
        .value_kind:     global_buffer
      - .offset:         40
        .size:           4
        .value_kind:     by_value
      - .offset:         44
        .size:           1
        .value_kind:     by_value
      - .offset:         48
        .size:           4
        .value_kind:     hidden_block_count_x
      - .offset:         52
        .size:           4
        .value_kind:     hidden_block_count_y
      - .offset:         56
        .size:           4
        .value_kind:     hidden_block_count_z
      - .offset:         60
        .size:           2
        .value_kind:     hidden_group_size_x
      - .offset:         62
        .size:           2
        .value_kind:     hidden_group_size_y
      - .offset:         64
        .size:           2
        .value_kind:     hidden_group_size_z
      - .offset:         66
        .size:           2
        .value_kind:     hidden_remainder_x
      - .offset:         68
        .size:           2
        .value_kind:     hidden_remainder_y
      - .offset:         70
        .size:           2
        .value_kind:     hidden_remainder_z
      - .offset:         88
        .size:           8
        .value_kind:     hidden_global_offset_x
      - .offset:         96
        .size:           8
        .value_kind:     hidden_global_offset_y
      - .offset:         104
        .size:           8
        .value_kind:     hidden_global_offset_z
      - .offset:         112
        .size:           2
        .value_kind:     hidden_grid_dims
    .group_segment_fixed_size: 0
    .kernarg_segment_align: 8
    .kernarg_segment_size: 304
    .language:       OpenCL C
    .language_version:
      - 2
      - 0
    .max_flat_workgroup_size: 1024
    .name:           _ZN12_GLOBAL__N_120softmax_warp_forwardIdddLi0ELb0ELb1ELi64EEEvPT0_PKT_iiiPKbib
    .private_segment_fixed_size: 0
    .sgpr_count:     18
    .sgpr_spill_count: 0
    .symbol:         _ZN12_GLOBAL__N_120softmax_warp_forwardIdddLi0ELb0ELb1ELi64EEEvPT0_PKT_iiiPKbib.kd
    .uniform_work_group_size: 1
    .uses_dynamic_stack: false
    .vgpr_count:     21
    .vgpr_spill_count: 0
    .wavefront_size: 32
    .workgroup_processor_mode: 1
  - .args:
      - .address_space:  global
        .offset:         0
        .size:           8
        .value_kind:     global_buffer
      - .address_space:  global
        .offset:         8
        .size:           8
        .value_kind:     global_buffer
      - .offset:         16
        .size:           4
        .value_kind:     by_value
      - .offset:         20
        .size:           4
        .value_kind:     by_value
      - .offset:         24
        .size:           4
        .value_kind:     by_value
      - .address_space:  global
        .offset:         32
        .size:           8
        .value_kind:     global_buffer
      - .offset:         40
        .size:           4
        .value_kind:     by_value
      - .offset:         44
        .size:           1
        .value_kind:     by_value
      - .offset:         48
        .size:           4
        .value_kind:     hidden_block_count_x
      - .offset:         52
        .size:           4
        .value_kind:     hidden_block_count_y
      - .offset:         56
        .size:           4
        .value_kind:     hidden_block_count_z
      - .offset:         60
        .size:           2
        .value_kind:     hidden_group_size_x
      - .offset:         62
        .size:           2
        .value_kind:     hidden_group_size_y
      - .offset:         64
        .size:           2
        .value_kind:     hidden_group_size_z
      - .offset:         66
        .size:           2
        .value_kind:     hidden_remainder_x
      - .offset:         68
        .size:           2
        .value_kind:     hidden_remainder_y
      - .offset:         70
        .size:           2
        .value_kind:     hidden_remainder_z
      - .offset:         88
        .size:           8
        .value_kind:     hidden_global_offset_x
      - .offset:         96
        .size:           8
        .value_kind:     hidden_global_offset_y
      - .offset:         104
        .size:           8
        .value_kind:     hidden_global_offset_z
      - .offset:         112
        .size:           2
        .value_kind:     hidden_grid_dims
    .group_segment_fixed_size: 0
    .kernarg_segment_align: 8
    .kernarg_segment_size: 304
    .language:       OpenCL C
    .language_version:
      - 2
      - 0
    .max_flat_workgroup_size: 1024
    .name:           _ZN12_GLOBAL__N_120softmax_warp_forwardIdddLi0ELb0ELb1ELi32EEEvPT0_PKT_iiiPKbib
    .private_segment_fixed_size: 0
    .sgpr_count:     18
    .sgpr_spill_count: 0
    .symbol:         _ZN12_GLOBAL__N_120softmax_warp_forwardIdddLi0ELb0ELb1ELi32EEEvPT0_PKT_iiiPKbib.kd
    .uniform_work_group_size: 1
    .uses_dynamic_stack: false
    .vgpr_count:     21
    .vgpr_spill_count: 0
    .wavefront_size: 32
    .workgroup_processor_mode: 1
  - .args:
      - .address_space:  global
        .offset:         0
        .size:           8
        .value_kind:     global_buffer
      - .address_space:  global
        .offset:         8
        .size:           8
        .value_kind:     global_buffer
      - .offset:         16
        .size:           4
        .value_kind:     by_value
      - .offset:         20
        .size:           4
        .value_kind:     by_value
      - .offset:         24
        .size:           4
        .value_kind:     by_value
      - .address_space:  global
        .offset:         32
        .size:           8
        .value_kind:     global_buffer
      - .offset:         40
        .size:           4
        .value_kind:     by_value
      - .offset:         44
        .size:           1
        .value_kind:     by_value
      - .offset:         48
        .size:           4
        .value_kind:     hidden_block_count_x
      - .offset:         52
        .size:           4
        .value_kind:     hidden_block_count_y
      - .offset:         56
        .size:           4
        .value_kind:     hidden_block_count_z
      - .offset:         60
        .size:           2
        .value_kind:     hidden_group_size_x
      - .offset:         62
        .size:           2
        .value_kind:     hidden_group_size_y
      - .offset:         64
        .size:           2
        .value_kind:     hidden_group_size_z
      - .offset:         66
        .size:           2
        .value_kind:     hidden_remainder_x
      - .offset:         68
        .size:           2
        .value_kind:     hidden_remainder_y
      - .offset:         70
        .size:           2
        .value_kind:     hidden_remainder_z
      - .offset:         88
        .size:           8
        .value_kind:     hidden_global_offset_x
      - .offset:         96
        .size:           8
        .value_kind:     hidden_global_offset_y
      - .offset:         104
        .size:           8
        .value_kind:     hidden_global_offset_z
      - .offset:         112
        .size:           2
        .value_kind:     hidden_grid_dims
    .group_segment_fixed_size: 0
    .kernarg_segment_align: 8
    .kernarg_segment_size: 304
    .language:       OpenCL C
    .language_version:
      - 2
      - 0
    .max_flat_workgroup_size: 1024
    .name:           _ZN12_GLOBAL__N_120softmax_warp_forwardIdddLi1ELb0ELb1ELi64EEEvPT0_PKT_iiiPKbib
    .private_segment_fixed_size: 0
    .sgpr_count:     18
    .sgpr_spill_count: 0
    .symbol:         _ZN12_GLOBAL__N_120softmax_warp_forwardIdddLi1ELb0ELb1ELi64EEEvPT0_PKT_iiiPKbib.kd
    .uniform_work_group_size: 1
    .uses_dynamic_stack: false
    .vgpr_count:     27
    .vgpr_spill_count: 0
    .wavefront_size: 32
    .workgroup_processor_mode: 1
  - .args:
      - .address_space:  global
        .offset:         0
        .size:           8
        .value_kind:     global_buffer
      - .address_space:  global
        .offset:         8
        .size:           8
        .value_kind:     global_buffer
      - .offset:         16
        .size:           4
        .value_kind:     by_value
      - .offset:         20
        .size:           4
        .value_kind:     by_value
      - .offset:         24
        .size:           4
        .value_kind:     by_value
      - .address_space:  global
        .offset:         32
        .size:           8
        .value_kind:     global_buffer
      - .offset:         40
        .size:           4
        .value_kind:     by_value
      - .offset:         44
        .size:           1
        .value_kind:     by_value
      - .offset:         48
        .size:           4
        .value_kind:     hidden_block_count_x
      - .offset:         52
        .size:           4
        .value_kind:     hidden_block_count_y
      - .offset:         56
        .size:           4
        .value_kind:     hidden_block_count_z
      - .offset:         60
        .size:           2
        .value_kind:     hidden_group_size_x
      - .offset:         62
        .size:           2
        .value_kind:     hidden_group_size_y
      - .offset:         64
        .size:           2
        .value_kind:     hidden_group_size_z
      - .offset:         66
        .size:           2
        .value_kind:     hidden_remainder_x
      - .offset:         68
        .size:           2
        .value_kind:     hidden_remainder_y
      - .offset:         70
        .size:           2
        .value_kind:     hidden_remainder_z
      - .offset:         88
        .size:           8
        .value_kind:     hidden_global_offset_x
      - .offset:         96
        .size:           8
        .value_kind:     hidden_global_offset_y
      - .offset:         104
        .size:           8
        .value_kind:     hidden_global_offset_z
      - .offset:         112
        .size:           2
        .value_kind:     hidden_grid_dims
    .group_segment_fixed_size: 0
    .kernarg_segment_align: 8
    .kernarg_segment_size: 304
    .language:       OpenCL C
    .language_version:
      - 2
      - 0
    .max_flat_workgroup_size: 1024
    .name:           _ZN12_GLOBAL__N_120softmax_warp_forwardIdddLi1ELb0ELb1ELi32EEEvPT0_PKT_iiiPKbib
    .private_segment_fixed_size: 0
    .sgpr_count:     18
    .sgpr_spill_count: 0
    .symbol:         _ZN12_GLOBAL__N_120softmax_warp_forwardIdddLi1ELb0ELb1ELi32EEEvPT0_PKT_iiiPKbib.kd
    .uniform_work_group_size: 1
    .uses_dynamic_stack: false
    .vgpr_count:     27
    .vgpr_spill_count: 0
    .wavefront_size: 32
    .workgroup_processor_mode: 1
  - .args:
      - .address_space:  global
        .offset:         0
        .size:           8
        .value_kind:     global_buffer
      - .address_space:  global
        .offset:         8
        .size:           8
        .value_kind:     global_buffer
      - .offset:         16
        .size:           4
        .value_kind:     by_value
      - .offset:         20
        .size:           4
        .value_kind:     by_value
      - .offset:         24
        .size:           4
        .value_kind:     by_value
      - .address_space:  global
        .offset:         32
        .size:           8
        .value_kind:     global_buffer
      - .offset:         40
        .size:           4
        .value_kind:     by_value
      - .offset:         44
        .size:           1
        .value_kind:     by_value
      - .offset:         48
        .size:           4
        .value_kind:     hidden_block_count_x
      - .offset:         52
        .size:           4
        .value_kind:     hidden_block_count_y
      - .offset:         56
        .size:           4
        .value_kind:     hidden_block_count_z
      - .offset:         60
        .size:           2
        .value_kind:     hidden_group_size_x
      - .offset:         62
        .size:           2
        .value_kind:     hidden_group_size_y
      - .offset:         64
        .size:           2
        .value_kind:     hidden_group_size_z
      - .offset:         66
        .size:           2
        .value_kind:     hidden_remainder_x
      - .offset:         68
        .size:           2
        .value_kind:     hidden_remainder_y
      - .offset:         70
        .size:           2
        .value_kind:     hidden_remainder_z
      - .offset:         88
        .size:           8
        .value_kind:     hidden_global_offset_x
      - .offset:         96
        .size:           8
        .value_kind:     hidden_global_offset_y
      - .offset:         104
        .size:           8
        .value_kind:     hidden_global_offset_z
      - .offset:         112
        .size:           2
        .value_kind:     hidden_grid_dims
    .group_segment_fixed_size: 0
    .kernarg_segment_align: 8
    .kernarg_segment_size: 304
    .language:       OpenCL C
    .language_version:
      - 2
      - 0
    .max_flat_workgroup_size: 1024
    .name:           _ZN12_GLOBAL__N_120softmax_warp_forwardIdddLi2ELb0ELb1ELi64EEEvPT0_PKT_iiiPKbib
    .private_segment_fixed_size: 0
    .sgpr_count:     18
    .sgpr_spill_count: 0
    .symbol:         _ZN12_GLOBAL__N_120softmax_warp_forwardIdddLi2ELb0ELb1ELi64EEEvPT0_PKT_iiiPKbib.kd
    .uniform_work_group_size: 1
    .uses_dynamic_stack: false
    .vgpr_count:     28
    .vgpr_spill_count: 0
    .wavefront_size: 32
    .workgroup_processor_mode: 1
  - .args:
      - .address_space:  global
        .offset:         0
        .size:           8
        .value_kind:     global_buffer
      - .address_space:  global
        .offset:         8
        .size:           8
        .value_kind:     global_buffer
      - .offset:         16
        .size:           4
        .value_kind:     by_value
      - .offset:         20
        .size:           4
        .value_kind:     by_value
      - .offset:         24
        .size:           4
        .value_kind:     by_value
      - .address_space:  global
        .offset:         32
        .size:           8
        .value_kind:     global_buffer
      - .offset:         40
        .size:           4
        .value_kind:     by_value
      - .offset:         44
        .size:           1
        .value_kind:     by_value
      - .offset:         48
        .size:           4
        .value_kind:     hidden_block_count_x
      - .offset:         52
        .size:           4
        .value_kind:     hidden_block_count_y
      - .offset:         56
        .size:           4
        .value_kind:     hidden_block_count_z
      - .offset:         60
        .size:           2
        .value_kind:     hidden_group_size_x
      - .offset:         62
        .size:           2
        .value_kind:     hidden_group_size_y
      - .offset:         64
        .size:           2
        .value_kind:     hidden_group_size_z
      - .offset:         66
        .size:           2
        .value_kind:     hidden_remainder_x
      - .offset:         68
        .size:           2
        .value_kind:     hidden_remainder_y
      - .offset:         70
        .size:           2
        .value_kind:     hidden_remainder_z
      - .offset:         88
        .size:           8
        .value_kind:     hidden_global_offset_x
      - .offset:         96
        .size:           8
        .value_kind:     hidden_global_offset_y
      - .offset:         104
        .size:           8
        .value_kind:     hidden_global_offset_z
      - .offset:         112
        .size:           2
        .value_kind:     hidden_grid_dims
    .group_segment_fixed_size: 0
    .kernarg_segment_align: 8
    .kernarg_segment_size: 304
    .language:       OpenCL C
    .language_version:
      - 2
      - 0
    .max_flat_workgroup_size: 1024
    .name:           _ZN12_GLOBAL__N_120softmax_warp_forwardIdddLi2ELb0ELb1ELi32EEEvPT0_PKT_iiiPKbib
    .private_segment_fixed_size: 0
    .sgpr_count:     18
    .sgpr_spill_count: 0
    .symbol:         _ZN12_GLOBAL__N_120softmax_warp_forwardIdddLi2ELb0ELb1ELi32EEEvPT0_PKT_iiiPKbib.kd
    .uniform_work_group_size: 1
    .uses_dynamic_stack: false
    .vgpr_count:     28
    .vgpr_spill_count: 0
    .wavefront_size: 32
    .workgroup_processor_mode: 1
  - .args:
      - .address_space:  global
        .offset:         0
        .size:           8
        .value_kind:     global_buffer
      - .address_space:  global
        .offset:         8
        .size:           8
        .value_kind:     global_buffer
      - .offset:         16
        .size:           4
        .value_kind:     by_value
      - .offset:         20
        .size:           4
        .value_kind:     by_value
      - .offset:         24
        .size:           4
        .value_kind:     by_value
      - .address_space:  global
        .offset:         32
        .size:           8
        .value_kind:     global_buffer
      - .offset:         40
        .size:           4
        .value_kind:     by_value
      - .offset:         44
        .size:           1
        .value_kind:     by_value
      - .offset:         48
        .size:           4
        .value_kind:     hidden_block_count_x
      - .offset:         52
        .size:           4
        .value_kind:     hidden_block_count_y
      - .offset:         56
        .size:           4
        .value_kind:     hidden_block_count_z
      - .offset:         60
        .size:           2
        .value_kind:     hidden_group_size_x
      - .offset:         62
        .size:           2
        .value_kind:     hidden_group_size_y
      - .offset:         64
        .size:           2
        .value_kind:     hidden_group_size_z
      - .offset:         66
        .size:           2
        .value_kind:     hidden_remainder_x
      - .offset:         68
        .size:           2
        .value_kind:     hidden_remainder_y
      - .offset:         70
        .size:           2
        .value_kind:     hidden_remainder_z
      - .offset:         88
        .size:           8
        .value_kind:     hidden_global_offset_x
      - .offset:         96
        .size:           8
        .value_kind:     hidden_global_offset_y
      - .offset:         104
        .size:           8
        .value_kind:     hidden_global_offset_z
      - .offset:         112
        .size:           2
        .value_kind:     hidden_grid_dims
    .group_segment_fixed_size: 0
    .kernarg_segment_align: 8
    .kernarg_segment_size: 304
    .language:       OpenCL C
    .language_version:
      - 2
      - 0
    .max_flat_workgroup_size: 1024
    .name:           _ZN12_GLOBAL__N_120softmax_warp_forwardIdddLi3ELb0ELb1ELi64EEEvPT0_PKT_iiiPKbib
    .private_segment_fixed_size: 0
    .sgpr_count:     18
    .sgpr_spill_count: 0
    .symbol:         _ZN12_GLOBAL__N_120softmax_warp_forwardIdddLi3ELb0ELb1ELi64EEEvPT0_PKT_iiiPKbib.kd
    .uniform_work_group_size: 1
    .uses_dynamic_stack: false
    .vgpr_count:     29
    .vgpr_spill_count: 0
    .wavefront_size: 32
    .workgroup_processor_mode: 1
  - .args:
      - .address_space:  global
        .offset:         0
        .size:           8
        .value_kind:     global_buffer
      - .address_space:  global
        .offset:         8
        .size:           8
        .value_kind:     global_buffer
      - .offset:         16
        .size:           4
        .value_kind:     by_value
      - .offset:         20
        .size:           4
        .value_kind:     by_value
      - .offset:         24
        .size:           4
        .value_kind:     by_value
      - .address_space:  global
        .offset:         32
        .size:           8
        .value_kind:     global_buffer
      - .offset:         40
        .size:           4
        .value_kind:     by_value
      - .offset:         44
        .size:           1
        .value_kind:     by_value
      - .offset:         48
        .size:           4
        .value_kind:     hidden_block_count_x
      - .offset:         52
        .size:           4
        .value_kind:     hidden_block_count_y
      - .offset:         56
        .size:           4
        .value_kind:     hidden_block_count_z
      - .offset:         60
        .size:           2
        .value_kind:     hidden_group_size_x
      - .offset:         62
        .size:           2
        .value_kind:     hidden_group_size_y
      - .offset:         64
        .size:           2
        .value_kind:     hidden_group_size_z
      - .offset:         66
        .size:           2
        .value_kind:     hidden_remainder_x
      - .offset:         68
        .size:           2
        .value_kind:     hidden_remainder_y
      - .offset:         70
        .size:           2
        .value_kind:     hidden_remainder_z
      - .offset:         88
        .size:           8
        .value_kind:     hidden_global_offset_x
      - .offset:         96
        .size:           8
        .value_kind:     hidden_global_offset_y
      - .offset:         104
        .size:           8
        .value_kind:     hidden_global_offset_z
      - .offset:         112
        .size:           2
        .value_kind:     hidden_grid_dims
    .group_segment_fixed_size: 0
    .kernarg_segment_align: 8
    .kernarg_segment_size: 304
    .language:       OpenCL C
    .language_version:
      - 2
      - 0
    .max_flat_workgroup_size: 1024
    .name:           _ZN12_GLOBAL__N_120softmax_warp_forwardIdddLi3ELb0ELb1ELi32EEEvPT0_PKT_iiiPKbib
    .private_segment_fixed_size: 0
    .sgpr_count:     18
    .sgpr_spill_count: 0
    .symbol:         _ZN12_GLOBAL__N_120softmax_warp_forwardIdddLi3ELb0ELb1ELi32EEEvPT0_PKT_iiiPKbib.kd
    .uniform_work_group_size: 1
    .uses_dynamic_stack: false
    .vgpr_count:     29
    .vgpr_spill_count: 0
    .wavefront_size: 32
    .workgroup_processor_mode: 1
  - .args:
      - .address_space:  global
        .offset:         0
        .size:           8
        .value_kind:     global_buffer
      - .address_space:  global
        .offset:         8
        .size:           8
        .value_kind:     global_buffer
      - .offset:         16
        .size:           4
        .value_kind:     by_value
      - .offset:         20
        .size:           4
        .value_kind:     by_value
      - .offset:         24
        .size:           4
        .value_kind:     by_value
      - .address_space:  global
        .offset:         32
        .size:           8
        .value_kind:     global_buffer
      - .offset:         40
        .size:           4
        .value_kind:     by_value
      - .offset:         44
        .size:           1
        .value_kind:     by_value
      - .offset:         48
        .size:           4
        .value_kind:     hidden_block_count_x
      - .offset:         52
        .size:           4
        .value_kind:     hidden_block_count_y
      - .offset:         56
        .size:           4
        .value_kind:     hidden_block_count_z
      - .offset:         60
        .size:           2
        .value_kind:     hidden_group_size_x
      - .offset:         62
        .size:           2
        .value_kind:     hidden_group_size_y
      - .offset:         64
        .size:           2
        .value_kind:     hidden_group_size_z
      - .offset:         66
        .size:           2
        .value_kind:     hidden_remainder_x
      - .offset:         68
        .size:           2
        .value_kind:     hidden_remainder_y
      - .offset:         70
        .size:           2
        .value_kind:     hidden_remainder_z
      - .offset:         88
        .size:           8
        .value_kind:     hidden_global_offset_x
      - .offset:         96
        .size:           8
        .value_kind:     hidden_global_offset_y
      - .offset:         104
        .size:           8
        .value_kind:     hidden_global_offset_z
      - .offset:         112
        .size:           2
        .value_kind:     hidden_grid_dims
    .group_segment_fixed_size: 0
    .kernarg_segment_align: 8
    .kernarg_segment_size: 304
    .language:       OpenCL C
    .language_version:
      - 2
      - 0
    .max_flat_workgroup_size: 1024
    .name:           _ZN12_GLOBAL__N_120softmax_warp_forwardIdddLi4ELb0ELb1ELi64EEEvPT0_PKT_iiiPKbib
    .private_segment_fixed_size: 0
    .sgpr_count:     18
    .sgpr_spill_count: 0
    .symbol:         _ZN12_GLOBAL__N_120softmax_warp_forwardIdddLi4ELb0ELb1ELi64EEEvPT0_PKT_iiiPKbib.kd
    .uniform_work_group_size: 1
    .uses_dynamic_stack: false
    .vgpr_count:     30
    .vgpr_spill_count: 0
    .wavefront_size: 32
    .workgroup_processor_mode: 1
  - .args:
      - .address_space:  global
        .offset:         0
        .size:           8
        .value_kind:     global_buffer
      - .address_space:  global
        .offset:         8
        .size:           8
        .value_kind:     global_buffer
      - .offset:         16
        .size:           4
        .value_kind:     by_value
      - .offset:         20
        .size:           4
        .value_kind:     by_value
      - .offset:         24
        .size:           4
        .value_kind:     by_value
      - .address_space:  global
        .offset:         32
        .size:           8
        .value_kind:     global_buffer
      - .offset:         40
        .size:           4
        .value_kind:     by_value
      - .offset:         44
        .size:           1
        .value_kind:     by_value
      - .offset:         48
        .size:           4
        .value_kind:     hidden_block_count_x
      - .offset:         52
        .size:           4
        .value_kind:     hidden_block_count_y
      - .offset:         56
        .size:           4
        .value_kind:     hidden_block_count_z
      - .offset:         60
        .size:           2
        .value_kind:     hidden_group_size_x
      - .offset:         62
        .size:           2
        .value_kind:     hidden_group_size_y
      - .offset:         64
        .size:           2
        .value_kind:     hidden_group_size_z
      - .offset:         66
        .size:           2
        .value_kind:     hidden_remainder_x
      - .offset:         68
        .size:           2
        .value_kind:     hidden_remainder_y
      - .offset:         70
        .size:           2
        .value_kind:     hidden_remainder_z
      - .offset:         88
        .size:           8
        .value_kind:     hidden_global_offset_x
      - .offset:         96
        .size:           8
        .value_kind:     hidden_global_offset_y
      - .offset:         104
        .size:           8
        .value_kind:     hidden_global_offset_z
      - .offset:         112
        .size:           2
        .value_kind:     hidden_grid_dims
    .group_segment_fixed_size: 0
    .kernarg_segment_align: 8
    .kernarg_segment_size: 304
    .language:       OpenCL C
    .language_version:
      - 2
      - 0
    .max_flat_workgroup_size: 1024
    .name:           _ZN12_GLOBAL__N_120softmax_warp_forwardIdddLi4ELb0ELb1ELi32EEEvPT0_PKT_iiiPKbib
    .private_segment_fixed_size: 0
    .sgpr_count:     18
    .sgpr_spill_count: 0
    .symbol:         _ZN12_GLOBAL__N_120softmax_warp_forwardIdddLi4ELb0ELb1ELi32EEEvPT0_PKT_iiiPKbib.kd
    .uniform_work_group_size: 1
    .uses_dynamic_stack: false
    .vgpr_count:     30
    .vgpr_spill_count: 0
    .wavefront_size: 32
    .workgroup_processor_mode: 1
  - .args:
      - .address_space:  global
        .offset:         0
        .size:           8
        .value_kind:     global_buffer
      - .address_space:  global
        .offset:         8
        .size:           8
        .value_kind:     global_buffer
      - .offset:         16
        .size:           4
        .value_kind:     by_value
      - .offset:         20
        .size:           4
        .value_kind:     by_value
      - .offset:         24
        .size:           4
        .value_kind:     by_value
      - .address_space:  global
        .offset:         32
        .size:           8
        .value_kind:     global_buffer
      - .offset:         40
        .size:           4
        .value_kind:     by_value
      - .offset:         44
        .size:           1
        .value_kind:     by_value
      - .offset:         48
        .size:           4
        .value_kind:     hidden_block_count_x
      - .offset:         52
        .size:           4
        .value_kind:     hidden_block_count_y
      - .offset:         56
        .size:           4
        .value_kind:     hidden_block_count_z
      - .offset:         60
        .size:           2
        .value_kind:     hidden_group_size_x
      - .offset:         62
        .size:           2
        .value_kind:     hidden_group_size_y
      - .offset:         64
        .size:           2
        .value_kind:     hidden_group_size_z
      - .offset:         66
        .size:           2
        .value_kind:     hidden_remainder_x
      - .offset:         68
        .size:           2
        .value_kind:     hidden_remainder_y
      - .offset:         70
        .size:           2
        .value_kind:     hidden_remainder_z
      - .offset:         88
        .size:           8
        .value_kind:     hidden_global_offset_x
      - .offset:         96
        .size:           8
        .value_kind:     hidden_global_offset_y
      - .offset:         104
        .size:           8
        .value_kind:     hidden_global_offset_z
      - .offset:         112
        .size:           2
        .value_kind:     hidden_grid_dims
    .group_segment_fixed_size: 0
    .kernarg_segment_align: 8
    .kernarg_segment_size: 304
    .language:       OpenCL C
    .language_version:
      - 2
      - 0
    .max_flat_workgroup_size: 1024
    .name:           _ZN12_GLOBAL__N_120softmax_warp_forwardIdddLi5ELb0ELb1ELi64EEEvPT0_PKT_iiiPKbib
    .private_segment_fixed_size: 0
    .sgpr_count:     18
    .sgpr_spill_count: 0
    .symbol:         _ZN12_GLOBAL__N_120softmax_warp_forwardIdddLi5ELb0ELb1ELi64EEEvPT0_PKT_iiiPKbib.kd
    .uniform_work_group_size: 1
    .uses_dynamic_stack: false
    .vgpr_count:     31
    .vgpr_spill_count: 0
    .wavefront_size: 32
    .workgroup_processor_mode: 1
  - .args:
      - .address_space:  global
        .offset:         0
        .size:           8
        .value_kind:     global_buffer
      - .address_space:  global
        .offset:         8
        .size:           8
        .value_kind:     global_buffer
      - .offset:         16
        .size:           4
        .value_kind:     by_value
      - .offset:         20
        .size:           4
        .value_kind:     by_value
      - .offset:         24
        .size:           4
        .value_kind:     by_value
      - .address_space:  global
        .offset:         32
        .size:           8
        .value_kind:     global_buffer
      - .offset:         40
        .size:           4
        .value_kind:     by_value
      - .offset:         44
        .size:           1
        .value_kind:     by_value
      - .offset:         48
        .size:           4
        .value_kind:     hidden_block_count_x
      - .offset:         52
        .size:           4
        .value_kind:     hidden_block_count_y
      - .offset:         56
        .size:           4
        .value_kind:     hidden_block_count_z
      - .offset:         60
        .size:           2
        .value_kind:     hidden_group_size_x
      - .offset:         62
        .size:           2
        .value_kind:     hidden_group_size_y
      - .offset:         64
        .size:           2
        .value_kind:     hidden_group_size_z
      - .offset:         66
        .size:           2
        .value_kind:     hidden_remainder_x
      - .offset:         68
        .size:           2
        .value_kind:     hidden_remainder_y
      - .offset:         70
        .size:           2
        .value_kind:     hidden_remainder_z
      - .offset:         88
        .size:           8
        .value_kind:     hidden_global_offset_x
      - .offset:         96
        .size:           8
        .value_kind:     hidden_global_offset_y
      - .offset:         104
        .size:           8
        .value_kind:     hidden_global_offset_z
      - .offset:         112
        .size:           2
        .value_kind:     hidden_grid_dims
    .group_segment_fixed_size: 0
    .kernarg_segment_align: 8
    .kernarg_segment_size: 304
    .language:       OpenCL C
    .language_version:
      - 2
      - 0
    .max_flat_workgroup_size: 1024
    .name:           _ZN12_GLOBAL__N_120softmax_warp_forwardIdddLi5ELb0ELb1ELi32EEEvPT0_PKT_iiiPKbib
    .private_segment_fixed_size: 0
    .sgpr_count:     18
    .sgpr_spill_count: 0
    .symbol:         _ZN12_GLOBAL__N_120softmax_warp_forwardIdddLi5ELb0ELb1ELi32EEEvPT0_PKT_iiiPKbib.kd
    .uniform_work_group_size: 1
    .uses_dynamic_stack: false
    .vgpr_count:     31
    .vgpr_spill_count: 0
    .wavefront_size: 32
    .workgroup_processor_mode: 1
  - .args:
      - .address_space:  global
        .offset:         0
        .size:           8
        .value_kind:     global_buffer
      - .address_space:  global
        .offset:         8
        .size:           8
        .value_kind:     global_buffer
      - .offset:         16
        .size:           4
        .value_kind:     by_value
      - .offset:         20
        .size:           4
        .value_kind:     by_value
      - .offset:         24
        .size:           4
        .value_kind:     by_value
      - .address_space:  global
        .offset:         32
        .size:           8
        .value_kind:     global_buffer
      - .offset:         40
        .size:           4
        .value_kind:     by_value
      - .offset:         44
        .size:           1
        .value_kind:     by_value
      - .offset:         48
        .size:           4
        .value_kind:     hidden_block_count_x
      - .offset:         52
        .size:           4
        .value_kind:     hidden_block_count_y
      - .offset:         56
        .size:           4
        .value_kind:     hidden_block_count_z
      - .offset:         60
        .size:           2
        .value_kind:     hidden_group_size_x
      - .offset:         62
        .size:           2
        .value_kind:     hidden_group_size_y
      - .offset:         64
        .size:           2
        .value_kind:     hidden_group_size_z
      - .offset:         66
        .size:           2
        .value_kind:     hidden_remainder_x
      - .offset:         68
        .size:           2
        .value_kind:     hidden_remainder_y
      - .offset:         70
        .size:           2
        .value_kind:     hidden_remainder_z
      - .offset:         88
        .size:           8
        .value_kind:     hidden_global_offset_x
      - .offset:         96
        .size:           8
        .value_kind:     hidden_global_offset_y
      - .offset:         104
        .size:           8
        .value_kind:     hidden_global_offset_z
      - .offset:         112
        .size:           2
        .value_kind:     hidden_grid_dims
    .group_segment_fixed_size: 0
    .kernarg_segment_align: 8
    .kernarg_segment_size: 304
    .language:       OpenCL C
    .language_version:
      - 2
      - 0
    .max_flat_workgroup_size: 1024
    .name:           _ZN12_GLOBAL__N_120softmax_warp_forwardIdddLi6ELb0ELb1ELi64EEEvPT0_PKT_iiiPKbib
    .private_segment_fixed_size: 0
    .sgpr_count:     18
    .sgpr_spill_count: 0
    .symbol:         _ZN12_GLOBAL__N_120softmax_warp_forwardIdddLi6ELb0ELb1ELi64EEEvPT0_PKT_iiiPKbib.kd
    .uniform_work_group_size: 1
    .uses_dynamic_stack: false
    .vgpr_count:     32
    .vgpr_spill_count: 0
    .wavefront_size: 32
    .workgroup_processor_mode: 1
  - .args:
      - .address_space:  global
        .offset:         0
        .size:           8
        .value_kind:     global_buffer
      - .address_space:  global
        .offset:         8
        .size:           8
        .value_kind:     global_buffer
      - .offset:         16
        .size:           4
        .value_kind:     by_value
      - .offset:         20
        .size:           4
        .value_kind:     by_value
      - .offset:         24
        .size:           4
        .value_kind:     by_value
      - .address_space:  global
        .offset:         32
        .size:           8
        .value_kind:     global_buffer
      - .offset:         40
        .size:           4
        .value_kind:     by_value
      - .offset:         44
        .size:           1
        .value_kind:     by_value
      - .offset:         48
        .size:           4
        .value_kind:     hidden_block_count_x
      - .offset:         52
        .size:           4
        .value_kind:     hidden_block_count_y
      - .offset:         56
        .size:           4
        .value_kind:     hidden_block_count_z
      - .offset:         60
        .size:           2
        .value_kind:     hidden_group_size_x
      - .offset:         62
        .size:           2
        .value_kind:     hidden_group_size_y
      - .offset:         64
        .size:           2
        .value_kind:     hidden_group_size_z
      - .offset:         66
        .size:           2
        .value_kind:     hidden_remainder_x
      - .offset:         68
        .size:           2
        .value_kind:     hidden_remainder_y
      - .offset:         70
        .size:           2
        .value_kind:     hidden_remainder_z
      - .offset:         88
        .size:           8
        .value_kind:     hidden_global_offset_x
      - .offset:         96
        .size:           8
        .value_kind:     hidden_global_offset_y
      - .offset:         104
        .size:           8
        .value_kind:     hidden_global_offset_z
      - .offset:         112
        .size:           2
        .value_kind:     hidden_grid_dims
    .group_segment_fixed_size: 0
    .kernarg_segment_align: 8
    .kernarg_segment_size: 304
    .language:       OpenCL C
    .language_version:
      - 2
      - 0
    .max_flat_workgroup_size: 1024
    .name:           _ZN12_GLOBAL__N_120softmax_warp_forwardIdddLi6ELb0ELb1ELi32EEEvPT0_PKT_iiiPKbib
    .private_segment_fixed_size: 0
    .sgpr_count:     19
    .sgpr_spill_count: 0
    .symbol:         _ZN12_GLOBAL__N_120softmax_warp_forwardIdddLi6ELb0ELb1ELi32EEEvPT0_PKT_iiiPKbib.kd
    .uniform_work_group_size: 1
    .uses_dynamic_stack: false
    .vgpr_count:     34
    .vgpr_spill_count: 0
    .wavefront_size: 32
    .workgroup_processor_mode: 1
  - .args:
      - .address_space:  global
        .offset:         0
        .size:           8
        .value_kind:     global_buffer
      - .address_space:  global
        .offset:         8
        .size:           8
        .value_kind:     global_buffer
      - .offset:         16
        .size:           4
        .value_kind:     by_value
      - .offset:         20
        .size:           4
        .value_kind:     by_value
      - .offset:         24
        .size:           4
        .value_kind:     by_value
      - .address_space:  global
        .offset:         32
        .size:           8
        .value_kind:     global_buffer
      - .offset:         40
        .size:           4
        .value_kind:     by_value
      - .offset:         44
        .size:           1
        .value_kind:     by_value
      - .offset:         48
        .size:           4
        .value_kind:     hidden_block_count_x
      - .offset:         52
        .size:           4
        .value_kind:     hidden_block_count_y
      - .offset:         56
        .size:           4
        .value_kind:     hidden_block_count_z
      - .offset:         60
        .size:           2
        .value_kind:     hidden_group_size_x
      - .offset:         62
        .size:           2
        .value_kind:     hidden_group_size_y
      - .offset:         64
        .size:           2
        .value_kind:     hidden_group_size_z
      - .offset:         66
        .size:           2
        .value_kind:     hidden_remainder_x
      - .offset:         68
        .size:           2
        .value_kind:     hidden_remainder_y
      - .offset:         70
        .size:           2
        .value_kind:     hidden_remainder_z
      - .offset:         88
        .size:           8
        .value_kind:     hidden_global_offset_x
      - .offset:         96
        .size:           8
        .value_kind:     hidden_global_offset_y
      - .offset:         104
        .size:           8
        .value_kind:     hidden_global_offset_z
      - .offset:         112
        .size:           2
        .value_kind:     hidden_grid_dims
    .group_segment_fixed_size: 0
    .kernarg_segment_align: 8
    .kernarg_segment_size: 304
    .language:       OpenCL C
    .language_version:
      - 2
      - 0
    .max_flat_workgroup_size: 1024
    .name:           _ZN12_GLOBAL__N_120softmax_warp_forwardIdddLi7ELb0ELb1ELi64EEEvPT0_PKT_iiiPKbib
    .private_segment_fixed_size: 0
    .sgpr_count:     19
    .sgpr_spill_count: 0
    .symbol:         _ZN12_GLOBAL__N_120softmax_warp_forwardIdddLi7ELb0ELb1ELi64EEEvPT0_PKT_iiiPKbib.kd
    .uniform_work_group_size: 1
    .uses_dynamic_stack: false
    .vgpr_count:     35
    .vgpr_spill_count: 0
    .wavefront_size: 32
    .workgroup_processor_mode: 1
  - .args:
      - .address_space:  global
        .offset:         0
        .size:           8
        .value_kind:     global_buffer
      - .address_space:  global
        .offset:         8
        .size:           8
        .value_kind:     global_buffer
      - .offset:         16
        .size:           4
        .value_kind:     by_value
      - .offset:         20
        .size:           4
        .value_kind:     by_value
      - .offset:         24
        .size:           4
        .value_kind:     by_value
      - .address_space:  global
        .offset:         32
        .size:           8
        .value_kind:     global_buffer
      - .offset:         40
        .size:           4
        .value_kind:     by_value
      - .offset:         44
        .size:           1
        .value_kind:     by_value
      - .offset:         48
        .size:           4
        .value_kind:     hidden_block_count_x
      - .offset:         52
        .size:           4
        .value_kind:     hidden_block_count_y
      - .offset:         56
        .size:           4
        .value_kind:     hidden_block_count_z
      - .offset:         60
        .size:           2
        .value_kind:     hidden_group_size_x
      - .offset:         62
        .size:           2
        .value_kind:     hidden_group_size_y
      - .offset:         64
        .size:           2
        .value_kind:     hidden_group_size_z
      - .offset:         66
        .size:           2
        .value_kind:     hidden_remainder_x
      - .offset:         68
        .size:           2
        .value_kind:     hidden_remainder_y
      - .offset:         70
        .size:           2
        .value_kind:     hidden_remainder_z
      - .offset:         88
        .size:           8
        .value_kind:     hidden_global_offset_x
      - .offset:         96
        .size:           8
        .value_kind:     hidden_global_offset_y
      - .offset:         104
        .size:           8
        .value_kind:     hidden_global_offset_z
      - .offset:         112
        .size:           2
        .value_kind:     hidden_grid_dims
    .group_segment_fixed_size: 0
    .kernarg_segment_align: 8
    .kernarg_segment_size: 304
    .language:       OpenCL C
    .language_version:
      - 2
      - 0
    .max_flat_workgroup_size: 1024
    .name:           _ZN12_GLOBAL__N_120softmax_warp_forwardIdddLi7ELb0ELb1ELi32EEEvPT0_PKT_iiiPKbib
    .private_segment_fixed_size: 0
    .sgpr_count:     26
    .sgpr_spill_count: 0
    .symbol:         _ZN12_GLOBAL__N_120softmax_warp_forwardIdddLi7ELb0ELb1ELi32EEEvPT0_PKT_iiiPKbib.kd
    .uniform_work_group_size: 1
    .uses_dynamic_stack: false
    .vgpr_count:     45
    .vgpr_spill_count: 0
    .wavefront_size: 32
    .workgroup_processor_mode: 1
  - .args:
      - .address_space:  global
        .offset:         0
        .size:           8
        .value_kind:     global_buffer
      - .address_space:  global
        .offset:         8
        .size:           8
        .value_kind:     global_buffer
      - .offset:         16
        .size:           4
        .value_kind:     by_value
      - .offset:         20
        .size:           4
        .value_kind:     by_value
      - .offset:         24
        .size:           4
        .value_kind:     by_value
      - .address_space:  global
        .offset:         32
        .size:           8
        .value_kind:     global_buffer
      - .offset:         40
        .size:           4
        .value_kind:     by_value
      - .offset:         44
        .size:           1
        .value_kind:     by_value
      - .offset:         48
        .size:           4
        .value_kind:     hidden_block_count_x
      - .offset:         52
        .size:           4
        .value_kind:     hidden_block_count_y
      - .offset:         56
        .size:           4
        .value_kind:     hidden_block_count_z
      - .offset:         60
        .size:           2
        .value_kind:     hidden_group_size_x
      - .offset:         62
        .size:           2
        .value_kind:     hidden_group_size_y
      - .offset:         64
        .size:           2
        .value_kind:     hidden_group_size_z
      - .offset:         66
        .size:           2
        .value_kind:     hidden_remainder_x
      - .offset:         68
        .size:           2
        .value_kind:     hidden_remainder_y
      - .offset:         70
        .size:           2
        .value_kind:     hidden_remainder_z
      - .offset:         88
        .size:           8
        .value_kind:     hidden_global_offset_x
      - .offset:         96
        .size:           8
        .value_kind:     hidden_global_offset_y
      - .offset:         104
        .size:           8
        .value_kind:     hidden_global_offset_z
      - .offset:         112
        .size:           2
        .value_kind:     hidden_grid_dims
    .group_segment_fixed_size: 0
    .kernarg_segment_align: 8
    .kernarg_segment_size: 304
    .language:       OpenCL C
    .language_version:
      - 2
      - 0
    .max_flat_workgroup_size: 1024
    .name:           _ZN12_GLOBAL__N_120softmax_warp_forwardIdddLi8ELb0ELb1ELi64EEEvPT0_PKT_iiiPKbib
    .private_segment_fixed_size: 0
    .sgpr_count:     18
    .sgpr_spill_count: 0
    .symbol:         _ZN12_GLOBAL__N_120softmax_warp_forwardIdddLi8ELb0ELb1ELi64EEEvPT0_PKT_iiiPKbib.kd
    .uniform_work_group_size: 1
    .uses_dynamic_stack: false
    .vgpr_count:     39
    .vgpr_spill_count: 0
    .wavefront_size: 32
    .workgroup_processor_mode: 1
  - .args:
      - .address_space:  global
        .offset:         0
        .size:           8
        .value_kind:     global_buffer
      - .address_space:  global
        .offset:         8
        .size:           8
        .value_kind:     global_buffer
      - .offset:         16
        .size:           4
        .value_kind:     by_value
      - .offset:         20
        .size:           4
        .value_kind:     by_value
      - .offset:         24
        .size:           4
        .value_kind:     by_value
      - .address_space:  global
        .offset:         32
        .size:           8
        .value_kind:     global_buffer
      - .offset:         40
        .size:           4
        .value_kind:     by_value
      - .offset:         44
        .size:           1
        .value_kind:     by_value
      - .offset:         48
        .size:           4
        .value_kind:     hidden_block_count_x
      - .offset:         52
        .size:           4
        .value_kind:     hidden_block_count_y
      - .offset:         56
        .size:           4
        .value_kind:     hidden_block_count_z
      - .offset:         60
        .size:           2
        .value_kind:     hidden_group_size_x
      - .offset:         62
        .size:           2
        .value_kind:     hidden_group_size_y
      - .offset:         64
        .size:           2
        .value_kind:     hidden_group_size_z
      - .offset:         66
        .size:           2
        .value_kind:     hidden_remainder_x
      - .offset:         68
        .size:           2
        .value_kind:     hidden_remainder_y
      - .offset:         70
        .size:           2
        .value_kind:     hidden_remainder_z
      - .offset:         88
        .size:           8
        .value_kind:     hidden_global_offset_x
      - .offset:         96
        .size:           8
        .value_kind:     hidden_global_offset_y
      - .offset:         104
        .size:           8
        .value_kind:     hidden_global_offset_z
      - .offset:         112
        .size:           2
        .value_kind:     hidden_grid_dims
    .group_segment_fixed_size: 0
    .kernarg_segment_align: 8
    .kernarg_segment_size: 304
    .language:       OpenCL C
    .language_version:
      - 2
      - 0
    .max_flat_workgroup_size: 1024
    .name:           _ZN12_GLOBAL__N_120softmax_warp_forwardIdddLi8ELb0ELb1ELi32EEEvPT0_PKT_iiiPKbib
    .private_segment_fixed_size: 0
    .sgpr_count:     24
    .sgpr_spill_count: 0
    .symbol:         _ZN12_GLOBAL__N_120softmax_warp_forwardIdddLi8ELb0ELb1ELi32EEEvPT0_PKT_iiiPKbib.kd
    .uniform_work_group_size: 1
    .uses_dynamic_stack: false
    .vgpr_count:     62
    .vgpr_spill_count: 0
    .wavefront_size: 32
    .workgroup_processor_mode: 1
  - .args:
      - .address_space:  global
        .offset:         0
        .size:           8
        .value_kind:     global_buffer
      - .address_space:  global
        .offset:         8
        .size:           8
        .value_kind:     global_buffer
      - .offset:         16
        .size:           4
        .value_kind:     by_value
      - .offset:         20
        .size:           4
        .value_kind:     by_value
      - .offset:         24
        .size:           4
        .value_kind:     by_value
      - .address_space:  global
        .offset:         32
        .size:           8
        .value_kind:     global_buffer
      - .offset:         40
        .size:           4
        .value_kind:     by_value
      - .offset:         44
        .size:           1
        .value_kind:     by_value
      - .offset:         48
        .size:           4
        .value_kind:     hidden_block_count_x
      - .offset:         52
        .size:           4
        .value_kind:     hidden_block_count_y
      - .offset:         56
        .size:           4
        .value_kind:     hidden_block_count_z
      - .offset:         60
        .size:           2
        .value_kind:     hidden_group_size_x
      - .offset:         62
        .size:           2
        .value_kind:     hidden_group_size_y
      - .offset:         64
        .size:           2
        .value_kind:     hidden_group_size_z
      - .offset:         66
        .size:           2
        .value_kind:     hidden_remainder_x
      - .offset:         68
        .size:           2
        .value_kind:     hidden_remainder_y
      - .offset:         70
        .size:           2
        .value_kind:     hidden_remainder_z
      - .offset:         88
        .size:           8
        .value_kind:     hidden_global_offset_x
      - .offset:         96
        .size:           8
        .value_kind:     hidden_global_offset_y
      - .offset:         104
        .size:           8
        .value_kind:     hidden_global_offset_z
      - .offset:         112
        .size:           2
        .value_kind:     hidden_grid_dims
    .group_segment_fixed_size: 0
    .kernarg_segment_align: 8
    .kernarg_segment_size: 304
    .language:       OpenCL C
    .language_version:
      - 2
      - 0
    .max_flat_workgroup_size: 1024
    .name:           _ZN12_GLOBAL__N_120softmax_warp_forwardIdddLi9ELb0ELb1ELi64EEEvPT0_PKT_iiiPKbib
    .private_segment_fixed_size: 0
    .sgpr_count:     24
    .sgpr_spill_count: 0
    .symbol:         _ZN12_GLOBAL__N_120softmax_warp_forwardIdddLi9ELb0ELb1ELi64EEEvPT0_PKT_iiiPKbib.kd
    .uniform_work_group_size: 1
    .uses_dynamic_stack: false
    .vgpr_count:     63
    .vgpr_spill_count: 0
    .wavefront_size: 32
    .workgroup_processor_mode: 1
  - .args:
      - .address_space:  global
        .offset:         0
        .size:           8
        .value_kind:     global_buffer
      - .address_space:  global
        .offset:         8
        .size:           8
        .value_kind:     global_buffer
      - .offset:         16
        .size:           4
        .value_kind:     by_value
      - .offset:         20
        .size:           4
        .value_kind:     by_value
      - .offset:         24
        .size:           4
        .value_kind:     by_value
      - .address_space:  global
        .offset:         32
        .size:           8
        .value_kind:     global_buffer
      - .offset:         40
        .size:           4
        .value_kind:     by_value
      - .offset:         44
        .size:           1
        .value_kind:     by_value
      - .offset:         48
        .size:           4
        .value_kind:     hidden_block_count_x
      - .offset:         52
        .size:           4
        .value_kind:     hidden_block_count_y
      - .offset:         56
        .size:           4
        .value_kind:     hidden_block_count_z
      - .offset:         60
        .size:           2
        .value_kind:     hidden_group_size_x
      - .offset:         62
        .size:           2
        .value_kind:     hidden_group_size_y
      - .offset:         64
        .size:           2
        .value_kind:     hidden_group_size_z
      - .offset:         66
        .size:           2
        .value_kind:     hidden_remainder_x
      - .offset:         68
        .size:           2
        .value_kind:     hidden_remainder_y
      - .offset:         70
        .size:           2
        .value_kind:     hidden_remainder_z
      - .offset:         88
        .size:           8
        .value_kind:     hidden_global_offset_x
      - .offset:         96
        .size:           8
        .value_kind:     hidden_global_offset_y
      - .offset:         104
        .size:           8
        .value_kind:     hidden_global_offset_z
      - .offset:         112
        .size:           2
        .value_kind:     hidden_grid_dims
    .group_segment_fixed_size: 0
    .kernarg_segment_align: 8
    .kernarg_segment_size: 304
    .language:       OpenCL C
    .language_version:
      - 2
      - 0
    .max_flat_workgroup_size: 1024
    .name:           _ZN12_GLOBAL__N_120softmax_warp_forwardIdddLi9ELb0ELb1ELi32EEEvPT0_PKT_iiiPKbib
    .private_segment_fixed_size: 0
    .sgpr_count:     42
    .sgpr_spill_count: 0
    .symbol:         _ZN12_GLOBAL__N_120softmax_warp_forwardIdddLi9ELb0ELb1ELi32EEEvPT0_PKT_iiiPKbib.kd
    .uniform_work_group_size: 1
    .uses_dynamic_stack: false
    .vgpr_count:     110
    .vgpr_spill_count: 0
    .wavefront_size: 32
    .workgroup_processor_mode: 1
  - .args:
      - .address_space:  global
        .offset:         0
        .size:           8
        .value_kind:     global_buffer
      - .address_space:  global
        .offset:         8
        .size:           8
        .value_kind:     global_buffer
      - .offset:         16
        .size:           4
        .value_kind:     by_value
      - .offset:         20
        .size:           4
        .value_kind:     by_value
      - .offset:         24
        .size:           4
        .value_kind:     by_value
      - .address_space:  global
        .offset:         32
        .size:           8
        .value_kind:     global_buffer
      - .offset:         40
        .size:           4
        .value_kind:     by_value
      - .offset:         44
        .size:           1
        .value_kind:     by_value
      - .offset:         48
        .size:           4
        .value_kind:     hidden_block_count_x
      - .offset:         52
        .size:           4
        .value_kind:     hidden_block_count_y
      - .offset:         56
        .size:           4
        .value_kind:     hidden_block_count_z
      - .offset:         60
        .size:           2
        .value_kind:     hidden_group_size_x
      - .offset:         62
        .size:           2
        .value_kind:     hidden_group_size_y
      - .offset:         64
        .size:           2
        .value_kind:     hidden_group_size_z
      - .offset:         66
        .size:           2
        .value_kind:     hidden_remainder_x
      - .offset:         68
        .size:           2
        .value_kind:     hidden_remainder_y
      - .offset:         70
        .size:           2
        .value_kind:     hidden_remainder_z
      - .offset:         88
        .size:           8
        .value_kind:     hidden_global_offset_x
      - .offset:         96
        .size:           8
        .value_kind:     hidden_global_offset_y
      - .offset:         104
        .size:           8
        .value_kind:     hidden_global_offset_z
      - .offset:         112
        .size:           2
        .value_kind:     hidden_grid_dims
    .group_segment_fixed_size: 0
    .kernarg_segment_align: 8
    .kernarg_segment_size: 304
    .language:       OpenCL C
    .language_version:
      - 2
      - 0
    .max_flat_workgroup_size: 1024
    .name:           _ZN12_GLOBAL__N_120softmax_warp_forwardIdddLi10ELb0ELb1ELi64EEEvPT0_PKT_iiiPKbib
    .private_segment_fixed_size: 0
    .sgpr_count:     42
    .sgpr_spill_count: 0
    .symbol:         _ZN12_GLOBAL__N_120softmax_warp_forwardIdddLi10ELb0ELb1ELi64EEEvPT0_PKT_iiiPKbib.kd
    .uniform_work_group_size: 1
    .uses_dynamic_stack: false
    .vgpr_count:     111
    .vgpr_spill_count: 0
    .wavefront_size: 32
    .workgroup_processor_mode: 1
  - .args:
      - .address_space:  global
        .offset:         0
        .size:           8
        .value_kind:     global_buffer
      - .address_space:  global
        .offset:         8
        .size:           8
        .value_kind:     global_buffer
      - .offset:         16
        .size:           4
        .value_kind:     by_value
      - .offset:         20
        .size:           4
        .value_kind:     by_value
      - .offset:         24
        .size:           4
        .value_kind:     by_value
      - .address_space:  global
        .offset:         32
        .size:           8
        .value_kind:     global_buffer
      - .offset:         40
        .size:           4
        .value_kind:     by_value
      - .offset:         44
        .size:           1
        .value_kind:     by_value
      - .offset:         48
        .size:           4
        .value_kind:     hidden_block_count_x
      - .offset:         52
        .size:           4
        .value_kind:     hidden_block_count_y
      - .offset:         56
        .size:           4
        .value_kind:     hidden_block_count_z
      - .offset:         60
        .size:           2
        .value_kind:     hidden_group_size_x
      - .offset:         62
        .size:           2
        .value_kind:     hidden_group_size_y
      - .offset:         64
        .size:           2
        .value_kind:     hidden_group_size_z
      - .offset:         66
        .size:           2
        .value_kind:     hidden_remainder_x
      - .offset:         68
        .size:           2
        .value_kind:     hidden_remainder_y
      - .offset:         70
        .size:           2
        .value_kind:     hidden_remainder_z
      - .offset:         88
        .size:           8
        .value_kind:     hidden_global_offset_x
      - .offset:         96
        .size:           8
        .value_kind:     hidden_global_offset_y
      - .offset:         104
        .size:           8
        .value_kind:     hidden_global_offset_z
      - .offset:         112
        .size:           2
        .value_kind:     hidden_grid_dims
    .group_segment_fixed_size: 0
    .kernarg_segment_align: 8
    .kernarg_segment_size: 304
    .language:       OpenCL C
    .language_version:
      - 2
      - 0
    .max_flat_workgroup_size: 1024
    .name:           _ZN12_GLOBAL__N_120softmax_warp_forwardIdddLi10ELb0ELb1ELi32EEEvPT0_PKT_iiiPKbib
    .private_segment_fixed_size: 0
    .sgpr_count:     74
    .sgpr_spill_count: 0
    .symbol:         _ZN12_GLOBAL__N_120softmax_warp_forwardIdddLi10ELb0ELb1ELi32EEEvPT0_PKT_iiiPKbib.kd
    .uniform_work_group_size: 1
    .uses_dynamic_stack: false
    .vgpr_count:     87
    .vgpr_spill_count: 0
    .wavefront_size: 32
    .workgroup_processor_mode: 1
  - .args:
      - .address_space:  global
        .offset:         0
        .size:           8
        .value_kind:     global_buffer
      - .address_space:  global
        .offset:         8
        .size:           8
        .value_kind:     global_buffer
      - .offset:         16
        .size:           4
        .value_kind:     by_value
      - .offset:         20
        .size:           4
        .value_kind:     by_value
      - .offset:         24
        .size:           4
        .value_kind:     by_value
      - .address_space:  global
        .offset:         32
        .size:           8
        .value_kind:     global_buffer
      - .offset:         40
        .size:           4
        .value_kind:     by_value
      - .offset:         44
        .size:           1
        .value_kind:     by_value
      - .offset:         48
        .size:           4
        .value_kind:     hidden_block_count_x
      - .offset:         52
        .size:           4
        .value_kind:     hidden_block_count_y
      - .offset:         56
        .size:           4
        .value_kind:     hidden_block_count_z
      - .offset:         60
        .size:           2
        .value_kind:     hidden_group_size_x
      - .offset:         62
        .size:           2
        .value_kind:     hidden_group_size_y
      - .offset:         64
        .size:           2
        .value_kind:     hidden_group_size_z
      - .offset:         66
        .size:           2
        .value_kind:     hidden_remainder_x
      - .offset:         68
        .size:           2
        .value_kind:     hidden_remainder_y
      - .offset:         70
        .size:           2
        .value_kind:     hidden_remainder_z
      - .offset:         88
        .size:           8
        .value_kind:     hidden_global_offset_x
      - .offset:         96
        .size:           8
        .value_kind:     hidden_global_offset_y
      - .offset:         104
        .size:           8
        .value_kind:     hidden_global_offset_z
      - .offset:         112
        .size:           2
        .value_kind:     hidden_grid_dims
    .group_segment_fixed_size: 0
    .kernarg_segment_align: 8
    .kernarg_segment_size: 304
    .language:       OpenCL C
    .language_version:
      - 2
      - 0
    .max_flat_workgroup_size: 1024
    .name:           _ZN12_GLOBAL__N_120softmax_warp_forwardIdddLi11ELb0ELb1ELi64EEEvPT0_PKT_iiiPKbib
    .private_segment_fixed_size: 0
    .sgpr_count:     74
    .sgpr_spill_count: 0
    .symbol:         _ZN12_GLOBAL__N_120softmax_warp_forwardIdddLi11ELb0ELb1ELi64EEEvPT0_PKT_iiiPKbib.kd
    .uniform_work_group_size: 1
    .uses_dynamic_stack: false
    .vgpr_count:     88
    .vgpr_spill_count: 0
    .wavefront_size: 32
    .workgroup_processor_mode: 1
  - .args:
      - .address_space:  global
        .offset:         0
        .size:           8
        .value_kind:     global_buffer
      - .address_space:  global
        .offset:         8
        .size:           8
        .value_kind:     global_buffer
      - .offset:         16
        .size:           4
        .value_kind:     by_value
      - .offset:         20
        .size:           4
        .value_kind:     by_value
      - .offset:         24
        .size:           4
        .value_kind:     by_value
      - .address_space:  global
        .offset:         32
        .size:           8
        .value_kind:     global_buffer
      - .offset:         40
        .size:           4
        .value_kind:     by_value
      - .offset:         44
        .size:           1
        .value_kind:     by_value
      - .offset:         48
        .size:           4
        .value_kind:     hidden_block_count_x
      - .offset:         52
        .size:           4
        .value_kind:     hidden_block_count_y
      - .offset:         56
        .size:           4
        .value_kind:     hidden_block_count_z
      - .offset:         60
        .size:           2
        .value_kind:     hidden_group_size_x
      - .offset:         62
        .size:           2
        .value_kind:     hidden_group_size_y
      - .offset:         64
        .size:           2
        .value_kind:     hidden_group_size_z
      - .offset:         66
        .size:           2
        .value_kind:     hidden_remainder_x
      - .offset:         68
        .size:           2
        .value_kind:     hidden_remainder_y
      - .offset:         70
        .size:           2
        .value_kind:     hidden_remainder_z
      - .offset:         88
        .size:           8
        .value_kind:     hidden_global_offset_x
      - .offset:         96
        .size:           8
        .value_kind:     hidden_global_offset_y
      - .offset:         104
        .size:           8
        .value_kind:     hidden_global_offset_z
      - .offset:         112
        .size:           2
        .value_kind:     hidden_grid_dims
    .group_segment_fixed_size: 0
    .kernarg_segment_align: 8
    .kernarg_segment_size: 304
    .language:       OpenCL C
    .language_version:
      - 2
      - 0
    .max_flat_workgroup_size: 1024
    .name:           _ZN12_GLOBAL__N_120softmax_warp_forwardIdddLi11ELb0ELb1ELi32EEEvPT0_PKT_iiiPKbib
    .private_segment_fixed_size: 168
    .sgpr_count:     107
    .sgpr_spill_count: 34
    .symbol:         _ZN12_GLOBAL__N_120softmax_warp_forwardIdddLi11ELb0ELb1ELi32EEEvPT0_PKT_iiiPKbib.kd
    .uniform_work_group_size: 1
    .uses_dynamic_stack: false
    .vgpr_count:     128
    .vgpr_spill_count: 95
    .wavefront_size: 32
    .workgroup_processor_mode: 1
  - .args:
      - .address_space:  global
        .offset:         0
        .size:           8
        .value_kind:     global_buffer
      - .address_space:  global
        .offset:         8
        .size:           8
        .value_kind:     global_buffer
      - .offset:         16
        .size:           4
        .value_kind:     by_value
      - .offset:         20
        .size:           4
        .value_kind:     by_value
      - .offset:         24
        .size:           4
        .value_kind:     by_value
      - .address_space:  global
        .offset:         32
        .size:           8
        .value_kind:     global_buffer
      - .offset:         40
        .size:           4
        .value_kind:     by_value
      - .offset:         44
        .size:           1
        .value_kind:     by_value
      - .offset:         48
        .size:           4
        .value_kind:     hidden_block_count_x
      - .offset:         52
        .size:           4
        .value_kind:     hidden_block_count_y
      - .offset:         56
        .size:           4
        .value_kind:     hidden_block_count_z
      - .offset:         60
        .size:           2
        .value_kind:     hidden_group_size_x
      - .offset:         62
        .size:           2
        .value_kind:     hidden_group_size_y
      - .offset:         64
        .size:           2
        .value_kind:     hidden_group_size_z
      - .offset:         66
        .size:           2
        .value_kind:     hidden_remainder_x
      - .offset:         68
        .size:           2
        .value_kind:     hidden_remainder_y
      - .offset:         70
        .size:           2
        .value_kind:     hidden_remainder_z
      - .offset:         88
        .size:           8
        .value_kind:     hidden_global_offset_x
      - .offset:         96
        .size:           8
        .value_kind:     hidden_global_offset_y
      - .offset:         104
        .size:           8
        .value_kind:     hidden_global_offset_z
      - .offset:         112
        .size:           2
        .value_kind:     hidden_grid_dims
    .group_segment_fixed_size: 0
    .kernarg_segment_align: 8
    .kernarg_segment_size: 304
    .language:       OpenCL C
    .language_version:
      - 2
      - 0
    .max_flat_workgroup_size: 1024
    .name:           _ZN12_GLOBAL__N_120softmax_warp_forwardIfffLi0ELb0ELb1ELi64EEEvPT0_PKT_iiiPKbib
    .private_segment_fixed_size: 0
    .sgpr_count:     16
    .sgpr_spill_count: 0
    .symbol:         _ZN12_GLOBAL__N_120softmax_warp_forwardIfffLi0ELb0ELb1ELi64EEEvPT0_PKT_iiiPKbib.kd
    .uniform_work_group_size: 1
    .uses_dynamic_stack: false
    .vgpr_count:     14
    .vgpr_spill_count: 0
    .wavefront_size: 32
    .workgroup_processor_mode: 1
  - .args:
      - .address_space:  global
        .offset:         0
        .size:           8
        .value_kind:     global_buffer
      - .address_space:  global
        .offset:         8
        .size:           8
        .value_kind:     global_buffer
      - .offset:         16
        .size:           4
        .value_kind:     by_value
      - .offset:         20
        .size:           4
        .value_kind:     by_value
      - .offset:         24
        .size:           4
        .value_kind:     by_value
      - .address_space:  global
        .offset:         32
        .size:           8
        .value_kind:     global_buffer
      - .offset:         40
        .size:           4
        .value_kind:     by_value
      - .offset:         44
        .size:           1
        .value_kind:     by_value
      - .offset:         48
        .size:           4
        .value_kind:     hidden_block_count_x
      - .offset:         52
        .size:           4
        .value_kind:     hidden_block_count_y
      - .offset:         56
        .size:           4
        .value_kind:     hidden_block_count_z
      - .offset:         60
        .size:           2
        .value_kind:     hidden_group_size_x
      - .offset:         62
        .size:           2
        .value_kind:     hidden_group_size_y
      - .offset:         64
        .size:           2
        .value_kind:     hidden_group_size_z
      - .offset:         66
        .size:           2
        .value_kind:     hidden_remainder_x
      - .offset:         68
        .size:           2
        .value_kind:     hidden_remainder_y
      - .offset:         70
        .size:           2
        .value_kind:     hidden_remainder_z
      - .offset:         88
        .size:           8
        .value_kind:     hidden_global_offset_x
      - .offset:         96
        .size:           8
        .value_kind:     hidden_global_offset_y
      - .offset:         104
        .size:           8
        .value_kind:     hidden_global_offset_z
      - .offset:         112
        .size:           2
        .value_kind:     hidden_grid_dims
    .group_segment_fixed_size: 0
    .kernarg_segment_align: 8
    .kernarg_segment_size: 304
    .language:       OpenCL C
    .language_version:
      - 2
      - 0
    .max_flat_workgroup_size: 1024
    .name:           _ZN12_GLOBAL__N_120softmax_warp_forwardIfffLi0ELb0ELb1ELi32EEEvPT0_PKT_iiiPKbib
    .private_segment_fixed_size: 0
    .sgpr_count:     16
    .sgpr_spill_count: 0
    .symbol:         _ZN12_GLOBAL__N_120softmax_warp_forwardIfffLi0ELb0ELb1ELi32EEEvPT0_PKT_iiiPKbib.kd
    .uniform_work_group_size: 1
    .uses_dynamic_stack: false
    .vgpr_count:     14
    .vgpr_spill_count: 0
    .wavefront_size: 32
    .workgroup_processor_mode: 1
  - .args:
      - .address_space:  global
        .offset:         0
        .size:           8
        .value_kind:     global_buffer
      - .address_space:  global
        .offset:         8
        .size:           8
        .value_kind:     global_buffer
      - .offset:         16
        .size:           4
        .value_kind:     by_value
      - .offset:         20
        .size:           4
        .value_kind:     by_value
      - .offset:         24
        .size:           4
        .value_kind:     by_value
      - .address_space:  global
        .offset:         32
        .size:           8
        .value_kind:     global_buffer
      - .offset:         40
        .size:           4
        .value_kind:     by_value
      - .offset:         44
        .size:           1
        .value_kind:     by_value
      - .offset:         48
        .size:           4
        .value_kind:     hidden_block_count_x
      - .offset:         52
        .size:           4
        .value_kind:     hidden_block_count_y
      - .offset:         56
        .size:           4
        .value_kind:     hidden_block_count_z
      - .offset:         60
        .size:           2
        .value_kind:     hidden_group_size_x
      - .offset:         62
        .size:           2
        .value_kind:     hidden_group_size_y
      - .offset:         64
        .size:           2
        .value_kind:     hidden_group_size_z
      - .offset:         66
        .size:           2
        .value_kind:     hidden_remainder_x
      - .offset:         68
        .size:           2
        .value_kind:     hidden_remainder_y
      - .offset:         70
        .size:           2
        .value_kind:     hidden_remainder_z
      - .offset:         88
        .size:           8
        .value_kind:     hidden_global_offset_x
      - .offset:         96
        .size:           8
        .value_kind:     hidden_global_offset_y
      - .offset:         104
        .size:           8
        .value_kind:     hidden_global_offset_z
      - .offset:         112
        .size:           2
        .value_kind:     hidden_grid_dims
    .group_segment_fixed_size: 0
    .kernarg_segment_align: 8
    .kernarg_segment_size: 304
    .language:       OpenCL C
    .language_version:
      - 2
      - 0
    .max_flat_workgroup_size: 1024
    .name:           _ZN12_GLOBAL__N_120softmax_warp_forwardIfffLi1ELb0ELb1ELi64EEEvPT0_PKT_iiiPKbib
    .private_segment_fixed_size: 0
    .sgpr_count:     16
    .sgpr_spill_count: 0
    .symbol:         _ZN12_GLOBAL__N_120softmax_warp_forwardIfffLi1ELb0ELb1ELi64EEEvPT0_PKT_iiiPKbib.kd
    .uniform_work_group_size: 1
    .uses_dynamic_stack: false
    .vgpr_count:     16
    .vgpr_spill_count: 0
    .wavefront_size: 32
    .workgroup_processor_mode: 1
  - .args:
      - .address_space:  global
        .offset:         0
        .size:           8
        .value_kind:     global_buffer
      - .address_space:  global
        .offset:         8
        .size:           8
        .value_kind:     global_buffer
      - .offset:         16
        .size:           4
        .value_kind:     by_value
      - .offset:         20
        .size:           4
        .value_kind:     by_value
      - .offset:         24
        .size:           4
        .value_kind:     by_value
      - .address_space:  global
        .offset:         32
        .size:           8
        .value_kind:     global_buffer
      - .offset:         40
        .size:           4
        .value_kind:     by_value
      - .offset:         44
        .size:           1
        .value_kind:     by_value
      - .offset:         48
        .size:           4
        .value_kind:     hidden_block_count_x
      - .offset:         52
        .size:           4
        .value_kind:     hidden_block_count_y
      - .offset:         56
        .size:           4
        .value_kind:     hidden_block_count_z
      - .offset:         60
        .size:           2
        .value_kind:     hidden_group_size_x
      - .offset:         62
        .size:           2
        .value_kind:     hidden_group_size_y
      - .offset:         64
        .size:           2
        .value_kind:     hidden_group_size_z
      - .offset:         66
        .size:           2
        .value_kind:     hidden_remainder_x
      - .offset:         68
        .size:           2
        .value_kind:     hidden_remainder_y
      - .offset:         70
        .size:           2
        .value_kind:     hidden_remainder_z
      - .offset:         88
        .size:           8
        .value_kind:     hidden_global_offset_x
      - .offset:         96
        .size:           8
        .value_kind:     hidden_global_offset_y
      - .offset:         104
        .size:           8
        .value_kind:     hidden_global_offset_z
      - .offset:         112
        .size:           2
        .value_kind:     hidden_grid_dims
    .group_segment_fixed_size: 0
    .kernarg_segment_align: 8
    .kernarg_segment_size: 304
    .language:       OpenCL C
    .language_version:
      - 2
      - 0
    .max_flat_workgroup_size: 1024
    .name:           _ZN12_GLOBAL__N_120softmax_warp_forwardIfffLi1ELb0ELb1ELi32EEEvPT0_PKT_iiiPKbib
    .private_segment_fixed_size: 0
    .sgpr_count:     16
    .sgpr_spill_count: 0
    .symbol:         _ZN12_GLOBAL__N_120softmax_warp_forwardIfffLi1ELb0ELb1ELi32EEEvPT0_PKT_iiiPKbib.kd
    .uniform_work_group_size: 1
    .uses_dynamic_stack: false
    .vgpr_count:     16
    .vgpr_spill_count: 0
    .wavefront_size: 32
    .workgroup_processor_mode: 1
  - .args:
      - .address_space:  global
        .offset:         0
        .size:           8
        .value_kind:     global_buffer
      - .address_space:  global
        .offset:         8
        .size:           8
        .value_kind:     global_buffer
      - .offset:         16
        .size:           4
        .value_kind:     by_value
      - .offset:         20
        .size:           4
        .value_kind:     by_value
      - .offset:         24
        .size:           4
        .value_kind:     by_value
      - .address_space:  global
        .offset:         32
        .size:           8
        .value_kind:     global_buffer
      - .offset:         40
        .size:           4
        .value_kind:     by_value
      - .offset:         44
        .size:           1
        .value_kind:     by_value
      - .offset:         48
        .size:           4
        .value_kind:     hidden_block_count_x
      - .offset:         52
        .size:           4
        .value_kind:     hidden_block_count_y
      - .offset:         56
        .size:           4
        .value_kind:     hidden_block_count_z
      - .offset:         60
        .size:           2
        .value_kind:     hidden_group_size_x
      - .offset:         62
        .size:           2
        .value_kind:     hidden_group_size_y
      - .offset:         64
        .size:           2
        .value_kind:     hidden_group_size_z
      - .offset:         66
        .size:           2
        .value_kind:     hidden_remainder_x
      - .offset:         68
        .size:           2
        .value_kind:     hidden_remainder_y
      - .offset:         70
        .size:           2
        .value_kind:     hidden_remainder_z
      - .offset:         88
        .size:           8
        .value_kind:     hidden_global_offset_x
      - .offset:         96
        .size:           8
        .value_kind:     hidden_global_offset_y
      - .offset:         104
        .size:           8
        .value_kind:     hidden_global_offset_z
      - .offset:         112
        .size:           2
        .value_kind:     hidden_grid_dims
    .group_segment_fixed_size: 0
    .kernarg_segment_align: 8
    .kernarg_segment_size: 304
    .language:       OpenCL C
    .language_version:
      - 2
      - 0
    .max_flat_workgroup_size: 1024
    .name:           _ZN12_GLOBAL__N_120softmax_warp_forwardIfffLi2ELb0ELb1ELi64EEEvPT0_PKT_iiiPKbib
    .private_segment_fixed_size: 0
    .sgpr_count:     16
    .sgpr_spill_count: 0
    .symbol:         _ZN12_GLOBAL__N_120softmax_warp_forwardIfffLi2ELb0ELb1ELi64EEEvPT0_PKT_iiiPKbib.kd
    .uniform_work_group_size: 1
    .uses_dynamic_stack: false
    .vgpr_count:     17
    .vgpr_spill_count: 0
    .wavefront_size: 32
    .workgroup_processor_mode: 1
  - .args:
      - .address_space:  global
        .offset:         0
        .size:           8
        .value_kind:     global_buffer
      - .address_space:  global
        .offset:         8
        .size:           8
        .value_kind:     global_buffer
      - .offset:         16
        .size:           4
        .value_kind:     by_value
      - .offset:         20
        .size:           4
        .value_kind:     by_value
      - .offset:         24
        .size:           4
        .value_kind:     by_value
      - .address_space:  global
        .offset:         32
        .size:           8
        .value_kind:     global_buffer
      - .offset:         40
        .size:           4
        .value_kind:     by_value
      - .offset:         44
        .size:           1
        .value_kind:     by_value
      - .offset:         48
        .size:           4
        .value_kind:     hidden_block_count_x
      - .offset:         52
        .size:           4
        .value_kind:     hidden_block_count_y
      - .offset:         56
        .size:           4
        .value_kind:     hidden_block_count_z
      - .offset:         60
        .size:           2
        .value_kind:     hidden_group_size_x
      - .offset:         62
        .size:           2
        .value_kind:     hidden_group_size_y
      - .offset:         64
        .size:           2
        .value_kind:     hidden_group_size_z
      - .offset:         66
        .size:           2
        .value_kind:     hidden_remainder_x
      - .offset:         68
        .size:           2
        .value_kind:     hidden_remainder_y
      - .offset:         70
        .size:           2
        .value_kind:     hidden_remainder_z
      - .offset:         88
        .size:           8
        .value_kind:     hidden_global_offset_x
      - .offset:         96
        .size:           8
        .value_kind:     hidden_global_offset_y
      - .offset:         104
        .size:           8
        .value_kind:     hidden_global_offset_z
      - .offset:         112
        .size:           2
        .value_kind:     hidden_grid_dims
    .group_segment_fixed_size: 0
    .kernarg_segment_align: 8
    .kernarg_segment_size: 304
    .language:       OpenCL C
    .language_version:
      - 2
      - 0
    .max_flat_workgroup_size: 1024
    .name:           _ZN12_GLOBAL__N_120softmax_warp_forwardIfffLi2ELb0ELb1ELi32EEEvPT0_PKT_iiiPKbib
    .private_segment_fixed_size: 0
    .sgpr_count:     16
    .sgpr_spill_count: 0
    .symbol:         _ZN12_GLOBAL__N_120softmax_warp_forwardIfffLi2ELb0ELb1ELi32EEEvPT0_PKT_iiiPKbib.kd
    .uniform_work_group_size: 1
    .uses_dynamic_stack: false
    .vgpr_count:     17
    .vgpr_spill_count: 0
    .wavefront_size: 32
    .workgroup_processor_mode: 1
  - .args:
      - .address_space:  global
        .offset:         0
        .size:           8
        .value_kind:     global_buffer
      - .address_space:  global
        .offset:         8
        .size:           8
        .value_kind:     global_buffer
      - .offset:         16
        .size:           4
        .value_kind:     by_value
      - .offset:         20
        .size:           4
        .value_kind:     by_value
      - .offset:         24
        .size:           4
        .value_kind:     by_value
      - .address_space:  global
        .offset:         32
        .size:           8
        .value_kind:     global_buffer
      - .offset:         40
        .size:           4
        .value_kind:     by_value
      - .offset:         44
        .size:           1
        .value_kind:     by_value
      - .offset:         48
        .size:           4
        .value_kind:     hidden_block_count_x
      - .offset:         52
        .size:           4
        .value_kind:     hidden_block_count_y
      - .offset:         56
        .size:           4
        .value_kind:     hidden_block_count_z
      - .offset:         60
        .size:           2
        .value_kind:     hidden_group_size_x
      - .offset:         62
        .size:           2
        .value_kind:     hidden_group_size_y
      - .offset:         64
        .size:           2
        .value_kind:     hidden_group_size_z
      - .offset:         66
        .size:           2
        .value_kind:     hidden_remainder_x
      - .offset:         68
        .size:           2
        .value_kind:     hidden_remainder_y
      - .offset:         70
        .size:           2
        .value_kind:     hidden_remainder_z
      - .offset:         88
        .size:           8
        .value_kind:     hidden_global_offset_x
      - .offset:         96
        .size:           8
        .value_kind:     hidden_global_offset_y
      - .offset:         104
        .size:           8
        .value_kind:     hidden_global_offset_z
      - .offset:         112
        .size:           2
        .value_kind:     hidden_grid_dims
    .group_segment_fixed_size: 0
    .kernarg_segment_align: 8
    .kernarg_segment_size: 304
    .language:       OpenCL C
    .language_version:
      - 2
      - 0
    .max_flat_workgroup_size: 1024
    .name:           _ZN12_GLOBAL__N_120softmax_warp_forwardIfffLi3ELb0ELb1ELi64EEEvPT0_PKT_iiiPKbib
    .private_segment_fixed_size: 0
    .sgpr_count:     16
    .sgpr_spill_count: 0
    .symbol:         _ZN12_GLOBAL__N_120softmax_warp_forwardIfffLi3ELb0ELb1ELi64EEEvPT0_PKT_iiiPKbib.kd
    .uniform_work_group_size: 1
    .uses_dynamic_stack: false
    .vgpr_count:     18
    .vgpr_spill_count: 0
    .wavefront_size: 32
    .workgroup_processor_mode: 1
  - .args:
      - .address_space:  global
        .offset:         0
        .size:           8
        .value_kind:     global_buffer
      - .address_space:  global
        .offset:         8
        .size:           8
        .value_kind:     global_buffer
      - .offset:         16
        .size:           4
        .value_kind:     by_value
      - .offset:         20
        .size:           4
        .value_kind:     by_value
      - .offset:         24
        .size:           4
        .value_kind:     by_value
      - .address_space:  global
        .offset:         32
        .size:           8
        .value_kind:     global_buffer
      - .offset:         40
        .size:           4
        .value_kind:     by_value
      - .offset:         44
        .size:           1
        .value_kind:     by_value
      - .offset:         48
        .size:           4
        .value_kind:     hidden_block_count_x
      - .offset:         52
        .size:           4
        .value_kind:     hidden_block_count_y
      - .offset:         56
        .size:           4
        .value_kind:     hidden_block_count_z
      - .offset:         60
        .size:           2
        .value_kind:     hidden_group_size_x
      - .offset:         62
        .size:           2
        .value_kind:     hidden_group_size_y
      - .offset:         64
        .size:           2
        .value_kind:     hidden_group_size_z
      - .offset:         66
        .size:           2
        .value_kind:     hidden_remainder_x
      - .offset:         68
        .size:           2
        .value_kind:     hidden_remainder_y
      - .offset:         70
        .size:           2
        .value_kind:     hidden_remainder_z
      - .offset:         88
        .size:           8
        .value_kind:     hidden_global_offset_x
      - .offset:         96
        .size:           8
        .value_kind:     hidden_global_offset_y
      - .offset:         104
        .size:           8
        .value_kind:     hidden_global_offset_z
      - .offset:         112
        .size:           2
        .value_kind:     hidden_grid_dims
    .group_segment_fixed_size: 0
    .kernarg_segment_align: 8
    .kernarg_segment_size: 304
    .language:       OpenCL C
    .language_version:
      - 2
      - 0
    .max_flat_workgroup_size: 1024
    .name:           _ZN12_GLOBAL__N_120softmax_warp_forwardIfffLi3ELb0ELb1ELi32EEEvPT0_PKT_iiiPKbib
    .private_segment_fixed_size: 0
    .sgpr_count:     16
    .sgpr_spill_count: 0
    .symbol:         _ZN12_GLOBAL__N_120softmax_warp_forwardIfffLi3ELb0ELb1ELi32EEEvPT0_PKT_iiiPKbib.kd
    .uniform_work_group_size: 1
    .uses_dynamic_stack: false
    .vgpr_count:     18
    .vgpr_spill_count: 0
    .wavefront_size: 32
    .workgroup_processor_mode: 1
  - .args:
      - .address_space:  global
        .offset:         0
        .size:           8
        .value_kind:     global_buffer
      - .address_space:  global
        .offset:         8
        .size:           8
        .value_kind:     global_buffer
      - .offset:         16
        .size:           4
        .value_kind:     by_value
      - .offset:         20
        .size:           4
        .value_kind:     by_value
      - .offset:         24
        .size:           4
        .value_kind:     by_value
      - .address_space:  global
        .offset:         32
        .size:           8
        .value_kind:     global_buffer
      - .offset:         40
        .size:           4
        .value_kind:     by_value
      - .offset:         44
        .size:           1
        .value_kind:     by_value
      - .offset:         48
        .size:           4
        .value_kind:     hidden_block_count_x
      - .offset:         52
        .size:           4
        .value_kind:     hidden_block_count_y
      - .offset:         56
        .size:           4
        .value_kind:     hidden_block_count_z
      - .offset:         60
        .size:           2
        .value_kind:     hidden_group_size_x
      - .offset:         62
        .size:           2
        .value_kind:     hidden_group_size_y
      - .offset:         64
        .size:           2
        .value_kind:     hidden_group_size_z
      - .offset:         66
        .size:           2
        .value_kind:     hidden_remainder_x
      - .offset:         68
        .size:           2
        .value_kind:     hidden_remainder_y
      - .offset:         70
        .size:           2
        .value_kind:     hidden_remainder_z
      - .offset:         88
        .size:           8
        .value_kind:     hidden_global_offset_x
      - .offset:         96
        .size:           8
        .value_kind:     hidden_global_offset_y
      - .offset:         104
        .size:           8
        .value_kind:     hidden_global_offset_z
      - .offset:         112
        .size:           2
        .value_kind:     hidden_grid_dims
    .group_segment_fixed_size: 0
    .kernarg_segment_align: 8
    .kernarg_segment_size: 304
    .language:       OpenCL C
    .language_version:
      - 2
      - 0
    .max_flat_workgroup_size: 1024
    .name:           _ZN12_GLOBAL__N_120softmax_warp_forwardIfffLi4ELb0ELb1ELi64EEEvPT0_PKT_iiiPKbib
    .private_segment_fixed_size: 0
    .sgpr_count:     16
    .sgpr_spill_count: 0
    .symbol:         _ZN12_GLOBAL__N_120softmax_warp_forwardIfffLi4ELb0ELb1ELi64EEEvPT0_PKT_iiiPKbib.kd
    .uniform_work_group_size: 1
    .uses_dynamic_stack: false
    .vgpr_count:     19
    .vgpr_spill_count: 0
    .wavefront_size: 32
    .workgroup_processor_mode: 1
  - .args:
      - .address_space:  global
        .offset:         0
        .size:           8
        .value_kind:     global_buffer
      - .address_space:  global
        .offset:         8
        .size:           8
        .value_kind:     global_buffer
      - .offset:         16
        .size:           4
        .value_kind:     by_value
      - .offset:         20
        .size:           4
        .value_kind:     by_value
      - .offset:         24
        .size:           4
        .value_kind:     by_value
      - .address_space:  global
        .offset:         32
        .size:           8
        .value_kind:     global_buffer
      - .offset:         40
        .size:           4
        .value_kind:     by_value
      - .offset:         44
        .size:           1
        .value_kind:     by_value
      - .offset:         48
        .size:           4
        .value_kind:     hidden_block_count_x
      - .offset:         52
        .size:           4
        .value_kind:     hidden_block_count_y
      - .offset:         56
        .size:           4
        .value_kind:     hidden_block_count_z
      - .offset:         60
        .size:           2
        .value_kind:     hidden_group_size_x
      - .offset:         62
        .size:           2
        .value_kind:     hidden_group_size_y
      - .offset:         64
        .size:           2
        .value_kind:     hidden_group_size_z
      - .offset:         66
        .size:           2
        .value_kind:     hidden_remainder_x
      - .offset:         68
        .size:           2
        .value_kind:     hidden_remainder_y
      - .offset:         70
        .size:           2
        .value_kind:     hidden_remainder_z
      - .offset:         88
        .size:           8
        .value_kind:     hidden_global_offset_x
      - .offset:         96
        .size:           8
        .value_kind:     hidden_global_offset_y
      - .offset:         104
        .size:           8
        .value_kind:     hidden_global_offset_z
      - .offset:         112
        .size:           2
        .value_kind:     hidden_grid_dims
    .group_segment_fixed_size: 0
    .kernarg_segment_align: 8
    .kernarg_segment_size: 304
    .language:       OpenCL C
    .language_version:
      - 2
      - 0
    .max_flat_workgroup_size: 1024
    .name:           _ZN12_GLOBAL__N_120softmax_warp_forwardIfffLi4ELb0ELb1ELi32EEEvPT0_PKT_iiiPKbib
    .private_segment_fixed_size: 0
    .sgpr_count:     16
    .sgpr_spill_count: 0
    .symbol:         _ZN12_GLOBAL__N_120softmax_warp_forwardIfffLi4ELb0ELb1ELi32EEEvPT0_PKT_iiiPKbib.kd
    .uniform_work_group_size: 1
    .uses_dynamic_stack: false
    .vgpr_count:     19
    .vgpr_spill_count: 0
    .wavefront_size: 32
    .workgroup_processor_mode: 1
  - .args:
      - .address_space:  global
        .offset:         0
        .size:           8
        .value_kind:     global_buffer
      - .address_space:  global
        .offset:         8
        .size:           8
        .value_kind:     global_buffer
      - .offset:         16
        .size:           4
        .value_kind:     by_value
      - .offset:         20
        .size:           4
        .value_kind:     by_value
      - .offset:         24
        .size:           4
        .value_kind:     by_value
      - .address_space:  global
        .offset:         32
        .size:           8
        .value_kind:     global_buffer
      - .offset:         40
        .size:           4
        .value_kind:     by_value
      - .offset:         44
        .size:           1
        .value_kind:     by_value
      - .offset:         48
        .size:           4
        .value_kind:     hidden_block_count_x
      - .offset:         52
        .size:           4
        .value_kind:     hidden_block_count_y
      - .offset:         56
        .size:           4
        .value_kind:     hidden_block_count_z
      - .offset:         60
        .size:           2
        .value_kind:     hidden_group_size_x
      - .offset:         62
        .size:           2
        .value_kind:     hidden_group_size_y
      - .offset:         64
        .size:           2
        .value_kind:     hidden_group_size_z
      - .offset:         66
        .size:           2
        .value_kind:     hidden_remainder_x
      - .offset:         68
        .size:           2
        .value_kind:     hidden_remainder_y
      - .offset:         70
        .size:           2
        .value_kind:     hidden_remainder_z
      - .offset:         88
        .size:           8
        .value_kind:     hidden_global_offset_x
      - .offset:         96
        .size:           8
        .value_kind:     hidden_global_offset_y
      - .offset:         104
        .size:           8
        .value_kind:     hidden_global_offset_z
      - .offset:         112
        .size:           2
        .value_kind:     hidden_grid_dims
    .group_segment_fixed_size: 0
    .kernarg_segment_align: 8
    .kernarg_segment_size: 304
    .language:       OpenCL C
    .language_version:
      - 2
      - 0
    .max_flat_workgroup_size: 1024
    .name:           _ZN12_GLOBAL__N_120softmax_warp_forwardIfffLi5ELb0ELb1ELi64EEEvPT0_PKT_iiiPKbib
    .private_segment_fixed_size: 0
    .sgpr_count:     16
    .sgpr_spill_count: 0
    .symbol:         _ZN12_GLOBAL__N_120softmax_warp_forwardIfffLi5ELb0ELb1ELi64EEEvPT0_PKT_iiiPKbib.kd
    .uniform_work_group_size: 1
    .uses_dynamic_stack: false
    .vgpr_count:     20
    .vgpr_spill_count: 0
    .wavefront_size: 32
    .workgroup_processor_mode: 1
  - .args:
      - .address_space:  global
        .offset:         0
        .size:           8
        .value_kind:     global_buffer
      - .address_space:  global
        .offset:         8
        .size:           8
        .value_kind:     global_buffer
      - .offset:         16
        .size:           4
        .value_kind:     by_value
      - .offset:         20
        .size:           4
        .value_kind:     by_value
      - .offset:         24
        .size:           4
        .value_kind:     by_value
      - .address_space:  global
        .offset:         32
        .size:           8
        .value_kind:     global_buffer
      - .offset:         40
        .size:           4
        .value_kind:     by_value
      - .offset:         44
        .size:           1
        .value_kind:     by_value
      - .offset:         48
        .size:           4
        .value_kind:     hidden_block_count_x
      - .offset:         52
        .size:           4
        .value_kind:     hidden_block_count_y
      - .offset:         56
        .size:           4
        .value_kind:     hidden_block_count_z
      - .offset:         60
        .size:           2
        .value_kind:     hidden_group_size_x
      - .offset:         62
        .size:           2
        .value_kind:     hidden_group_size_y
      - .offset:         64
        .size:           2
        .value_kind:     hidden_group_size_z
      - .offset:         66
        .size:           2
        .value_kind:     hidden_remainder_x
      - .offset:         68
        .size:           2
        .value_kind:     hidden_remainder_y
      - .offset:         70
        .size:           2
        .value_kind:     hidden_remainder_z
      - .offset:         88
        .size:           8
        .value_kind:     hidden_global_offset_x
      - .offset:         96
        .size:           8
        .value_kind:     hidden_global_offset_y
      - .offset:         104
        .size:           8
        .value_kind:     hidden_global_offset_z
      - .offset:         112
        .size:           2
        .value_kind:     hidden_grid_dims
    .group_segment_fixed_size: 0
    .kernarg_segment_align: 8
    .kernarg_segment_size: 304
    .language:       OpenCL C
    .language_version:
      - 2
      - 0
    .max_flat_workgroup_size: 1024
    .name:           _ZN12_GLOBAL__N_120softmax_warp_forwardIfffLi5ELb0ELb1ELi32EEEvPT0_PKT_iiiPKbib
    .private_segment_fixed_size: 0
    .sgpr_count:     16
    .sgpr_spill_count: 0
    .symbol:         _ZN12_GLOBAL__N_120softmax_warp_forwardIfffLi5ELb0ELb1ELi32EEEvPT0_PKT_iiiPKbib.kd
    .uniform_work_group_size: 1
    .uses_dynamic_stack: false
    .vgpr_count:     20
    .vgpr_spill_count: 0
    .wavefront_size: 32
    .workgroup_processor_mode: 1
  - .args:
      - .address_space:  global
        .offset:         0
        .size:           8
        .value_kind:     global_buffer
      - .address_space:  global
        .offset:         8
        .size:           8
        .value_kind:     global_buffer
      - .offset:         16
        .size:           4
        .value_kind:     by_value
      - .offset:         20
        .size:           4
        .value_kind:     by_value
      - .offset:         24
        .size:           4
        .value_kind:     by_value
      - .address_space:  global
        .offset:         32
        .size:           8
        .value_kind:     global_buffer
      - .offset:         40
        .size:           4
        .value_kind:     by_value
      - .offset:         44
        .size:           1
        .value_kind:     by_value
      - .offset:         48
        .size:           4
        .value_kind:     hidden_block_count_x
      - .offset:         52
        .size:           4
        .value_kind:     hidden_block_count_y
      - .offset:         56
        .size:           4
        .value_kind:     hidden_block_count_z
      - .offset:         60
        .size:           2
        .value_kind:     hidden_group_size_x
      - .offset:         62
        .size:           2
        .value_kind:     hidden_group_size_y
      - .offset:         64
        .size:           2
        .value_kind:     hidden_group_size_z
      - .offset:         66
        .size:           2
        .value_kind:     hidden_remainder_x
      - .offset:         68
        .size:           2
        .value_kind:     hidden_remainder_y
      - .offset:         70
        .size:           2
        .value_kind:     hidden_remainder_z
      - .offset:         88
        .size:           8
        .value_kind:     hidden_global_offset_x
      - .offset:         96
        .size:           8
        .value_kind:     hidden_global_offset_y
      - .offset:         104
        .size:           8
        .value_kind:     hidden_global_offset_z
      - .offset:         112
        .size:           2
        .value_kind:     hidden_grid_dims
    .group_segment_fixed_size: 0
    .kernarg_segment_align: 8
    .kernarg_segment_size: 304
    .language:       OpenCL C
    .language_version:
      - 2
      - 0
    .max_flat_workgroup_size: 1024
    .name:           _ZN12_GLOBAL__N_120softmax_warp_forwardIfffLi6ELb0ELb1ELi64EEEvPT0_PKT_iiiPKbib
    .private_segment_fixed_size: 0
    .sgpr_count:     16
    .sgpr_spill_count: 0
    .symbol:         _ZN12_GLOBAL__N_120softmax_warp_forwardIfffLi6ELb0ELb1ELi64EEEvPT0_PKT_iiiPKbib.kd
    .uniform_work_group_size: 1
    .uses_dynamic_stack: false
    .vgpr_count:     21
    .vgpr_spill_count: 0
    .wavefront_size: 32
    .workgroup_processor_mode: 1
  - .args:
      - .address_space:  global
        .offset:         0
        .size:           8
        .value_kind:     global_buffer
      - .address_space:  global
        .offset:         8
        .size:           8
        .value_kind:     global_buffer
      - .offset:         16
        .size:           4
        .value_kind:     by_value
      - .offset:         20
        .size:           4
        .value_kind:     by_value
      - .offset:         24
        .size:           4
        .value_kind:     by_value
      - .address_space:  global
        .offset:         32
        .size:           8
        .value_kind:     global_buffer
      - .offset:         40
        .size:           4
        .value_kind:     by_value
      - .offset:         44
        .size:           1
        .value_kind:     by_value
      - .offset:         48
        .size:           4
        .value_kind:     hidden_block_count_x
      - .offset:         52
        .size:           4
        .value_kind:     hidden_block_count_y
      - .offset:         56
        .size:           4
        .value_kind:     hidden_block_count_z
      - .offset:         60
        .size:           2
        .value_kind:     hidden_group_size_x
      - .offset:         62
        .size:           2
        .value_kind:     hidden_group_size_y
      - .offset:         64
        .size:           2
        .value_kind:     hidden_group_size_z
      - .offset:         66
        .size:           2
        .value_kind:     hidden_remainder_x
      - .offset:         68
        .size:           2
        .value_kind:     hidden_remainder_y
      - .offset:         70
        .size:           2
        .value_kind:     hidden_remainder_z
      - .offset:         88
        .size:           8
        .value_kind:     hidden_global_offset_x
      - .offset:         96
        .size:           8
        .value_kind:     hidden_global_offset_y
      - .offset:         104
        .size:           8
        .value_kind:     hidden_global_offset_z
      - .offset:         112
        .size:           2
        .value_kind:     hidden_grid_dims
    .group_segment_fixed_size: 0
    .kernarg_segment_align: 8
    .kernarg_segment_size: 304
    .language:       OpenCL C
    .language_version:
      - 2
      - 0
    .max_flat_workgroup_size: 1024
    .name:           _ZN12_GLOBAL__N_120softmax_warp_forwardIfffLi6ELb0ELb1ELi32EEEvPT0_PKT_iiiPKbib
    .private_segment_fixed_size: 0
    .sgpr_count:     19
    .sgpr_spill_count: 0
    .symbol:         _ZN12_GLOBAL__N_120softmax_warp_forwardIfffLi6ELb0ELb1ELi32EEEvPT0_PKT_iiiPKbib.kd
    .uniform_work_group_size: 1
    .uses_dynamic_stack: false
    .vgpr_count:     22
    .vgpr_spill_count: 0
    .wavefront_size: 32
    .workgroup_processor_mode: 1
  - .args:
      - .address_space:  global
        .offset:         0
        .size:           8
        .value_kind:     global_buffer
      - .address_space:  global
        .offset:         8
        .size:           8
        .value_kind:     global_buffer
      - .offset:         16
        .size:           4
        .value_kind:     by_value
      - .offset:         20
        .size:           4
        .value_kind:     by_value
      - .offset:         24
        .size:           4
        .value_kind:     by_value
      - .address_space:  global
        .offset:         32
        .size:           8
        .value_kind:     global_buffer
      - .offset:         40
        .size:           4
        .value_kind:     by_value
      - .offset:         44
        .size:           1
        .value_kind:     by_value
      - .offset:         48
        .size:           4
        .value_kind:     hidden_block_count_x
      - .offset:         52
        .size:           4
        .value_kind:     hidden_block_count_y
      - .offset:         56
        .size:           4
        .value_kind:     hidden_block_count_z
      - .offset:         60
        .size:           2
        .value_kind:     hidden_group_size_x
      - .offset:         62
        .size:           2
        .value_kind:     hidden_group_size_y
      - .offset:         64
        .size:           2
        .value_kind:     hidden_group_size_z
      - .offset:         66
        .size:           2
        .value_kind:     hidden_remainder_x
      - .offset:         68
        .size:           2
        .value_kind:     hidden_remainder_y
      - .offset:         70
        .size:           2
        .value_kind:     hidden_remainder_z
      - .offset:         88
        .size:           8
        .value_kind:     hidden_global_offset_x
      - .offset:         96
        .size:           8
        .value_kind:     hidden_global_offset_y
      - .offset:         104
        .size:           8
        .value_kind:     hidden_global_offset_z
      - .offset:         112
        .size:           2
        .value_kind:     hidden_grid_dims
    .group_segment_fixed_size: 0
    .kernarg_segment_align: 8
    .kernarg_segment_size: 304
    .language:       OpenCL C
    .language_version:
      - 2
      - 0
    .max_flat_workgroup_size: 1024
    .name:           _ZN12_GLOBAL__N_120softmax_warp_forwardIfffLi7ELb0ELb1ELi64EEEvPT0_PKT_iiiPKbib
    .private_segment_fixed_size: 0
    .sgpr_count:     19
    .sgpr_spill_count: 0
    .symbol:         _ZN12_GLOBAL__N_120softmax_warp_forwardIfffLi7ELb0ELb1ELi64EEEvPT0_PKT_iiiPKbib.kd
    .uniform_work_group_size: 1
    .uses_dynamic_stack: false
    .vgpr_count:     23
    .vgpr_spill_count: 0
    .wavefront_size: 32
    .workgroup_processor_mode: 1
  - .args:
      - .address_space:  global
        .offset:         0
        .size:           8
        .value_kind:     global_buffer
      - .address_space:  global
        .offset:         8
        .size:           8
        .value_kind:     global_buffer
      - .offset:         16
        .size:           4
        .value_kind:     by_value
      - .offset:         20
        .size:           4
        .value_kind:     by_value
      - .offset:         24
        .size:           4
        .value_kind:     by_value
      - .address_space:  global
        .offset:         32
        .size:           8
        .value_kind:     global_buffer
      - .offset:         40
        .size:           4
        .value_kind:     by_value
      - .offset:         44
        .size:           1
        .value_kind:     by_value
      - .offset:         48
        .size:           4
        .value_kind:     hidden_block_count_x
      - .offset:         52
        .size:           4
        .value_kind:     hidden_block_count_y
      - .offset:         56
        .size:           4
        .value_kind:     hidden_block_count_z
      - .offset:         60
        .size:           2
        .value_kind:     hidden_group_size_x
      - .offset:         62
        .size:           2
        .value_kind:     hidden_group_size_y
      - .offset:         64
        .size:           2
        .value_kind:     hidden_group_size_z
      - .offset:         66
        .size:           2
        .value_kind:     hidden_remainder_x
      - .offset:         68
        .size:           2
        .value_kind:     hidden_remainder_y
      - .offset:         70
        .size:           2
        .value_kind:     hidden_remainder_z
      - .offset:         88
        .size:           8
        .value_kind:     hidden_global_offset_x
      - .offset:         96
        .size:           8
        .value_kind:     hidden_global_offset_y
      - .offset:         104
        .size:           8
        .value_kind:     hidden_global_offset_z
      - .offset:         112
        .size:           2
        .value_kind:     hidden_grid_dims
    .group_segment_fixed_size: 0
    .kernarg_segment_align: 8
    .kernarg_segment_size: 304
    .language:       OpenCL C
    .language_version:
      - 2
      - 0
    .max_flat_workgroup_size: 1024
    .name:           _ZN12_GLOBAL__N_120softmax_warp_forwardIfffLi7ELb0ELb1ELi32EEEvPT0_PKT_iiiPKbib
    .private_segment_fixed_size: 0
    .sgpr_count:     26
    .sgpr_spill_count: 0
    .symbol:         _ZN12_GLOBAL__N_120softmax_warp_forwardIfffLi7ELb0ELb1ELi32EEEvPT0_PKT_iiiPKbib.kd
    .uniform_work_group_size: 1
    .uses_dynamic_stack: false
    .vgpr_count:     27
    .vgpr_spill_count: 0
    .wavefront_size: 32
    .workgroup_processor_mode: 1
  - .args:
      - .address_space:  global
        .offset:         0
        .size:           8
        .value_kind:     global_buffer
      - .address_space:  global
        .offset:         8
        .size:           8
        .value_kind:     global_buffer
      - .offset:         16
        .size:           4
        .value_kind:     by_value
      - .offset:         20
        .size:           4
        .value_kind:     by_value
      - .offset:         24
        .size:           4
        .value_kind:     by_value
      - .address_space:  global
        .offset:         32
        .size:           8
        .value_kind:     global_buffer
      - .offset:         40
        .size:           4
        .value_kind:     by_value
      - .offset:         44
        .size:           1
        .value_kind:     by_value
      - .offset:         48
        .size:           4
        .value_kind:     hidden_block_count_x
      - .offset:         52
        .size:           4
        .value_kind:     hidden_block_count_y
      - .offset:         56
        .size:           4
        .value_kind:     hidden_block_count_z
      - .offset:         60
        .size:           2
        .value_kind:     hidden_group_size_x
      - .offset:         62
        .size:           2
        .value_kind:     hidden_group_size_y
      - .offset:         64
        .size:           2
        .value_kind:     hidden_group_size_z
      - .offset:         66
        .size:           2
        .value_kind:     hidden_remainder_x
      - .offset:         68
        .size:           2
        .value_kind:     hidden_remainder_y
      - .offset:         70
        .size:           2
        .value_kind:     hidden_remainder_z
      - .offset:         88
        .size:           8
        .value_kind:     hidden_global_offset_x
      - .offset:         96
        .size:           8
        .value_kind:     hidden_global_offset_y
      - .offset:         104
        .size:           8
        .value_kind:     hidden_global_offset_z
      - .offset:         112
        .size:           2
        .value_kind:     hidden_grid_dims
    .group_segment_fixed_size: 0
    .kernarg_segment_align: 8
    .kernarg_segment_size: 304
    .language:       OpenCL C
    .language_version:
      - 2
      - 0
    .max_flat_workgroup_size: 1024
    .name:           _ZN12_GLOBAL__N_120softmax_warp_forwardIfffLi8ELb0ELb1ELi64EEEvPT0_PKT_iiiPKbib
    .private_segment_fixed_size: 0
    .sgpr_count:     18
    .sgpr_spill_count: 0
    .symbol:         _ZN12_GLOBAL__N_120softmax_warp_forwardIfffLi8ELb0ELb1ELi64EEEvPT0_PKT_iiiPKbib.kd
    .uniform_work_group_size: 1
    .uses_dynamic_stack: false
    .vgpr_count:     25
    .vgpr_spill_count: 0
    .wavefront_size: 32
    .workgroup_processor_mode: 1
  - .args:
      - .address_space:  global
        .offset:         0
        .size:           8
        .value_kind:     global_buffer
      - .address_space:  global
        .offset:         8
        .size:           8
        .value_kind:     global_buffer
      - .offset:         16
        .size:           4
        .value_kind:     by_value
      - .offset:         20
        .size:           4
        .value_kind:     by_value
      - .offset:         24
        .size:           4
        .value_kind:     by_value
      - .address_space:  global
        .offset:         32
        .size:           8
        .value_kind:     global_buffer
      - .offset:         40
        .size:           4
        .value_kind:     by_value
      - .offset:         44
        .size:           1
        .value_kind:     by_value
      - .offset:         48
        .size:           4
        .value_kind:     hidden_block_count_x
      - .offset:         52
        .size:           4
        .value_kind:     hidden_block_count_y
      - .offset:         56
        .size:           4
        .value_kind:     hidden_block_count_z
      - .offset:         60
        .size:           2
        .value_kind:     hidden_group_size_x
      - .offset:         62
        .size:           2
        .value_kind:     hidden_group_size_y
      - .offset:         64
        .size:           2
        .value_kind:     hidden_group_size_z
      - .offset:         66
        .size:           2
        .value_kind:     hidden_remainder_x
      - .offset:         68
        .size:           2
        .value_kind:     hidden_remainder_y
      - .offset:         70
        .size:           2
        .value_kind:     hidden_remainder_z
      - .offset:         88
        .size:           8
        .value_kind:     hidden_global_offset_x
      - .offset:         96
        .size:           8
        .value_kind:     hidden_global_offset_y
      - .offset:         104
        .size:           8
        .value_kind:     hidden_global_offset_z
      - .offset:         112
        .size:           2
        .value_kind:     hidden_grid_dims
    .group_segment_fixed_size: 0
    .kernarg_segment_align: 8
    .kernarg_segment_size: 304
    .language:       OpenCL C
    .language_version:
      - 2
      - 0
    .max_flat_workgroup_size: 1024
    .name:           _ZN12_GLOBAL__N_120softmax_warp_forwardIfffLi8ELb0ELb1ELi32EEEvPT0_PKT_iiiPKbib
    .private_segment_fixed_size: 0
    .sgpr_count:     24
    .sgpr_spill_count: 0
    .symbol:         _ZN12_GLOBAL__N_120softmax_warp_forwardIfffLi8ELb0ELb1ELi32EEEvPT0_PKT_iiiPKbib.kd
    .uniform_work_group_size: 1
    .uses_dynamic_stack: false
    .vgpr_count:     35
    .vgpr_spill_count: 0
    .wavefront_size: 32
    .workgroup_processor_mode: 1
  - .args:
      - .address_space:  global
        .offset:         0
        .size:           8
        .value_kind:     global_buffer
      - .address_space:  global
        .offset:         8
        .size:           8
        .value_kind:     global_buffer
      - .offset:         16
        .size:           4
        .value_kind:     by_value
      - .offset:         20
        .size:           4
        .value_kind:     by_value
      - .offset:         24
        .size:           4
        .value_kind:     by_value
      - .address_space:  global
        .offset:         32
        .size:           8
        .value_kind:     global_buffer
      - .offset:         40
        .size:           4
        .value_kind:     by_value
      - .offset:         44
        .size:           1
        .value_kind:     by_value
      - .offset:         48
        .size:           4
        .value_kind:     hidden_block_count_x
      - .offset:         52
        .size:           4
        .value_kind:     hidden_block_count_y
      - .offset:         56
        .size:           4
        .value_kind:     hidden_block_count_z
      - .offset:         60
        .size:           2
        .value_kind:     hidden_group_size_x
      - .offset:         62
        .size:           2
        .value_kind:     hidden_group_size_y
      - .offset:         64
        .size:           2
        .value_kind:     hidden_group_size_z
      - .offset:         66
        .size:           2
        .value_kind:     hidden_remainder_x
      - .offset:         68
        .size:           2
        .value_kind:     hidden_remainder_y
      - .offset:         70
        .size:           2
        .value_kind:     hidden_remainder_z
      - .offset:         88
        .size:           8
        .value_kind:     hidden_global_offset_x
      - .offset:         96
        .size:           8
        .value_kind:     hidden_global_offset_y
      - .offset:         104
        .size:           8
        .value_kind:     hidden_global_offset_z
      - .offset:         112
        .size:           2
        .value_kind:     hidden_grid_dims
    .group_segment_fixed_size: 0
    .kernarg_segment_align: 8
    .kernarg_segment_size: 304
    .language:       OpenCL C
    .language_version:
      - 2
      - 0
    .max_flat_workgroup_size: 1024
    .name:           _ZN12_GLOBAL__N_120softmax_warp_forwardIfffLi9ELb0ELb1ELi64EEEvPT0_PKT_iiiPKbib
    .private_segment_fixed_size: 0
    .sgpr_count:     24
    .sgpr_spill_count: 0
    .symbol:         _ZN12_GLOBAL__N_120softmax_warp_forwardIfffLi9ELb0ELb1ELi64EEEvPT0_PKT_iiiPKbib.kd
    .uniform_work_group_size: 1
    .uses_dynamic_stack: false
    .vgpr_count:     36
    .vgpr_spill_count: 0
    .wavefront_size: 32
    .workgroup_processor_mode: 1
  - .args:
      - .address_space:  global
        .offset:         0
        .size:           8
        .value_kind:     global_buffer
      - .address_space:  global
        .offset:         8
        .size:           8
        .value_kind:     global_buffer
      - .offset:         16
        .size:           4
        .value_kind:     by_value
      - .offset:         20
        .size:           4
        .value_kind:     by_value
      - .offset:         24
        .size:           4
        .value_kind:     by_value
      - .address_space:  global
        .offset:         32
        .size:           8
        .value_kind:     global_buffer
      - .offset:         40
        .size:           4
        .value_kind:     by_value
      - .offset:         44
        .size:           1
        .value_kind:     by_value
      - .offset:         48
        .size:           4
        .value_kind:     hidden_block_count_x
      - .offset:         52
        .size:           4
        .value_kind:     hidden_block_count_y
      - .offset:         56
        .size:           4
        .value_kind:     hidden_block_count_z
      - .offset:         60
        .size:           2
        .value_kind:     hidden_group_size_x
      - .offset:         62
        .size:           2
        .value_kind:     hidden_group_size_y
      - .offset:         64
        .size:           2
        .value_kind:     hidden_group_size_z
      - .offset:         66
        .size:           2
        .value_kind:     hidden_remainder_x
      - .offset:         68
        .size:           2
        .value_kind:     hidden_remainder_y
      - .offset:         70
        .size:           2
        .value_kind:     hidden_remainder_z
      - .offset:         88
        .size:           8
        .value_kind:     hidden_global_offset_x
      - .offset:         96
        .size:           8
        .value_kind:     hidden_global_offset_y
      - .offset:         104
        .size:           8
        .value_kind:     hidden_global_offset_z
      - .offset:         112
        .size:           2
        .value_kind:     hidden_grid_dims
    .group_segment_fixed_size: 0
    .kernarg_segment_align: 8
    .kernarg_segment_size: 304
    .language:       OpenCL C
    .language_version:
      - 2
      - 0
    .max_flat_workgroup_size: 1024
    .name:           _ZN12_GLOBAL__N_120softmax_warp_forwardIfffLi9ELb0ELb1ELi32EEEvPT0_PKT_iiiPKbib
    .private_segment_fixed_size: 0
    .sgpr_count:     41
    .sgpr_spill_count: 0
    .symbol:         _ZN12_GLOBAL__N_120softmax_warp_forwardIfffLi9ELb0ELb1ELi32EEEvPT0_PKT_iiiPKbib.kd
    .uniform_work_group_size: 1
    .uses_dynamic_stack: false
    .vgpr_count:     59
    .vgpr_spill_count: 0
    .wavefront_size: 32
    .workgroup_processor_mode: 1
  - .args:
      - .address_space:  global
        .offset:         0
        .size:           8
        .value_kind:     global_buffer
      - .address_space:  global
        .offset:         8
        .size:           8
        .value_kind:     global_buffer
      - .offset:         16
        .size:           4
        .value_kind:     by_value
      - .offset:         20
        .size:           4
        .value_kind:     by_value
      - .offset:         24
        .size:           4
        .value_kind:     by_value
      - .address_space:  global
        .offset:         32
        .size:           8
        .value_kind:     global_buffer
      - .offset:         40
        .size:           4
        .value_kind:     by_value
      - .offset:         44
        .size:           1
        .value_kind:     by_value
      - .offset:         48
        .size:           4
        .value_kind:     hidden_block_count_x
      - .offset:         52
        .size:           4
        .value_kind:     hidden_block_count_y
      - .offset:         56
        .size:           4
        .value_kind:     hidden_block_count_z
      - .offset:         60
        .size:           2
        .value_kind:     hidden_group_size_x
      - .offset:         62
        .size:           2
        .value_kind:     hidden_group_size_y
      - .offset:         64
        .size:           2
        .value_kind:     hidden_group_size_z
      - .offset:         66
        .size:           2
        .value_kind:     hidden_remainder_x
      - .offset:         68
        .size:           2
        .value_kind:     hidden_remainder_y
      - .offset:         70
        .size:           2
        .value_kind:     hidden_remainder_z
      - .offset:         88
        .size:           8
        .value_kind:     hidden_global_offset_x
      - .offset:         96
        .size:           8
        .value_kind:     hidden_global_offset_y
      - .offset:         104
        .size:           8
        .value_kind:     hidden_global_offset_z
      - .offset:         112
        .size:           2
        .value_kind:     hidden_grid_dims
    .group_segment_fixed_size: 0
    .kernarg_segment_align: 8
    .kernarg_segment_size: 304
    .language:       OpenCL C
    .language_version:
      - 2
      - 0
    .max_flat_workgroup_size: 1024
    .name:           _ZN12_GLOBAL__N_120softmax_warp_forwardIfffLi10ELb0ELb1ELi64EEEvPT0_PKT_iiiPKbib
    .private_segment_fixed_size: 0
    .sgpr_count:     41
    .sgpr_spill_count: 0
    .symbol:         _ZN12_GLOBAL__N_120softmax_warp_forwardIfffLi10ELb0ELb1ELi64EEEvPT0_PKT_iiiPKbib.kd
    .uniform_work_group_size: 1
    .uses_dynamic_stack: false
    .vgpr_count:     60
    .vgpr_spill_count: 0
    .wavefront_size: 32
    .workgroup_processor_mode: 1
  - .args:
      - .address_space:  global
        .offset:         0
        .size:           8
        .value_kind:     global_buffer
      - .address_space:  global
        .offset:         8
        .size:           8
        .value_kind:     global_buffer
      - .offset:         16
        .size:           4
        .value_kind:     by_value
      - .offset:         20
        .size:           4
        .value_kind:     by_value
      - .offset:         24
        .size:           4
        .value_kind:     by_value
      - .address_space:  global
        .offset:         32
        .size:           8
        .value_kind:     global_buffer
      - .offset:         40
        .size:           4
        .value_kind:     by_value
      - .offset:         44
        .size:           1
        .value_kind:     by_value
      - .offset:         48
        .size:           4
        .value_kind:     hidden_block_count_x
      - .offset:         52
        .size:           4
        .value_kind:     hidden_block_count_y
      - .offset:         56
        .size:           4
        .value_kind:     hidden_block_count_z
      - .offset:         60
        .size:           2
        .value_kind:     hidden_group_size_x
      - .offset:         62
        .size:           2
        .value_kind:     hidden_group_size_y
      - .offset:         64
        .size:           2
        .value_kind:     hidden_group_size_z
      - .offset:         66
        .size:           2
        .value_kind:     hidden_remainder_x
      - .offset:         68
        .size:           2
        .value_kind:     hidden_remainder_y
      - .offset:         70
        .size:           2
        .value_kind:     hidden_remainder_z
      - .offset:         88
        .size:           8
        .value_kind:     hidden_global_offset_x
      - .offset:         96
        .size:           8
        .value_kind:     hidden_global_offset_y
      - .offset:         104
        .size:           8
        .value_kind:     hidden_global_offset_z
      - .offset:         112
        .size:           2
        .value_kind:     hidden_grid_dims
    .group_segment_fixed_size: 0
    .kernarg_segment_align: 8
    .kernarg_segment_size: 304
    .language:       OpenCL C
    .language_version:
      - 2
      - 0
    .max_flat_workgroup_size: 1024
    .name:           _ZN12_GLOBAL__N_120softmax_warp_forwardIfffLi10ELb0ELb1ELi32EEEvPT0_PKT_iiiPKbib
    .private_segment_fixed_size: 0
    .sgpr_count:     73
    .sgpr_spill_count: 0
    .symbol:         _ZN12_GLOBAL__N_120softmax_warp_forwardIfffLi10ELb0ELb1ELi32EEEvPT0_PKT_iiiPKbib.kd
    .uniform_work_group_size: 1
    .uses_dynamic_stack: false
    .vgpr_count:     107
    .vgpr_spill_count: 0
    .wavefront_size: 32
    .workgroup_processor_mode: 1
  - .args:
      - .address_space:  global
        .offset:         0
        .size:           8
        .value_kind:     global_buffer
      - .address_space:  global
        .offset:         8
        .size:           8
        .value_kind:     global_buffer
      - .offset:         16
        .size:           4
        .value_kind:     by_value
      - .offset:         20
        .size:           4
        .value_kind:     by_value
      - .offset:         24
        .size:           4
        .value_kind:     by_value
      - .address_space:  global
        .offset:         32
        .size:           8
        .value_kind:     global_buffer
      - .offset:         40
        .size:           4
        .value_kind:     by_value
      - .offset:         44
        .size:           1
        .value_kind:     by_value
      - .offset:         48
        .size:           4
        .value_kind:     hidden_block_count_x
      - .offset:         52
        .size:           4
        .value_kind:     hidden_block_count_y
      - .offset:         56
        .size:           4
        .value_kind:     hidden_block_count_z
      - .offset:         60
        .size:           2
        .value_kind:     hidden_group_size_x
      - .offset:         62
        .size:           2
        .value_kind:     hidden_group_size_y
      - .offset:         64
        .size:           2
        .value_kind:     hidden_group_size_z
      - .offset:         66
        .size:           2
        .value_kind:     hidden_remainder_x
      - .offset:         68
        .size:           2
        .value_kind:     hidden_remainder_y
      - .offset:         70
        .size:           2
        .value_kind:     hidden_remainder_z
      - .offset:         88
        .size:           8
        .value_kind:     hidden_global_offset_x
      - .offset:         96
        .size:           8
        .value_kind:     hidden_global_offset_y
      - .offset:         104
        .size:           8
        .value_kind:     hidden_global_offset_z
      - .offset:         112
        .size:           2
        .value_kind:     hidden_grid_dims
    .group_segment_fixed_size: 0
    .kernarg_segment_align: 8
    .kernarg_segment_size: 304
    .language:       OpenCL C
    .language_version:
      - 2
      - 0
    .max_flat_workgroup_size: 1024
    .name:           _ZN12_GLOBAL__N_120softmax_warp_forwardIfffLi11ELb0ELb1ELi64EEEvPT0_PKT_iiiPKbib
    .private_segment_fixed_size: 0
    .sgpr_count:     73
    .sgpr_spill_count: 0
    .symbol:         _ZN12_GLOBAL__N_120softmax_warp_forwardIfffLi11ELb0ELb1ELi64EEEvPT0_PKT_iiiPKbib.kd
    .uniform_work_group_size: 1
    .uses_dynamic_stack: false
    .vgpr_count:     108
    .vgpr_spill_count: 0
    .wavefront_size: 32
    .workgroup_processor_mode: 1
  - .args:
      - .address_space:  global
        .offset:         0
        .size:           8
        .value_kind:     global_buffer
      - .address_space:  global
        .offset:         8
        .size:           8
        .value_kind:     global_buffer
      - .offset:         16
        .size:           4
        .value_kind:     by_value
      - .offset:         20
        .size:           4
        .value_kind:     by_value
      - .offset:         24
        .size:           4
        .value_kind:     by_value
      - .address_space:  global
        .offset:         32
        .size:           8
        .value_kind:     global_buffer
      - .offset:         40
        .size:           4
        .value_kind:     by_value
      - .offset:         44
        .size:           1
        .value_kind:     by_value
      - .offset:         48
        .size:           4
        .value_kind:     hidden_block_count_x
      - .offset:         52
        .size:           4
        .value_kind:     hidden_block_count_y
      - .offset:         56
        .size:           4
        .value_kind:     hidden_block_count_z
      - .offset:         60
        .size:           2
        .value_kind:     hidden_group_size_x
      - .offset:         62
        .size:           2
        .value_kind:     hidden_group_size_y
      - .offset:         64
        .size:           2
        .value_kind:     hidden_group_size_z
      - .offset:         66
        .size:           2
        .value_kind:     hidden_remainder_x
      - .offset:         68
        .size:           2
        .value_kind:     hidden_remainder_y
      - .offset:         70
        .size:           2
        .value_kind:     hidden_remainder_z
      - .offset:         88
        .size:           8
        .value_kind:     hidden_global_offset_x
      - .offset:         96
        .size:           8
        .value_kind:     hidden_global_offset_y
      - .offset:         104
        .size:           8
        .value_kind:     hidden_global_offset_z
      - .offset:         112
        .size:           2
        .value_kind:     hidden_grid_dims
    .group_segment_fixed_size: 0
    .kernarg_segment_align: 8
    .kernarg_segment_size: 304
    .language:       OpenCL C
    .language_version:
      - 2
      - 0
    .max_flat_workgroup_size: 1024
    .name:           _ZN12_GLOBAL__N_120softmax_warp_forwardIfffLi11ELb0ELb1ELi32EEEvPT0_PKT_iiiPKbib
    .private_segment_fixed_size: 0
    .sgpr_count:     107
    .sgpr_spill_count: 33
    .symbol:         _ZN12_GLOBAL__N_120softmax_warp_forwardIfffLi11ELb0ELb1ELi32EEEvPT0_PKT_iiiPKbib.kd
    .uniform_work_group_size: 1
    .uses_dynamic_stack: false
    .vgpr_count:     82
    .vgpr_spill_count: 0
    .wavefront_size: 32
    .workgroup_processor_mode: 1
  - .args:
      - .address_space:  global
        .offset:         0
        .size:           8
        .value_kind:     global_buffer
      - .address_space:  global
        .offset:         8
        .size:           8
        .value_kind:     global_buffer
      - .offset:         16
        .size:           4
        .value_kind:     by_value
      - .offset:         20
        .size:           4
        .value_kind:     by_value
      - .offset:         24
        .size:           4
        .value_kind:     by_value
      - .address_space:  global
        .offset:         32
        .size:           8
        .value_kind:     global_buffer
      - .offset:         40
        .size:           4
        .value_kind:     by_value
      - .offset:         44
        .size:           1
        .value_kind:     by_value
      - .offset:         48
        .size:           4
        .value_kind:     hidden_block_count_x
      - .offset:         52
        .size:           4
        .value_kind:     hidden_block_count_y
      - .offset:         56
        .size:           4
        .value_kind:     hidden_block_count_z
      - .offset:         60
        .size:           2
        .value_kind:     hidden_group_size_x
      - .offset:         62
        .size:           2
        .value_kind:     hidden_group_size_y
      - .offset:         64
        .size:           2
        .value_kind:     hidden_group_size_z
      - .offset:         66
        .size:           2
        .value_kind:     hidden_remainder_x
      - .offset:         68
        .size:           2
        .value_kind:     hidden_remainder_y
      - .offset:         70
        .size:           2
        .value_kind:     hidden_remainder_z
      - .offset:         88
        .size:           8
        .value_kind:     hidden_global_offset_x
      - .offset:         96
        .size:           8
        .value_kind:     hidden_global_offset_y
      - .offset:         104
        .size:           8
        .value_kind:     hidden_global_offset_z
      - .offset:         112
        .size:           2
        .value_kind:     hidden_grid_dims
    .group_segment_fixed_size: 0
    .kernarg_segment_align: 8
    .kernarg_segment_size: 304
    .language:       OpenCL C
    .language_version:
      - 2
      - 0
    .max_flat_workgroup_size: 1024
    .name:           _ZN12_GLOBAL__N_120softmax_warp_forwardIN3c104HalfES2_fLi0ELb0ELb1ELi64EEEvPT0_PKT_iiiPKbib
    .private_segment_fixed_size: 0
    .sgpr_count:     16
    .sgpr_spill_count: 0
    .symbol:         _ZN12_GLOBAL__N_120softmax_warp_forwardIN3c104HalfES2_fLi0ELb0ELb1ELi64EEEvPT0_PKT_iiiPKbib.kd
    .uniform_work_group_size: 1
    .uses_dynamic_stack: false
    .vgpr_count:     14
    .vgpr_spill_count: 0
    .wavefront_size: 32
    .workgroup_processor_mode: 1
  - .args:
      - .address_space:  global
        .offset:         0
        .size:           8
        .value_kind:     global_buffer
      - .address_space:  global
        .offset:         8
        .size:           8
        .value_kind:     global_buffer
      - .offset:         16
        .size:           4
        .value_kind:     by_value
      - .offset:         20
        .size:           4
        .value_kind:     by_value
      - .offset:         24
        .size:           4
        .value_kind:     by_value
      - .address_space:  global
        .offset:         32
        .size:           8
        .value_kind:     global_buffer
      - .offset:         40
        .size:           4
        .value_kind:     by_value
      - .offset:         44
        .size:           1
        .value_kind:     by_value
      - .offset:         48
        .size:           4
        .value_kind:     hidden_block_count_x
      - .offset:         52
        .size:           4
        .value_kind:     hidden_block_count_y
      - .offset:         56
        .size:           4
        .value_kind:     hidden_block_count_z
      - .offset:         60
        .size:           2
        .value_kind:     hidden_group_size_x
      - .offset:         62
        .size:           2
        .value_kind:     hidden_group_size_y
      - .offset:         64
        .size:           2
        .value_kind:     hidden_group_size_z
      - .offset:         66
        .size:           2
        .value_kind:     hidden_remainder_x
      - .offset:         68
        .size:           2
        .value_kind:     hidden_remainder_y
      - .offset:         70
        .size:           2
        .value_kind:     hidden_remainder_z
      - .offset:         88
        .size:           8
        .value_kind:     hidden_global_offset_x
      - .offset:         96
        .size:           8
        .value_kind:     hidden_global_offset_y
      - .offset:         104
        .size:           8
        .value_kind:     hidden_global_offset_z
      - .offset:         112
        .size:           2
        .value_kind:     hidden_grid_dims
    .group_segment_fixed_size: 0
    .kernarg_segment_align: 8
    .kernarg_segment_size: 304
    .language:       OpenCL C
    .language_version:
      - 2
      - 0
    .max_flat_workgroup_size: 1024
    .name:           _ZN12_GLOBAL__N_120softmax_warp_forwardIN3c104HalfES2_fLi0ELb0ELb1ELi32EEEvPT0_PKT_iiiPKbib
    .private_segment_fixed_size: 0
    .sgpr_count:     16
    .sgpr_spill_count: 0
    .symbol:         _ZN12_GLOBAL__N_120softmax_warp_forwardIN3c104HalfES2_fLi0ELb0ELb1ELi32EEEvPT0_PKT_iiiPKbib.kd
    .uniform_work_group_size: 1
    .uses_dynamic_stack: false
    .vgpr_count:     14
    .vgpr_spill_count: 0
    .wavefront_size: 32
    .workgroup_processor_mode: 1
  - .args:
      - .address_space:  global
        .offset:         0
        .size:           8
        .value_kind:     global_buffer
      - .address_space:  global
        .offset:         8
        .size:           8
        .value_kind:     global_buffer
      - .offset:         16
        .size:           4
        .value_kind:     by_value
      - .offset:         20
        .size:           4
        .value_kind:     by_value
      - .offset:         24
        .size:           4
        .value_kind:     by_value
      - .address_space:  global
        .offset:         32
        .size:           8
        .value_kind:     global_buffer
      - .offset:         40
        .size:           4
        .value_kind:     by_value
      - .offset:         44
        .size:           1
        .value_kind:     by_value
      - .offset:         48
        .size:           4
        .value_kind:     hidden_block_count_x
      - .offset:         52
        .size:           4
        .value_kind:     hidden_block_count_y
      - .offset:         56
        .size:           4
        .value_kind:     hidden_block_count_z
      - .offset:         60
        .size:           2
        .value_kind:     hidden_group_size_x
      - .offset:         62
        .size:           2
        .value_kind:     hidden_group_size_y
      - .offset:         64
        .size:           2
        .value_kind:     hidden_group_size_z
      - .offset:         66
        .size:           2
        .value_kind:     hidden_remainder_x
      - .offset:         68
        .size:           2
        .value_kind:     hidden_remainder_y
      - .offset:         70
        .size:           2
        .value_kind:     hidden_remainder_z
      - .offset:         88
        .size:           8
        .value_kind:     hidden_global_offset_x
      - .offset:         96
        .size:           8
        .value_kind:     hidden_global_offset_y
      - .offset:         104
        .size:           8
        .value_kind:     hidden_global_offset_z
      - .offset:         112
        .size:           2
        .value_kind:     hidden_grid_dims
    .group_segment_fixed_size: 0
    .kernarg_segment_align: 8
    .kernarg_segment_size: 304
    .language:       OpenCL C
    .language_version:
      - 2
      - 0
    .max_flat_workgroup_size: 1024
    .name:           _ZN12_GLOBAL__N_120softmax_warp_forwardIN3c104HalfES2_fLi1ELb0ELb1ELi64EEEvPT0_PKT_iiiPKbib
    .private_segment_fixed_size: 0
    .sgpr_count:     16
    .sgpr_spill_count: 0
    .symbol:         _ZN12_GLOBAL__N_120softmax_warp_forwardIN3c104HalfES2_fLi1ELb0ELb1ELi64EEEvPT0_PKT_iiiPKbib.kd
    .uniform_work_group_size: 1
    .uses_dynamic_stack: false
    .vgpr_count:     16
    .vgpr_spill_count: 0
    .wavefront_size: 32
    .workgroup_processor_mode: 1
  - .args:
      - .address_space:  global
        .offset:         0
        .size:           8
        .value_kind:     global_buffer
      - .address_space:  global
        .offset:         8
        .size:           8
        .value_kind:     global_buffer
      - .offset:         16
        .size:           4
        .value_kind:     by_value
      - .offset:         20
        .size:           4
        .value_kind:     by_value
      - .offset:         24
        .size:           4
        .value_kind:     by_value
      - .address_space:  global
        .offset:         32
        .size:           8
        .value_kind:     global_buffer
      - .offset:         40
        .size:           4
        .value_kind:     by_value
      - .offset:         44
        .size:           1
        .value_kind:     by_value
      - .offset:         48
        .size:           4
        .value_kind:     hidden_block_count_x
      - .offset:         52
        .size:           4
        .value_kind:     hidden_block_count_y
      - .offset:         56
        .size:           4
        .value_kind:     hidden_block_count_z
      - .offset:         60
        .size:           2
        .value_kind:     hidden_group_size_x
      - .offset:         62
        .size:           2
        .value_kind:     hidden_group_size_y
      - .offset:         64
        .size:           2
        .value_kind:     hidden_group_size_z
      - .offset:         66
        .size:           2
        .value_kind:     hidden_remainder_x
      - .offset:         68
        .size:           2
        .value_kind:     hidden_remainder_y
      - .offset:         70
        .size:           2
        .value_kind:     hidden_remainder_z
      - .offset:         88
        .size:           8
        .value_kind:     hidden_global_offset_x
      - .offset:         96
        .size:           8
        .value_kind:     hidden_global_offset_y
      - .offset:         104
        .size:           8
        .value_kind:     hidden_global_offset_z
      - .offset:         112
        .size:           2
        .value_kind:     hidden_grid_dims
    .group_segment_fixed_size: 0
    .kernarg_segment_align: 8
    .kernarg_segment_size: 304
    .language:       OpenCL C
    .language_version:
      - 2
      - 0
    .max_flat_workgroup_size: 1024
    .name:           _ZN12_GLOBAL__N_120softmax_warp_forwardIN3c104HalfES2_fLi1ELb0ELb1ELi32EEEvPT0_PKT_iiiPKbib
    .private_segment_fixed_size: 0
    .sgpr_count:     16
    .sgpr_spill_count: 0
    .symbol:         _ZN12_GLOBAL__N_120softmax_warp_forwardIN3c104HalfES2_fLi1ELb0ELb1ELi32EEEvPT0_PKT_iiiPKbib.kd
    .uniform_work_group_size: 1
    .uses_dynamic_stack: false
    .vgpr_count:     16
    .vgpr_spill_count: 0
    .wavefront_size: 32
    .workgroup_processor_mode: 1
  - .args:
      - .address_space:  global
        .offset:         0
        .size:           8
        .value_kind:     global_buffer
      - .address_space:  global
        .offset:         8
        .size:           8
        .value_kind:     global_buffer
      - .offset:         16
        .size:           4
        .value_kind:     by_value
      - .offset:         20
        .size:           4
        .value_kind:     by_value
      - .offset:         24
        .size:           4
        .value_kind:     by_value
      - .address_space:  global
        .offset:         32
        .size:           8
        .value_kind:     global_buffer
      - .offset:         40
        .size:           4
        .value_kind:     by_value
      - .offset:         44
        .size:           1
        .value_kind:     by_value
      - .offset:         48
        .size:           4
        .value_kind:     hidden_block_count_x
      - .offset:         52
        .size:           4
        .value_kind:     hidden_block_count_y
      - .offset:         56
        .size:           4
        .value_kind:     hidden_block_count_z
      - .offset:         60
        .size:           2
        .value_kind:     hidden_group_size_x
      - .offset:         62
        .size:           2
        .value_kind:     hidden_group_size_y
      - .offset:         64
        .size:           2
        .value_kind:     hidden_group_size_z
      - .offset:         66
        .size:           2
        .value_kind:     hidden_remainder_x
      - .offset:         68
        .size:           2
        .value_kind:     hidden_remainder_y
      - .offset:         70
        .size:           2
        .value_kind:     hidden_remainder_z
      - .offset:         88
        .size:           8
        .value_kind:     hidden_global_offset_x
      - .offset:         96
        .size:           8
        .value_kind:     hidden_global_offset_y
      - .offset:         104
        .size:           8
        .value_kind:     hidden_global_offset_z
      - .offset:         112
        .size:           2
        .value_kind:     hidden_grid_dims
    .group_segment_fixed_size: 0
    .kernarg_segment_align: 8
    .kernarg_segment_size: 304
    .language:       OpenCL C
    .language_version:
      - 2
      - 0
    .max_flat_workgroup_size: 1024
    .name:           _ZN12_GLOBAL__N_120softmax_warp_forwardIN3c104HalfES2_fLi2ELb0ELb1ELi64EEEvPT0_PKT_iiiPKbib
    .private_segment_fixed_size: 0
    .sgpr_count:     16
    .sgpr_spill_count: 0
    .symbol:         _ZN12_GLOBAL__N_120softmax_warp_forwardIN3c104HalfES2_fLi2ELb0ELb1ELi64EEEvPT0_PKT_iiiPKbib.kd
    .uniform_work_group_size: 1
    .uses_dynamic_stack: false
    .vgpr_count:     17
    .vgpr_spill_count: 0
    .wavefront_size: 32
    .workgroup_processor_mode: 1
  - .args:
      - .address_space:  global
        .offset:         0
        .size:           8
        .value_kind:     global_buffer
      - .address_space:  global
        .offset:         8
        .size:           8
        .value_kind:     global_buffer
      - .offset:         16
        .size:           4
        .value_kind:     by_value
      - .offset:         20
        .size:           4
        .value_kind:     by_value
      - .offset:         24
        .size:           4
        .value_kind:     by_value
      - .address_space:  global
        .offset:         32
        .size:           8
        .value_kind:     global_buffer
      - .offset:         40
        .size:           4
        .value_kind:     by_value
      - .offset:         44
        .size:           1
        .value_kind:     by_value
      - .offset:         48
        .size:           4
        .value_kind:     hidden_block_count_x
      - .offset:         52
        .size:           4
        .value_kind:     hidden_block_count_y
      - .offset:         56
        .size:           4
        .value_kind:     hidden_block_count_z
      - .offset:         60
        .size:           2
        .value_kind:     hidden_group_size_x
      - .offset:         62
        .size:           2
        .value_kind:     hidden_group_size_y
      - .offset:         64
        .size:           2
        .value_kind:     hidden_group_size_z
      - .offset:         66
        .size:           2
        .value_kind:     hidden_remainder_x
      - .offset:         68
        .size:           2
        .value_kind:     hidden_remainder_y
      - .offset:         70
        .size:           2
        .value_kind:     hidden_remainder_z
      - .offset:         88
        .size:           8
        .value_kind:     hidden_global_offset_x
      - .offset:         96
        .size:           8
        .value_kind:     hidden_global_offset_y
      - .offset:         104
        .size:           8
        .value_kind:     hidden_global_offset_z
      - .offset:         112
        .size:           2
        .value_kind:     hidden_grid_dims
    .group_segment_fixed_size: 0
    .kernarg_segment_align: 8
    .kernarg_segment_size: 304
    .language:       OpenCL C
    .language_version:
      - 2
      - 0
    .max_flat_workgroup_size: 1024
    .name:           _ZN12_GLOBAL__N_120softmax_warp_forwardIN3c104HalfES2_fLi2ELb0ELb1ELi32EEEvPT0_PKT_iiiPKbib
    .private_segment_fixed_size: 0
    .sgpr_count:     16
    .sgpr_spill_count: 0
    .symbol:         _ZN12_GLOBAL__N_120softmax_warp_forwardIN3c104HalfES2_fLi2ELb0ELb1ELi32EEEvPT0_PKT_iiiPKbib.kd
    .uniform_work_group_size: 1
    .uses_dynamic_stack: false
    .vgpr_count:     17
    .vgpr_spill_count: 0
    .wavefront_size: 32
    .workgroup_processor_mode: 1
  - .args:
      - .address_space:  global
        .offset:         0
        .size:           8
        .value_kind:     global_buffer
      - .address_space:  global
        .offset:         8
        .size:           8
        .value_kind:     global_buffer
      - .offset:         16
        .size:           4
        .value_kind:     by_value
      - .offset:         20
        .size:           4
        .value_kind:     by_value
      - .offset:         24
        .size:           4
        .value_kind:     by_value
      - .address_space:  global
        .offset:         32
        .size:           8
        .value_kind:     global_buffer
      - .offset:         40
        .size:           4
        .value_kind:     by_value
      - .offset:         44
        .size:           1
        .value_kind:     by_value
      - .offset:         48
        .size:           4
        .value_kind:     hidden_block_count_x
      - .offset:         52
        .size:           4
        .value_kind:     hidden_block_count_y
      - .offset:         56
        .size:           4
        .value_kind:     hidden_block_count_z
      - .offset:         60
        .size:           2
        .value_kind:     hidden_group_size_x
      - .offset:         62
        .size:           2
        .value_kind:     hidden_group_size_y
      - .offset:         64
        .size:           2
        .value_kind:     hidden_group_size_z
      - .offset:         66
        .size:           2
        .value_kind:     hidden_remainder_x
      - .offset:         68
        .size:           2
        .value_kind:     hidden_remainder_y
      - .offset:         70
        .size:           2
        .value_kind:     hidden_remainder_z
      - .offset:         88
        .size:           8
        .value_kind:     hidden_global_offset_x
      - .offset:         96
        .size:           8
        .value_kind:     hidden_global_offset_y
      - .offset:         104
        .size:           8
        .value_kind:     hidden_global_offset_z
      - .offset:         112
        .size:           2
        .value_kind:     hidden_grid_dims
    .group_segment_fixed_size: 0
    .kernarg_segment_align: 8
    .kernarg_segment_size: 304
    .language:       OpenCL C
    .language_version:
      - 2
      - 0
    .max_flat_workgroup_size: 1024
    .name:           _ZN12_GLOBAL__N_120softmax_warp_forwardIN3c104HalfES2_fLi3ELb0ELb1ELi64EEEvPT0_PKT_iiiPKbib
    .private_segment_fixed_size: 0
    .sgpr_count:     16
    .sgpr_spill_count: 0
    .symbol:         _ZN12_GLOBAL__N_120softmax_warp_forwardIN3c104HalfES2_fLi3ELb0ELb1ELi64EEEvPT0_PKT_iiiPKbib.kd
    .uniform_work_group_size: 1
    .uses_dynamic_stack: false
    .vgpr_count:     18
    .vgpr_spill_count: 0
    .wavefront_size: 32
    .workgroup_processor_mode: 1
  - .args:
      - .address_space:  global
        .offset:         0
        .size:           8
        .value_kind:     global_buffer
      - .address_space:  global
        .offset:         8
        .size:           8
        .value_kind:     global_buffer
      - .offset:         16
        .size:           4
        .value_kind:     by_value
      - .offset:         20
        .size:           4
        .value_kind:     by_value
      - .offset:         24
        .size:           4
        .value_kind:     by_value
      - .address_space:  global
        .offset:         32
        .size:           8
        .value_kind:     global_buffer
      - .offset:         40
        .size:           4
        .value_kind:     by_value
      - .offset:         44
        .size:           1
        .value_kind:     by_value
      - .offset:         48
        .size:           4
        .value_kind:     hidden_block_count_x
      - .offset:         52
        .size:           4
        .value_kind:     hidden_block_count_y
      - .offset:         56
        .size:           4
        .value_kind:     hidden_block_count_z
      - .offset:         60
        .size:           2
        .value_kind:     hidden_group_size_x
      - .offset:         62
        .size:           2
        .value_kind:     hidden_group_size_y
      - .offset:         64
        .size:           2
        .value_kind:     hidden_group_size_z
      - .offset:         66
        .size:           2
        .value_kind:     hidden_remainder_x
      - .offset:         68
        .size:           2
        .value_kind:     hidden_remainder_y
      - .offset:         70
        .size:           2
        .value_kind:     hidden_remainder_z
      - .offset:         88
        .size:           8
        .value_kind:     hidden_global_offset_x
      - .offset:         96
        .size:           8
        .value_kind:     hidden_global_offset_y
      - .offset:         104
        .size:           8
        .value_kind:     hidden_global_offset_z
      - .offset:         112
        .size:           2
        .value_kind:     hidden_grid_dims
    .group_segment_fixed_size: 0
    .kernarg_segment_align: 8
    .kernarg_segment_size: 304
    .language:       OpenCL C
    .language_version:
      - 2
      - 0
    .max_flat_workgroup_size: 1024
    .name:           _ZN12_GLOBAL__N_120softmax_warp_forwardIN3c104HalfES2_fLi3ELb0ELb1ELi32EEEvPT0_PKT_iiiPKbib
    .private_segment_fixed_size: 0
    .sgpr_count:     16
    .sgpr_spill_count: 0
    .symbol:         _ZN12_GLOBAL__N_120softmax_warp_forwardIN3c104HalfES2_fLi3ELb0ELb1ELi32EEEvPT0_PKT_iiiPKbib.kd
    .uniform_work_group_size: 1
    .uses_dynamic_stack: false
    .vgpr_count:     18
    .vgpr_spill_count: 0
    .wavefront_size: 32
    .workgroup_processor_mode: 1
  - .args:
      - .address_space:  global
        .offset:         0
        .size:           8
        .value_kind:     global_buffer
      - .address_space:  global
        .offset:         8
        .size:           8
        .value_kind:     global_buffer
      - .offset:         16
        .size:           4
        .value_kind:     by_value
      - .offset:         20
        .size:           4
        .value_kind:     by_value
      - .offset:         24
        .size:           4
        .value_kind:     by_value
      - .address_space:  global
        .offset:         32
        .size:           8
        .value_kind:     global_buffer
      - .offset:         40
        .size:           4
        .value_kind:     by_value
      - .offset:         44
        .size:           1
        .value_kind:     by_value
      - .offset:         48
        .size:           4
        .value_kind:     hidden_block_count_x
      - .offset:         52
        .size:           4
        .value_kind:     hidden_block_count_y
      - .offset:         56
        .size:           4
        .value_kind:     hidden_block_count_z
      - .offset:         60
        .size:           2
        .value_kind:     hidden_group_size_x
      - .offset:         62
        .size:           2
        .value_kind:     hidden_group_size_y
      - .offset:         64
        .size:           2
        .value_kind:     hidden_group_size_z
      - .offset:         66
        .size:           2
        .value_kind:     hidden_remainder_x
      - .offset:         68
        .size:           2
        .value_kind:     hidden_remainder_y
      - .offset:         70
        .size:           2
        .value_kind:     hidden_remainder_z
      - .offset:         88
        .size:           8
        .value_kind:     hidden_global_offset_x
      - .offset:         96
        .size:           8
        .value_kind:     hidden_global_offset_y
      - .offset:         104
        .size:           8
        .value_kind:     hidden_global_offset_z
      - .offset:         112
        .size:           2
        .value_kind:     hidden_grid_dims
    .group_segment_fixed_size: 0
    .kernarg_segment_align: 8
    .kernarg_segment_size: 304
    .language:       OpenCL C
    .language_version:
      - 2
      - 0
    .max_flat_workgroup_size: 1024
    .name:           _ZN12_GLOBAL__N_120softmax_warp_forwardIN3c104HalfES2_fLi4ELb0ELb1ELi64EEEvPT0_PKT_iiiPKbib
    .private_segment_fixed_size: 0
    .sgpr_count:     16
    .sgpr_spill_count: 0
    .symbol:         _ZN12_GLOBAL__N_120softmax_warp_forwardIN3c104HalfES2_fLi4ELb0ELb1ELi64EEEvPT0_PKT_iiiPKbib.kd
    .uniform_work_group_size: 1
    .uses_dynamic_stack: false
    .vgpr_count:     19
    .vgpr_spill_count: 0
    .wavefront_size: 32
    .workgroup_processor_mode: 1
  - .args:
      - .address_space:  global
        .offset:         0
        .size:           8
        .value_kind:     global_buffer
      - .address_space:  global
        .offset:         8
        .size:           8
        .value_kind:     global_buffer
      - .offset:         16
        .size:           4
        .value_kind:     by_value
      - .offset:         20
        .size:           4
        .value_kind:     by_value
      - .offset:         24
        .size:           4
        .value_kind:     by_value
      - .address_space:  global
        .offset:         32
        .size:           8
        .value_kind:     global_buffer
      - .offset:         40
        .size:           4
        .value_kind:     by_value
      - .offset:         44
        .size:           1
        .value_kind:     by_value
      - .offset:         48
        .size:           4
        .value_kind:     hidden_block_count_x
      - .offset:         52
        .size:           4
        .value_kind:     hidden_block_count_y
      - .offset:         56
        .size:           4
        .value_kind:     hidden_block_count_z
      - .offset:         60
        .size:           2
        .value_kind:     hidden_group_size_x
      - .offset:         62
        .size:           2
        .value_kind:     hidden_group_size_y
      - .offset:         64
        .size:           2
        .value_kind:     hidden_group_size_z
      - .offset:         66
        .size:           2
        .value_kind:     hidden_remainder_x
      - .offset:         68
        .size:           2
        .value_kind:     hidden_remainder_y
      - .offset:         70
        .size:           2
        .value_kind:     hidden_remainder_z
      - .offset:         88
        .size:           8
        .value_kind:     hidden_global_offset_x
      - .offset:         96
        .size:           8
        .value_kind:     hidden_global_offset_y
      - .offset:         104
        .size:           8
        .value_kind:     hidden_global_offset_z
      - .offset:         112
        .size:           2
        .value_kind:     hidden_grid_dims
    .group_segment_fixed_size: 0
    .kernarg_segment_align: 8
    .kernarg_segment_size: 304
    .language:       OpenCL C
    .language_version:
      - 2
      - 0
    .max_flat_workgroup_size: 1024
    .name:           _ZN12_GLOBAL__N_120softmax_warp_forwardIN3c104HalfES2_fLi4ELb0ELb1ELi32EEEvPT0_PKT_iiiPKbib
    .private_segment_fixed_size: 0
    .sgpr_count:     16
    .sgpr_spill_count: 0
    .symbol:         _ZN12_GLOBAL__N_120softmax_warp_forwardIN3c104HalfES2_fLi4ELb0ELb1ELi32EEEvPT0_PKT_iiiPKbib.kd
    .uniform_work_group_size: 1
    .uses_dynamic_stack: false
    .vgpr_count:     19
    .vgpr_spill_count: 0
    .wavefront_size: 32
    .workgroup_processor_mode: 1
  - .args:
      - .address_space:  global
        .offset:         0
        .size:           8
        .value_kind:     global_buffer
      - .address_space:  global
        .offset:         8
        .size:           8
        .value_kind:     global_buffer
      - .offset:         16
        .size:           4
        .value_kind:     by_value
      - .offset:         20
        .size:           4
        .value_kind:     by_value
      - .offset:         24
        .size:           4
        .value_kind:     by_value
      - .address_space:  global
        .offset:         32
        .size:           8
        .value_kind:     global_buffer
      - .offset:         40
        .size:           4
        .value_kind:     by_value
      - .offset:         44
        .size:           1
        .value_kind:     by_value
      - .offset:         48
        .size:           4
        .value_kind:     hidden_block_count_x
      - .offset:         52
        .size:           4
        .value_kind:     hidden_block_count_y
      - .offset:         56
        .size:           4
        .value_kind:     hidden_block_count_z
      - .offset:         60
        .size:           2
        .value_kind:     hidden_group_size_x
      - .offset:         62
        .size:           2
        .value_kind:     hidden_group_size_y
      - .offset:         64
        .size:           2
        .value_kind:     hidden_group_size_z
      - .offset:         66
        .size:           2
        .value_kind:     hidden_remainder_x
      - .offset:         68
        .size:           2
        .value_kind:     hidden_remainder_y
      - .offset:         70
        .size:           2
        .value_kind:     hidden_remainder_z
      - .offset:         88
        .size:           8
        .value_kind:     hidden_global_offset_x
      - .offset:         96
        .size:           8
        .value_kind:     hidden_global_offset_y
      - .offset:         104
        .size:           8
        .value_kind:     hidden_global_offset_z
      - .offset:         112
        .size:           2
        .value_kind:     hidden_grid_dims
    .group_segment_fixed_size: 0
    .kernarg_segment_align: 8
    .kernarg_segment_size: 304
    .language:       OpenCL C
    .language_version:
      - 2
      - 0
    .max_flat_workgroup_size: 1024
    .name:           _ZN12_GLOBAL__N_120softmax_warp_forwardIN3c104HalfES2_fLi5ELb0ELb1ELi64EEEvPT0_PKT_iiiPKbib
    .private_segment_fixed_size: 0
    .sgpr_count:     16
    .sgpr_spill_count: 0
    .symbol:         _ZN12_GLOBAL__N_120softmax_warp_forwardIN3c104HalfES2_fLi5ELb0ELb1ELi64EEEvPT0_PKT_iiiPKbib.kd
    .uniform_work_group_size: 1
    .uses_dynamic_stack: false
    .vgpr_count:     20
    .vgpr_spill_count: 0
    .wavefront_size: 32
    .workgroup_processor_mode: 1
  - .args:
      - .address_space:  global
        .offset:         0
        .size:           8
        .value_kind:     global_buffer
      - .address_space:  global
        .offset:         8
        .size:           8
        .value_kind:     global_buffer
      - .offset:         16
        .size:           4
        .value_kind:     by_value
      - .offset:         20
        .size:           4
        .value_kind:     by_value
      - .offset:         24
        .size:           4
        .value_kind:     by_value
      - .address_space:  global
        .offset:         32
        .size:           8
        .value_kind:     global_buffer
      - .offset:         40
        .size:           4
        .value_kind:     by_value
      - .offset:         44
        .size:           1
        .value_kind:     by_value
      - .offset:         48
        .size:           4
        .value_kind:     hidden_block_count_x
      - .offset:         52
        .size:           4
        .value_kind:     hidden_block_count_y
      - .offset:         56
        .size:           4
        .value_kind:     hidden_block_count_z
      - .offset:         60
        .size:           2
        .value_kind:     hidden_group_size_x
      - .offset:         62
        .size:           2
        .value_kind:     hidden_group_size_y
      - .offset:         64
        .size:           2
        .value_kind:     hidden_group_size_z
      - .offset:         66
        .size:           2
        .value_kind:     hidden_remainder_x
      - .offset:         68
        .size:           2
        .value_kind:     hidden_remainder_y
      - .offset:         70
        .size:           2
        .value_kind:     hidden_remainder_z
      - .offset:         88
        .size:           8
        .value_kind:     hidden_global_offset_x
      - .offset:         96
        .size:           8
        .value_kind:     hidden_global_offset_y
      - .offset:         104
        .size:           8
        .value_kind:     hidden_global_offset_z
      - .offset:         112
        .size:           2
        .value_kind:     hidden_grid_dims
    .group_segment_fixed_size: 0
    .kernarg_segment_align: 8
    .kernarg_segment_size: 304
    .language:       OpenCL C
    .language_version:
      - 2
      - 0
    .max_flat_workgroup_size: 1024
    .name:           _ZN12_GLOBAL__N_120softmax_warp_forwardIN3c104HalfES2_fLi5ELb0ELb1ELi32EEEvPT0_PKT_iiiPKbib
    .private_segment_fixed_size: 0
    .sgpr_count:     16
    .sgpr_spill_count: 0
    .symbol:         _ZN12_GLOBAL__N_120softmax_warp_forwardIN3c104HalfES2_fLi5ELb0ELb1ELi32EEEvPT0_PKT_iiiPKbib.kd
    .uniform_work_group_size: 1
    .uses_dynamic_stack: false
    .vgpr_count:     20
    .vgpr_spill_count: 0
    .wavefront_size: 32
    .workgroup_processor_mode: 1
  - .args:
      - .address_space:  global
        .offset:         0
        .size:           8
        .value_kind:     global_buffer
      - .address_space:  global
        .offset:         8
        .size:           8
        .value_kind:     global_buffer
      - .offset:         16
        .size:           4
        .value_kind:     by_value
      - .offset:         20
        .size:           4
        .value_kind:     by_value
      - .offset:         24
        .size:           4
        .value_kind:     by_value
      - .address_space:  global
        .offset:         32
        .size:           8
        .value_kind:     global_buffer
      - .offset:         40
        .size:           4
        .value_kind:     by_value
      - .offset:         44
        .size:           1
        .value_kind:     by_value
      - .offset:         48
        .size:           4
        .value_kind:     hidden_block_count_x
      - .offset:         52
        .size:           4
        .value_kind:     hidden_block_count_y
      - .offset:         56
        .size:           4
        .value_kind:     hidden_block_count_z
      - .offset:         60
        .size:           2
        .value_kind:     hidden_group_size_x
      - .offset:         62
        .size:           2
        .value_kind:     hidden_group_size_y
      - .offset:         64
        .size:           2
        .value_kind:     hidden_group_size_z
      - .offset:         66
        .size:           2
        .value_kind:     hidden_remainder_x
      - .offset:         68
        .size:           2
        .value_kind:     hidden_remainder_y
      - .offset:         70
        .size:           2
        .value_kind:     hidden_remainder_z
      - .offset:         88
        .size:           8
        .value_kind:     hidden_global_offset_x
      - .offset:         96
        .size:           8
        .value_kind:     hidden_global_offset_y
      - .offset:         104
        .size:           8
        .value_kind:     hidden_global_offset_z
      - .offset:         112
        .size:           2
        .value_kind:     hidden_grid_dims
    .group_segment_fixed_size: 0
    .kernarg_segment_align: 8
    .kernarg_segment_size: 304
    .language:       OpenCL C
    .language_version:
      - 2
      - 0
    .max_flat_workgroup_size: 1024
    .name:           _ZN12_GLOBAL__N_120softmax_warp_forwardIN3c104HalfES2_fLi6ELb0ELb1ELi64EEEvPT0_PKT_iiiPKbib
    .private_segment_fixed_size: 0
    .sgpr_count:     16
    .sgpr_spill_count: 0
    .symbol:         _ZN12_GLOBAL__N_120softmax_warp_forwardIN3c104HalfES2_fLi6ELb0ELb1ELi64EEEvPT0_PKT_iiiPKbib.kd
    .uniform_work_group_size: 1
    .uses_dynamic_stack: false
    .vgpr_count:     21
    .vgpr_spill_count: 0
    .wavefront_size: 32
    .workgroup_processor_mode: 1
  - .args:
      - .address_space:  global
        .offset:         0
        .size:           8
        .value_kind:     global_buffer
      - .address_space:  global
        .offset:         8
        .size:           8
        .value_kind:     global_buffer
      - .offset:         16
        .size:           4
        .value_kind:     by_value
      - .offset:         20
        .size:           4
        .value_kind:     by_value
      - .offset:         24
        .size:           4
        .value_kind:     by_value
      - .address_space:  global
        .offset:         32
        .size:           8
        .value_kind:     global_buffer
      - .offset:         40
        .size:           4
        .value_kind:     by_value
      - .offset:         44
        .size:           1
        .value_kind:     by_value
      - .offset:         48
        .size:           4
        .value_kind:     hidden_block_count_x
      - .offset:         52
        .size:           4
        .value_kind:     hidden_block_count_y
      - .offset:         56
        .size:           4
        .value_kind:     hidden_block_count_z
      - .offset:         60
        .size:           2
        .value_kind:     hidden_group_size_x
      - .offset:         62
        .size:           2
        .value_kind:     hidden_group_size_y
      - .offset:         64
        .size:           2
        .value_kind:     hidden_group_size_z
      - .offset:         66
        .size:           2
        .value_kind:     hidden_remainder_x
      - .offset:         68
        .size:           2
        .value_kind:     hidden_remainder_y
      - .offset:         70
        .size:           2
        .value_kind:     hidden_remainder_z
      - .offset:         88
        .size:           8
        .value_kind:     hidden_global_offset_x
      - .offset:         96
        .size:           8
        .value_kind:     hidden_global_offset_y
      - .offset:         104
        .size:           8
        .value_kind:     hidden_global_offset_z
      - .offset:         112
        .size:           2
        .value_kind:     hidden_grid_dims
    .group_segment_fixed_size: 0
    .kernarg_segment_align: 8
    .kernarg_segment_size: 304
    .language:       OpenCL C
    .language_version:
      - 2
      - 0
    .max_flat_workgroup_size: 1024
    .name:           _ZN12_GLOBAL__N_120softmax_warp_forwardIN3c104HalfES2_fLi6ELb0ELb1ELi32EEEvPT0_PKT_iiiPKbib
    .private_segment_fixed_size: 0
    .sgpr_count:     19
    .sgpr_spill_count: 0
    .symbol:         _ZN12_GLOBAL__N_120softmax_warp_forwardIN3c104HalfES2_fLi6ELb0ELb1ELi32EEEvPT0_PKT_iiiPKbib.kd
    .uniform_work_group_size: 1
    .uses_dynamic_stack: false
    .vgpr_count:     22
    .vgpr_spill_count: 0
    .wavefront_size: 32
    .workgroup_processor_mode: 1
  - .args:
      - .address_space:  global
        .offset:         0
        .size:           8
        .value_kind:     global_buffer
      - .address_space:  global
        .offset:         8
        .size:           8
        .value_kind:     global_buffer
      - .offset:         16
        .size:           4
        .value_kind:     by_value
      - .offset:         20
        .size:           4
        .value_kind:     by_value
      - .offset:         24
        .size:           4
        .value_kind:     by_value
      - .address_space:  global
        .offset:         32
        .size:           8
        .value_kind:     global_buffer
      - .offset:         40
        .size:           4
        .value_kind:     by_value
      - .offset:         44
        .size:           1
        .value_kind:     by_value
      - .offset:         48
        .size:           4
        .value_kind:     hidden_block_count_x
      - .offset:         52
        .size:           4
        .value_kind:     hidden_block_count_y
      - .offset:         56
        .size:           4
        .value_kind:     hidden_block_count_z
      - .offset:         60
        .size:           2
        .value_kind:     hidden_group_size_x
      - .offset:         62
        .size:           2
        .value_kind:     hidden_group_size_y
      - .offset:         64
        .size:           2
        .value_kind:     hidden_group_size_z
      - .offset:         66
        .size:           2
        .value_kind:     hidden_remainder_x
      - .offset:         68
        .size:           2
        .value_kind:     hidden_remainder_y
      - .offset:         70
        .size:           2
        .value_kind:     hidden_remainder_z
      - .offset:         88
        .size:           8
        .value_kind:     hidden_global_offset_x
      - .offset:         96
        .size:           8
        .value_kind:     hidden_global_offset_y
      - .offset:         104
        .size:           8
        .value_kind:     hidden_global_offset_z
      - .offset:         112
        .size:           2
        .value_kind:     hidden_grid_dims
    .group_segment_fixed_size: 0
    .kernarg_segment_align: 8
    .kernarg_segment_size: 304
    .language:       OpenCL C
    .language_version:
      - 2
      - 0
    .max_flat_workgroup_size: 1024
    .name:           _ZN12_GLOBAL__N_120softmax_warp_forwardIN3c104HalfES2_fLi7ELb0ELb1ELi64EEEvPT0_PKT_iiiPKbib
    .private_segment_fixed_size: 0
    .sgpr_count:     19
    .sgpr_spill_count: 0
    .symbol:         _ZN12_GLOBAL__N_120softmax_warp_forwardIN3c104HalfES2_fLi7ELb0ELb1ELi64EEEvPT0_PKT_iiiPKbib.kd
    .uniform_work_group_size: 1
    .uses_dynamic_stack: false
    .vgpr_count:     23
    .vgpr_spill_count: 0
    .wavefront_size: 32
    .workgroup_processor_mode: 1
  - .args:
      - .address_space:  global
        .offset:         0
        .size:           8
        .value_kind:     global_buffer
      - .address_space:  global
        .offset:         8
        .size:           8
        .value_kind:     global_buffer
      - .offset:         16
        .size:           4
        .value_kind:     by_value
      - .offset:         20
        .size:           4
        .value_kind:     by_value
      - .offset:         24
        .size:           4
        .value_kind:     by_value
      - .address_space:  global
        .offset:         32
        .size:           8
        .value_kind:     global_buffer
      - .offset:         40
        .size:           4
        .value_kind:     by_value
      - .offset:         44
        .size:           1
        .value_kind:     by_value
      - .offset:         48
        .size:           4
        .value_kind:     hidden_block_count_x
      - .offset:         52
        .size:           4
        .value_kind:     hidden_block_count_y
      - .offset:         56
        .size:           4
        .value_kind:     hidden_block_count_z
      - .offset:         60
        .size:           2
        .value_kind:     hidden_group_size_x
      - .offset:         62
        .size:           2
        .value_kind:     hidden_group_size_y
      - .offset:         64
        .size:           2
        .value_kind:     hidden_group_size_z
      - .offset:         66
        .size:           2
        .value_kind:     hidden_remainder_x
      - .offset:         68
        .size:           2
        .value_kind:     hidden_remainder_y
      - .offset:         70
        .size:           2
        .value_kind:     hidden_remainder_z
      - .offset:         88
        .size:           8
        .value_kind:     hidden_global_offset_x
      - .offset:         96
        .size:           8
        .value_kind:     hidden_global_offset_y
      - .offset:         104
        .size:           8
        .value_kind:     hidden_global_offset_z
      - .offset:         112
        .size:           2
        .value_kind:     hidden_grid_dims
    .group_segment_fixed_size: 0
    .kernarg_segment_align: 8
    .kernarg_segment_size: 304
    .language:       OpenCL C
    .language_version:
      - 2
      - 0
    .max_flat_workgroup_size: 1024
    .name:           _ZN12_GLOBAL__N_120softmax_warp_forwardIN3c104HalfES2_fLi7ELb0ELb1ELi32EEEvPT0_PKT_iiiPKbib
    .private_segment_fixed_size: 0
    .sgpr_count:     26
    .sgpr_spill_count: 0
    .symbol:         _ZN12_GLOBAL__N_120softmax_warp_forwardIN3c104HalfES2_fLi7ELb0ELb1ELi32EEEvPT0_PKT_iiiPKbib.kd
    .uniform_work_group_size: 1
    .uses_dynamic_stack: false
    .vgpr_count:     27
    .vgpr_spill_count: 0
    .wavefront_size: 32
    .workgroup_processor_mode: 1
  - .args:
      - .address_space:  global
        .offset:         0
        .size:           8
        .value_kind:     global_buffer
      - .address_space:  global
        .offset:         8
        .size:           8
        .value_kind:     global_buffer
      - .offset:         16
        .size:           4
        .value_kind:     by_value
      - .offset:         20
        .size:           4
        .value_kind:     by_value
      - .offset:         24
        .size:           4
        .value_kind:     by_value
      - .address_space:  global
        .offset:         32
        .size:           8
        .value_kind:     global_buffer
      - .offset:         40
        .size:           4
        .value_kind:     by_value
      - .offset:         44
        .size:           1
        .value_kind:     by_value
      - .offset:         48
        .size:           4
        .value_kind:     hidden_block_count_x
      - .offset:         52
        .size:           4
        .value_kind:     hidden_block_count_y
      - .offset:         56
        .size:           4
        .value_kind:     hidden_block_count_z
      - .offset:         60
        .size:           2
        .value_kind:     hidden_group_size_x
      - .offset:         62
        .size:           2
        .value_kind:     hidden_group_size_y
      - .offset:         64
        .size:           2
        .value_kind:     hidden_group_size_z
      - .offset:         66
        .size:           2
        .value_kind:     hidden_remainder_x
      - .offset:         68
        .size:           2
        .value_kind:     hidden_remainder_y
      - .offset:         70
        .size:           2
        .value_kind:     hidden_remainder_z
      - .offset:         88
        .size:           8
        .value_kind:     hidden_global_offset_x
      - .offset:         96
        .size:           8
        .value_kind:     hidden_global_offset_y
      - .offset:         104
        .size:           8
        .value_kind:     hidden_global_offset_z
      - .offset:         112
        .size:           2
        .value_kind:     hidden_grid_dims
    .group_segment_fixed_size: 0
    .kernarg_segment_align: 8
    .kernarg_segment_size: 304
    .language:       OpenCL C
    .language_version:
      - 2
      - 0
    .max_flat_workgroup_size: 1024
    .name:           _ZN12_GLOBAL__N_120softmax_warp_forwardIN3c104HalfES2_fLi8ELb0ELb1ELi64EEEvPT0_PKT_iiiPKbib
    .private_segment_fixed_size: 0
    .sgpr_count:     18
    .sgpr_spill_count: 0
    .symbol:         _ZN12_GLOBAL__N_120softmax_warp_forwardIN3c104HalfES2_fLi8ELb0ELb1ELi64EEEvPT0_PKT_iiiPKbib.kd
    .uniform_work_group_size: 1
    .uses_dynamic_stack: false
    .vgpr_count:     25
    .vgpr_spill_count: 0
    .wavefront_size: 32
    .workgroup_processor_mode: 1
  - .args:
      - .address_space:  global
        .offset:         0
        .size:           8
        .value_kind:     global_buffer
      - .address_space:  global
        .offset:         8
        .size:           8
        .value_kind:     global_buffer
      - .offset:         16
        .size:           4
        .value_kind:     by_value
      - .offset:         20
        .size:           4
        .value_kind:     by_value
      - .offset:         24
        .size:           4
        .value_kind:     by_value
      - .address_space:  global
        .offset:         32
        .size:           8
        .value_kind:     global_buffer
      - .offset:         40
        .size:           4
        .value_kind:     by_value
      - .offset:         44
        .size:           1
        .value_kind:     by_value
      - .offset:         48
        .size:           4
        .value_kind:     hidden_block_count_x
      - .offset:         52
        .size:           4
        .value_kind:     hidden_block_count_y
      - .offset:         56
        .size:           4
        .value_kind:     hidden_block_count_z
      - .offset:         60
        .size:           2
        .value_kind:     hidden_group_size_x
      - .offset:         62
        .size:           2
        .value_kind:     hidden_group_size_y
      - .offset:         64
        .size:           2
        .value_kind:     hidden_group_size_z
      - .offset:         66
        .size:           2
        .value_kind:     hidden_remainder_x
      - .offset:         68
        .size:           2
        .value_kind:     hidden_remainder_y
      - .offset:         70
        .size:           2
        .value_kind:     hidden_remainder_z
      - .offset:         88
        .size:           8
        .value_kind:     hidden_global_offset_x
      - .offset:         96
        .size:           8
        .value_kind:     hidden_global_offset_y
      - .offset:         104
        .size:           8
        .value_kind:     hidden_global_offset_z
      - .offset:         112
        .size:           2
        .value_kind:     hidden_grid_dims
    .group_segment_fixed_size: 0
    .kernarg_segment_align: 8
    .kernarg_segment_size: 304
    .language:       OpenCL C
    .language_version:
      - 2
      - 0
    .max_flat_workgroup_size: 1024
    .name:           _ZN12_GLOBAL__N_120softmax_warp_forwardIN3c104HalfES2_fLi8ELb0ELb1ELi32EEEvPT0_PKT_iiiPKbib
    .private_segment_fixed_size: 0
    .sgpr_count:     24
    .sgpr_spill_count: 0
    .symbol:         _ZN12_GLOBAL__N_120softmax_warp_forwardIN3c104HalfES2_fLi8ELb0ELb1ELi32EEEvPT0_PKT_iiiPKbib.kd
    .uniform_work_group_size: 1
    .uses_dynamic_stack: false
    .vgpr_count:     35
    .vgpr_spill_count: 0
    .wavefront_size: 32
    .workgroup_processor_mode: 1
  - .args:
      - .address_space:  global
        .offset:         0
        .size:           8
        .value_kind:     global_buffer
      - .address_space:  global
        .offset:         8
        .size:           8
        .value_kind:     global_buffer
      - .offset:         16
        .size:           4
        .value_kind:     by_value
      - .offset:         20
        .size:           4
        .value_kind:     by_value
      - .offset:         24
        .size:           4
        .value_kind:     by_value
      - .address_space:  global
        .offset:         32
        .size:           8
        .value_kind:     global_buffer
      - .offset:         40
        .size:           4
        .value_kind:     by_value
      - .offset:         44
        .size:           1
        .value_kind:     by_value
      - .offset:         48
        .size:           4
        .value_kind:     hidden_block_count_x
      - .offset:         52
        .size:           4
        .value_kind:     hidden_block_count_y
      - .offset:         56
        .size:           4
        .value_kind:     hidden_block_count_z
      - .offset:         60
        .size:           2
        .value_kind:     hidden_group_size_x
      - .offset:         62
        .size:           2
        .value_kind:     hidden_group_size_y
      - .offset:         64
        .size:           2
        .value_kind:     hidden_group_size_z
      - .offset:         66
        .size:           2
        .value_kind:     hidden_remainder_x
      - .offset:         68
        .size:           2
        .value_kind:     hidden_remainder_y
      - .offset:         70
        .size:           2
        .value_kind:     hidden_remainder_z
      - .offset:         88
        .size:           8
        .value_kind:     hidden_global_offset_x
      - .offset:         96
        .size:           8
        .value_kind:     hidden_global_offset_y
      - .offset:         104
        .size:           8
        .value_kind:     hidden_global_offset_z
      - .offset:         112
        .size:           2
        .value_kind:     hidden_grid_dims
    .group_segment_fixed_size: 0
    .kernarg_segment_align: 8
    .kernarg_segment_size: 304
    .language:       OpenCL C
    .language_version:
      - 2
      - 0
    .max_flat_workgroup_size: 1024
    .name:           _ZN12_GLOBAL__N_120softmax_warp_forwardIN3c104HalfES2_fLi9ELb0ELb1ELi64EEEvPT0_PKT_iiiPKbib
    .private_segment_fixed_size: 0
    .sgpr_count:     24
    .sgpr_spill_count: 0
    .symbol:         _ZN12_GLOBAL__N_120softmax_warp_forwardIN3c104HalfES2_fLi9ELb0ELb1ELi64EEEvPT0_PKT_iiiPKbib.kd
    .uniform_work_group_size: 1
    .uses_dynamic_stack: false
    .vgpr_count:     36
    .vgpr_spill_count: 0
    .wavefront_size: 32
    .workgroup_processor_mode: 1
  - .args:
      - .address_space:  global
        .offset:         0
        .size:           8
        .value_kind:     global_buffer
      - .address_space:  global
        .offset:         8
        .size:           8
        .value_kind:     global_buffer
      - .offset:         16
        .size:           4
        .value_kind:     by_value
      - .offset:         20
        .size:           4
        .value_kind:     by_value
      - .offset:         24
        .size:           4
        .value_kind:     by_value
      - .address_space:  global
        .offset:         32
        .size:           8
        .value_kind:     global_buffer
      - .offset:         40
        .size:           4
        .value_kind:     by_value
      - .offset:         44
        .size:           1
        .value_kind:     by_value
      - .offset:         48
        .size:           4
        .value_kind:     hidden_block_count_x
      - .offset:         52
        .size:           4
        .value_kind:     hidden_block_count_y
      - .offset:         56
        .size:           4
        .value_kind:     hidden_block_count_z
      - .offset:         60
        .size:           2
        .value_kind:     hidden_group_size_x
      - .offset:         62
        .size:           2
        .value_kind:     hidden_group_size_y
      - .offset:         64
        .size:           2
        .value_kind:     hidden_group_size_z
      - .offset:         66
        .size:           2
        .value_kind:     hidden_remainder_x
      - .offset:         68
        .size:           2
        .value_kind:     hidden_remainder_y
      - .offset:         70
        .size:           2
        .value_kind:     hidden_remainder_z
      - .offset:         88
        .size:           8
        .value_kind:     hidden_global_offset_x
      - .offset:         96
        .size:           8
        .value_kind:     hidden_global_offset_y
      - .offset:         104
        .size:           8
        .value_kind:     hidden_global_offset_z
      - .offset:         112
        .size:           2
        .value_kind:     hidden_grid_dims
    .group_segment_fixed_size: 0
    .kernarg_segment_align: 8
    .kernarg_segment_size: 304
    .language:       OpenCL C
    .language_version:
      - 2
      - 0
    .max_flat_workgroup_size: 1024
    .name:           _ZN12_GLOBAL__N_120softmax_warp_forwardIN3c104HalfES2_fLi9ELb0ELb1ELi32EEEvPT0_PKT_iiiPKbib
    .private_segment_fixed_size: 0
    .sgpr_count:     41
    .sgpr_spill_count: 0
    .symbol:         _ZN12_GLOBAL__N_120softmax_warp_forwardIN3c104HalfES2_fLi9ELb0ELb1ELi32EEEvPT0_PKT_iiiPKbib.kd
    .uniform_work_group_size: 1
    .uses_dynamic_stack: false
    .vgpr_count:     59
    .vgpr_spill_count: 0
    .wavefront_size: 32
    .workgroup_processor_mode: 1
  - .args:
      - .address_space:  global
        .offset:         0
        .size:           8
        .value_kind:     global_buffer
      - .address_space:  global
        .offset:         8
        .size:           8
        .value_kind:     global_buffer
      - .offset:         16
        .size:           4
        .value_kind:     by_value
      - .offset:         20
        .size:           4
        .value_kind:     by_value
      - .offset:         24
        .size:           4
        .value_kind:     by_value
      - .address_space:  global
        .offset:         32
        .size:           8
        .value_kind:     global_buffer
      - .offset:         40
        .size:           4
        .value_kind:     by_value
      - .offset:         44
        .size:           1
        .value_kind:     by_value
      - .offset:         48
        .size:           4
        .value_kind:     hidden_block_count_x
      - .offset:         52
        .size:           4
        .value_kind:     hidden_block_count_y
      - .offset:         56
        .size:           4
        .value_kind:     hidden_block_count_z
      - .offset:         60
        .size:           2
        .value_kind:     hidden_group_size_x
      - .offset:         62
        .size:           2
        .value_kind:     hidden_group_size_y
      - .offset:         64
        .size:           2
        .value_kind:     hidden_group_size_z
      - .offset:         66
        .size:           2
        .value_kind:     hidden_remainder_x
      - .offset:         68
        .size:           2
        .value_kind:     hidden_remainder_y
      - .offset:         70
        .size:           2
        .value_kind:     hidden_remainder_z
      - .offset:         88
        .size:           8
        .value_kind:     hidden_global_offset_x
      - .offset:         96
        .size:           8
        .value_kind:     hidden_global_offset_y
      - .offset:         104
        .size:           8
        .value_kind:     hidden_global_offset_z
      - .offset:         112
        .size:           2
        .value_kind:     hidden_grid_dims
    .group_segment_fixed_size: 0
    .kernarg_segment_align: 8
    .kernarg_segment_size: 304
    .language:       OpenCL C
    .language_version:
      - 2
      - 0
    .max_flat_workgroup_size: 1024
    .name:           _ZN12_GLOBAL__N_120softmax_warp_forwardIN3c104HalfES2_fLi10ELb0ELb1ELi64EEEvPT0_PKT_iiiPKbib
    .private_segment_fixed_size: 0
    .sgpr_count:     41
    .sgpr_spill_count: 0
    .symbol:         _ZN12_GLOBAL__N_120softmax_warp_forwardIN3c104HalfES2_fLi10ELb0ELb1ELi64EEEvPT0_PKT_iiiPKbib.kd
    .uniform_work_group_size: 1
    .uses_dynamic_stack: false
    .vgpr_count:     60
    .vgpr_spill_count: 0
    .wavefront_size: 32
    .workgroup_processor_mode: 1
  - .args:
      - .address_space:  global
        .offset:         0
        .size:           8
        .value_kind:     global_buffer
      - .address_space:  global
        .offset:         8
        .size:           8
        .value_kind:     global_buffer
      - .offset:         16
        .size:           4
        .value_kind:     by_value
      - .offset:         20
        .size:           4
        .value_kind:     by_value
      - .offset:         24
        .size:           4
        .value_kind:     by_value
      - .address_space:  global
        .offset:         32
        .size:           8
        .value_kind:     global_buffer
      - .offset:         40
        .size:           4
        .value_kind:     by_value
      - .offset:         44
        .size:           1
        .value_kind:     by_value
      - .offset:         48
        .size:           4
        .value_kind:     hidden_block_count_x
      - .offset:         52
        .size:           4
        .value_kind:     hidden_block_count_y
      - .offset:         56
        .size:           4
        .value_kind:     hidden_block_count_z
      - .offset:         60
        .size:           2
        .value_kind:     hidden_group_size_x
      - .offset:         62
        .size:           2
        .value_kind:     hidden_group_size_y
      - .offset:         64
        .size:           2
        .value_kind:     hidden_group_size_z
      - .offset:         66
        .size:           2
        .value_kind:     hidden_remainder_x
      - .offset:         68
        .size:           2
        .value_kind:     hidden_remainder_y
      - .offset:         70
        .size:           2
        .value_kind:     hidden_remainder_z
      - .offset:         88
        .size:           8
        .value_kind:     hidden_global_offset_x
      - .offset:         96
        .size:           8
        .value_kind:     hidden_global_offset_y
      - .offset:         104
        .size:           8
        .value_kind:     hidden_global_offset_z
      - .offset:         112
        .size:           2
        .value_kind:     hidden_grid_dims
    .group_segment_fixed_size: 0
    .kernarg_segment_align: 8
    .kernarg_segment_size: 304
    .language:       OpenCL C
    .language_version:
      - 2
      - 0
    .max_flat_workgroup_size: 1024
    .name:           _ZN12_GLOBAL__N_120softmax_warp_forwardIN3c104HalfES2_fLi10ELb0ELb1ELi32EEEvPT0_PKT_iiiPKbib
    .private_segment_fixed_size: 0
    .sgpr_count:     73
    .sgpr_spill_count: 0
    .symbol:         _ZN12_GLOBAL__N_120softmax_warp_forwardIN3c104HalfES2_fLi10ELb0ELb1ELi32EEEvPT0_PKT_iiiPKbib.kd
    .uniform_work_group_size: 1
    .uses_dynamic_stack: false
    .vgpr_count:     107
    .vgpr_spill_count: 0
    .wavefront_size: 32
    .workgroup_processor_mode: 1
  - .args:
      - .address_space:  global
        .offset:         0
        .size:           8
        .value_kind:     global_buffer
      - .address_space:  global
        .offset:         8
        .size:           8
        .value_kind:     global_buffer
      - .offset:         16
        .size:           4
        .value_kind:     by_value
      - .offset:         20
        .size:           4
        .value_kind:     by_value
      - .offset:         24
        .size:           4
        .value_kind:     by_value
      - .address_space:  global
        .offset:         32
        .size:           8
        .value_kind:     global_buffer
      - .offset:         40
        .size:           4
        .value_kind:     by_value
      - .offset:         44
        .size:           1
        .value_kind:     by_value
      - .offset:         48
        .size:           4
        .value_kind:     hidden_block_count_x
      - .offset:         52
        .size:           4
        .value_kind:     hidden_block_count_y
      - .offset:         56
        .size:           4
        .value_kind:     hidden_block_count_z
      - .offset:         60
        .size:           2
        .value_kind:     hidden_group_size_x
      - .offset:         62
        .size:           2
        .value_kind:     hidden_group_size_y
      - .offset:         64
        .size:           2
        .value_kind:     hidden_group_size_z
      - .offset:         66
        .size:           2
        .value_kind:     hidden_remainder_x
      - .offset:         68
        .size:           2
        .value_kind:     hidden_remainder_y
      - .offset:         70
        .size:           2
        .value_kind:     hidden_remainder_z
      - .offset:         88
        .size:           8
        .value_kind:     hidden_global_offset_x
      - .offset:         96
        .size:           8
        .value_kind:     hidden_global_offset_y
      - .offset:         104
        .size:           8
        .value_kind:     hidden_global_offset_z
      - .offset:         112
        .size:           2
        .value_kind:     hidden_grid_dims
    .group_segment_fixed_size: 0
    .kernarg_segment_align: 8
    .kernarg_segment_size: 304
    .language:       OpenCL C
    .language_version:
      - 2
      - 0
    .max_flat_workgroup_size: 1024
    .name:           _ZN12_GLOBAL__N_120softmax_warp_forwardIN3c104HalfES2_fLi11ELb0ELb1ELi64EEEvPT0_PKT_iiiPKbib
    .private_segment_fixed_size: 0
    .sgpr_count:     73
    .sgpr_spill_count: 0
    .symbol:         _ZN12_GLOBAL__N_120softmax_warp_forwardIN3c104HalfES2_fLi11ELb0ELb1ELi64EEEvPT0_PKT_iiiPKbib.kd
    .uniform_work_group_size: 1
    .uses_dynamic_stack: false
    .vgpr_count:     108
    .vgpr_spill_count: 0
    .wavefront_size: 32
    .workgroup_processor_mode: 1
  - .args:
      - .address_space:  global
        .offset:         0
        .size:           8
        .value_kind:     global_buffer
      - .address_space:  global
        .offset:         8
        .size:           8
        .value_kind:     global_buffer
      - .offset:         16
        .size:           4
        .value_kind:     by_value
      - .offset:         20
        .size:           4
        .value_kind:     by_value
      - .offset:         24
        .size:           4
        .value_kind:     by_value
      - .address_space:  global
        .offset:         32
        .size:           8
        .value_kind:     global_buffer
      - .offset:         40
        .size:           4
        .value_kind:     by_value
      - .offset:         44
        .size:           1
        .value_kind:     by_value
      - .offset:         48
        .size:           4
        .value_kind:     hidden_block_count_x
      - .offset:         52
        .size:           4
        .value_kind:     hidden_block_count_y
      - .offset:         56
        .size:           4
        .value_kind:     hidden_block_count_z
      - .offset:         60
        .size:           2
        .value_kind:     hidden_group_size_x
      - .offset:         62
        .size:           2
        .value_kind:     hidden_group_size_y
      - .offset:         64
        .size:           2
        .value_kind:     hidden_group_size_z
      - .offset:         66
        .size:           2
        .value_kind:     hidden_remainder_x
      - .offset:         68
        .size:           2
        .value_kind:     hidden_remainder_y
      - .offset:         70
        .size:           2
        .value_kind:     hidden_remainder_z
      - .offset:         88
        .size:           8
        .value_kind:     hidden_global_offset_x
      - .offset:         96
        .size:           8
        .value_kind:     hidden_global_offset_y
      - .offset:         104
        .size:           8
        .value_kind:     hidden_global_offset_z
      - .offset:         112
        .size:           2
        .value_kind:     hidden_grid_dims
    .group_segment_fixed_size: 0
    .kernarg_segment_align: 8
    .kernarg_segment_size: 304
    .language:       OpenCL C
    .language_version:
      - 2
      - 0
    .max_flat_workgroup_size: 1024
    .name:           _ZN12_GLOBAL__N_120softmax_warp_forwardIN3c104HalfES2_fLi11ELb0ELb1ELi32EEEvPT0_PKT_iiiPKbib
    .private_segment_fixed_size: 0
    .sgpr_count:     107
    .sgpr_spill_count: 33
    .symbol:         _ZN12_GLOBAL__N_120softmax_warp_forwardIN3c104HalfES2_fLi11ELb0ELb1ELi32EEEvPT0_PKT_iiiPKbib.kd
    .uniform_work_group_size: 1
    .uses_dynamic_stack: false
    .vgpr_count:     82
    .vgpr_spill_count: 0
    .wavefront_size: 32
    .workgroup_processor_mode: 1
  - .args:
      - .address_space:  global
        .offset:         0
        .size:           8
        .value_kind:     global_buffer
      - .address_space:  global
        .offset:         8
        .size:           8
        .value_kind:     global_buffer
      - .offset:         16
        .size:           4
        .value_kind:     by_value
      - .offset:         20
        .size:           4
        .value_kind:     by_value
      - .offset:         24
        .size:           4
        .value_kind:     by_value
      - .address_space:  global
        .offset:         32
        .size:           8
        .value_kind:     global_buffer
      - .offset:         40
        .size:           4
        .value_kind:     by_value
      - .offset:         44
        .size:           1
        .value_kind:     by_value
      - .offset:         48
        .size:           4
        .value_kind:     hidden_block_count_x
      - .offset:         52
        .size:           4
        .value_kind:     hidden_block_count_y
      - .offset:         56
        .size:           4
        .value_kind:     hidden_block_count_z
      - .offset:         60
        .size:           2
        .value_kind:     hidden_group_size_x
      - .offset:         62
        .size:           2
        .value_kind:     hidden_group_size_y
      - .offset:         64
        .size:           2
        .value_kind:     hidden_group_size_z
      - .offset:         66
        .size:           2
        .value_kind:     hidden_remainder_x
      - .offset:         68
        .size:           2
        .value_kind:     hidden_remainder_y
      - .offset:         70
        .size:           2
        .value_kind:     hidden_remainder_z
      - .offset:         88
        .size:           8
        .value_kind:     hidden_global_offset_x
      - .offset:         96
        .size:           8
        .value_kind:     hidden_global_offset_y
      - .offset:         104
        .size:           8
        .value_kind:     hidden_global_offset_z
      - .offset:         112
        .size:           2
        .value_kind:     hidden_grid_dims
    .group_segment_fixed_size: 0
    .kernarg_segment_align: 8
    .kernarg_segment_size: 304
    .language:       OpenCL C
    .language_version:
      - 2
      - 0
    .max_flat_workgroup_size: 1024
    .name:           _ZN12_GLOBAL__N_120softmax_warp_forwardIN3c108BFloat16ES2_fLi0ELb0ELb1ELi64EEEvPT0_PKT_iiiPKbib
    .private_segment_fixed_size: 0
    .sgpr_count:     16
    .sgpr_spill_count: 0
    .symbol:         _ZN12_GLOBAL__N_120softmax_warp_forwardIN3c108BFloat16ES2_fLi0ELb0ELb1ELi64EEEvPT0_PKT_iiiPKbib.kd
    .uniform_work_group_size: 1
    .uses_dynamic_stack: false
    .vgpr_count:     14
    .vgpr_spill_count: 0
    .wavefront_size: 32
    .workgroup_processor_mode: 1
  - .args:
      - .address_space:  global
        .offset:         0
        .size:           8
        .value_kind:     global_buffer
      - .address_space:  global
        .offset:         8
        .size:           8
        .value_kind:     global_buffer
      - .offset:         16
        .size:           4
        .value_kind:     by_value
      - .offset:         20
        .size:           4
        .value_kind:     by_value
      - .offset:         24
        .size:           4
        .value_kind:     by_value
      - .address_space:  global
        .offset:         32
        .size:           8
        .value_kind:     global_buffer
      - .offset:         40
        .size:           4
        .value_kind:     by_value
      - .offset:         44
        .size:           1
        .value_kind:     by_value
      - .offset:         48
        .size:           4
        .value_kind:     hidden_block_count_x
      - .offset:         52
        .size:           4
        .value_kind:     hidden_block_count_y
      - .offset:         56
        .size:           4
        .value_kind:     hidden_block_count_z
      - .offset:         60
        .size:           2
        .value_kind:     hidden_group_size_x
      - .offset:         62
        .size:           2
        .value_kind:     hidden_group_size_y
      - .offset:         64
        .size:           2
        .value_kind:     hidden_group_size_z
      - .offset:         66
        .size:           2
        .value_kind:     hidden_remainder_x
      - .offset:         68
        .size:           2
        .value_kind:     hidden_remainder_y
      - .offset:         70
        .size:           2
        .value_kind:     hidden_remainder_z
      - .offset:         88
        .size:           8
        .value_kind:     hidden_global_offset_x
      - .offset:         96
        .size:           8
        .value_kind:     hidden_global_offset_y
      - .offset:         104
        .size:           8
        .value_kind:     hidden_global_offset_z
      - .offset:         112
        .size:           2
        .value_kind:     hidden_grid_dims
    .group_segment_fixed_size: 0
    .kernarg_segment_align: 8
    .kernarg_segment_size: 304
    .language:       OpenCL C
    .language_version:
      - 2
      - 0
    .max_flat_workgroup_size: 1024
    .name:           _ZN12_GLOBAL__N_120softmax_warp_forwardIN3c108BFloat16ES2_fLi0ELb0ELb1ELi32EEEvPT0_PKT_iiiPKbib
    .private_segment_fixed_size: 0
    .sgpr_count:     16
    .sgpr_spill_count: 0
    .symbol:         _ZN12_GLOBAL__N_120softmax_warp_forwardIN3c108BFloat16ES2_fLi0ELb0ELb1ELi32EEEvPT0_PKT_iiiPKbib.kd
    .uniform_work_group_size: 1
    .uses_dynamic_stack: false
    .vgpr_count:     14
    .vgpr_spill_count: 0
    .wavefront_size: 32
    .workgroup_processor_mode: 1
  - .args:
      - .address_space:  global
        .offset:         0
        .size:           8
        .value_kind:     global_buffer
      - .address_space:  global
        .offset:         8
        .size:           8
        .value_kind:     global_buffer
      - .offset:         16
        .size:           4
        .value_kind:     by_value
      - .offset:         20
        .size:           4
        .value_kind:     by_value
      - .offset:         24
        .size:           4
        .value_kind:     by_value
      - .address_space:  global
        .offset:         32
        .size:           8
        .value_kind:     global_buffer
      - .offset:         40
        .size:           4
        .value_kind:     by_value
      - .offset:         44
        .size:           1
        .value_kind:     by_value
      - .offset:         48
        .size:           4
        .value_kind:     hidden_block_count_x
      - .offset:         52
        .size:           4
        .value_kind:     hidden_block_count_y
      - .offset:         56
        .size:           4
        .value_kind:     hidden_block_count_z
      - .offset:         60
        .size:           2
        .value_kind:     hidden_group_size_x
      - .offset:         62
        .size:           2
        .value_kind:     hidden_group_size_y
      - .offset:         64
        .size:           2
        .value_kind:     hidden_group_size_z
      - .offset:         66
        .size:           2
        .value_kind:     hidden_remainder_x
      - .offset:         68
        .size:           2
        .value_kind:     hidden_remainder_y
      - .offset:         70
        .size:           2
        .value_kind:     hidden_remainder_z
      - .offset:         88
        .size:           8
        .value_kind:     hidden_global_offset_x
      - .offset:         96
        .size:           8
        .value_kind:     hidden_global_offset_y
      - .offset:         104
        .size:           8
        .value_kind:     hidden_global_offset_z
      - .offset:         112
        .size:           2
        .value_kind:     hidden_grid_dims
    .group_segment_fixed_size: 0
    .kernarg_segment_align: 8
    .kernarg_segment_size: 304
    .language:       OpenCL C
    .language_version:
      - 2
      - 0
    .max_flat_workgroup_size: 1024
    .name:           _ZN12_GLOBAL__N_120softmax_warp_forwardIN3c108BFloat16ES2_fLi1ELb0ELb1ELi64EEEvPT0_PKT_iiiPKbib
    .private_segment_fixed_size: 0
    .sgpr_count:     16
    .sgpr_spill_count: 0
    .symbol:         _ZN12_GLOBAL__N_120softmax_warp_forwardIN3c108BFloat16ES2_fLi1ELb0ELb1ELi64EEEvPT0_PKT_iiiPKbib.kd
    .uniform_work_group_size: 1
    .uses_dynamic_stack: false
    .vgpr_count:     16
    .vgpr_spill_count: 0
    .wavefront_size: 32
    .workgroup_processor_mode: 1
  - .args:
      - .address_space:  global
        .offset:         0
        .size:           8
        .value_kind:     global_buffer
      - .address_space:  global
        .offset:         8
        .size:           8
        .value_kind:     global_buffer
      - .offset:         16
        .size:           4
        .value_kind:     by_value
      - .offset:         20
        .size:           4
        .value_kind:     by_value
      - .offset:         24
        .size:           4
        .value_kind:     by_value
      - .address_space:  global
        .offset:         32
        .size:           8
        .value_kind:     global_buffer
      - .offset:         40
        .size:           4
        .value_kind:     by_value
      - .offset:         44
        .size:           1
        .value_kind:     by_value
      - .offset:         48
        .size:           4
        .value_kind:     hidden_block_count_x
      - .offset:         52
        .size:           4
        .value_kind:     hidden_block_count_y
      - .offset:         56
        .size:           4
        .value_kind:     hidden_block_count_z
      - .offset:         60
        .size:           2
        .value_kind:     hidden_group_size_x
      - .offset:         62
        .size:           2
        .value_kind:     hidden_group_size_y
      - .offset:         64
        .size:           2
        .value_kind:     hidden_group_size_z
      - .offset:         66
        .size:           2
        .value_kind:     hidden_remainder_x
      - .offset:         68
        .size:           2
        .value_kind:     hidden_remainder_y
      - .offset:         70
        .size:           2
        .value_kind:     hidden_remainder_z
      - .offset:         88
        .size:           8
        .value_kind:     hidden_global_offset_x
      - .offset:         96
        .size:           8
        .value_kind:     hidden_global_offset_y
      - .offset:         104
        .size:           8
        .value_kind:     hidden_global_offset_z
      - .offset:         112
        .size:           2
        .value_kind:     hidden_grid_dims
    .group_segment_fixed_size: 0
    .kernarg_segment_align: 8
    .kernarg_segment_size: 304
    .language:       OpenCL C
    .language_version:
      - 2
      - 0
    .max_flat_workgroup_size: 1024
    .name:           _ZN12_GLOBAL__N_120softmax_warp_forwardIN3c108BFloat16ES2_fLi1ELb0ELb1ELi32EEEvPT0_PKT_iiiPKbib
    .private_segment_fixed_size: 0
    .sgpr_count:     16
    .sgpr_spill_count: 0
    .symbol:         _ZN12_GLOBAL__N_120softmax_warp_forwardIN3c108BFloat16ES2_fLi1ELb0ELb1ELi32EEEvPT0_PKT_iiiPKbib.kd
    .uniform_work_group_size: 1
    .uses_dynamic_stack: false
    .vgpr_count:     16
    .vgpr_spill_count: 0
    .wavefront_size: 32
    .workgroup_processor_mode: 1
  - .args:
      - .address_space:  global
        .offset:         0
        .size:           8
        .value_kind:     global_buffer
      - .address_space:  global
        .offset:         8
        .size:           8
        .value_kind:     global_buffer
      - .offset:         16
        .size:           4
        .value_kind:     by_value
      - .offset:         20
        .size:           4
        .value_kind:     by_value
      - .offset:         24
        .size:           4
        .value_kind:     by_value
      - .address_space:  global
        .offset:         32
        .size:           8
        .value_kind:     global_buffer
      - .offset:         40
        .size:           4
        .value_kind:     by_value
      - .offset:         44
        .size:           1
        .value_kind:     by_value
      - .offset:         48
        .size:           4
        .value_kind:     hidden_block_count_x
      - .offset:         52
        .size:           4
        .value_kind:     hidden_block_count_y
      - .offset:         56
        .size:           4
        .value_kind:     hidden_block_count_z
      - .offset:         60
        .size:           2
        .value_kind:     hidden_group_size_x
      - .offset:         62
        .size:           2
        .value_kind:     hidden_group_size_y
      - .offset:         64
        .size:           2
        .value_kind:     hidden_group_size_z
      - .offset:         66
        .size:           2
        .value_kind:     hidden_remainder_x
      - .offset:         68
        .size:           2
        .value_kind:     hidden_remainder_y
      - .offset:         70
        .size:           2
        .value_kind:     hidden_remainder_z
      - .offset:         88
        .size:           8
        .value_kind:     hidden_global_offset_x
      - .offset:         96
        .size:           8
        .value_kind:     hidden_global_offset_y
      - .offset:         104
        .size:           8
        .value_kind:     hidden_global_offset_z
      - .offset:         112
        .size:           2
        .value_kind:     hidden_grid_dims
    .group_segment_fixed_size: 0
    .kernarg_segment_align: 8
    .kernarg_segment_size: 304
    .language:       OpenCL C
    .language_version:
      - 2
      - 0
    .max_flat_workgroup_size: 1024
    .name:           _ZN12_GLOBAL__N_120softmax_warp_forwardIN3c108BFloat16ES2_fLi2ELb0ELb1ELi64EEEvPT0_PKT_iiiPKbib
    .private_segment_fixed_size: 0
    .sgpr_count:     16
    .sgpr_spill_count: 0
    .symbol:         _ZN12_GLOBAL__N_120softmax_warp_forwardIN3c108BFloat16ES2_fLi2ELb0ELb1ELi64EEEvPT0_PKT_iiiPKbib.kd
    .uniform_work_group_size: 1
    .uses_dynamic_stack: false
    .vgpr_count:     17
    .vgpr_spill_count: 0
    .wavefront_size: 32
    .workgroup_processor_mode: 1
  - .args:
      - .address_space:  global
        .offset:         0
        .size:           8
        .value_kind:     global_buffer
      - .address_space:  global
        .offset:         8
        .size:           8
        .value_kind:     global_buffer
      - .offset:         16
        .size:           4
        .value_kind:     by_value
      - .offset:         20
        .size:           4
        .value_kind:     by_value
      - .offset:         24
        .size:           4
        .value_kind:     by_value
      - .address_space:  global
        .offset:         32
        .size:           8
        .value_kind:     global_buffer
      - .offset:         40
        .size:           4
        .value_kind:     by_value
      - .offset:         44
        .size:           1
        .value_kind:     by_value
      - .offset:         48
        .size:           4
        .value_kind:     hidden_block_count_x
      - .offset:         52
        .size:           4
        .value_kind:     hidden_block_count_y
      - .offset:         56
        .size:           4
        .value_kind:     hidden_block_count_z
      - .offset:         60
        .size:           2
        .value_kind:     hidden_group_size_x
      - .offset:         62
        .size:           2
        .value_kind:     hidden_group_size_y
      - .offset:         64
        .size:           2
        .value_kind:     hidden_group_size_z
      - .offset:         66
        .size:           2
        .value_kind:     hidden_remainder_x
      - .offset:         68
        .size:           2
        .value_kind:     hidden_remainder_y
      - .offset:         70
        .size:           2
        .value_kind:     hidden_remainder_z
      - .offset:         88
        .size:           8
        .value_kind:     hidden_global_offset_x
      - .offset:         96
        .size:           8
        .value_kind:     hidden_global_offset_y
      - .offset:         104
        .size:           8
        .value_kind:     hidden_global_offset_z
      - .offset:         112
        .size:           2
        .value_kind:     hidden_grid_dims
    .group_segment_fixed_size: 0
    .kernarg_segment_align: 8
    .kernarg_segment_size: 304
    .language:       OpenCL C
    .language_version:
      - 2
      - 0
    .max_flat_workgroup_size: 1024
    .name:           _ZN12_GLOBAL__N_120softmax_warp_forwardIN3c108BFloat16ES2_fLi2ELb0ELb1ELi32EEEvPT0_PKT_iiiPKbib
    .private_segment_fixed_size: 0
    .sgpr_count:     16
    .sgpr_spill_count: 0
    .symbol:         _ZN12_GLOBAL__N_120softmax_warp_forwardIN3c108BFloat16ES2_fLi2ELb0ELb1ELi32EEEvPT0_PKT_iiiPKbib.kd
    .uniform_work_group_size: 1
    .uses_dynamic_stack: false
    .vgpr_count:     17
    .vgpr_spill_count: 0
    .wavefront_size: 32
    .workgroup_processor_mode: 1
  - .args:
      - .address_space:  global
        .offset:         0
        .size:           8
        .value_kind:     global_buffer
      - .address_space:  global
        .offset:         8
        .size:           8
        .value_kind:     global_buffer
      - .offset:         16
        .size:           4
        .value_kind:     by_value
      - .offset:         20
        .size:           4
        .value_kind:     by_value
      - .offset:         24
        .size:           4
        .value_kind:     by_value
      - .address_space:  global
        .offset:         32
        .size:           8
        .value_kind:     global_buffer
      - .offset:         40
        .size:           4
        .value_kind:     by_value
      - .offset:         44
        .size:           1
        .value_kind:     by_value
      - .offset:         48
        .size:           4
        .value_kind:     hidden_block_count_x
      - .offset:         52
        .size:           4
        .value_kind:     hidden_block_count_y
      - .offset:         56
        .size:           4
        .value_kind:     hidden_block_count_z
      - .offset:         60
        .size:           2
        .value_kind:     hidden_group_size_x
      - .offset:         62
        .size:           2
        .value_kind:     hidden_group_size_y
      - .offset:         64
        .size:           2
        .value_kind:     hidden_group_size_z
      - .offset:         66
        .size:           2
        .value_kind:     hidden_remainder_x
      - .offset:         68
        .size:           2
        .value_kind:     hidden_remainder_y
      - .offset:         70
        .size:           2
        .value_kind:     hidden_remainder_z
      - .offset:         88
        .size:           8
        .value_kind:     hidden_global_offset_x
      - .offset:         96
        .size:           8
        .value_kind:     hidden_global_offset_y
      - .offset:         104
        .size:           8
        .value_kind:     hidden_global_offset_z
      - .offset:         112
        .size:           2
        .value_kind:     hidden_grid_dims
    .group_segment_fixed_size: 0
    .kernarg_segment_align: 8
    .kernarg_segment_size: 304
    .language:       OpenCL C
    .language_version:
      - 2
      - 0
    .max_flat_workgroup_size: 1024
    .name:           _ZN12_GLOBAL__N_120softmax_warp_forwardIN3c108BFloat16ES2_fLi3ELb0ELb1ELi64EEEvPT0_PKT_iiiPKbib
    .private_segment_fixed_size: 0
    .sgpr_count:     16
    .sgpr_spill_count: 0
    .symbol:         _ZN12_GLOBAL__N_120softmax_warp_forwardIN3c108BFloat16ES2_fLi3ELb0ELb1ELi64EEEvPT0_PKT_iiiPKbib.kd
    .uniform_work_group_size: 1
    .uses_dynamic_stack: false
    .vgpr_count:     18
    .vgpr_spill_count: 0
    .wavefront_size: 32
    .workgroup_processor_mode: 1
  - .args:
      - .address_space:  global
        .offset:         0
        .size:           8
        .value_kind:     global_buffer
      - .address_space:  global
        .offset:         8
        .size:           8
        .value_kind:     global_buffer
      - .offset:         16
        .size:           4
        .value_kind:     by_value
      - .offset:         20
        .size:           4
        .value_kind:     by_value
      - .offset:         24
        .size:           4
        .value_kind:     by_value
      - .address_space:  global
        .offset:         32
        .size:           8
        .value_kind:     global_buffer
      - .offset:         40
        .size:           4
        .value_kind:     by_value
      - .offset:         44
        .size:           1
        .value_kind:     by_value
      - .offset:         48
        .size:           4
        .value_kind:     hidden_block_count_x
      - .offset:         52
        .size:           4
        .value_kind:     hidden_block_count_y
      - .offset:         56
        .size:           4
        .value_kind:     hidden_block_count_z
      - .offset:         60
        .size:           2
        .value_kind:     hidden_group_size_x
      - .offset:         62
        .size:           2
        .value_kind:     hidden_group_size_y
      - .offset:         64
        .size:           2
        .value_kind:     hidden_group_size_z
      - .offset:         66
        .size:           2
        .value_kind:     hidden_remainder_x
      - .offset:         68
        .size:           2
        .value_kind:     hidden_remainder_y
      - .offset:         70
        .size:           2
        .value_kind:     hidden_remainder_z
      - .offset:         88
        .size:           8
        .value_kind:     hidden_global_offset_x
      - .offset:         96
        .size:           8
        .value_kind:     hidden_global_offset_y
      - .offset:         104
        .size:           8
        .value_kind:     hidden_global_offset_z
      - .offset:         112
        .size:           2
        .value_kind:     hidden_grid_dims
    .group_segment_fixed_size: 0
    .kernarg_segment_align: 8
    .kernarg_segment_size: 304
    .language:       OpenCL C
    .language_version:
      - 2
      - 0
    .max_flat_workgroup_size: 1024
    .name:           _ZN12_GLOBAL__N_120softmax_warp_forwardIN3c108BFloat16ES2_fLi3ELb0ELb1ELi32EEEvPT0_PKT_iiiPKbib
    .private_segment_fixed_size: 0
    .sgpr_count:     16
    .sgpr_spill_count: 0
    .symbol:         _ZN12_GLOBAL__N_120softmax_warp_forwardIN3c108BFloat16ES2_fLi3ELb0ELb1ELi32EEEvPT0_PKT_iiiPKbib.kd
    .uniform_work_group_size: 1
    .uses_dynamic_stack: false
    .vgpr_count:     18
    .vgpr_spill_count: 0
    .wavefront_size: 32
    .workgroup_processor_mode: 1
  - .args:
      - .address_space:  global
        .offset:         0
        .size:           8
        .value_kind:     global_buffer
      - .address_space:  global
        .offset:         8
        .size:           8
        .value_kind:     global_buffer
      - .offset:         16
        .size:           4
        .value_kind:     by_value
      - .offset:         20
        .size:           4
        .value_kind:     by_value
      - .offset:         24
        .size:           4
        .value_kind:     by_value
      - .address_space:  global
        .offset:         32
        .size:           8
        .value_kind:     global_buffer
      - .offset:         40
        .size:           4
        .value_kind:     by_value
      - .offset:         44
        .size:           1
        .value_kind:     by_value
      - .offset:         48
        .size:           4
        .value_kind:     hidden_block_count_x
      - .offset:         52
        .size:           4
        .value_kind:     hidden_block_count_y
      - .offset:         56
        .size:           4
        .value_kind:     hidden_block_count_z
      - .offset:         60
        .size:           2
        .value_kind:     hidden_group_size_x
      - .offset:         62
        .size:           2
        .value_kind:     hidden_group_size_y
      - .offset:         64
        .size:           2
        .value_kind:     hidden_group_size_z
      - .offset:         66
        .size:           2
        .value_kind:     hidden_remainder_x
      - .offset:         68
        .size:           2
        .value_kind:     hidden_remainder_y
      - .offset:         70
        .size:           2
        .value_kind:     hidden_remainder_z
      - .offset:         88
        .size:           8
        .value_kind:     hidden_global_offset_x
      - .offset:         96
        .size:           8
        .value_kind:     hidden_global_offset_y
      - .offset:         104
        .size:           8
        .value_kind:     hidden_global_offset_z
      - .offset:         112
        .size:           2
        .value_kind:     hidden_grid_dims
    .group_segment_fixed_size: 0
    .kernarg_segment_align: 8
    .kernarg_segment_size: 304
    .language:       OpenCL C
    .language_version:
      - 2
      - 0
    .max_flat_workgroup_size: 1024
    .name:           _ZN12_GLOBAL__N_120softmax_warp_forwardIN3c108BFloat16ES2_fLi4ELb0ELb1ELi64EEEvPT0_PKT_iiiPKbib
    .private_segment_fixed_size: 0
    .sgpr_count:     16
    .sgpr_spill_count: 0
    .symbol:         _ZN12_GLOBAL__N_120softmax_warp_forwardIN3c108BFloat16ES2_fLi4ELb0ELb1ELi64EEEvPT0_PKT_iiiPKbib.kd
    .uniform_work_group_size: 1
    .uses_dynamic_stack: false
    .vgpr_count:     19
    .vgpr_spill_count: 0
    .wavefront_size: 32
    .workgroup_processor_mode: 1
  - .args:
      - .address_space:  global
        .offset:         0
        .size:           8
        .value_kind:     global_buffer
      - .address_space:  global
        .offset:         8
        .size:           8
        .value_kind:     global_buffer
      - .offset:         16
        .size:           4
        .value_kind:     by_value
      - .offset:         20
        .size:           4
        .value_kind:     by_value
      - .offset:         24
        .size:           4
        .value_kind:     by_value
      - .address_space:  global
        .offset:         32
        .size:           8
        .value_kind:     global_buffer
      - .offset:         40
        .size:           4
        .value_kind:     by_value
      - .offset:         44
        .size:           1
        .value_kind:     by_value
      - .offset:         48
        .size:           4
        .value_kind:     hidden_block_count_x
      - .offset:         52
        .size:           4
        .value_kind:     hidden_block_count_y
      - .offset:         56
        .size:           4
        .value_kind:     hidden_block_count_z
      - .offset:         60
        .size:           2
        .value_kind:     hidden_group_size_x
      - .offset:         62
        .size:           2
        .value_kind:     hidden_group_size_y
      - .offset:         64
        .size:           2
        .value_kind:     hidden_group_size_z
      - .offset:         66
        .size:           2
        .value_kind:     hidden_remainder_x
      - .offset:         68
        .size:           2
        .value_kind:     hidden_remainder_y
      - .offset:         70
        .size:           2
        .value_kind:     hidden_remainder_z
      - .offset:         88
        .size:           8
        .value_kind:     hidden_global_offset_x
      - .offset:         96
        .size:           8
        .value_kind:     hidden_global_offset_y
      - .offset:         104
        .size:           8
        .value_kind:     hidden_global_offset_z
      - .offset:         112
        .size:           2
        .value_kind:     hidden_grid_dims
    .group_segment_fixed_size: 0
    .kernarg_segment_align: 8
    .kernarg_segment_size: 304
    .language:       OpenCL C
    .language_version:
      - 2
      - 0
    .max_flat_workgroup_size: 1024
    .name:           _ZN12_GLOBAL__N_120softmax_warp_forwardIN3c108BFloat16ES2_fLi4ELb0ELb1ELi32EEEvPT0_PKT_iiiPKbib
    .private_segment_fixed_size: 0
    .sgpr_count:     16
    .sgpr_spill_count: 0
    .symbol:         _ZN12_GLOBAL__N_120softmax_warp_forwardIN3c108BFloat16ES2_fLi4ELb0ELb1ELi32EEEvPT0_PKT_iiiPKbib.kd
    .uniform_work_group_size: 1
    .uses_dynamic_stack: false
    .vgpr_count:     19
    .vgpr_spill_count: 0
    .wavefront_size: 32
    .workgroup_processor_mode: 1
  - .args:
      - .address_space:  global
        .offset:         0
        .size:           8
        .value_kind:     global_buffer
      - .address_space:  global
        .offset:         8
        .size:           8
        .value_kind:     global_buffer
      - .offset:         16
        .size:           4
        .value_kind:     by_value
      - .offset:         20
        .size:           4
        .value_kind:     by_value
      - .offset:         24
        .size:           4
        .value_kind:     by_value
      - .address_space:  global
        .offset:         32
        .size:           8
        .value_kind:     global_buffer
      - .offset:         40
        .size:           4
        .value_kind:     by_value
      - .offset:         44
        .size:           1
        .value_kind:     by_value
      - .offset:         48
        .size:           4
        .value_kind:     hidden_block_count_x
      - .offset:         52
        .size:           4
        .value_kind:     hidden_block_count_y
      - .offset:         56
        .size:           4
        .value_kind:     hidden_block_count_z
      - .offset:         60
        .size:           2
        .value_kind:     hidden_group_size_x
      - .offset:         62
        .size:           2
        .value_kind:     hidden_group_size_y
      - .offset:         64
        .size:           2
        .value_kind:     hidden_group_size_z
      - .offset:         66
        .size:           2
        .value_kind:     hidden_remainder_x
      - .offset:         68
        .size:           2
        .value_kind:     hidden_remainder_y
      - .offset:         70
        .size:           2
        .value_kind:     hidden_remainder_z
      - .offset:         88
        .size:           8
        .value_kind:     hidden_global_offset_x
      - .offset:         96
        .size:           8
        .value_kind:     hidden_global_offset_y
      - .offset:         104
        .size:           8
        .value_kind:     hidden_global_offset_z
      - .offset:         112
        .size:           2
        .value_kind:     hidden_grid_dims
    .group_segment_fixed_size: 0
    .kernarg_segment_align: 8
    .kernarg_segment_size: 304
    .language:       OpenCL C
    .language_version:
      - 2
      - 0
    .max_flat_workgroup_size: 1024
    .name:           _ZN12_GLOBAL__N_120softmax_warp_forwardIN3c108BFloat16ES2_fLi5ELb0ELb1ELi64EEEvPT0_PKT_iiiPKbib
    .private_segment_fixed_size: 0
    .sgpr_count:     16
    .sgpr_spill_count: 0
    .symbol:         _ZN12_GLOBAL__N_120softmax_warp_forwardIN3c108BFloat16ES2_fLi5ELb0ELb1ELi64EEEvPT0_PKT_iiiPKbib.kd
    .uniform_work_group_size: 1
    .uses_dynamic_stack: false
    .vgpr_count:     20
    .vgpr_spill_count: 0
    .wavefront_size: 32
    .workgroup_processor_mode: 1
  - .args:
      - .address_space:  global
        .offset:         0
        .size:           8
        .value_kind:     global_buffer
      - .address_space:  global
        .offset:         8
        .size:           8
        .value_kind:     global_buffer
      - .offset:         16
        .size:           4
        .value_kind:     by_value
      - .offset:         20
        .size:           4
        .value_kind:     by_value
      - .offset:         24
        .size:           4
        .value_kind:     by_value
      - .address_space:  global
        .offset:         32
        .size:           8
        .value_kind:     global_buffer
      - .offset:         40
        .size:           4
        .value_kind:     by_value
      - .offset:         44
        .size:           1
        .value_kind:     by_value
      - .offset:         48
        .size:           4
        .value_kind:     hidden_block_count_x
      - .offset:         52
        .size:           4
        .value_kind:     hidden_block_count_y
      - .offset:         56
        .size:           4
        .value_kind:     hidden_block_count_z
      - .offset:         60
        .size:           2
        .value_kind:     hidden_group_size_x
      - .offset:         62
        .size:           2
        .value_kind:     hidden_group_size_y
      - .offset:         64
        .size:           2
        .value_kind:     hidden_group_size_z
      - .offset:         66
        .size:           2
        .value_kind:     hidden_remainder_x
      - .offset:         68
        .size:           2
        .value_kind:     hidden_remainder_y
      - .offset:         70
        .size:           2
        .value_kind:     hidden_remainder_z
      - .offset:         88
        .size:           8
        .value_kind:     hidden_global_offset_x
      - .offset:         96
        .size:           8
        .value_kind:     hidden_global_offset_y
      - .offset:         104
        .size:           8
        .value_kind:     hidden_global_offset_z
      - .offset:         112
        .size:           2
        .value_kind:     hidden_grid_dims
    .group_segment_fixed_size: 0
    .kernarg_segment_align: 8
    .kernarg_segment_size: 304
    .language:       OpenCL C
    .language_version:
      - 2
      - 0
    .max_flat_workgroup_size: 1024
    .name:           _ZN12_GLOBAL__N_120softmax_warp_forwardIN3c108BFloat16ES2_fLi5ELb0ELb1ELi32EEEvPT0_PKT_iiiPKbib
    .private_segment_fixed_size: 0
    .sgpr_count:     16
    .sgpr_spill_count: 0
    .symbol:         _ZN12_GLOBAL__N_120softmax_warp_forwardIN3c108BFloat16ES2_fLi5ELb0ELb1ELi32EEEvPT0_PKT_iiiPKbib.kd
    .uniform_work_group_size: 1
    .uses_dynamic_stack: false
    .vgpr_count:     20
    .vgpr_spill_count: 0
    .wavefront_size: 32
    .workgroup_processor_mode: 1
  - .args:
      - .address_space:  global
        .offset:         0
        .size:           8
        .value_kind:     global_buffer
      - .address_space:  global
        .offset:         8
        .size:           8
        .value_kind:     global_buffer
      - .offset:         16
        .size:           4
        .value_kind:     by_value
      - .offset:         20
        .size:           4
        .value_kind:     by_value
      - .offset:         24
        .size:           4
        .value_kind:     by_value
      - .address_space:  global
        .offset:         32
        .size:           8
        .value_kind:     global_buffer
      - .offset:         40
        .size:           4
        .value_kind:     by_value
      - .offset:         44
        .size:           1
        .value_kind:     by_value
      - .offset:         48
        .size:           4
        .value_kind:     hidden_block_count_x
      - .offset:         52
        .size:           4
        .value_kind:     hidden_block_count_y
      - .offset:         56
        .size:           4
        .value_kind:     hidden_block_count_z
      - .offset:         60
        .size:           2
        .value_kind:     hidden_group_size_x
      - .offset:         62
        .size:           2
        .value_kind:     hidden_group_size_y
      - .offset:         64
        .size:           2
        .value_kind:     hidden_group_size_z
      - .offset:         66
        .size:           2
        .value_kind:     hidden_remainder_x
      - .offset:         68
        .size:           2
        .value_kind:     hidden_remainder_y
      - .offset:         70
        .size:           2
        .value_kind:     hidden_remainder_z
      - .offset:         88
        .size:           8
        .value_kind:     hidden_global_offset_x
      - .offset:         96
        .size:           8
        .value_kind:     hidden_global_offset_y
      - .offset:         104
        .size:           8
        .value_kind:     hidden_global_offset_z
      - .offset:         112
        .size:           2
        .value_kind:     hidden_grid_dims
    .group_segment_fixed_size: 0
    .kernarg_segment_align: 8
    .kernarg_segment_size: 304
    .language:       OpenCL C
    .language_version:
      - 2
      - 0
    .max_flat_workgroup_size: 1024
    .name:           _ZN12_GLOBAL__N_120softmax_warp_forwardIN3c108BFloat16ES2_fLi6ELb0ELb1ELi64EEEvPT0_PKT_iiiPKbib
    .private_segment_fixed_size: 0
    .sgpr_count:     16
    .sgpr_spill_count: 0
    .symbol:         _ZN12_GLOBAL__N_120softmax_warp_forwardIN3c108BFloat16ES2_fLi6ELb0ELb1ELi64EEEvPT0_PKT_iiiPKbib.kd
    .uniform_work_group_size: 1
    .uses_dynamic_stack: false
    .vgpr_count:     21
    .vgpr_spill_count: 0
    .wavefront_size: 32
    .workgroup_processor_mode: 1
  - .args:
      - .address_space:  global
        .offset:         0
        .size:           8
        .value_kind:     global_buffer
      - .address_space:  global
        .offset:         8
        .size:           8
        .value_kind:     global_buffer
      - .offset:         16
        .size:           4
        .value_kind:     by_value
      - .offset:         20
        .size:           4
        .value_kind:     by_value
      - .offset:         24
        .size:           4
        .value_kind:     by_value
      - .address_space:  global
        .offset:         32
        .size:           8
        .value_kind:     global_buffer
      - .offset:         40
        .size:           4
        .value_kind:     by_value
      - .offset:         44
        .size:           1
        .value_kind:     by_value
      - .offset:         48
        .size:           4
        .value_kind:     hidden_block_count_x
      - .offset:         52
        .size:           4
        .value_kind:     hidden_block_count_y
      - .offset:         56
        .size:           4
        .value_kind:     hidden_block_count_z
      - .offset:         60
        .size:           2
        .value_kind:     hidden_group_size_x
      - .offset:         62
        .size:           2
        .value_kind:     hidden_group_size_y
      - .offset:         64
        .size:           2
        .value_kind:     hidden_group_size_z
      - .offset:         66
        .size:           2
        .value_kind:     hidden_remainder_x
      - .offset:         68
        .size:           2
        .value_kind:     hidden_remainder_y
      - .offset:         70
        .size:           2
        .value_kind:     hidden_remainder_z
      - .offset:         88
        .size:           8
        .value_kind:     hidden_global_offset_x
      - .offset:         96
        .size:           8
        .value_kind:     hidden_global_offset_y
      - .offset:         104
        .size:           8
        .value_kind:     hidden_global_offset_z
      - .offset:         112
        .size:           2
        .value_kind:     hidden_grid_dims
    .group_segment_fixed_size: 0
    .kernarg_segment_align: 8
    .kernarg_segment_size: 304
    .language:       OpenCL C
    .language_version:
      - 2
      - 0
    .max_flat_workgroup_size: 1024
    .name:           _ZN12_GLOBAL__N_120softmax_warp_forwardIN3c108BFloat16ES2_fLi6ELb0ELb1ELi32EEEvPT0_PKT_iiiPKbib
    .private_segment_fixed_size: 0
    .sgpr_count:     19
    .sgpr_spill_count: 0
    .symbol:         _ZN12_GLOBAL__N_120softmax_warp_forwardIN3c108BFloat16ES2_fLi6ELb0ELb1ELi32EEEvPT0_PKT_iiiPKbib.kd
    .uniform_work_group_size: 1
    .uses_dynamic_stack: false
    .vgpr_count:     22
    .vgpr_spill_count: 0
    .wavefront_size: 32
    .workgroup_processor_mode: 1
  - .args:
      - .address_space:  global
        .offset:         0
        .size:           8
        .value_kind:     global_buffer
      - .address_space:  global
        .offset:         8
        .size:           8
        .value_kind:     global_buffer
      - .offset:         16
        .size:           4
        .value_kind:     by_value
      - .offset:         20
        .size:           4
        .value_kind:     by_value
      - .offset:         24
        .size:           4
        .value_kind:     by_value
      - .address_space:  global
        .offset:         32
        .size:           8
        .value_kind:     global_buffer
      - .offset:         40
        .size:           4
        .value_kind:     by_value
      - .offset:         44
        .size:           1
        .value_kind:     by_value
      - .offset:         48
        .size:           4
        .value_kind:     hidden_block_count_x
      - .offset:         52
        .size:           4
        .value_kind:     hidden_block_count_y
      - .offset:         56
        .size:           4
        .value_kind:     hidden_block_count_z
      - .offset:         60
        .size:           2
        .value_kind:     hidden_group_size_x
      - .offset:         62
        .size:           2
        .value_kind:     hidden_group_size_y
      - .offset:         64
        .size:           2
        .value_kind:     hidden_group_size_z
      - .offset:         66
        .size:           2
        .value_kind:     hidden_remainder_x
      - .offset:         68
        .size:           2
        .value_kind:     hidden_remainder_y
      - .offset:         70
        .size:           2
        .value_kind:     hidden_remainder_z
      - .offset:         88
        .size:           8
        .value_kind:     hidden_global_offset_x
      - .offset:         96
        .size:           8
        .value_kind:     hidden_global_offset_y
      - .offset:         104
        .size:           8
        .value_kind:     hidden_global_offset_z
      - .offset:         112
        .size:           2
        .value_kind:     hidden_grid_dims
    .group_segment_fixed_size: 0
    .kernarg_segment_align: 8
    .kernarg_segment_size: 304
    .language:       OpenCL C
    .language_version:
      - 2
      - 0
    .max_flat_workgroup_size: 1024
    .name:           _ZN12_GLOBAL__N_120softmax_warp_forwardIN3c108BFloat16ES2_fLi7ELb0ELb1ELi64EEEvPT0_PKT_iiiPKbib
    .private_segment_fixed_size: 0
    .sgpr_count:     19
    .sgpr_spill_count: 0
    .symbol:         _ZN12_GLOBAL__N_120softmax_warp_forwardIN3c108BFloat16ES2_fLi7ELb0ELb1ELi64EEEvPT0_PKT_iiiPKbib.kd
    .uniform_work_group_size: 1
    .uses_dynamic_stack: false
    .vgpr_count:     23
    .vgpr_spill_count: 0
    .wavefront_size: 32
    .workgroup_processor_mode: 1
  - .args:
      - .address_space:  global
        .offset:         0
        .size:           8
        .value_kind:     global_buffer
      - .address_space:  global
        .offset:         8
        .size:           8
        .value_kind:     global_buffer
      - .offset:         16
        .size:           4
        .value_kind:     by_value
      - .offset:         20
        .size:           4
        .value_kind:     by_value
      - .offset:         24
        .size:           4
        .value_kind:     by_value
      - .address_space:  global
        .offset:         32
        .size:           8
        .value_kind:     global_buffer
      - .offset:         40
        .size:           4
        .value_kind:     by_value
      - .offset:         44
        .size:           1
        .value_kind:     by_value
      - .offset:         48
        .size:           4
        .value_kind:     hidden_block_count_x
      - .offset:         52
        .size:           4
        .value_kind:     hidden_block_count_y
      - .offset:         56
        .size:           4
        .value_kind:     hidden_block_count_z
      - .offset:         60
        .size:           2
        .value_kind:     hidden_group_size_x
      - .offset:         62
        .size:           2
        .value_kind:     hidden_group_size_y
      - .offset:         64
        .size:           2
        .value_kind:     hidden_group_size_z
      - .offset:         66
        .size:           2
        .value_kind:     hidden_remainder_x
      - .offset:         68
        .size:           2
        .value_kind:     hidden_remainder_y
      - .offset:         70
        .size:           2
        .value_kind:     hidden_remainder_z
      - .offset:         88
        .size:           8
        .value_kind:     hidden_global_offset_x
      - .offset:         96
        .size:           8
        .value_kind:     hidden_global_offset_y
      - .offset:         104
        .size:           8
        .value_kind:     hidden_global_offset_z
      - .offset:         112
        .size:           2
        .value_kind:     hidden_grid_dims
    .group_segment_fixed_size: 0
    .kernarg_segment_align: 8
    .kernarg_segment_size: 304
    .language:       OpenCL C
    .language_version:
      - 2
      - 0
    .max_flat_workgroup_size: 1024
    .name:           _ZN12_GLOBAL__N_120softmax_warp_forwardIN3c108BFloat16ES2_fLi7ELb0ELb1ELi32EEEvPT0_PKT_iiiPKbib
    .private_segment_fixed_size: 0
    .sgpr_count:     26
    .sgpr_spill_count: 0
    .symbol:         _ZN12_GLOBAL__N_120softmax_warp_forwardIN3c108BFloat16ES2_fLi7ELb0ELb1ELi32EEEvPT0_PKT_iiiPKbib.kd
    .uniform_work_group_size: 1
    .uses_dynamic_stack: false
    .vgpr_count:     27
    .vgpr_spill_count: 0
    .wavefront_size: 32
    .workgroup_processor_mode: 1
  - .args:
      - .address_space:  global
        .offset:         0
        .size:           8
        .value_kind:     global_buffer
      - .address_space:  global
        .offset:         8
        .size:           8
        .value_kind:     global_buffer
      - .offset:         16
        .size:           4
        .value_kind:     by_value
      - .offset:         20
        .size:           4
        .value_kind:     by_value
      - .offset:         24
        .size:           4
        .value_kind:     by_value
      - .address_space:  global
        .offset:         32
        .size:           8
        .value_kind:     global_buffer
      - .offset:         40
        .size:           4
        .value_kind:     by_value
      - .offset:         44
        .size:           1
        .value_kind:     by_value
      - .offset:         48
        .size:           4
        .value_kind:     hidden_block_count_x
      - .offset:         52
        .size:           4
        .value_kind:     hidden_block_count_y
      - .offset:         56
        .size:           4
        .value_kind:     hidden_block_count_z
      - .offset:         60
        .size:           2
        .value_kind:     hidden_group_size_x
      - .offset:         62
        .size:           2
        .value_kind:     hidden_group_size_y
      - .offset:         64
        .size:           2
        .value_kind:     hidden_group_size_z
      - .offset:         66
        .size:           2
        .value_kind:     hidden_remainder_x
      - .offset:         68
        .size:           2
        .value_kind:     hidden_remainder_y
      - .offset:         70
        .size:           2
        .value_kind:     hidden_remainder_z
      - .offset:         88
        .size:           8
        .value_kind:     hidden_global_offset_x
      - .offset:         96
        .size:           8
        .value_kind:     hidden_global_offset_y
      - .offset:         104
        .size:           8
        .value_kind:     hidden_global_offset_z
      - .offset:         112
        .size:           2
        .value_kind:     hidden_grid_dims
    .group_segment_fixed_size: 0
    .kernarg_segment_align: 8
    .kernarg_segment_size: 304
    .language:       OpenCL C
    .language_version:
      - 2
      - 0
    .max_flat_workgroup_size: 1024
    .name:           _ZN12_GLOBAL__N_120softmax_warp_forwardIN3c108BFloat16ES2_fLi8ELb0ELb1ELi64EEEvPT0_PKT_iiiPKbib
    .private_segment_fixed_size: 0
    .sgpr_count:     18
    .sgpr_spill_count: 0
    .symbol:         _ZN12_GLOBAL__N_120softmax_warp_forwardIN3c108BFloat16ES2_fLi8ELb0ELb1ELi64EEEvPT0_PKT_iiiPKbib.kd
    .uniform_work_group_size: 1
    .uses_dynamic_stack: false
    .vgpr_count:     25
    .vgpr_spill_count: 0
    .wavefront_size: 32
    .workgroup_processor_mode: 1
  - .args:
      - .address_space:  global
        .offset:         0
        .size:           8
        .value_kind:     global_buffer
      - .address_space:  global
        .offset:         8
        .size:           8
        .value_kind:     global_buffer
      - .offset:         16
        .size:           4
        .value_kind:     by_value
      - .offset:         20
        .size:           4
        .value_kind:     by_value
      - .offset:         24
        .size:           4
        .value_kind:     by_value
      - .address_space:  global
        .offset:         32
        .size:           8
        .value_kind:     global_buffer
      - .offset:         40
        .size:           4
        .value_kind:     by_value
      - .offset:         44
        .size:           1
        .value_kind:     by_value
      - .offset:         48
        .size:           4
        .value_kind:     hidden_block_count_x
      - .offset:         52
        .size:           4
        .value_kind:     hidden_block_count_y
      - .offset:         56
        .size:           4
        .value_kind:     hidden_block_count_z
      - .offset:         60
        .size:           2
        .value_kind:     hidden_group_size_x
      - .offset:         62
        .size:           2
        .value_kind:     hidden_group_size_y
      - .offset:         64
        .size:           2
        .value_kind:     hidden_group_size_z
      - .offset:         66
        .size:           2
        .value_kind:     hidden_remainder_x
      - .offset:         68
        .size:           2
        .value_kind:     hidden_remainder_y
      - .offset:         70
        .size:           2
        .value_kind:     hidden_remainder_z
      - .offset:         88
        .size:           8
        .value_kind:     hidden_global_offset_x
      - .offset:         96
        .size:           8
        .value_kind:     hidden_global_offset_y
      - .offset:         104
        .size:           8
        .value_kind:     hidden_global_offset_z
      - .offset:         112
        .size:           2
        .value_kind:     hidden_grid_dims
    .group_segment_fixed_size: 0
    .kernarg_segment_align: 8
    .kernarg_segment_size: 304
    .language:       OpenCL C
    .language_version:
      - 2
      - 0
    .max_flat_workgroup_size: 1024
    .name:           _ZN12_GLOBAL__N_120softmax_warp_forwardIN3c108BFloat16ES2_fLi8ELb0ELb1ELi32EEEvPT0_PKT_iiiPKbib
    .private_segment_fixed_size: 0
    .sgpr_count:     24
    .sgpr_spill_count: 0
    .symbol:         _ZN12_GLOBAL__N_120softmax_warp_forwardIN3c108BFloat16ES2_fLi8ELb0ELb1ELi32EEEvPT0_PKT_iiiPKbib.kd
    .uniform_work_group_size: 1
    .uses_dynamic_stack: false
    .vgpr_count:     35
    .vgpr_spill_count: 0
    .wavefront_size: 32
    .workgroup_processor_mode: 1
  - .args:
      - .address_space:  global
        .offset:         0
        .size:           8
        .value_kind:     global_buffer
      - .address_space:  global
        .offset:         8
        .size:           8
        .value_kind:     global_buffer
      - .offset:         16
        .size:           4
        .value_kind:     by_value
      - .offset:         20
        .size:           4
        .value_kind:     by_value
      - .offset:         24
        .size:           4
        .value_kind:     by_value
      - .address_space:  global
        .offset:         32
        .size:           8
        .value_kind:     global_buffer
      - .offset:         40
        .size:           4
        .value_kind:     by_value
      - .offset:         44
        .size:           1
        .value_kind:     by_value
      - .offset:         48
        .size:           4
        .value_kind:     hidden_block_count_x
      - .offset:         52
        .size:           4
        .value_kind:     hidden_block_count_y
      - .offset:         56
        .size:           4
        .value_kind:     hidden_block_count_z
      - .offset:         60
        .size:           2
        .value_kind:     hidden_group_size_x
      - .offset:         62
        .size:           2
        .value_kind:     hidden_group_size_y
      - .offset:         64
        .size:           2
        .value_kind:     hidden_group_size_z
      - .offset:         66
        .size:           2
        .value_kind:     hidden_remainder_x
      - .offset:         68
        .size:           2
        .value_kind:     hidden_remainder_y
      - .offset:         70
        .size:           2
        .value_kind:     hidden_remainder_z
      - .offset:         88
        .size:           8
        .value_kind:     hidden_global_offset_x
      - .offset:         96
        .size:           8
        .value_kind:     hidden_global_offset_y
      - .offset:         104
        .size:           8
        .value_kind:     hidden_global_offset_z
      - .offset:         112
        .size:           2
        .value_kind:     hidden_grid_dims
    .group_segment_fixed_size: 0
    .kernarg_segment_align: 8
    .kernarg_segment_size: 304
    .language:       OpenCL C
    .language_version:
      - 2
      - 0
    .max_flat_workgroup_size: 1024
    .name:           _ZN12_GLOBAL__N_120softmax_warp_forwardIN3c108BFloat16ES2_fLi9ELb0ELb1ELi64EEEvPT0_PKT_iiiPKbib
    .private_segment_fixed_size: 0
    .sgpr_count:     24
    .sgpr_spill_count: 0
    .symbol:         _ZN12_GLOBAL__N_120softmax_warp_forwardIN3c108BFloat16ES2_fLi9ELb0ELb1ELi64EEEvPT0_PKT_iiiPKbib.kd
    .uniform_work_group_size: 1
    .uses_dynamic_stack: false
    .vgpr_count:     36
    .vgpr_spill_count: 0
    .wavefront_size: 32
    .workgroup_processor_mode: 1
  - .args:
      - .address_space:  global
        .offset:         0
        .size:           8
        .value_kind:     global_buffer
      - .address_space:  global
        .offset:         8
        .size:           8
        .value_kind:     global_buffer
      - .offset:         16
        .size:           4
        .value_kind:     by_value
      - .offset:         20
        .size:           4
        .value_kind:     by_value
      - .offset:         24
        .size:           4
        .value_kind:     by_value
      - .address_space:  global
        .offset:         32
        .size:           8
        .value_kind:     global_buffer
      - .offset:         40
        .size:           4
        .value_kind:     by_value
      - .offset:         44
        .size:           1
        .value_kind:     by_value
      - .offset:         48
        .size:           4
        .value_kind:     hidden_block_count_x
      - .offset:         52
        .size:           4
        .value_kind:     hidden_block_count_y
      - .offset:         56
        .size:           4
        .value_kind:     hidden_block_count_z
      - .offset:         60
        .size:           2
        .value_kind:     hidden_group_size_x
      - .offset:         62
        .size:           2
        .value_kind:     hidden_group_size_y
      - .offset:         64
        .size:           2
        .value_kind:     hidden_group_size_z
      - .offset:         66
        .size:           2
        .value_kind:     hidden_remainder_x
      - .offset:         68
        .size:           2
        .value_kind:     hidden_remainder_y
      - .offset:         70
        .size:           2
        .value_kind:     hidden_remainder_z
      - .offset:         88
        .size:           8
        .value_kind:     hidden_global_offset_x
      - .offset:         96
        .size:           8
        .value_kind:     hidden_global_offset_y
      - .offset:         104
        .size:           8
        .value_kind:     hidden_global_offset_z
      - .offset:         112
        .size:           2
        .value_kind:     hidden_grid_dims
    .group_segment_fixed_size: 0
    .kernarg_segment_align: 8
    .kernarg_segment_size: 304
    .language:       OpenCL C
    .language_version:
      - 2
      - 0
    .max_flat_workgroup_size: 1024
    .name:           _ZN12_GLOBAL__N_120softmax_warp_forwardIN3c108BFloat16ES2_fLi9ELb0ELb1ELi32EEEvPT0_PKT_iiiPKbib
    .private_segment_fixed_size: 0
    .sgpr_count:     41
    .sgpr_spill_count: 0
    .symbol:         _ZN12_GLOBAL__N_120softmax_warp_forwardIN3c108BFloat16ES2_fLi9ELb0ELb1ELi32EEEvPT0_PKT_iiiPKbib.kd
    .uniform_work_group_size: 1
    .uses_dynamic_stack: false
    .vgpr_count:     59
    .vgpr_spill_count: 0
    .wavefront_size: 32
    .workgroup_processor_mode: 1
  - .args:
      - .address_space:  global
        .offset:         0
        .size:           8
        .value_kind:     global_buffer
      - .address_space:  global
        .offset:         8
        .size:           8
        .value_kind:     global_buffer
      - .offset:         16
        .size:           4
        .value_kind:     by_value
      - .offset:         20
        .size:           4
        .value_kind:     by_value
      - .offset:         24
        .size:           4
        .value_kind:     by_value
      - .address_space:  global
        .offset:         32
        .size:           8
        .value_kind:     global_buffer
      - .offset:         40
        .size:           4
        .value_kind:     by_value
      - .offset:         44
        .size:           1
        .value_kind:     by_value
      - .offset:         48
        .size:           4
        .value_kind:     hidden_block_count_x
      - .offset:         52
        .size:           4
        .value_kind:     hidden_block_count_y
      - .offset:         56
        .size:           4
        .value_kind:     hidden_block_count_z
      - .offset:         60
        .size:           2
        .value_kind:     hidden_group_size_x
      - .offset:         62
        .size:           2
        .value_kind:     hidden_group_size_y
      - .offset:         64
        .size:           2
        .value_kind:     hidden_group_size_z
      - .offset:         66
        .size:           2
        .value_kind:     hidden_remainder_x
      - .offset:         68
        .size:           2
        .value_kind:     hidden_remainder_y
      - .offset:         70
        .size:           2
        .value_kind:     hidden_remainder_z
      - .offset:         88
        .size:           8
        .value_kind:     hidden_global_offset_x
      - .offset:         96
        .size:           8
        .value_kind:     hidden_global_offset_y
      - .offset:         104
        .size:           8
        .value_kind:     hidden_global_offset_z
      - .offset:         112
        .size:           2
        .value_kind:     hidden_grid_dims
    .group_segment_fixed_size: 0
    .kernarg_segment_align: 8
    .kernarg_segment_size: 304
    .language:       OpenCL C
    .language_version:
      - 2
      - 0
    .max_flat_workgroup_size: 1024
    .name:           _ZN12_GLOBAL__N_120softmax_warp_forwardIN3c108BFloat16ES2_fLi10ELb0ELb1ELi64EEEvPT0_PKT_iiiPKbib
    .private_segment_fixed_size: 0
    .sgpr_count:     41
    .sgpr_spill_count: 0
    .symbol:         _ZN12_GLOBAL__N_120softmax_warp_forwardIN3c108BFloat16ES2_fLi10ELb0ELb1ELi64EEEvPT0_PKT_iiiPKbib.kd
    .uniform_work_group_size: 1
    .uses_dynamic_stack: false
    .vgpr_count:     60
    .vgpr_spill_count: 0
    .wavefront_size: 32
    .workgroup_processor_mode: 1
  - .args:
      - .address_space:  global
        .offset:         0
        .size:           8
        .value_kind:     global_buffer
      - .address_space:  global
        .offset:         8
        .size:           8
        .value_kind:     global_buffer
      - .offset:         16
        .size:           4
        .value_kind:     by_value
      - .offset:         20
        .size:           4
        .value_kind:     by_value
      - .offset:         24
        .size:           4
        .value_kind:     by_value
      - .address_space:  global
        .offset:         32
        .size:           8
        .value_kind:     global_buffer
      - .offset:         40
        .size:           4
        .value_kind:     by_value
      - .offset:         44
        .size:           1
        .value_kind:     by_value
      - .offset:         48
        .size:           4
        .value_kind:     hidden_block_count_x
      - .offset:         52
        .size:           4
        .value_kind:     hidden_block_count_y
      - .offset:         56
        .size:           4
        .value_kind:     hidden_block_count_z
      - .offset:         60
        .size:           2
        .value_kind:     hidden_group_size_x
      - .offset:         62
        .size:           2
        .value_kind:     hidden_group_size_y
      - .offset:         64
        .size:           2
        .value_kind:     hidden_group_size_z
      - .offset:         66
        .size:           2
        .value_kind:     hidden_remainder_x
      - .offset:         68
        .size:           2
        .value_kind:     hidden_remainder_y
      - .offset:         70
        .size:           2
        .value_kind:     hidden_remainder_z
      - .offset:         88
        .size:           8
        .value_kind:     hidden_global_offset_x
      - .offset:         96
        .size:           8
        .value_kind:     hidden_global_offset_y
      - .offset:         104
        .size:           8
        .value_kind:     hidden_global_offset_z
      - .offset:         112
        .size:           2
        .value_kind:     hidden_grid_dims
    .group_segment_fixed_size: 0
    .kernarg_segment_align: 8
    .kernarg_segment_size: 304
    .language:       OpenCL C
    .language_version:
      - 2
      - 0
    .max_flat_workgroup_size: 1024
    .name:           _ZN12_GLOBAL__N_120softmax_warp_forwardIN3c108BFloat16ES2_fLi10ELb0ELb1ELi32EEEvPT0_PKT_iiiPKbib
    .private_segment_fixed_size: 0
    .sgpr_count:     73
    .sgpr_spill_count: 0
    .symbol:         _ZN12_GLOBAL__N_120softmax_warp_forwardIN3c108BFloat16ES2_fLi10ELb0ELb1ELi32EEEvPT0_PKT_iiiPKbib.kd
    .uniform_work_group_size: 1
    .uses_dynamic_stack: false
    .vgpr_count:     107
    .vgpr_spill_count: 0
    .wavefront_size: 32
    .workgroup_processor_mode: 1
  - .args:
      - .address_space:  global
        .offset:         0
        .size:           8
        .value_kind:     global_buffer
      - .address_space:  global
        .offset:         8
        .size:           8
        .value_kind:     global_buffer
      - .offset:         16
        .size:           4
        .value_kind:     by_value
      - .offset:         20
        .size:           4
        .value_kind:     by_value
      - .offset:         24
        .size:           4
        .value_kind:     by_value
      - .address_space:  global
        .offset:         32
        .size:           8
        .value_kind:     global_buffer
      - .offset:         40
        .size:           4
        .value_kind:     by_value
      - .offset:         44
        .size:           1
        .value_kind:     by_value
      - .offset:         48
        .size:           4
        .value_kind:     hidden_block_count_x
      - .offset:         52
        .size:           4
        .value_kind:     hidden_block_count_y
      - .offset:         56
        .size:           4
        .value_kind:     hidden_block_count_z
      - .offset:         60
        .size:           2
        .value_kind:     hidden_group_size_x
      - .offset:         62
        .size:           2
        .value_kind:     hidden_group_size_y
      - .offset:         64
        .size:           2
        .value_kind:     hidden_group_size_z
      - .offset:         66
        .size:           2
        .value_kind:     hidden_remainder_x
      - .offset:         68
        .size:           2
        .value_kind:     hidden_remainder_y
      - .offset:         70
        .size:           2
        .value_kind:     hidden_remainder_z
      - .offset:         88
        .size:           8
        .value_kind:     hidden_global_offset_x
      - .offset:         96
        .size:           8
        .value_kind:     hidden_global_offset_y
      - .offset:         104
        .size:           8
        .value_kind:     hidden_global_offset_z
      - .offset:         112
        .size:           2
        .value_kind:     hidden_grid_dims
    .group_segment_fixed_size: 0
    .kernarg_segment_align: 8
    .kernarg_segment_size: 304
    .language:       OpenCL C
    .language_version:
      - 2
      - 0
    .max_flat_workgroup_size: 1024
    .name:           _ZN12_GLOBAL__N_120softmax_warp_forwardIN3c108BFloat16ES2_fLi11ELb0ELb1ELi64EEEvPT0_PKT_iiiPKbib
    .private_segment_fixed_size: 0
    .sgpr_count:     73
    .sgpr_spill_count: 0
    .symbol:         _ZN12_GLOBAL__N_120softmax_warp_forwardIN3c108BFloat16ES2_fLi11ELb0ELb1ELi64EEEvPT0_PKT_iiiPKbib.kd
    .uniform_work_group_size: 1
    .uses_dynamic_stack: false
    .vgpr_count:     108
    .vgpr_spill_count: 0
    .wavefront_size: 32
    .workgroup_processor_mode: 1
  - .args:
      - .address_space:  global
        .offset:         0
        .size:           8
        .value_kind:     global_buffer
      - .address_space:  global
        .offset:         8
        .size:           8
        .value_kind:     global_buffer
      - .offset:         16
        .size:           4
        .value_kind:     by_value
      - .offset:         20
        .size:           4
        .value_kind:     by_value
      - .offset:         24
        .size:           4
        .value_kind:     by_value
      - .address_space:  global
        .offset:         32
        .size:           8
        .value_kind:     global_buffer
      - .offset:         40
        .size:           4
        .value_kind:     by_value
      - .offset:         44
        .size:           1
        .value_kind:     by_value
      - .offset:         48
        .size:           4
        .value_kind:     hidden_block_count_x
      - .offset:         52
        .size:           4
        .value_kind:     hidden_block_count_y
      - .offset:         56
        .size:           4
        .value_kind:     hidden_block_count_z
      - .offset:         60
        .size:           2
        .value_kind:     hidden_group_size_x
      - .offset:         62
        .size:           2
        .value_kind:     hidden_group_size_y
      - .offset:         64
        .size:           2
        .value_kind:     hidden_group_size_z
      - .offset:         66
        .size:           2
        .value_kind:     hidden_remainder_x
      - .offset:         68
        .size:           2
        .value_kind:     hidden_remainder_y
      - .offset:         70
        .size:           2
        .value_kind:     hidden_remainder_z
      - .offset:         88
        .size:           8
        .value_kind:     hidden_global_offset_x
      - .offset:         96
        .size:           8
        .value_kind:     hidden_global_offset_y
      - .offset:         104
        .size:           8
        .value_kind:     hidden_global_offset_z
      - .offset:         112
        .size:           2
        .value_kind:     hidden_grid_dims
    .group_segment_fixed_size: 0
    .kernarg_segment_align: 8
    .kernarg_segment_size: 304
    .language:       OpenCL C
    .language_version:
      - 2
      - 0
    .max_flat_workgroup_size: 1024
    .name:           _ZN12_GLOBAL__N_120softmax_warp_forwardIN3c108BFloat16ES2_fLi11ELb0ELb1ELi32EEEvPT0_PKT_iiiPKbib
    .private_segment_fixed_size: 0
    .sgpr_count:     107
    .sgpr_spill_count: 33
    .symbol:         _ZN12_GLOBAL__N_120softmax_warp_forwardIN3c108BFloat16ES2_fLi11ELb0ELb1ELi32EEEvPT0_PKT_iiiPKbib.kd
    .uniform_work_group_size: 1
    .uses_dynamic_stack: false
    .vgpr_count:     82
    .vgpr_spill_count: 0
    .wavefront_size: 32
    .workgroup_processor_mode: 1
  - .args:
      - .address_space:  global
        .offset:         0
        .size:           8
        .value_kind:     global_buffer
      - .address_space:  global
        .offset:         8
        .size:           8
        .value_kind:     global_buffer
      - .address_space:  global
        .offset:         16
        .size:           8
        .value_kind:     global_buffer
      - .offset:         24
        .size:           4
        .value_kind:     by_value
      - .offset:         28
        .size:           4
        .value_kind:     by_value
      - .offset:         32
        .size:           4
        .value_kind:     by_value
      - .address_space:  global
        .offset:         40
        .size:           8
        .value_kind:     global_buffer
      - .offset:         48
        .size:           4
        .value_kind:     hidden_block_count_x
      - .offset:         52
        .size:           4
        .value_kind:     hidden_block_count_y
      - .offset:         56
        .size:           4
        .value_kind:     hidden_block_count_z
      - .offset:         60
        .size:           2
        .value_kind:     hidden_group_size_x
      - .offset:         62
        .size:           2
        .value_kind:     hidden_group_size_y
      - .offset:         64
        .size:           2
        .value_kind:     hidden_group_size_z
      - .offset:         66
        .size:           2
        .value_kind:     hidden_remainder_x
      - .offset:         68
        .size:           2
        .value_kind:     hidden_remainder_y
      - .offset:         70
        .size:           2
        .value_kind:     hidden_remainder_z
      - .offset:         88
        .size:           8
        .value_kind:     hidden_global_offset_x
      - .offset:         96
        .size:           8
        .value_kind:     hidden_global_offset_y
      - .offset:         104
        .size:           8
        .value_kind:     hidden_global_offset_z
      - .offset:         112
        .size:           2
        .value_kind:     hidden_grid_dims
    .group_segment_fixed_size: 0
    .kernarg_segment_align: 8
    .kernarg_segment_size: 304
    .language:       OpenCL C
    .language_version:
      - 2
      - 0
    .max_flat_workgroup_size: 1024
    .name:           _ZN12_GLOBAL__N_121softmax_warp_backwardIdddLi0ELb0ELb1ELi64EEEvPT0_PKT_S5_iiiPKb
    .private_segment_fixed_size: 0
    .sgpr_count:     14
    .sgpr_spill_count: 0
    .symbol:         _ZN12_GLOBAL__N_121softmax_warp_backwardIdddLi0ELb0ELb1ELi64EEEvPT0_PKT_S5_iiiPKb.kd
    .uniform_work_group_size: 1
    .uses_dynamic_stack: false
    .vgpr_count:     18
    .vgpr_spill_count: 0
    .wavefront_size: 32
    .workgroup_processor_mode: 1
  - .args:
      - .address_space:  global
        .offset:         0
        .size:           8
        .value_kind:     global_buffer
      - .address_space:  global
        .offset:         8
        .size:           8
        .value_kind:     global_buffer
      - .address_space:  global
        .offset:         16
        .size:           8
        .value_kind:     global_buffer
      - .offset:         24
        .size:           4
        .value_kind:     by_value
      - .offset:         28
        .size:           4
        .value_kind:     by_value
      - .offset:         32
        .size:           4
        .value_kind:     by_value
      - .address_space:  global
        .offset:         40
        .size:           8
        .value_kind:     global_buffer
      - .offset:         48
        .size:           4
        .value_kind:     hidden_block_count_x
      - .offset:         52
        .size:           4
        .value_kind:     hidden_block_count_y
      - .offset:         56
        .size:           4
        .value_kind:     hidden_block_count_z
      - .offset:         60
        .size:           2
        .value_kind:     hidden_group_size_x
      - .offset:         62
        .size:           2
        .value_kind:     hidden_group_size_y
      - .offset:         64
        .size:           2
        .value_kind:     hidden_group_size_z
      - .offset:         66
        .size:           2
        .value_kind:     hidden_remainder_x
      - .offset:         68
        .size:           2
        .value_kind:     hidden_remainder_y
      - .offset:         70
        .size:           2
        .value_kind:     hidden_remainder_z
      - .offset:         88
        .size:           8
        .value_kind:     hidden_global_offset_x
      - .offset:         96
        .size:           8
        .value_kind:     hidden_global_offset_y
      - .offset:         104
        .size:           8
        .value_kind:     hidden_global_offset_z
      - .offset:         112
        .size:           2
        .value_kind:     hidden_grid_dims
    .group_segment_fixed_size: 0
    .kernarg_segment_align: 8
    .kernarg_segment_size: 304
    .language:       OpenCL C
    .language_version:
      - 2
      - 0
    .max_flat_workgroup_size: 1024
    .name:           _ZN12_GLOBAL__N_121softmax_warp_backwardIdddLi0ELb0ELb1ELi32EEEvPT0_PKT_S5_iiiPKb
    .private_segment_fixed_size: 0
    .sgpr_count:     14
    .sgpr_spill_count: 0
    .symbol:         _ZN12_GLOBAL__N_121softmax_warp_backwardIdddLi0ELb0ELb1ELi32EEEvPT0_PKT_S5_iiiPKb.kd
    .uniform_work_group_size: 1
    .uses_dynamic_stack: false
    .vgpr_count:     18
    .vgpr_spill_count: 0
    .wavefront_size: 32
    .workgroup_processor_mode: 1
  - .args:
      - .address_space:  global
        .offset:         0
        .size:           8
        .value_kind:     global_buffer
      - .address_space:  global
        .offset:         8
        .size:           8
        .value_kind:     global_buffer
      - .address_space:  global
        .offset:         16
        .size:           8
        .value_kind:     global_buffer
      - .offset:         24
        .size:           4
        .value_kind:     by_value
      - .offset:         28
        .size:           4
        .value_kind:     by_value
      - .offset:         32
        .size:           4
        .value_kind:     by_value
      - .address_space:  global
        .offset:         40
        .size:           8
        .value_kind:     global_buffer
      - .offset:         48
        .size:           4
        .value_kind:     hidden_block_count_x
      - .offset:         52
        .size:           4
        .value_kind:     hidden_block_count_y
      - .offset:         56
        .size:           4
        .value_kind:     hidden_block_count_z
      - .offset:         60
        .size:           2
        .value_kind:     hidden_group_size_x
      - .offset:         62
        .size:           2
        .value_kind:     hidden_group_size_y
      - .offset:         64
        .size:           2
        .value_kind:     hidden_group_size_z
      - .offset:         66
        .size:           2
        .value_kind:     hidden_remainder_x
      - .offset:         68
        .size:           2
        .value_kind:     hidden_remainder_y
      - .offset:         70
        .size:           2
        .value_kind:     hidden_remainder_z
      - .offset:         88
        .size:           8
        .value_kind:     hidden_global_offset_x
      - .offset:         96
        .size:           8
        .value_kind:     hidden_global_offset_y
      - .offset:         104
        .size:           8
        .value_kind:     hidden_global_offset_z
      - .offset:         112
        .size:           2
        .value_kind:     hidden_grid_dims
    .group_segment_fixed_size: 0
    .kernarg_segment_align: 8
    .kernarg_segment_size: 304
    .language:       OpenCL C
    .language_version:
      - 2
      - 0
    .max_flat_workgroup_size: 1024
    .name:           _ZN12_GLOBAL__N_121softmax_warp_backwardIdddLi1ELb0ELb1ELi64EEEvPT0_PKT_S5_iiiPKb
    .private_segment_fixed_size: 0
    .sgpr_count:     18
    .sgpr_spill_count: 0
    .symbol:         _ZN12_GLOBAL__N_121softmax_warp_backwardIdddLi1ELb0ELb1ELi64EEEvPT0_PKT_S5_iiiPKb.kd
    .uniform_work_group_size: 1
    .uses_dynamic_stack: false
    .vgpr_count:     20
    .vgpr_spill_count: 0
    .wavefront_size: 32
    .workgroup_processor_mode: 1
  - .args:
      - .address_space:  global
        .offset:         0
        .size:           8
        .value_kind:     global_buffer
      - .address_space:  global
        .offset:         8
        .size:           8
        .value_kind:     global_buffer
      - .address_space:  global
        .offset:         16
        .size:           8
        .value_kind:     global_buffer
      - .offset:         24
        .size:           4
        .value_kind:     by_value
      - .offset:         28
        .size:           4
        .value_kind:     by_value
      - .offset:         32
        .size:           4
        .value_kind:     by_value
      - .address_space:  global
        .offset:         40
        .size:           8
        .value_kind:     global_buffer
      - .offset:         48
        .size:           4
        .value_kind:     hidden_block_count_x
      - .offset:         52
        .size:           4
        .value_kind:     hidden_block_count_y
      - .offset:         56
        .size:           4
        .value_kind:     hidden_block_count_z
      - .offset:         60
        .size:           2
        .value_kind:     hidden_group_size_x
      - .offset:         62
        .size:           2
        .value_kind:     hidden_group_size_y
      - .offset:         64
        .size:           2
        .value_kind:     hidden_group_size_z
      - .offset:         66
        .size:           2
        .value_kind:     hidden_remainder_x
      - .offset:         68
        .size:           2
        .value_kind:     hidden_remainder_y
      - .offset:         70
        .size:           2
        .value_kind:     hidden_remainder_z
      - .offset:         88
        .size:           8
        .value_kind:     hidden_global_offset_x
      - .offset:         96
        .size:           8
        .value_kind:     hidden_global_offset_y
      - .offset:         104
        .size:           8
        .value_kind:     hidden_global_offset_z
      - .offset:         112
        .size:           2
        .value_kind:     hidden_grid_dims
    .group_segment_fixed_size: 0
    .kernarg_segment_align: 8
    .kernarg_segment_size: 304
    .language:       OpenCL C
    .language_version:
      - 2
      - 0
    .max_flat_workgroup_size: 1024
    .name:           _ZN12_GLOBAL__N_121softmax_warp_backwardIdddLi1ELb0ELb1ELi32EEEvPT0_PKT_S5_iiiPKb
    .private_segment_fixed_size: 0
    .sgpr_count:     18
    .sgpr_spill_count: 0
    .symbol:         _ZN12_GLOBAL__N_121softmax_warp_backwardIdddLi1ELb0ELb1ELi32EEEvPT0_PKT_S5_iiiPKb.kd
    .uniform_work_group_size: 1
    .uses_dynamic_stack: false
    .vgpr_count:     20
    .vgpr_spill_count: 0
    .wavefront_size: 32
    .workgroup_processor_mode: 1
  - .args:
      - .address_space:  global
        .offset:         0
        .size:           8
        .value_kind:     global_buffer
      - .address_space:  global
        .offset:         8
        .size:           8
        .value_kind:     global_buffer
      - .address_space:  global
        .offset:         16
        .size:           8
        .value_kind:     global_buffer
      - .offset:         24
        .size:           4
        .value_kind:     by_value
      - .offset:         28
        .size:           4
        .value_kind:     by_value
      - .offset:         32
        .size:           4
        .value_kind:     by_value
      - .address_space:  global
        .offset:         40
        .size:           8
        .value_kind:     global_buffer
      - .offset:         48
        .size:           4
        .value_kind:     hidden_block_count_x
      - .offset:         52
        .size:           4
        .value_kind:     hidden_block_count_y
      - .offset:         56
        .size:           4
        .value_kind:     hidden_block_count_z
      - .offset:         60
        .size:           2
        .value_kind:     hidden_group_size_x
      - .offset:         62
        .size:           2
        .value_kind:     hidden_group_size_y
      - .offset:         64
        .size:           2
        .value_kind:     hidden_group_size_z
      - .offset:         66
        .size:           2
        .value_kind:     hidden_remainder_x
      - .offset:         68
        .size:           2
        .value_kind:     hidden_remainder_y
      - .offset:         70
        .size:           2
        .value_kind:     hidden_remainder_z
      - .offset:         88
        .size:           8
        .value_kind:     hidden_global_offset_x
      - .offset:         96
        .size:           8
        .value_kind:     hidden_global_offset_y
      - .offset:         104
        .size:           8
        .value_kind:     hidden_global_offset_z
      - .offset:         112
        .size:           2
        .value_kind:     hidden_grid_dims
    .group_segment_fixed_size: 0
    .kernarg_segment_align: 8
    .kernarg_segment_size: 304
    .language:       OpenCL C
    .language_version:
      - 2
      - 0
    .max_flat_workgroup_size: 1024
    .name:           _ZN12_GLOBAL__N_121softmax_warp_backwardIdddLi2ELb0ELb1ELi64EEEvPT0_PKT_S5_iiiPKb
    .private_segment_fixed_size: 0
    .sgpr_count:     18
    .sgpr_spill_count: 0
    .symbol:         _ZN12_GLOBAL__N_121softmax_warp_backwardIdddLi2ELb0ELb1ELi64EEEvPT0_PKT_S5_iiiPKb.kd
    .uniform_work_group_size: 1
    .uses_dynamic_stack: false
    .vgpr_count:     21
    .vgpr_spill_count: 0
    .wavefront_size: 32
    .workgroup_processor_mode: 1
  - .args:
      - .address_space:  global
        .offset:         0
        .size:           8
        .value_kind:     global_buffer
      - .address_space:  global
        .offset:         8
        .size:           8
        .value_kind:     global_buffer
      - .address_space:  global
        .offset:         16
        .size:           8
        .value_kind:     global_buffer
      - .offset:         24
        .size:           4
        .value_kind:     by_value
      - .offset:         28
        .size:           4
        .value_kind:     by_value
      - .offset:         32
        .size:           4
        .value_kind:     by_value
      - .address_space:  global
        .offset:         40
        .size:           8
        .value_kind:     global_buffer
      - .offset:         48
        .size:           4
        .value_kind:     hidden_block_count_x
      - .offset:         52
        .size:           4
        .value_kind:     hidden_block_count_y
      - .offset:         56
        .size:           4
        .value_kind:     hidden_block_count_z
      - .offset:         60
        .size:           2
        .value_kind:     hidden_group_size_x
      - .offset:         62
        .size:           2
        .value_kind:     hidden_group_size_y
      - .offset:         64
        .size:           2
        .value_kind:     hidden_group_size_z
      - .offset:         66
        .size:           2
        .value_kind:     hidden_remainder_x
      - .offset:         68
        .size:           2
        .value_kind:     hidden_remainder_y
      - .offset:         70
        .size:           2
        .value_kind:     hidden_remainder_z
      - .offset:         88
        .size:           8
        .value_kind:     hidden_global_offset_x
      - .offset:         96
        .size:           8
        .value_kind:     hidden_global_offset_y
      - .offset:         104
        .size:           8
        .value_kind:     hidden_global_offset_z
      - .offset:         112
        .size:           2
        .value_kind:     hidden_grid_dims
    .group_segment_fixed_size: 0
    .kernarg_segment_align: 8
    .kernarg_segment_size: 304
    .language:       OpenCL C
    .language_version:
      - 2
      - 0
    .max_flat_workgroup_size: 1024
    .name:           _ZN12_GLOBAL__N_121softmax_warp_backwardIdddLi2ELb0ELb1ELi32EEEvPT0_PKT_S5_iiiPKb
    .private_segment_fixed_size: 0
    .sgpr_count:     18
    .sgpr_spill_count: 0
    .symbol:         _ZN12_GLOBAL__N_121softmax_warp_backwardIdddLi2ELb0ELb1ELi32EEEvPT0_PKT_S5_iiiPKb.kd
    .uniform_work_group_size: 1
    .uses_dynamic_stack: false
    .vgpr_count:     21
    .vgpr_spill_count: 0
    .wavefront_size: 32
    .workgroup_processor_mode: 1
  - .args:
      - .address_space:  global
        .offset:         0
        .size:           8
        .value_kind:     global_buffer
      - .address_space:  global
        .offset:         8
        .size:           8
        .value_kind:     global_buffer
      - .address_space:  global
        .offset:         16
        .size:           8
        .value_kind:     global_buffer
      - .offset:         24
        .size:           4
        .value_kind:     by_value
      - .offset:         28
        .size:           4
        .value_kind:     by_value
      - .offset:         32
        .size:           4
        .value_kind:     by_value
      - .address_space:  global
        .offset:         40
        .size:           8
        .value_kind:     global_buffer
      - .offset:         48
        .size:           4
        .value_kind:     hidden_block_count_x
      - .offset:         52
        .size:           4
        .value_kind:     hidden_block_count_y
      - .offset:         56
        .size:           4
        .value_kind:     hidden_block_count_z
      - .offset:         60
        .size:           2
        .value_kind:     hidden_group_size_x
      - .offset:         62
        .size:           2
        .value_kind:     hidden_group_size_y
      - .offset:         64
        .size:           2
        .value_kind:     hidden_group_size_z
      - .offset:         66
        .size:           2
        .value_kind:     hidden_remainder_x
      - .offset:         68
        .size:           2
        .value_kind:     hidden_remainder_y
      - .offset:         70
        .size:           2
        .value_kind:     hidden_remainder_z
      - .offset:         88
        .size:           8
        .value_kind:     hidden_global_offset_x
      - .offset:         96
        .size:           8
        .value_kind:     hidden_global_offset_y
      - .offset:         104
        .size:           8
        .value_kind:     hidden_global_offset_z
      - .offset:         112
        .size:           2
        .value_kind:     hidden_grid_dims
    .group_segment_fixed_size: 0
    .kernarg_segment_align: 8
    .kernarg_segment_size: 304
    .language:       OpenCL C
    .language_version:
      - 2
      - 0
    .max_flat_workgroup_size: 1024
    .name:           _ZN12_GLOBAL__N_121softmax_warp_backwardIdddLi3ELb0ELb1ELi64EEEvPT0_PKT_S5_iiiPKb
    .private_segment_fixed_size: 0
    .sgpr_count:     18
    .sgpr_spill_count: 0
    .symbol:         _ZN12_GLOBAL__N_121softmax_warp_backwardIdddLi3ELb0ELb1ELi64EEEvPT0_PKT_S5_iiiPKb.kd
    .uniform_work_group_size: 1
    .uses_dynamic_stack: false
    .vgpr_count:     21
    .vgpr_spill_count: 0
    .wavefront_size: 32
    .workgroup_processor_mode: 1
  - .args:
      - .address_space:  global
        .offset:         0
        .size:           8
        .value_kind:     global_buffer
      - .address_space:  global
        .offset:         8
        .size:           8
        .value_kind:     global_buffer
      - .address_space:  global
        .offset:         16
        .size:           8
        .value_kind:     global_buffer
      - .offset:         24
        .size:           4
        .value_kind:     by_value
      - .offset:         28
        .size:           4
        .value_kind:     by_value
      - .offset:         32
        .size:           4
        .value_kind:     by_value
      - .address_space:  global
        .offset:         40
        .size:           8
        .value_kind:     global_buffer
      - .offset:         48
        .size:           4
        .value_kind:     hidden_block_count_x
      - .offset:         52
        .size:           4
        .value_kind:     hidden_block_count_y
      - .offset:         56
        .size:           4
        .value_kind:     hidden_block_count_z
      - .offset:         60
        .size:           2
        .value_kind:     hidden_group_size_x
      - .offset:         62
        .size:           2
        .value_kind:     hidden_group_size_y
      - .offset:         64
        .size:           2
        .value_kind:     hidden_group_size_z
      - .offset:         66
        .size:           2
        .value_kind:     hidden_remainder_x
      - .offset:         68
        .size:           2
        .value_kind:     hidden_remainder_y
      - .offset:         70
        .size:           2
        .value_kind:     hidden_remainder_z
      - .offset:         88
        .size:           8
        .value_kind:     hidden_global_offset_x
      - .offset:         96
        .size:           8
        .value_kind:     hidden_global_offset_y
      - .offset:         104
        .size:           8
        .value_kind:     hidden_global_offset_z
      - .offset:         112
        .size:           2
        .value_kind:     hidden_grid_dims
    .group_segment_fixed_size: 0
    .kernarg_segment_align: 8
    .kernarg_segment_size: 304
    .language:       OpenCL C
    .language_version:
      - 2
      - 0
    .max_flat_workgroup_size: 1024
    .name:           _ZN12_GLOBAL__N_121softmax_warp_backwardIdddLi3ELb0ELb1ELi32EEEvPT0_PKT_S5_iiiPKb
    .private_segment_fixed_size: 0
    .sgpr_count:     18
    .sgpr_spill_count: 0
    .symbol:         _ZN12_GLOBAL__N_121softmax_warp_backwardIdddLi3ELb0ELb1ELi32EEEvPT0_PKT_S5_iiiPKb.kd
    .uniform_work_group_size: 1
    .uses_dynamic_stack: false
    .vgpr_count:     21
    .vgpr_spill_count: 0
    .wavefront_size: 32
    .workgroup_processor_mode: 1
  - .args:
      - .address_space:  global
        .offset:         0
        .size:           8
        .value_kind:     global_buffer
      - .address_space:  global
        .offset:         8
        .size:           8
        .value_kind:     global_buffer
      - .address_space:  global
        .offset:         16
        .size:           8
        .value_kind:     global_buffer
      - .offset:         24
        .size:           4
        .value_kind:     by_value
      - .offset:         28
        .size:           4
        .value_kind:     by_value
      - .offset:         32
        .size:           4
        .value_kind:     by_value
      - .address_space:  global
        .offset:         40
        .size:           8
        .value_kind:     global_buffer
      - .offset:         48
        .size:           4
        .value_kind:     hidden_block_count_x
      - .offset:         52
        .size:           4
        .value_kind:     hidden_block_count_y
      - .offset:         56
        .size:           4
        .value_kind:     hidden_block_count_z
      - .offset:         60
        .size:           2
        .value_kind:     hidden_group_size_x
      - .offset:         62
        .size:           2
        .value_kind:     hidden_group_size_y
      - .offset:         64
        .size:           2
        .value_kind:     hidden_group_size_z
      - .offset:         66
        .size:           2
        .value_kind:     hidden_remainder_x
      - .offset:         68
        .size:           2
        .value_kind:     hidden_remainder_y
      - .offset:         70
        .size:           2
        .value_kind:     hidden_remainder_z
      - .offset:         88
        .size:           8
        .value_kind:     hidden_global_offset_x
      - .offset:         96
        .size:           8
        .value_kind:     hidden_global_offset_y
      - .offset:         104
        .size:           8
        .value_kind:     hidden_global_offset_z
      - .offset:         112
        .size:           2
        .value_kind:     hidden_grid_dims
    .group_segment_fixed_size: 0
    .kernarg_segment_align: 8
    .kernarg_segment_size: 304
    .language:       OpenCL C
    .language_version:
      - 2
      - 0
    .max_flat_workgroup_size: 1024
    .name:           _ZN12_GLOBAL__N_121softmax_warp_backwardIdddLi4ELb0ELb1ELi64EEEvPT0_PKT_S5_iiiPKb
    .private_segment_fixed_size: 0
    .sgpr_count:     18
    .sgpr_spill_count: 0
    .symbol:         _ZN12_GLOBAL__N_121softmax_warp_backwardIdddLi4ELb0ELb1ELi64EEEvPT0_PKT_S5_iiiPKb.kd
    .uniform_work_group_size: 1
    .uses_dynamic_stack: false
    .vgpr_count:     25
    .vgpr_spill_count: 0
    .wavefront_size: 32
    .workgroup_processor_mode: 1
  - .args:
      - .address_space:  global
        .offset:         0
        .size:           8
        .value_kind:     global_buffer
      - .address_space:  global
        .offset:         8
        .size:           8
        .value_kind:     global_buffer
      - .address_space:  global
        .offset:         16
        .size:           8
        .value_kind:     global_buffer
      - .offset:         24
        .size:           4
        .value_kind:     by_value
      - .offset:         28
        .size:           4
        .value_kind:     by_value
      - .offset:         32
        .size:           4
        .value_kind:     by_value
      - .address_space:  global
        .offset:         40
        .size:           8
        .value_kind:     global_buffer
      - .offset:         48
        .size:           4
        .value_kind:     hidden_block_count_x
      - .offset:         52
        .size:           4
        .value_kind:     hidden_block_count_y
      - .offset:         56
        .size:           4
        .value_kind:     hidden_block_count_z
      - .offset:         60
        .size:           2
        .value_kind:     hidden_group_size_x
      - .offset:         62
        .size:           2
        .value_kind:     hidden_group_size_y
      - .offset:         64
        .size:           2
        .value_kind:     hidden_group_size_z
      - .offset:         66
        .size:           2
        .value_kind:     hidden_remainder_x
      - .offset:         68
        .size:           2
        .value_kind:     hidden_remainder_y
      - .offset:         70
        .size:           2
        .value_kind:     hidden_remainder_z
      - .offset:         88
        .size:           8
        .value_kind:     hidden_global_offset_x
      - .offset:         96
        .size:           8
        .value_kind:     hidden_global_offset_y
      - .offset:         104
        .size:           8
        .value_kind:     hidden_global_offset_z
      - .offset:         112
        .size:           2
        .value_kind:     hidden_grid_dims
    .group_segment_fixed_size: 0
    .kernarg_segment_align: 8
    .kernarg_segment_size: 304
    .language:       OpenCL C
    .language_version:
      - 2
      - 0
    .max_flat_workgroup_size: 1024
    .name:           _ZN12_GLOBAL__N_121softmax_warp_backwardIdddLi4ELb0ELb1ELi32EEEvPT0_PKT_S5_iiiPKb
    .private_segment_fixed_size: 0
    .sgpr_count:     18
    .sgpr_spill_count: 0
    .symbol:         _ZN12_GLOBAL__N_121softmax_warp_backwardIdddLi4ELb0ELb1ELi32EEEvPT0_PKT_S5_iiiPKb.kd
    .uniform_work_group_size: 1
    .uses_dynamic_stack: false
    .vgpr_count:     25
    .vgpr_spill_count: 0
    .wavefront_size: 32
    .workgroup_processor_mode: 1
  - .args:
      - .address_space:  global
        .offset:         0
        .size:           8
        .value_kind:     global_buffer
      - .address_space:  global
        .offset:         8
        .size:           8
        .value_kind:     global_buffer
      - .address_space:  global
        .offset:         16
        .size:           8
        .value_kind:     global_buffer
      - .offset:         24
        .size:           4
        .value_kind:     by_value
      - .offset:         28
        .size:           4
        .value_kind:     by_value
      - .offset:         32
        .size:           4
        .value_kind:     by_value
      - .address_space:  global
        .offset:         40
        .size:           8
        .value_kind:     global_buffer
      - .offset:         48
        .size:           4
        .value_kind:     hidden_block_count_x
      - .offset:         52
        .size:           4
        .value_kind:     hidden_block_count_y
      - .offset:         56
        .size:           4
        .value_kind:     hidden_block_count_z
      - .offset:         60
        .size:           2
        .value_kind:     hidden_group_size_x
      - .offset:         62
        .size:           2
        .value_kind:     hidden_group_size_y
      - .offset:         64
        .size:           2
        .value_kind:     hidden_group_size_z
      - .offset:         66
        .size:           2
        .value_kind:     hidden_remainder_x
      - .offset:         68
        .size:           2
        .value_kind:     hidden_remainder_y
      - .offset:         70
        .size:           2
        .value_kind:     hidden_remainder_z
      - .offset:         88
        .size:           8
        .value_kind:     hidden_global_offset_x
      - .offset:         96
        .size:           8
        .value_kind:     hidden_global_offset_y
      - .offset:         104
        .size:           8
        .value_kind:     hidden_global_offset_z
      - .offset:         112
        .size:           2
        .value_kind:     hidden_grid_dims
    .group_segment_fixed_size: 0
    .kernarg_segment_align: 8
    .kernarg_segment_size: 304
    .language:       OpenCL C
    .language_version:
      - 2
      - 0
    .max_flat_workgroup_size: 1024
    .name:           _ZN12_GLOBAL__N_121softmax_warp_backwardIdddLi5ELb0ELb1ELi64EEEvPT0_PKT_S5_iiiPKb
    .private_segment_fixed_size: 0
    .sgpr_count:     18
    .sgpr_spill_count: 0
    .symbol:         _ZN12_GLOBAL__N_121softmax_warp_backwardIdddLi5ELb0ELb1ELi64EEEvPT0_PKT_S5_iiiPKb.kd
    .uniform_work_group_size: 1
    .uses_dynamic_stack: false
    .vgpr_count:     24
    .vgpr_spill_count: 0
    .wavefront_size: 32
    .workgroup_processor_mode: 1
  - .args:
      - .address_space:  global
        .offset:         0
        .size:           8
        .value_kind:     global_buffer
      - .address_space:  global
        .offset:         8
        .size:           8
        .value_kind:     global_buffer
      - .address_space:  global
        .offset:         16
        .size:           8
        .value_kind:     global_buffer
      - .offset:         24
        .size:           4
        .value_kind:     by_value
      - .offset:         28
        .size:           4
        .value_kind:     by_value
      - .offset:         32
        .size:           4
        .value_kind:     by_value
      - .address_space:  global
        .offset:         40
        .size:           8
        .value_kind:     global_buffer
      - .offset:         48
        .size:           4
        .value_kind:     hidden_block_count_x
      - .offset:         52
        .size:           4
        .value_kind:     hidden_block_count_y
      - .offset:         56
        .size:           4
        .value_kind:     hidden_block_count_z
      - .offset:         60
        .size:           2
        .value_kind:     hidden_group_size_x
      - .offset:         62
        .size:           2
        .value_kind:     hidden_group_size_y
      - .offset:         64
        .size:           2
        .value_kind:     hidden_group_size_z
      - .offset:         66
        .size:           2
        .value_kind:     hidden_remainder_x
      - .offset:         68
        .size:           2
        .value_kind:     hidden_remainder_y
      - .offset:         70
        .size:           2
        .value_kind:     hidden_remainder_z
      - .offset:         88
        .size:           8
        .value_kind:     hidden_global_offset_x
      - .offset:         96
        .size:           8
        .value_kind:     hidden_global_offset_y
      - .offset:         104
        .size:           8
        .value_kind:     hidden_global_offset_z
      - .offset:         112
        .size:           2
        .value_kind:     hidden_grid_dims
    .group_segment_fixed_size: 0
    .kernarg_segment_align: 8
    .kernarg_segment_size: 304
    .language:       OpenCL C
    .language_version:
      - 2
      - 0
    .max_flat_workgroup_size: 1024
    .name:           _ZN12_GLOBAL__N_121softmax_warp_backwardIdddLi5ELb0ELb1ELi32EEEvPT0_PKT_S5_iiiPKb
    .private_segment_fixed_size: 0
    .sgpr_count:     18
    .sgpr_spill_count: 0
    .symbol:         _ZN12_GLOBAL__N_121softmax_warp_backwardIdddLi5ELb0ELb1ELi32EEEvPT0_PKT_S5_iiiPKb.kd
    .uniform_work_group_size: 1
    .uses_dynamic_stack: false
    .vgpr_count:     24
    .vgpr_spill_count: 0
    .wavefront_size: 32
    .workgroup_processor_mode: 1
  - .args:
      - .address_space:  global
        .offset:         0
        .size:           8
        .value_kind:     global_buffer
      - .address_space:  global
        .offset:         8
        .size:           8
        .value_kind:     global_buffer
      - .address_space:  global
        .offset:         16
        .size:           8
        .value_kind:     global_buffer
      - .offset:         24
        .size:           4
        .value_kind:     by_value
      - .offset:         28
        .size:           4
        .value_kind:     by_value
      - .offset:         32
        .size:           4
        .value_kind:     by_value
      - .address_space:  global
        .offset:         40
        .size:           8
        .value_kind:     global_buffer
      - .offset:         48
        .size:           4
        .value_kind:     hidden_block_count_x
      - .offset:         52
        .size:           4
        .value_kind:     hidden_block_count_y
      - .offset:         56
        .size:           4
        .value_kind:     hidden_block_count_z
      - .offset:         60
        .size:           2
        .value_kind:     hidden_group_size_x
      - .offset:         62
        .size:           2
        .value_kind:     hidden_group_size_y
      - .offset:         64
        .size:           2
        .value_kind:     hidden_group_size_z
      - .offset:         66
        .size:           2
        .value_kind:     hidden_remainder_x
      - .offset:         68
        .size:           2
        .value_kind:     hidden_remainder_y
      - .offset:         70
        .size:           2
        .value_kind:     hidden_remainder_z
      - .offset:         88
        .size:           8
        .value_kind:     hidden_global_offset_x
      - .offset:         96
        .size:           8
        .value_kind:     hidden_global_offset_y
      - .offset:         104
        .size:           8
        .value_kind:     hidden_global_offset_z
      - .offset:         112
        .size:           2
        .value_kind:     hidden_grid_dims
    .group_segment_fixed_size: 0
    .kernarg_segment_align: 8
    .kernarg_segment_size: 304
    .language:       OpenCL C
    .language_version:
      - 2
      - 0
    .max_flat_workgroup_size: 1024
    .name:           _ZN12_GLOBAL__N_121softmax_warp_backwardIdddLi6ELb0ELb1ELi64EEEvPT0_PKT_S5_iiiPKb
    .private_segment_fixed_size: 0
    .sgpr_count:     18
    .sgpr_spill_count: 0
    .symbol:         _ZN12_GLOBAL__N_121softmax_warp_backwardIdddLi6ELb0ELb1ELi64EEEvPT0_PKT_S5_iiiPKb.kd
    .uniform_work_group_size: 1
    .uses_dynamic_stack: false
    .vgpr_count:     24
    .vgpr_spill_count: 0
    .wavefront_size: 32
    .workgroup_processor_mode: 1
  - .args:
      - .address_space:  global
        .offset:         0
        .size:           8
        .value_kind:     global_buffer
      - .address_space:  global
        .offset:         8
        .size:           8
        .value_kind:     global_buffer
      - .address_space:  global
        .offset:         16
        .size:           8
        .value_kind:     global_buffer
      - .offset:         24
        .size:           4
        .value_kind:     by_value
      - .offset:         28
        .size:           4
        .value_kind:     by_value
      - .offset:         32
        .size:           4
        .value_kind:     by_value
      - .address_space:  global
        .offset:         40
        .size:           8
        .value_kind:     global_buffer
      - .offset:         48
        .size:           4
        .value_kind:     hidden_block_count_x
      - .offset:         52
        .size:           4
        .value_kind:     hidden_block_count_y
      - .offset:         56
        .size:           4
        .value_kind:     hidden_block_count_z
      - .offset:         60
        .size:           2
        .value_kind:     hidden_group_size_x
      - .offset:         62
        .size:           2
        .value_kind:     hidden_group_size_y
      - .offset:         64
        .size:           2
        .value_kind:     hidden_group_size_z
      - .offset:         66
        .size:           2
        .value_kind:     hidden_remainder_x
      - .offset:         68
        .size:           2
        .value_kind:     hidden_remainder_y
      - .offset:         70
        .size:           2
        .value_kind:     hidden_remainder_z
      - .offset:         88
        .size:           8
        .value_kind:     hidden_global_offset_x
      - .offset:         96
        .size:           8
        .value_kind:     hidden_global_offset_y
      - .offset:         104
        .size:           8
        .value_kind:     hidden_global_offset_z
      - .offset:         112
        .size:           2
        .value_kind:     hidden_grid_dims
    .group_segment_fixed_size: 0
    .kernarg_segment_align: 8
    .kernarg_segment_size: 304
    .language:       OpenCL C
    .language_version:
      - 2
      - 0
    .max_flat_workgroup_size: 1024
    .name:           _ZN12_GLOBAL__N_121softmax_warp_backwardIdddLi6ELb0ELb1ELi32EEEvPT0_PKT_S5_iiiPKb
    .private_segment_fixed_size: 0
    .sgpr_count:     18
    .sgpr_spill_count: 0
    .symbol:         _ZN12_GLOBAL__N_121softmax_warp_backwardIdddLi6ELb0ELb1ELi32EEEvPT0_PKT_S5_iiiPKb.kd
    .uniform_work_group_size: 1
    .uses_dynamic_stack: false
    .vgpr_count:     34
    .vgpr_spill_count: 0
    .wavefront_size: 32
    .workgroup_processor_mode: 1
  - .args:
      - .address_space:  global
        .offset:         0
        .size:           8
        .value_kind:     global_buffer
      - .address_space:  global
        .offset:         8
        .size:           8
        .value_kind:     global_buffer
      - .address_space:  global
        .offset:         16
        .size:           8
        .value_kind:     global_buffer
      - .offset:         24
        .size:           4
        .value_kind:     by_value
      - .offset:         28
        .size:           4
        .value_kind:     by_value
      - .offset:         32
        .size:           4
        .value_kind:     by_value
      - .address_space:  global
        .offset:         40
        .size:           8
        .value_kind:     global_buffer
      - .offset:         48
        .size:           4
        .value_kind:     hidden_block_count_x
      - .offset:         52
        .size:           4
        .value_kind:     hidden_block_count_y
      - .offset:         56
        .size:           4
        .value_kind:     hidden_block_count_z
      - .offset:         60
        .size:           2
        .value_kind:     hidden_group_size_x
      - .offset:         62
        .size:           2
        .value_kind:     hidden_group_size_y
      - .offset:         64
        .size:           2
        .value_kind:     hidden_group_size_z
      - .offset:         66
        .size:           2
        .value_kind:     hidden_remainder_x
      - .offset:         68
        .size:           2
        .value_kind:     hidden_remainder_y
      - .offset:         70
        .size:           2
        .value_kind:     hidden_remainder_z
      - .offset:         88
        .size:           8
        .value_kind:     hidden_global_offset_x
      - .offset:         96
        .size:           8
        .value_kind:     hidden_global_offset_y
      - .offset:         104
        .size:           8
        .value_kind:     hidden_global_offset_z
      - .offset:         112
        .size:           2
        .value_kind:     hidden_grid_dims
    .group_segment_fixed_size: 0
    .kernarg_segment_align: 8
    .kernarg_segment_size: 304
    .language:       OpenCL C
    .language_version:
      - 2
      - 0
    .max_flat_workgroup_size: 1024
    .name:           _ZN12_GLOBAL__N_121softmax_warp_backwardIdddLi7ELb0ELb1ELi64EEEvPT0_PKT_S5_iiiPKb
    .private_segment_fixed_size: 0
    .sgpr_count:     18
    .sgpr_spill_count: 0
    .symbol:         _ZN12_GLOBAL__N_121softmax_warp_backwardIdddLi7ELb0ELb1ELi64EEEvPT0_PKT_S5_iiiPKb.kd
    .uniform_work_group_size: 1
    .uses_dynamic_stack: false
    .vgpr_count:     34
    .vgpr_spill_count: 0
    .wavefront_size: 32
    .workgroup_processor_mode: 1
  - .args:
      - .address_space:  global
        .offset:         0
        .size:           8
        .value_kind:     global_buffer
      - .address_space:  global
        .offset:         8
        .size:           8
        .value_kind:     global_buffer
      - .address_space:  global
        .offset:         16
        .size:           8
        .value_kind:     global_buffer
      - .offset:         24
        .size:           4
        .value_kind:     by_value
      - .offset:         28
        .size:           4
        .value_kind:     by_value
      - .offset:         32
        .size:           4
        .value_kind:     by_value
      - .address_space:  global
        .offset:         40
        .size:           8
        .value_kind:     global_buffer
      - .offset:         48
        .size:           4
        .value_kind:     hidden_block_count_x
      - .offset:         52
        .size:           4
        .value_kind:     hidden_block_count_y
      - .offset:         56
        .size:           4
        .value_kind:     hidden_block_count_z
      - .offset:         60
        .size:           2
        .value_kind:     hidden_group_size_x
      - .offset:         62
        .size:           2
        .value_kind:     hidden_group_size_y
      - .offset:         64
        .size:           2
        .value_kind:     hidden_group_size_z
      - .offset:         66
        .size:           2
        .value_kind:     hidden_remainder_x
      - .offset:         68
        .size:           2
        .value_kind:     hidden_remainder_y
      - .offset:         70
        .size:           2
        .value_kind:     hidden_remainder_z
      - .offset:         88
        .size:           8
        .value_kind:     hidden_global_offset_x
      - .offset:         96
        .size:           8
        .value_kind:     hidden_global_offset_y
      - .offset:         104
        .size:           8
        .value_kind:     hidden_global_offset_z
      - .offset:         112
        .size:           2
        .value_kind:     hidden_grid_dims
    .group_segment_fixed_size: 0
    .kernarg_segment_align: 8
    .kernarg_segment_size: 304
    .language:       OpenCL C
    .language_version:
      - 2
      - 0
    .max_flat_workgroup_size: 1024
    .name:           _ZN12_GLOBAL__N_121softmax_warp_backwardIdddLi7ELb0ELb1ELi32EEEvPT0_PKT_S5_iiiPKb
    .private_segment_fixed_size: 0
    .sgpr_count:     18
    .sgpr_spill_count: 0
    .symbol:         _ZN12_GLOBAL__N_121softmax_warp_backwardIdddLi7ELb0ELb1ELi32EEEvPT0_PKT_S5_iiiPKb.kd
    .uniform_work_group_size: 1
    .uses_dynamic_stack: false
    .vgpr_count:     53
    .vgpr_spill_count: 0
    .wavefront_size: 32
    .workgroup_processor_mode: 1
  - .args:
      - .address_space:  global
        .offset:         0
        .size:           8
        .value_kind:     global_buffer
      - .address_space:  global
        .offset:         8
        .size:           8
        .value_kind:     global_buffer
      - .address_space:  global
        .offset:         16
        .size:           8
        .value_kind:     global_buffer
      - .offset:         24
        .size:           4
        .value_kind:     by_value
      - .offset:         28
        .size:           4
        .value_kind:     by_value
      - .offset:         32
        .size:           4
        .value_kind:     by_value
      - .address_space:  global
        .offset:         40
        .size:           8
        .value_kind:     global_buffer
      - .offset:         48
        .size:           4
        .value_kind:     hidden_block_count_x
      - .offset:         52
        .size:           4
        .value_kind:     hidden_block_count_y
      - .offset:         56
        .size:           4
        .value_kind:     hidden_block_count_z
      - .offset:         60
        .size:           2
        .value_kind:     hidden_group_size_x
      - .offset:         62
        .size:           2
        .value_kind:     hidden_group_size_y
      - .offset:         64
        .size:           2
        .value_kind:     hidden_group_size_z
      - .offset:         66
        .size:           2
        .value_kind:     hidden_remainder_x
      - .offset:         68
        .size:           2
        .value_kind:     hidden_remainder_y
      - .offset:         70
        .size:           2
        .value_kind:     hidden_remainder_z
      - .offset:         88
        .size:           8
        .value_kind:     hidden_global_offset_x
      - .offset:         96
        .size:           8
        .value_kind:     hidden_global_offset_y
      - .offset:         104
        .size:           8
        .value_kind:     hidden_global_offset_z
      - .offset:         112
        .size:           2
        .value_kind:     hidden_grid_dims
    .group_segment_fixed_size: 0
    .kernarg_segment_align: 8
    .kernarg_segment_size: 304
    .language:       OpenCL C
    .language_version:
      - 2
      - 0
    .max_flat_workgroup_size: 1024
    .name:           _ZN12_GLOBAL__N_121softmax_warp_backwardIdddLi8ELb0ELb1ELi64EEEvPT0_PKT_S5_iiiPKb
    .private_segment_fixed_size: 0
    .sgpr_count:     14
    .sgpr_spill_count: 0
    .symbol:         _ZN12_GLOBAL__N_121softmax_warp_backwardIdddLi8ELb0ELb1ELi64EEEvPT0_PKT_S5_iiiPKb.kd
    .uniform_work_group_size: 1
    .uses_dynamic_stack: false
    .vgpr_count:     28
    .vgpr_spill_count: 0
    .wavefront_size: 32
    .workgroup_processor_mode: 1
  - .args:
      - .address_space:  global
        .offset:         0
        .size:           8
        .value_kind:     global_buffer
      - .address_space:  global
        .offset:         8
        .size:           8
        .value_kind:     global_buffer
      - .address_space:  global
        .offset:         16
        .size:           8
        .value_kind:     global_buffer
      - .offset:         24
        .size:           4
        .value_kind:     by_value
      - .offset:         28
        .size:           4
        .value_kind:     by_value
      - .offset:         32
        .size:           4
        .value_kind:     by_value
      - .address_space:  global
        .offset:         40
        .size:           8
        .value_kind:     global_buffer
      - .offset:         48
        .size:           4
        .value_kind:     hidden_block_count_x
      - .offset:         52
        .size:           4
        .value_kind:     hidden_block_count_y
      - .offset:         56
        .size:           4
        .value_kind:     hidden_block_count_z
      - .offset:         60
        .size:           2
        .value_kind:     hidden_group_size_x
      - .offset:         62
        .size:           2
        .value_kind:     hidden_group_size_y
      - .offset:         64
        .size:           2
        .value_kind:     hidden_group_size_z
      - .offset:         66
        .size:           2
        .value_kind:     hidden_remainder_x
      - .offset:         68
        .size:           2
        .value_kind:     hidden_remainder_y
      - .offset:         70
        .size:           2
        .value_kind:     hidden_remainder_z
      - .offset:         88
        .size:           8
        .value_kind:     hidden_global_offset_x
      - .offset:         96
        .size:           8
        .value_kind:     hidden_global_offset_y
      - .offset:         104
        .size:           8
        .value_kind:     hidden_global_offset_z
      - .offset:         112
        .size:           2
        .value_kind:     hidden_grid_dims
    .group_segment_fixed_size: 0
    .kernarg_segment_align: 8
    .kernarg_segment_size: 304
    .language:       OpenCL C
    .language_version:
      - 2
      - 0
    .max_flat_workgroup_size: 1024
    .name:           _ZN12_GLOBAL__N_121softmax_warp_backwardIdddLi8ELb0ELb1ELi32EEEvPT0_PKT_S5_iiiPKb
    .private_segment_fixed_size: 0
    .sgpr_count:     18
    .sgpr_spill_count: 0
    .symbol:         _ZN12_GLOBAL__N_121softmax_warp_backwardIdddLi8ELb0ELb1ELi32EEEvPT0_PKT_S5_iiiPKb.kd
    .uniform_work_group_size: 1
    .uses_dynamic_stack: false
    .vgpr_count:     48
    .vgpr_spill_count: 0
    .wavefront_size: 32
    .workgroup_processor_mode: 1
  - .args:
      - .address_space:  global
        .offset:         0
        .size:           8
        .value_kind:     global_buffer
      - .address_space:  global
        .offset:         8
        .size:           8
        .value_kind:     global_buffer
      - .address_space:  global
        .offset:         16
        .size:           8
        .value_kind:     global_buffer
      - .offset:         24
        .size:           4
        .value_kind:     by_value
      - .offset:         28
        .size:           4
        .value_kind:     by_value
      - .offset:         32
        .size:           4
        .value_kind:     by_value
      - .address_space:  global
        .offset:         40
        .size:           8
        .value_kind:     global_buffer
      - .offset:         48
        .size:           4
        .value_kind:     hidden_block_count_x
      - .offset:         52
        .size:           4
        .value_kind:     hidden_block_count_y
      - .offset:         56
        .size:           4
        .value_kind:     hidden_block_count_z
      - .offset:         60
        .size:           2
        .value_kind:     hidden_group_size_x
      - .offset:         62
        .size:           2
        .value_kind:     hidden_group_size_y
      - .offset:         64
        .size:           2
        .value_kind:     hidden_group_size_z
      - .offset:         66
        .size:           2
        .value_kind:     hidden_remainder_x
      - .offset:         68
        .size:           2
        .value_kind:     hidden_remainder_y
      - .offset:         70
        .size:           2
        .value_kind:     hidden_remainder_z
      - .offset:         88
        .size:           8
        .value_kind:     hidden_global_offset_x
      - .offset:         96
        .size:           8
        .value_kind:     hidden_global_offset_y
      - .offset:         104
        .size:           8
        .value_kind:     hidden_global_offset_z
      - .offset:         112
        .size:           2
        .value_kind:     hidden_grid_dims
    .group_segment_fixed_size: 0
    .kernarg_segment_align: 8
    .kernarg_segment_size: 304
    .language:       OpenCL C
    .language_version:
      - 2
      - 0
    .max_flat_workgroup_size: 1024
    .name:           _ZN12_GLOBAL__N_121softmax_warp_backwardIdddLi9ELb0ELb1ELi64EEEvPT0_PKT_S5_iiiPKb
    .private_segment_fixed_size: 0
    .sgpr_count:     18
    .sgpr_spill_count: 0
    .symbol:         _ZN12_GLOBAL__N_121softmax_warp_backwardIdddLi9ELb0ELb1ELi64EEEvPT0_PKT_S5_iiiPKb.kd
    .uniform_work_group_size: 1
    .uses_dynamic_stack: false
    .vgpr_count:     48
    .vgpr_spill_count: 0
    .wavefront_size: 32
    .workgroup_processor_mode: 1
  - .args:
      - .address_space:  global
        .offset:         0
        .size:           8
        .value_kind:     global_buffer
      - .address_space:  global
        .offset:         8
        .size:           8
        .value_kind:     global_buffer
      - .address_space:  global
        .offset:         16
        .size:           8
        .value_kind:     global_buffer
      - .offset:         24
        .size:           4
        .value_kind:     by_value
      - .offset:         28
        .size:           4
        .value_kind:     by_value
      - .offset:         32
        .size:           4
        .value_kind:     by_value
      - .address_space:  global
        .offset:         40
        .size:           8
        .value_kind:     global_buffer
      - .offset:         48
        .size:           4
        .value_kind:     hidden_block_count_x
      - .offset:         52
        .size:           4
        .value_kind:     hidden_block_count_y
      - .offset:         56
        .size:           4
        .value_kind:     hidden_block_count_z
      - .offset:         60
        .size:           2
        .value_kind:     hidden_group_size_x
      - .offset:         62
        .size:           2
        .value_kind:     hidden_group_size_y
      - .offset:         64
        .size:           2
        .value_kind:     hidden_group_size_z
      - .offset:         66
        .size:           2
        .value_kind:     hidden_remainder_x
      - .offset:         68
        .size:           2
        .value_kind:     hidden_remainder_y
      - .offset:         70
        .size:           2
        .value_kind:     hidden_remainder_z
      - .offset:         88
        .size:           8
        .value_kind:     hidden_global_offset_x
      - .offset:         96
        .size:           8
        .value_kind:     hidden_global_offset_y
      - .offset:         104
        .size:           8
        .value_kind:     hidden_global_offset_z
      - .offset:         112
        .size:           2
        .value_kind:     hidden_grid_dims
    .group_segment_fixed_size: 0
    .kernarg_segment_align: 8
    .kernarg_segment_size: 304
    .language:       OpenCL C
    .language_version:
      - 2
      - 0
    .max_flat_workgroup_size: 1024
    .name:           _ZN12_GLOBAL__N_121softmax_warp_backwardIdddLi9ELb0ELb1ELi32EEEvPT0_PKT_S5_iiiPKb
    .private_segment_fixed_size: 0
    .sgpr_count:     26
    .sgpr_spill_count: 0
    .symbol:         _ZN12_GLOBAL__N_121softmax_warp_backwardIdddLi9ELb0ELb1ELi32EEEvPT0_PKT_S5_iiiPKb.kd
    .uniform_work_group_size: 1
    .uses_dynamic_stack: false
    .vgpr_count:     74
    .vgpr_spill_count: 0
    .wavefront_size: 32
    .workgroup_processor_mode: 1
  - .args:
      - .address_space:  global
        .offset:         0
        .size:           8
        .value_kind:     global_buffer
      - .address_space:  global
        .offset:         8
        .size:           8
        .value_kind:     global_buffer
      - .address_space:  global
        .offset:         16
        .size:           8
        .value_kind:     global_buffer
      - .offset:         24
        .size:           4
        .value_kind:     by_value
      - .offset:         28
        .size:           4
        .value_kind:     by_value
      - .offset:         32
        .size:           4
        .value_kind:     by_value
      - .address_space:  global
        .offset:         40
        .size:           8
        .value_kind:     global_buffer
      - .offset:         48
        .size:           4
        .value_kind:     hidden_block_count_x
      - .offset:         52
        .size:           4
        .value_kind:     hidden_block_count_y
      - .offset:         56
        .size:           4
        .value_kind:     hidden_block_count_z
      - .offset:         60
        .size:           2
        .value_kind:     hidden_group_size_x
      - .offset:         62
        .size:           2
        .value_kind:     hidden_group_size_y
      - .offset:         64
        .size:           2
        .value_kind:     hidden_group_size_z
      - .offset:         66
        .size:           2
        .value_kind:     hidden_remainder_x
      - .offset:         68
        .size:           2
        .value_kind:     hidden_remainder_y
      - .offset:         70
        .size:           2
        .value_kind:     hidden_remainder_z
      - .offset:         88
        .size:           8
        .value_kind:     hidden_global_offset_x
      - .offset:         96
        .size:           8
        .value_kind:     hidden_global_offset_y
      - .offset:         104
        .size:           8
        .value_kind:     hidden_global_offset_z
      - .offset:         112
        .size:           2
        .value_kind:     hidden_grid_dims
    .group_segment_fixed_size: 0
    .kernarg_segment_align: 8
    .kernarg_segment_size: 304
    .language:       OpenCL C
    .language_version:
      - 2
      - 0
    .max_flat_workgroup_size: 1024
    .name:           _ZN12_GLOBAL__N_121softmax_warp_backwardIdddLi10ELb0ELb1ELi64EEEvPT0_PKT_S5_iiiPKb
    .private_segment_fixed_size: 0
    .sgpr_count:     26
    .sgpr_spill_count: 0
    .symbol:         _ZN12_GLOBAL__N_121softmax_warp_backwardIdddLi10ELb0ELb1ELi64EEEvPT0_PKT_S5_iiiPKb.kd
    .uniform_work_group_size: 1
    .uses_dynamic_stack: false
    .vgpr_count:     74
    .vgpr_spill_count: 0
    .wavefront_size: 32
    .workgroup_processor_mode: 1
  - .args:
      - .address_space:  global
        .offset:         0
        .size:           8
        .value_kind:     global_buffer
      - .address_space:  global
        .offset:         8
        .size:           8
        .value_kind:     global_buffer
      - .address_space:  global
        .offset:         16
        .size:           8
        .value_kind:     global_buffer
      - .offset:         24
        .size:           4
        .value_kind:     by_value
      - .offset:         28
        .size:           4
        .value_kind:     by_value
      - .offset:         32
        .size:           4
        .value_kind:     by_value
      - .address_space:  global
        .offset:         40
        .size:           8
        .value_kind:     global_buffer
      - .offset:         48
        .size:           4
        .value_kind:     hidden_block_count_x
      - .offset:         52
        .size:           4
        .value_kind:     hidden_block_count_y
      - .offset:         56
        .size:           4
        .value_kind:     hidden_block_count_z
      - .offset:         60
        .size:           2
        .value_kind:     hidden_group_size_x
      - .offset:         62
        .size:           2
        .value_kind:     hidden_group_size_y
      - .offset:         64
        .size:           2
        .value_kind:     hidden_group_size_z
      - .offset:         66
        .size:           2
        .value_kind:     hidden_remainder_x
      - .offset:         68
        .size:           2
        .value_kind:     hidden_remainder_y
      - .offset:         70
        .size:           2
        .value_kind:     hidden_remainder_z
      - .offset:         88
        .size:           8
        .value_kind:     hidden_global_offset_x
      - .offset:         96
        .size:           8
        .value_kind:     hidden_global_offset_y
      - .offset:         104
        .size:           8
        .value_kind:     hidden_global_offset_z
      - .offset:         112
        .size:           2
        .value_kind:     hidden_grid_dims
    .group_segment_fixed_size: 0
    .kernarg_segment_align: 8
    .kernarg_segment_size: 304
    .language:       OpenCL C
    .language_version:
      - 2
      - 0
    .max_flat_workgroup_size: 1024
    .name:           _ZN12_GLOBAL__N_121softmax_warp_backwardIdddLi10ELb0ELb1ELi32EEEvPT0_PKT_S5_iiiPKb
    .private_segment_fixed_size: 44
    .sgpr_count:     78
    .sgpr_spill_count: 0
    .symbol:         _ZN12_GLOBAL__N_121softmax_warp_backwardIdddLi10ELb0ELb1ELi32EEEvPT0_PKT_S5_iiiPKb.kd
    .uniform_work_group_size: 1
    .uses_dynamic_stack: false
    .vgpr_count:     128
    .vgpr_spill_count: 20
    .wavefront_size: 32
    .workgroup_processor_mode: 1
  - .args:
      - .address_space:  global
        .offset:         0
        .size:           8
        .value_kind:     global_buffer
      - .address_space:  global
        .offset:         8
        .size:           8
        .value_kind:     global_buffer
      - .address_space:  global
        .offset:         16
        .size:           8
        .value_kind:     global_buffer
      - .offset:         24
        .size:           4
        .value_kind:     by_value
      - .offset:         28
        .size:           4
        .value_kind:     by_value
      - .offset:         32
        .size:           4
        .value_kind:     by_value
      - .address_space:  global
        .offset:         40
        .size:           8
        .value_kind:     global_buffer
      - .offset:         48
        .size:           4
        .value_kind:     hidden_block_count_x
      - .offset:         52
        .size:           4
        .value_kind:     hidden_block_count_y
      - .offset:         56
        .size:           4
        .value_kind:     hidden_block_count_z
      - .offset:         60
        .size:           2
        .value_kind:     hidden_group_size_x
      - .offset:         62
        .size:           2
        .value_kind:     hidden_group_size_y
      - .offset:         64
        .size:           2
        .value_kind:     hidden_group_size_z
      - .offset:         66
        .size:           2
        .value_kind:     hidden_remainder_x
      - .offset:         68
        .size:           2
        .value_kind:     hidden_remainder_y
      - .offset:         70
        .size:           2
        .value_kind:     hidden_remainder_z
      - .offset:         88
        .size:           8
        .value_kind:     hidden_global_offset_x
      - .offset:         96
        .size:           8
        .value_kind:     hidden_global_offset_y
      - .offset:         104
        .size:           8
        .value_kind:     hidden_global_offset_z
      - .offset:         112
        .size:           2
        .value_kind:     hidden_grid_dims
    .group_segment_fixed_size: 0
    .kernarg_segment_align: 8
    .kernarg_segment_size: 304
    .language:       OpenCL C
    .language_version:
      - 2
      - 0
    .max_flat_workgroup_size: 1024
    .name:           _ZN12_GLOBAL__N_121softmax_warp_backwardIfffLi0ELb0ELb1ELi64EEEvPT0_PKT_S5_iiiPKb
    .private_segment_fixed_size: 0
    .sgpr_count:     14
    .sgpr_spill_count: 0
    .symbol:         _ZN12_GLOBAL__N_121softmax_warp_backwardIfffLi0ELb0ELb1ELi64EEEvPT0_PKT_S5_iiiPKb.kd
    .uniform_work_group_size: 1
    .uses_dynamic_stack: false
    .vgpr_count:     13
    .vgpr_spill_count: 0
    .wavefront_size: 32
    .workgroup_processor_mode: 1
  - .args:
      - .address_space:  global
        .offset:         0
        .size:           8
        .value_kind:     global_buffer
      - .address_space:  global
        .offset:         8
        .size:           8
        .value_kind:     global_buffer
      - .address_space:  global
        .offset:         16
        .size:           8
        .value_kind:     global_buffer
      - .offset:         24
        .size:           4
        .value_kind:     by_value
      - .offset:         28
        .size:           4
        .value_kind:     by_value
      - .offset:         32
        .size:           4
        .value_kind:     by_value
      - .address_space:  global
        .offset:         40
        .size:           8
        .value_kind:     global_buffer
      - .offset:         48
        .size:           4
        .value_kind:     hidden_block_count_x
      - .offset:         52
        .size:           4
        .value_kind:     hidden_block_count_y
      - .offset:         56
        .size:           4
        .value_kind:     hidden_block_count_z
      - .offset:         60
        .size:           2
        .value_kind:     hidden_group_size_x
      - .offset:         62
        .size:           2
        .value_kind:     hidden_group_size_y
      - .offset:         64
        .size:           2
        .value_kind:     hidden_group_size_z
      - .offset:         66
        .size:           2
        .value_kind:     hidden_remainder_x
      - .offset:         68
        .size:           2
        .value_kind:     hidden_remainder_y
      - .offset:         70
        .size:           2
        .value_kind:     hidden_remainder_z
      - .offset:         88
        .size:           8
        .value_kind:     hidden_global_offset_x
      - .offset:         96
        .size:           8
        .value_kind:     hidden_global_offset_y
      - .offset:         104
        .size:           8
        .value_kind:     hidden_global_offset_z
      - .offset:         112
        .size:           2
        .value_kind:     hidden_grid_dims
    .group_segment_fixed_size: 0
    .kernarg_segment_align: 8
    .kernarg_segment_size: 304
    .language:       OpenCL C
    .language_version:
      - 2
      - 0
    .max_flat_workgroup_size: 1024
    .name:           _ZN12_GLOBAL__N_121softmax_warp_backwardIfffLi0ELb0ELb1ELi32EEEvPT0_PKT_S5_iiiPKb
    .private_segment_fixed_size: 0
    .sgpr_count:     14
    .sgpr_spill_count: 0
    .symbol:         _ZN12_GLOBAL__N_121softmax_warp_backwardIfffLi0ELb0ELb1ELi32EEEvPT0_PKT_S5_iiiPKb.kd
    .uniform_work_group_size: 1
    .uses_dynamic_stack: false
    .vgpr_count:     13
    .vgpr_spill_count: 0
    .wavefront_size: 32
    .workgroup_processor_mode: 1
  - .args:
      - .address_space:  global
        .offset:         0
        .size:           8
        .value_kind:     global_buffer
      - .address_space:  global
        .offset:         8
        .size:           8
        .value_kind:     global_buffer
      - .address_space:  global
        .offset:         16
        .size:           8
        .value_kind:     global_buffer
      - .offset:         24
        .size:           4
        .value_kind:     by_value
      - .offset:         28
        .size:           4
        .value_kind:     by_value
      - .offset:         32
        .size:           4
        .value_kind:     by_value
      - .address_space:  global
        .offset:         40
        .size:           8
        .value_kind:     global_buffer
      - .offset:         48
        .size:           4
        .value_kind:     hidden_block_count_x
      - .offset:         52
        .size:           4
        .value_kind:     hidden_block_count_y
      - .offset:         56
        .size:           4
        .value_kind:     hidden_block_count_z
      - .offset:         60
        .size:           2
        .value_kind:     hidden_group_size_x
      - .offset:         62
        .size:           2
        .value_kind:     hidden_group_size_y
      - .offset:         64
        .size:           2
        .value_kind:     hidden_group_size_z
      - .offset:         66
        .size:           2
        .value_kind:     hidden_remainder_x
      - .offset:         68
        .size:           2
        .value_kind:     hidden_remainder_y
      - .offset:         70
        .size:           2
        .value_kind:     hidden_remainder_z
      - .offset:         88
        .size:           8
        .value_kind:     hidden_global_offset_x
      - .offset:         96
        .size:           8
        .value_kind:     hidden_global_offset_y
      - .offset:         104
        .size:           8
        .value_kind:     hidden_global_offset_z
      - .offset:         112
        .size:           2
        .value_kind:     hidden_grid_dims
    .group_segment_fixed_size: 0
    .kernarg_segment_align: 8
    .kernarg_segment_size: 304
    .language:       OpenCL C
    .language_version:
      - 2
      - 0
    .max_flat_workgroup_size: 1024
    .name:           _ZN12_GLOBAL__N_121softmax_warp_backwardIfffLi1ELb0ELb1ELi64EEEvPT0_PKT_S5_iiiPKb
    .private_segment_fixed_size: 0
    .sgpr_count:     18
    .sgpr_spill_count: 0
    .symbol:         _ZN12_GLOBAL__N_121softmax_warp_backwardIfffLi1ELb0ELb1ELi64EEEvPT0_PKT_S5_iiiPKb.kd
    .uniform_work_group_size: 1
    .uses_dynamic_stack: false
    .vgpr_count:     15
    .vgpr_spill_count: 0
    .wavefront_size: 32
    .workgroup_processor_mode: 1
  - .args:
      - .address_space:  global
        .offset:         0
        .size:           8
        .value_kind:     global_buffer
      - .address_space:  global
        .offset:         8
        .size:           8
        .value_kind:     global_buffer
      - .address_space:  global
        .offset:         16
        .size:           8
        .value_kind:     global_buffer
      - .offset:         24
        .size:           4
        .value_kind:     by_value
      - .offset:         28
        .size:           4
        .value_kind:     by_value
      - .offset:         32
        .size:           4
        .value_kind:     by_value
      - .address_space:  global
        .offset:         40
        .size:           8
        .value_kind:     global_buffer
      - .offset:         48
        .size:           4
        .value_kind:     hidden_block_count_x
      - .offset:         52
        .size:           4
        .value_kind:     hidden_block_count_y
      - .offset:         56
        .size:           4
        .value_kind:     hidden_block_count_z
      - .offset:         60
        .size:           2
        .value_kind:     hidden_group_size_x
      - .offset:         62
        .size:           2
        .value_kind:     hidden_group_size_y
      - .offset:         64
        .size:           2
        .value_kind:     hidden_group_size_z
      - .offset:         66
        .size:           2
        .value_kind:     hidden_remainder_x
      - .offset:         68
        .size:           2
        .value_kind:     hidden_remainder_y
      - .offset:         70
        .size:           2
        .value_kind:     hidden_remainder_z
      - .offset:         88
        .size:           8
        .value_kind:     hidden_global_offset_x
      - .offset:         96
        .size:           8
        .value_kind:     hidden_global_offset_y
      - .offset:         104
        .size:           8
        .value_kind:     hidden_global_offset_z
      - .offset:         112
        .size:           2
        .value_kind:     hidden_grid_dims
    .group_segment_fixed_size: 0
    .kernarg_segment_align: 8
    .kernarg_segment_size: 304
    .language:       OpenCL C
    .language_version:
      - 2
      - 0
    .max_flat_workgroup_size: 1024
    .name:           _ZN12_GLOBAL__N_121softmax_warp_backwardIfffLi1ELb0ELb1ELi32EEEvPT0_PKT_S5_iiiPKb
    .private_segment_fixed_size: 0
    .sgpr_count:     18
    .sgpr_spill_count: 0
    .symbol:         _ZN12_GLOBAL__N_121softmax_warp_backwardIfffLi1ELb0ELb1ELi32EEEvPT0_PKT_S5_iiiPKb.kd
    .uniform_work_group_size: 1
    .uses_dynamic_stack: false
    .vgpr_count:     15
    .vgpr_spill_count: 0
    .wavefront_size: 32
    .workgroup_processor_mode: 1
  - .args:
      - .address_space:  global
        .offset:         0
        .size:           8
        .value_kind:     global_buffer
      - .address_space:  global
        .offset:         8
        .size:           8
        .value_kind:     global_buffer
      - .address_space:  global
        .offset:         16
        .size:           8
        .value_kind:     global_buffer
      - .offset:         24
        .size:           4
        .value_kind:     by_value
      - .offset:         28
        .size:           4
        .value_kind:     by_value
      - .offset:         32
        .size:           4
        .value_kind:     by_value
      - .address_space:  global
        .offset:         40
        .size:           8
        .value_kind:     global_buffer
      - .offset:         48
        .size:           4
        .value_kind:     hidden_block_count_x
      - .offset:         52
        .size:           4
        .value_kind:     hidden_block_count_y
      - .offset:         56
        .size:           4
        .value_kind:     hidden_block_count_z
      - .offset:         60
        .size:           2
        .value_kind:     hidden_group_size_x
      - .offset:         62
        .size:           2
        .value_kind:     hidden_group_size_y
      - .offset:         64
        .size:           2
        .value_kind:     hidden_group_size_z
      - .offset:         66
        .size:           2
        .value_kind:     hidden_remainder_x
      - .offset:         68
        .size:           2
        .value_kind:     hidden_remainder_y
      - .offset:         70
        .size:           2
        .value_kind:     hidden_remainder_z
      - .offset:         88
        .size:           8
        .value_kind:     hidden_global_offset_x
      - .offset:         96
        .size:           8
        .value_kind:     hidden_global_offset_y
      - .offset:         104
        .size:           8
        .value_kind:     hidden_global_offset_z
      - .offset:         112
        .size:           2
        .value_kind:     hidden_grid_dims
    .group_segment_fixed_size: 0
    .kernarg_segment_align: 8
    .kernarg_segment_size: 304
    .language:       OpenCL C
    .language_version:
      - 2
      - 0
    .max_flat_workgroup_size: 1024
    .name:           _ZN12_GLOBAL__N_121softmax_warp_backwardIfffLi2ELb0ELb1ELi64EEEvPT0_PKT_S5_iiiPKb
    .private_segment_fixed_size: 0
    .sgpr_count:     18
    .sgpr_spill_count: 0
    .symbol:         _ZN12_GLOBAL__N_121softmax_warp_backwardIfffLi2ELb0ELb1ELi64EEEvPT0_PKT_S5_iiiPKb.kd
    .uniform_work_group_size: 1
    .uses_dynamic_stack: false
    .vgpr_count:     15
    .vgpr_spill_count: 0
    .wavefront_size: 32
    .workgroup_processor_mode: 1
  - .args:
      - .address_space:  global
        .offset:         0
        .size:           8
        .value_kind:     global_buffer
      - .address_space:  global
        .offset:         8
        .size:           8
        .value_kind:     global_buffer
      - .address_space:  global
        .offset:         16
        .size:           8
        .value_kind:     global_buffer
      - .offset:         24
        .size:           4
        .value_kind:     by_value
      - .offset:         28
        .size:           4
        .value_kind:     by_value
      - .offset:         32
        .size:           4
        .value_kind:     by_value
      - .address_space:  global
        .offset:         40
        .size:           8
        .value_kind:     global_buffer
      - .offset:         48
        .size:           4
        .value_kind:     hidden_block_count_x
      - .offset:         52
        .size:           4
        .value_kind:     hidden_block_count_y
      - .offset:         56
        .size:           4
        .value_kind:     hidden_block_count_z
      - .offset:         60
        .size:           2
        .value_kind:     hidden_group_size_x
      - .offset:         62
        .size:           2
        .value_kind:     hidden_group_size_y
      - .offset:         64
        .size:           2
        .value_kind:     hidden_group_size_z
      - .offset:         66
        .size:           2
        .value_kind:     hidden_remainder_x
      - .offset:         68
        .size:           2
        .value_kind:     hidden_remainder_y
      - .offset:         70
        .size:           2
        .value_kind:     hidden_remainder_z
      - .offset:         88
        .size:           8
        .value_kind:     hidden_global_offset_x
      - .offset:         96
        .size:           8
        .value_kind:     hidden_global_offset_y
      - .offset:         104
        .size:           8
        .value_kind:     hidden_global_offset_z
      - .offset:         112
        .size:           2
        .value_kind:     hidden_grid_dims
    .group_segment_fixed_size: 0
    .kernarg_segment_align: 8
    .kernarg_segment_size: 304
    .language:       OpenCL C
    .language_version:
      - 2
      - 0
    .max_flat_workgroup_size: 1024
    .name:           _ZN12_GLOBAL__N_121softmax_warp_backwardIfffLi2ELb0ELb1ELi32EEEvPT0_PKT_S5_iiiPKb
    .private_segment_fixed_size: 0
    .sgpr_count:     18
    .sgpr_spill_count: 0
    .symbol:         _ZN12_GLOBAL__N_121softmax_warp_backwardIfffLi2ELb0ELb1ELi32EEEvPT0_PKT_S5_iiiPKb.kd
    .uniform_work_group_size: 1
    .uses_dynamic_stack: false
    .vgpr_count:     15
    .vgpr_spill_count: 0
    .wavefront_size: 32
    .workgroup_processor_mode: 1
  - .args:
      - .address_space:  global
        .offset:         0
        .size:           8
        .value_kind:     global_buffer
      - .address_space:  global
        .offset:         8
        .size:           8
        .value_kind:     global_buffer
      - .address_space:  global
        .offset:         16
        .size:           8
        .value_kind:     global_buffer
      - .offset:         24
        .size:           4
        .value_kind:     by_value
      - .offset:         28
        .size:           4
        .value_kind:     by_value
      - .offset:         32
        .size:           4
        .value_kind:     by_value
      - .address_space:  global
        .offset:         40
        .size:           8
        .value_kind:     global_buffer
      - .offset:         48
        .size:           4
        .value_kind:     hidden_block_count_x
      - .offset:         52
        .size:           4
        .value_kind:     hidden_block_count_y
      - .offset:         56
        .size:           4
        .value_kind:     hidden_block_count_z
      - .offset:         60
        .size:           2
        .value_kind:     hidden_group_size_x
      - .offset:         62
        .size:           2
        .value_kind:     hidden_group_size_y
      - .offset:         64
        .size:           2
        .value_kind:     hidden_group_size_z
      - .offset:         66
        .size:           2
        .value_kind:     hidden_remainder_x
      - .offset:         68
        .size:           2
        .value_kind:     hidden_remainder_y
      - .offset:         70
        .size:           2
        .value_kind:     hidden_remainder_z
      - .offset:         88
        .size:           8
        .value_kind:     hidden_global_offset_x
      - .offset:         96
        .size:           8
        .value_kind:     hidden_global_offset_y
      - .offset:         104
        .size:           8
        .value_kind:     hidden_global_offset_z
      - .offset:         112
        .size:           2
        .value_kind:     hidden_grid_dims
    .group_segment_fixed_size: 0
    .kernarg_segment_align: 8
    .kernarg_segment_size: 304
    .language:       OpenCL C
    .language_version:
      - 2
      - 0
    .max_flat_workgroup_size: 1024
    .name:           _ZN12_GLOBAL__N_121softmax_warp_backwardIfffLi3ELb0ELb1ELi64EEEvPT0_PKT_S5_iiiPKb
    .private_segment_fixed_size: 0
    .sgpr_count:     18
    .sgpr_spill_count: 0
    .symbol:         _ZN12_GLOBAL__N_121softmax_warp_backwardIfffLi3ELb0ELb1ELi64EEEvPT0_PKT_S5_iiiPKb.kd
    .uniform_work_group_size: 1
    .uses_dynamic_stack: false
    .vgpr_count:     15
    .vgpr_spill_count: 0
    .wavefront_size: 32
    .workgroup_processor_mode: 1
  - .args:
      - .address_space:  global
        .offset:         0
        .size:           8
        .value_kind:     global_buffer
      - .address_space:  global
        .offset:         8
        .size:           8
        .value_kind:     global_buffer
      - .address_space:  global
        .offset:         16
        .size:           8
        .value_kind:     global_buffer
      - .offset:         24
        .size:           4
        .value_kind:     by_value
      - .offset:         28
        .size:           4
        .value_kind:     by_value
      - .offset:         32
        .size:           4
        .value_kind:     by_value
      - .address_space:  global
        .offset:         40
        .size:           8
        .value_kind:     global_buffer
      - .offset:         48
        .size:           4
        .value_kind:     hidden_block_count_x
      - .offset:         52
        .size:           4
        .value_kind:     hidden_block_count_y
      - .offset:         56
        .size:           4
        .value_kind:     hidden_block_count_z
      - .offset:         60
        .size:           2
        .value_kind:     hidden_group_size_x
      - .offset:         62
        .size:           2
        .value_kind:     hidden_group_size_y
      - .offset:         64
        .size:           2
        .value_kind:     hidden_group_size_z
      - .offset:         66
        .size:           2
        .value_kind:     hidden_remainder_x
      - .offset:         68
        .size:           2
        .value_kind:     hidden_remainder_y
      - .offset:         70
        .size:           2
        .value_kind:     hidden_remainder_z
      - .offset:         88
        .size:           8
        .value_kind:     hidden_global_offset_x
      - .offset:         96
        .size:           8
        .value_kind:     hidden_global_offset_y
      - .offset:         104
        .size:           8
        .value_kind:     hidden_global_offset_z
      - .offset:         112
        .size:           2
        .value_kind:     hidden_grid_dims
    .group_segment_fixed_size: 0
    .kernarg_segment_align: 8
    .kernarg_segment_size: 304
    .language:       OpenCL C
    .language_version:
      - 2
      - 0
    .max_flat_workgroup_size: 1024
    .name:           _ZN12_GLOBAL__N_121softmax_warp_backwardIfffLi3ELb0ELb1ELi32EEEvPT0_PKT_S5_iiiPKb
    .private_segment_fixed_size: 0
    .sgpr_count:     18
    .sgpr_spill_count: 0
    .symbol:         _ZN12_GLOBAL__N_121softmax_warp_backwardIfffLi3ELb0ELb1ELi32EEEvPT0_PKT_S5_iiiPKb.kd
    .uniform_work_group_size: 1
    .uses_dynamic_stack: false
    .vgpr_count:     15
    .vgpr_spill_count: 0
    .wavefront_size: 32
    .workgroup_processor_mode: 1
  - .args:
      - .address_space:  global
        .offset:         0
        .size:           8
        .value_kind:     global_buffer
      - .address_space:  global
        .offset:         8
        .size:           8
        .value_kind:     global_buffer
      - .address_space:  global
        .offset:         16
        .size:           8
        .value_kind:     global_buffer
      - .offset:         24
        .size:           4
        .value_kind:     by_value
      - .offset:         28
        .size:           4
        .value_kind:     by_value
      - .offset:         32
        .size:           4
        .value_kind:     by_value
      - .address_space:  global
        .offset:         40
        .size:           8
        .value_kind:     global_buffer
      - .offset:         48
        .size:           4
        .value_kind:     hidden_block_count_x
      - .offset:         52
        .size:           4
        .value_kind:     hidden_block_count_y
      - .offset:         56
        .size:           4
        .value_kind:     hidden_block_count_z
      - .offset:         60
        .size:           2
        .value_kind:     hidden_group_size_x
      - .offset:         62
        .size:           2
        .value_kind:     hidden_group_size_y
      - .offset:         64
        .size:           2
        .value_kind:     hidden_group_size_z
      - .offset:         66
        .size:           2
        .value_kind:     hidden_remainder_x
      - .offset:         68
        .size:           2
        .value_kind:     hidden_remainder_y
      - .offset:         70
        .size:           2
        .value_kind:     hidden_remainder_z
      - .offset:         88
        .size:           8
        .value_kind:     hidden_global_offset_x
      - .offset:         96
        .size:           8
        .value_kind:     hidden_global_offset_y
      - .offset:         104
        .size:           8
        .value_kind:     hidden_global_offset_z
      - .offset:         112
        .size:           2
        .value_kind:     hidden_grid_dims
    .group_segment_fixed_size: 0
    .kernarg_segment_align: 8
    .kernarg_segment_size: 304
    .language:       OpenCL C
    .language_version:
      - 2
      - 0
    .max_flat_workgroup_size: 1024
    .name:           _ZN12_GLOBAL__N_121softmax_warp_backwardIfffLi4ELb0ELb1ELi64EEEvPT0_PKT_S5_iiiPKb
    .private_segment_fixed_size: 0
    .sgpr_count:     18
    .sgpr_spill_count: 0
    .symbol:         _ZN12_GLOBAL__N_121softmax_warp_backwardIfffLi4ELb0ELb1ELi64EEEvPT0_PKT_S5_iiiPKb.kd
    .uniform_work_group_size: 1
    .uses_dynamic_stack: false
    .vgpr_count:     15
    .vgpr_spill_count: 0
    .wavefront_size: 32
    .workgroup_processor_mode: 1
  - .args:
      - .address_space:  global
        .offset:         0
        .size:           8
        .value_kind:     global_buffer
      - .address_space:  global
        .offset:         8
        .size:           8
        .value_kind:     global_buffer
      - .address_space:  global
        .offset:         16
        .size:           8
        .value_kind:     global_buffer
      - .offset:         24
        .size:           4
        .value_kind:     by_value
      - .offset:         28
        .size:           4
        .value_kind:     by_value
      - .offset:         32
        .size:           4
        .value_kind:     by_value
      - .address_space:  global
        .offset:         40
        .size:           8
        .value_kind:     global_buffer
      - .offset:         48
        .size:           4
        .value_kind:     hidden_block_count_x
      - .offset:         52
        .size:           4
        .value_kind:     hidden_block_count_y
      - .offset:         56
        .size:           4
        .value_kind:     hidden_block_count_z
      - .offset:         60
        .size:           2
        .value_kind:     hidden_group_size_x
      - .offset:         62
        .size:           2
        .value_kind:     hidden_group_size_y
      - .offset:         64
        .size:           2
        .value_kind:     hidden_group_size_z
      - .offset:         66
        .size:           2
        .value_kind:     hidden_remainder_x
      - .offset:         68
        .size:           2
        .value_kind:     hidden_remainder_y
      - .offset:         70
        .size:           2
        .value_kind:     hidden_remainder_z
      - .offset:         88
        .size:           8
        .value_kind:     hidden_global_offset_x
      - .offset:         96
        .size:           8
        .value_kind:     hidden_global_offset_y
      - .offset:         104
        .size:           8
        .value_kind:     hidden_global_offset_z
      - .offset:         112
        .size:           2
        .value_kind:     hidden_grid_dims
    .group_segment_fixed_size: 0
    .kernarg_segment_align: 8
    .kernarg_segment_size: 304
    .language:       OpenCL C
    .language_version:
      - 2
      - 0
    .max_flat_workgroup_size: 1024
    .name:           _ZN12_GLOBAL__N_121softmax_warp_backwardIfffLi4ELb0ELb1ELi32EEEvPT0_PKT_S5_iiiPKb
    .private_segment_fixed_size: 0
    .sgpr_count:     18
    .sgpr_spill_count: 0
    .symbol:         _ZN12_GLOBAL__N_121softmax_warp_backwardIfffLi4ELb0ELb1ELi32EEEvPT0_PKT_S5_iiiPKb.kd
    .uniform_work_group_size: 1
    .uses_dynamic_stack: false
    .vgpr_count:     15
    .vgpr_spill_count: 0
    .wavefront_size: 32
    .workgroup_processor_mode: 1
  - .args:
      - .address_space:  global
        .offset:         0
        .size:           8
        .value_kind:     global_buffer
      - .address_space:  global
        .offset:         8
        .size:           8
        .value_kind:     global_buffer
      - .address_space:  global
        .offset:         16
        .size:           8
        .value_kind:     global_buffer
      - .offset:         24
        .size:           4
        .value_kind:     by_value
      - .offset:         28
        .size:           4
        .value_kind:     by_value
      - .offset:         32
        .size:           4
        .value_kind:     by_value
      - .address_space:  global
        .offset:         40
        .size:           8
        .value_kind:     global_buffer
      - .offset:         48
        .size:           4
        .value_kind:     hidden_block_count_x
      - .offset:         52
        .size:           4
        .value_kind:     hidden_block_count_y
      - .offset:         56
        .size:           4
        .value_kind:     hidden_block_count_z
      - .offset:         60
        .size:           2
        .value_kind:     hidden_group_size_x
      - .offset:         62
        .size:           2
        .value_kind:     hidden_group_size_y
      - .offset:         64
        .size:           2
        .value_kind:     hidden_group_size_z
      - .offset:         66
        .size:           2
        .value_kind:     hidden_remainder_x
      - .offset:         68
        .size:           2
        .value_kind:     hidden_remainder_y
      - .offset:         70
        .size:           2
        .value_kind:     hidden_remainder_z
      - .offset:         88
        .size:           8
        .value_kind:     hidden_global_offset_x
      - .offset:         96
        .size:           8
        .value_kind:     hidden_global_offset_y
      - .offset:         104
        .size:           8
        .value_kind:     hidden_global_offset_z
      - .offset:         112
        .size:           2
        .value_kind:     hidden_grid_dims
    .group_segment_fixed_size: 0
    .kernarg_segment_align: 8
    .kernarg_segment_size: 304
    .language:       OpenCL C
    .language_version:
      - 2
      - 0
    .max_flat_workgroup_size: 1024
    .name:           _ZN12_GLOBAL__N_121softmax_warp_backwardIfffLi5ELb0ELb1ELi64EEEvPT0_PKT_S5_iiiPKb
    .private_segment_fixed_size: 0
    .sgpr_count:     18
    .sgpr_spill_count: 0
    .symbol:         _ZN12_GLOBAL__N_121softmax_warp_backwardIfffLi5ELb0ELb1ELi64EEEvPT0_PKT_S5_iiiPKb.kd
    .uniform_work_group_size: 1
    .uses_dynamic_stack: false
    .vgpr_count:     15
    .vgpr_spill_count: 0
    .wavefront_size: 32
    .workgroup_processor_mode: 1
  - .args:
      - .address_space:  global
        .offset:         0
        .size:           8
        .value_kind:     global_buffer
      - .address_space:  global
        .offset:         8
        .size:           8
        .value_kind:     global_buffer
      - .address_space:  global
        .offset:         16
        .size:           8
        .value_kind:     global_buffer
      - .offset:         24
        .size:           4
        .value_kind:     by_value
      - .offset:         28
        .size:           4
        .value_kind:     by_value
      - .offset:         32
        .size:           4
        .value_kind:     by_value
      - .address_space:  global
        .offset:         40
        .size:           8
        .value_kind:     global_buffer
      - .offset:         48
        .size:           4
        .value_kind:     hidden_block_count_x
      - .offset:         52
        .size:           4
        .value_kind:     hidden_block_count_y
      - .offset:         56
        .size:           4
        .value_kind:     hidden_block_count_z
      - .offset:         60
        .size:           2
        .value_kind:     hidden_group_size_x
      - .offset:         62
        .size:           2
        .value_kind:     hidden_group_size_y
      - .offset:         64
        .size:           2
        .value_kind:     hidden_group_size_z
      - .offset:         66
        .size:           2
        .value_kind:     hidden_remainder_x
      - .offset:         68
        .size:           2
        .value_kind:     hidden_remainder_y
      - .offset:         70
        .size:           2
        .value_kind:     hidden_remainder_z
      - .offset:         88
        .size:           8
        .value_kind:     hidden_global_offset_x
      - .offset:         96
        .size:           8
        .value_kind:     hidden_global_offset_y
      - .offset:         104
        .size:           8
        .value_kind:     hidden_global_offset_z
      - .offset:         112
        .size:           2
        .value_kind:     hidden_grid_dims
    .group_segment_fixed_size: 0
    .kernarg_segment_align: 8
    .kernarg_segment_size: 304
    .language:       OpenCL C
    .language_version:
      - 2
      - 0
    .max_flat_workgroup_size: 1024
    .name:           _ZN12_GLOBAL__N_121softmax_warp_backwardIfffLi5ELb0ELb1ELi32EEEvPT0_PKT_S5_iiiPKb
    .private_segment_fixed_size: 0
    .sgpr_count:     18
    .sgpr_spill_count: 0
    .symbol:         _ZN12_GLOBAL__N_121softmax_warp_backwardIfffLi5ELb0ELb1ELi32EEEvPT0_PKT_S5_iiiPKb.kd
    .uniform_work_group_size: 1
    .uses_dynamic_stack: false
    .vgpr_count:     15
    .vgpr_spill_count: 0
    .wavefront_size: 32
    .workgroup_processor_mode: 1
  - .args:
      - .address_space:  global
        .offset:         0
        .size:           8
        .value_kind:     global_buffer
      - .address_space:  global
        .offset:         8
        .size:           8
        .value_kind:     global_buffer
      - .address_space:  global
        .offset:         16
        .size:           8
        .value_kind:     global_buffer
      - .offset:         24
        .size:           4
        .value_kind:     by_value
      - .offset:         28
        .size:           4
        .value_kind:     by_value
      - .offset:         32
        .size:           4
        .value_kind:     by_value
      - .address_space:  global
        .offset:         40
        .size:           8
        .value_kind:     global_buffer
      - .offset:         48
        .size:           4
        .value_kind:     hidden_block_count_x
      - .offset:         52
        .size:           4
        .value_kind:     hidden_block_count_y
      - .offset:         56
        .size:           4
        .value_kind:     hidden_block_count_z
      - .offset:         60
        .size:           2
        .value_kind:     hidden_group_size_x
      - .offset:         62
        .size:           2
        .value_kind:     hidden_group_size_y
      - .offset:         64
        .size:           2
        .value_kind:     hidden_group_size_z
      - .offset:         66
        .size:           2
        .value_kind:     hidden_remainder_x
      - .offset:         68
        .size:           2
        .value_kind:     hidden_remainder_y
      - .offset:         70
        .size:           2
        .value_kind:     hidden_remainder_z
      - .offset:         88
        .size:           8
        .value_kind:     hidden_global_offset_x
      - .offset:         96
        .size:           8
        .value_kind:     hidden_global_offset_y
      - .offset:         104
        .size:           8
        .value_kind:     hidden_global_offset_z
      - .offset:         112
        .size:           2
        .value_kind:     hidden_grid_dims
    .group_segment_fixed_size: 0
    .kernarg_segment_align: 8
    .kernarg_segment_size: 304
    .language:       OpenCL C
    .language_version:
      - 2
      - 0
    .max_flat_workgroup_size: 1024
    .name:           _ZN12_GLOBAL__N_121softmax_warp_backwardIfffLi6ELb0ELb1ELi64EEEvPT0_PKT_S5_iiiPKb
    .private_segment_fixed_size: 0
    .sgpr_count:     18
    .sgpr_spill_count: 0
    .symbol:         _ZN12_GLOBAL__N_121softmax_warp_backwardIfffLi6ELb0ELb1ELi64EEEvPT0_PKT_S5_iiiPKb.kd
    .uniform_work_group_size: 1
    .uses_dynamic_stack: false
    .vgpr_count:     15
    .vgpr_spill_count: 0
    .wavefront_size: 32
    .workgroup_processor_mode: 1
  - .args:
      - .address_space:  global
        .offset:         0
        .size:           8
        .value_kind:     global_buffer
      - .address_space:  global
        .offset:         8
        .size:           8
        .value_kind:     global_buffer
      - .address_space:  global
        .offset:         16
        .size:           8
        .value_kind:     global_buffer
      - .offset:         24
        .size:           4
        .value_kind:     by_value
      - .offset:         28
        .size:           4
        .value_kind:     by_value
      - .offset:         32
        .size:           4
        .value_kind:     by_value
      - .address_space:  global
        .offset:         40
        .size:           8
        .value_kind:     global_buffer
      - .offset:         48
        .size:           4
        .value_kind:     hidden_block_count_x
      - .offset:         52
        .size:           4
        .value_kind:     hidden_block_count_y
      - .offset:         56
        .size:           4
        .value_kind:     hidden_block_count_z
      - .offset:         60
        .size:           2
        .value_kind:     hidden_group_size_x
      - .offset:         62
        .size:           2
        .value_kind:     hidden_group_size_y
      - .offset:         64
        .size:           2
        .value_kind:     hidden_group_size_z
      - .offset:         66
        .size:           2
        .value_kind:     hidden_remainder_x
      - .offset:         68
        .size:           2
        .value_kind:     hidden_remainder_y
      - .offset:         70
        .size:           2
        .value_kind:     hidden_remainder_z
      - .offset:         88
        .size:           8
        .value_kind:     hidden_global_offset_x
      - .offset:         96
        .size:           8
        .value_kind:     hidden_global_offset_y
      - .offset:         104
        .size:           8
        .value_kind:     hidden_global_offset_z
      - .offset:         112
        .size:           2
        .value_kind:     hidden_grid_dims
    .group_segment_fixed_size: 0
    .kernarg_segment_align: 8
    .kernarg_segment_size: 304
    .language:       OpenCL C
    .language_version:
      - 2
      - 0
    .max_flat_workgroup_size: 1024
    .name:           _ZN12_GLOBAL__N_121softmax_warp_backwardIfffLi6ELb0ELb1ELi32EEEvPT0_PKT_S5_iiiPKb
    .private_segment_fixed_size: 0
    .sgpr_count:     18
    .sgpr_spill_count: 0
    .symbol:         _ZN12_GLOBAL__N_121softmax_warp_backwardIfffLi6ELb0ELb1ELi32EEEvPT0_PKT_S5_iiiPKb.kd
    .uniform_work_group_size: 1
    .uses_dynamic_stack: false
    .vgpr_count:     19
    .vgpr_spill_count: 0
    .wavefront_size: 32
    .workgroup_processor_mode: 1
  - .args:
      - .address_space:  global
        .offset:         0
        .size:           8
        .value_kind:     global_buffer
      - .address_space:  global
        .offset:         8
        .size:           8
        .value_kind:     global_buffer
      - .address_space:  global
        .offset:         16
        .size:           8
        .value_kind:     global_buffer
      - .offset:         24
        .size:           4
        .value_kind:     by_value
      - .offset:         28
        .size:           4
        .value_kind:     by_value
      - .offset:         32
        .size:           4
        .value_kind:     by_value
      - .address_space:  global
        .offset:         40
        .size:           8
        .value_kind:     global_buffer
      - .offset:         48
        .size:           4
        .value_kind:     hidden_block_count_x
      - .offset:         52
        .size:           4
        .value_kind:     hidden_block_count_y
      - .offset:         56
        .size:           4
        .value_kind:     hidden_block_count_z
      - .offset:         60
        .size:           2
        .value_kind:     hidden_group_size_x
      - .offset:         62
        .size:           2
        .value_kind:     hidden_group_size_y
      - .offset:         64
        .size:           2
        .value_kind:     hidden_group_size_z
      - .offset:         66
        .size:           2
        .value_kind:     hidden_remainder_x
      - .offset:         68
        .size:           2
        .value_kind:     hidden_remainder_y
      - .offset:         70
        .size:           2
        .value_kind:     hidden_remainder_z
      - .offset:         88
        .size:           8
        .value_kind:     hidden_global_offset_x
      - .offset:         96
        .size:           8
        .value_kind:     hidden_global_offset_y
      - .offset:         104
        .size:           8
        .value_kind:     hidden_global_offset_z
      - .offset:         112
        .size:           2
        .value_kind:     hidden_grid_dims
    .group_segment_fixed_size: 0
    .kernarg_segment_align: 8
    .kernarg_segment_size: 304
    .language:       OpenCL C
    .language_version:
      - 2
      - 0
    .max_flat_workgroup_size: 1024
    .name:           _ZN12_GLOBAL__N_121softmax_warp_backwardIfffLi7ELb0ELb1ELi64EEEvPT0_PKT_S5_iiiPKb
    .private_segment_fixed_size: 0
    .sgpr_count:     18
    .sgpr_spill_count: 0
    .symbol:         _ZN12_GLOBAL__N_121softmax_warp_backwardIfffLi7ELb0ELb1ELi64EEEvPT0_PKT_S5_iiiPKb.kd
    .uniform_work_group_size: 1
    .uses_dynamic_stack: false
    .vgpr_count:     19
    .vgpr_spill_count: 0
    .wavefront_size: 32
    .workgroup_processor_mode: 1
  - .args:
      - .address_space:  global
        .offset:         0
        .size:           8
        .value_kind:     global_buffer
      - .address_space:  global
        .offset:         8
        .size:           8
        .value_kind:     global_buffer
      - .address_space:  global
        .offset:         16
        .size:           8
        .value_kind:     global_buffer
      - .offset:         24
        .size:           4
        .value_kind:     by_value
      - .offset:         28
        .size:           4
        .value_kind:     by_value
      - .offset:         32
        .size:           4
        .value_kind:     by_value
      - .address_space:  global
        .offset:         40
        .size:           8
        .value_kind:     global_buffer
      - .offset:         48
        .size:           4
        .value_kind:     hidden_block_count_x
      - .offset:         52
        .size:           4
        .value_kind:     hidden_block_count_y
      - .offset:         56
        .size:           4
        .value_kind:     hidden_block_count_z
      - .offset:         60
        .size:           2
        .value_kind:     hidden_group_size_x
      - .offset:         62
        .size:           2
        .value_kind:     hidden_group_size_y
      - .offset:         64
        .size:           2
        .value_kind:     hidden_group_size_z
      - .offset:         66
        .size:           2
        .value_kind:     hidden_remainder_x
      - .offset:         68
        .size:           2
        .value_kind:     hidden_remainder_y
      - .offset:         70
        .size:           2
        .value_kind:     hidden_remainder_z
      - .offset:         88
        .size:           8
        .value_kind:     hidden_global_offset_x
      - .offset:         96
        .size:           8
        .value_kind:     hidden_global_offset_y
      - .offset:         104
        .size:           8
        .value_kind:     hidden_global_offset_z
      - .offset:         112
        .size:           2
        .value_kind:     hidden_grid_dims
    .group_segment_fixed_size: 0
    .kernarg_segment_align: 8
    .kernarg_segment_size: 304
    .language:       OpenCL C
    .language_version:
      - 2
      - 0
    .max_flat_workgroup_size: 1024
    .name:           _ZN12_GLOBAL__N_121softmax_warp_backwardIfffLi7ELb0ELb1ELi32EEEvPT0_PKT_S5_iiiPKb
    .private_segment_fixed_size: 0
    .sgpr_count:     22
    .sgpr_spill_count: 0
    .symbol:         _ZN12_GLOBAL__N_121softmax_warp_backwardIfffLi7ELb0ELb1ELi32EEEvPT0_PKT_S5_iiiPKb.kd
    .uniform_work_group_size: 1
    .uses_dynamic_stack: false
    .vgpr_count:     29
    .vgpr_spill_count: 0
    .wavefront_size: 32
    .workgroup_processor_mode: 1
  - .args:
      - .address_space:  global
        .offset:         0
        .size:           8
        .value_kind:     global_buffer
      - .address_space:  global
        .offset:         8
        .size:           8
        .value_kind:     global_buffer
      - .address_space:  global
        .offset:         16
        .size:           8
        .value_kind:     global_buffer
      - .offset:         24
        .size:           4
        .value_kind:     by_value
      - .offset:         28
        .size:           4
        .value_kind:     by_value
      - .offset:         32
        .size:           4
        .value_kind:     by_value
      - .address_space:  global
        .offset:         40
        .size:           8
        .value_kind:     global_buffer
      - .offset:         48
        .size:           4
        .value_kind:     hidden_block_count_x
      - .offset:         52
        .size:           4
        .value_kind:     hidden_block_count_y
      - .offset:         56
        .size:           4
        .value_kind:     hidden_block_count_z
      - .offset:         60
        .size:           2
        .value_kind:     hidden_group_size_x
      - .offset:         62
        .size:           2
        .value_kind:     hidden_group_size_y
      - .offset:         64
        .size:           2
        .value_kind:     hidden_group_size_z
      - .offset:         66
        .size:           2
        .value_kind:     hidden_remainder_x
      - .offset:         68
        .size:           2
        .value_kind:     hidden_remainder_y
      - .offset:         70
        .size:           2
        .value_kind:     hidden_remainder_z
      - .offset:         88
        .size:           8
        .value_kind:     hidden_global_offset_x
      - .offset:         96
        .size:           8
        .value_kind:     hidden_global_offset_y
      - .offset:         104
        .size:           8
        .value_kind:     hidden_global_offset_z
      - .offset:         112
        .size:           2
        .value_kind:     hidden_grid_dims
    .group_segment_fixed_size: 0
    .kernarg_segment_align: 8
    .kernarg_segment_size: 304
    .language:       OpenCL C
    .language_version:
      - 2
      - 0
    .max_flat_workgroup_size: 1024
    .name:           _ZN12_GLOBAL__N_121softmax_warp_backwardIfffLi8ELb0ELb1ELi64EEEvPT0_PKT_S5_iiiPKb
    .private_segment_fixed_size: 0
    .sgpr_count:     14
    .sgpr_spill_count: 0
    .symbol:         _ZN12_GLOBAL__N_121softmax_warp_backwardIfffLi8ELb0ELb1ELi64EEEvPT0_PKT_S5_iiiPKb.kd
    .uniform_work_group_size: 1
    .uses_dynamic_stack: false
    .vgpr_count:     17
    .vgpr_spill_count: 0
    .wavefront_size: 32
    .workgroup_processor_mode: 1
  - .args:
      - .address_space:  global
        .offset:         0
        .size:           8
        .value_kind:     global_buffer
      - .address_space:  global
        .offset:         8
        .size:           8
        .value_kind:     global_buffer
      - .address_space:  global
        .offset:         16
        .size:           8
        .value_kind:     global_buffer
      - .offset:         24
        .size:           4
        .value_kind:     by_value
      - .offset:         28
        .size:           4
        .value_kind:     by_value
      - .offset:         32
        .size:           4
        .value_kind:     by_value
      - .address_space:  global
        .offset:         40
        .size:           8
        .value_kind:     global_buffer
      - .offset:         48
        .size:           4
        .value_kind:     hidden_block_count_x
      - .offset:         52
        .size:           4
        .value_kind:     hidden_block_count_y
      - .offset:         56
        .size:           4
        .value_kind:     hidden_block_count_z
      - .offset:         60
        .size:           2
        .value_kind:     hidden_group_size_x
      - .offset:         62
        .size:           2
        .value_kind:     hidden_group_size_y
      - .offset:         64
        .size:           2
        .value_kind:     hidden_group_size_z
      - .offset:         66
        .size:           2
        .value_kind:     hidden_remainder_x
      - .offset:         68
        .size:           2
        .value_kind:     hidden_remainder_y
      - .offset:         70
        .size:           2
        .value_kind:     hidden_remainder_z
      - .offset:         88
        .size:           8
        .value_kind:     hidden_global_offset_x
      - .offset:         96
        .size:           8
        .value_kind:     hidden_global_offset_y
      - .offset:         104
        .size:           8
        .value_kind:     hidden_global_offset_z
      - .offset:         112
        .size:           2
        .value_kind:     hidden_grid_dims
    .group_segment_fixed_size: 0
    .kernarg_segment_align: 8
    .kernarg_segment_size: 304
    .language:       OpenCL C
    .language_version:
      - 2
      - 0
    .max_flat_workgroup_size: 1024
    .name:           _ZN12_GLOBAL__N_121softmax_warp_backwardIfffLi8ELb0ELb1ELi32EEEvPT0_PKT_S5_iiiPKb
    .private_segment_fixed_size: 0
    .sgpr_count:     22
    .sgpr_spill_count: 0
    .symbol:         _ZN12_GLOBAL__N_121softmax_warp_backwardIfffLi8ELb0ELb1ELi32EEEvPT0_PKT_S5_iiiPKb.kd
    .uniform_work_group_size: 1
    .uses_dynamic_stack: false
    .vgpr_count:     28
    .vgpr_spill_count: 0
    .wavefront_size: 32
    .workgroup_processor_mode: 1
  - .args:
      - .address_space:  global
        .offset:         0
        .size:           8
        .value_kind:     global_buffer
      - .address_space:  global
        .offset:         8
        .size:           8
        .value_kind:     global_buffer
      - .address_space:  global
        .offset:         16
        .size:           8
        .value_kind:     global_buffer
      - .offset:         24
        .size:           4
        .value_kind:     by_value
      - .offset:         28
        .size:           4
        .value_kind:     by_value
      - .offset:         32
        .size:           4
        .value_kind:     by_value
      - .address_space:  global
        .offset:         40
        .size:           8
        .value_kind:     global_buffer
      - .offset:         48
        .size:           4
        .value_kind:     hidden_block_count_x
      - .offset:         52
        .size:           4
        .value_kind:     hidden_block_count_y
      - .offset:         56
        .size:           4
        .value_kind:     hidden_block_count_z
      - .offset:         60
        .size:           2
        .value_kind:     hidden_group_size_x
      - .offset:         62
        .size:           2
        .value_kind:     hidden_group_size_y
      - .offset:         64
        .size:           2
        .value_kind:     hidden_group_size_z
      - .offset:         66
        .size:           2
        .value_kind:     hidden_remainder_x
      - .offset:         68
        .size:           2
        .value_kind:     hidden_remainder_y
      - .offset:         70
        .size:           2
        .value_kind:     hidden_remainder_z
      - .offset:         88
        .size:           8
        .value_kind:     hidden_global_offset_x
      - .offset:         96
        .size:           8
        .value_kind:     hidden_global_offset_y
      - .offset:         104
        .size:           8
        .value_kind:     hidden_global_offset_z
      - .offset:         112
        .size:           2
        .value_kind:     hidden_grid_dims
    .group_segment_fixed_size: 0
    .kernarg_segment_align: 8
    .kernarg_segment_size: 304
    .language:       OpenCL C
    .language_version:
      - 2
      - 0
    .max_flat_workgroup_size: 1024
    .name:           _ZN12_GLOBAL__N_121softmax_warp_backwardIfffLi9ELb0ELb1ELi64EEEvPT0_PKT_S5_iiiPKb
    .private_segment_fixed_size: 0
    .sgpr_count:     22
    .sgpr_spill_count: 0
    .symbol:         _ZN12_GLOBAL__N_121softmax_warp_backwardIfffLi9ELb0ELb1ELi64EEEvPT0_PKT_S5_iiiPKb.kd
    .uniform_work_group_size: 1
    .uses_dynamic_stack: false
    .vgpr_count:     28
    .vgpr_spill_count: 0
    .wavefront_size: 32
    .workgroup_processor_mode: 1
  - .args:
      - .address_space:  global
        .offset:         0
        .size:           8
        .value_kind:     global_buffer
      - .address_space:  global
        .offset:         8
        .size:           8
        .value_kind:     global_buffer
      - .address_space:  global
        .offset:         16
        .size:           8
        .value_kind:     global_buffer
      - .offset:         24
        .size:           4
        .value_kind:     by_value
      - .offset:         28
        .size:           4
        .value_kind:     by_value
      - .offset:         32
        .size:           4
        .value_kind:     by_value
      - .address_space:  global
        .offset:         40
        .size:           8
        .value_kind:     global_buffer
      - .offset:         48
        .size:           4
        .value_kind:     hidden_block_count_x
      - .offset:         52
        .size:           4
        .value_kind:     hidden_block_count_y
      - .offset:         56
        .size:           4
        .value_kind:     hidden_block_count_z
      - .offset:         60
        .size:           2
        .value_kind:     hidden_group_size_x
      - .offset:         62
        .size:           2
        .value_kind:     hidden_group_size_y
      - .offset:         64
        .size:           2
        .value_kind:     hidden_group_size_z
      - .offset:         66
        .size:           2
        .value_kind:     hidden_remainder_x
      - .offset:         68
        .size:           2
        .value_kind:     hidden_remainder_y
      - .offset:         70
        .size:           2
        .value_kind:     hidden_remainder_z
      - .offset:         88
        .size:           8
        .value_kind:     hidden_global_offset_x
      - .offset:         96
        .size:           8
        .value_kind:     hidden_global_offset_y
      - .offset:         104
        .size:           8
        .value_kind:     hidden_global_offset_z
      - .offset:         112
        .size:           2
        .value_kind:     hidden_grid_dims
    .group_segment_fixed_size: 0
    .kernarg_segment_align: 8
    .kernarg_segment_size: 304
    .language:       OpenCL C
    .language_version:
      - 2
      - 0
    .max_flat_workgroup_size: 1024
    .name:           _ZN12_GLOBAL__N_121softmax_warp_backwardIfffLi9ELb0ELb1ELi32EEEvPT0_PKT_S5_iiiPKb
    .private_segment_fixed_size: 0
    .sgpr_count:     34
    .sgpr_spill_count: 0
    .symbol:         _ZN12_GLOBAL__N_121softmax_warp_backwardIfffLi9ELb0ELb1ELi32EEEvPT0_PKT_S5_iiiPKb.kd
    .uniform_work_group_size: 1
    .uses_dynamic_stack: false
    .vgpr_count:     54
    .vgpr_spill_count: 0
    .wavefront_size: 32
    .workgroup_processor_mode: 1
  - .args:
      - .address_space:  global
        .offset:         0
        .size:           8
        .value_kind:     global_buffer
      - .address_space:  global
        .offset:         8
        .size:           8
        .value_kind:     global_buffer
      - .address_space:  global
        .offset:         16
        .size:           8
        .value_kind:     global_buffer
      - .offset:         24
        .size:           4
        .value_kind:     by_value
      - .offset:         28
        .size:           4
        .value_kind:     by_value
      - .offset:         32
        .size:           4
        .value_kind:     by_value
      - .address_space:  global
        .offset:         40
        .size:           8
        .value_kind:     global_buffer
      - .offset:         48
        .size:           4
        .value_kind:     hidden_block_count_x
      - .offset:         52
        .size:           4
        .value_kind:     hidden_block_count_y
      - .offset:         56
        .size:           4
        .value_kind:     hidden_block_count_z
      - .offset:         60
        .size:           2
        .value_kind:     hidden_group_size_x
      - .offset:         62
        .size:           2
        .value_kind:     hidden_group_size_y
      - .offset:         64
        .size:           2
        .value_kind:     hidden_group_size_z
      - .offset:         66
        .size:           2
        .value_kind:     hidden_remainder_x
      - .offset:         68
        .size:           2
        .value_kind:     hidden_remainder_y
      - .offset:         70
        .size:           2
        .value_kind:     hidden_remainder_z
      - .offset:         88
        .size:           8
        .value_kind:     hidden_global_offset_x
      - .offset:         96
        .size:           8
        .value_kind:     hidden_global_offset_y
      - .offset:         104
        .size:           8
        .value_kind:     hidden_global_offset_z
      - .offset:         112
        .size:           2
        .value_kind:     hidden_grid_dims
    .group_segment_fixed_size: 0
    .kernarg_segment_align: 8
    .kernarg_segment_size: 304
    .language:       OpenCL C
    .language_version:
      - 2
      - 0
    .max_flat_workgroup_size: 1024
    .name:           _ZN12_GLOBAL__N_121softmax_warp_backwardIfffLi10ELb0ELb1ELi64EEEvPT0_PKT_S5_iiiPKb
    .private_segment_fixed_size: 0
    .sgpr_count:     30
    .sgpr_spill_count: 0
    .symbol:         _ZN12_GLOBAL__N_121softmax_warp_backwardIfffLi10ELb0ELb1ELi64EEEvPT0_PKT_S5_iiiPKb.kd
    .uniform_work_group_size: 1
    .uses_dynamic_stack: false
    .vgpr_count:     54
    .vgpr_spill_count: 0
    .wavefront_size: 32
    .workgroup_processor_mode: 1
  - .args:
      - .address_space:  global
        .offset:         0
        .size:           8
        .value_kind:     global_buffer
      - .address_space:  global
        .offset:         8
        .size:           8
        .value_kind:     global_buffer
      - .address_space:  global
        .offset:         16
        .size:           8
        .value_kind:     global_buffer
      - .offset:         24
        .size:           4
        .value_kind:     by_value
      - .offset:         28
        .size:           4
        .value_kind:     by_value
      - .offset:         32
        .size:           4
        .value_kind:     by_value
      - .address_space:  global
        .offset:         40
        .size:           8
        .value_kind:     global_buffer
      - .offset:         48
        .size:           4
        .value_kind:     hidden_block_count_x
      - .offset:         52
        .size:           4
        .value_kind:     hidden_block_count_y
      - .offset:         56
        .size:           4
        .value_kind:     hidden_block_count_z
      - .offset:         60
        .size:           2
        .value_kind:     hidden_group_size_x
      - .offset:         62
        .size:           2
        .value_kind:     hidden_group_size_y
      - .offset:         64
        .size:           2
        .value_kind:     hidden_group_size_z
      - .offset:         66
        .size:           2
        .value_kind:     hidden_remainder_x
      - .offset:         68
        .size:           2
        .value_kind:     hidden_remainder_y
      - .offset:         70
        .size:           2
        .value_kind:     hidden_remainder_z
      - .offset:         88
        .size:           8
        .value_kind:     hidden_global_offset_x
      - .offset:         96
        .size:           8
        .value_kind:     hidden_global_offset_y
      - .offset:         104
        .size:           8
        .value_kind:     hidden_global_offset_z
      - .offset:         112
        .size:           2
        .value_kind:     hidden_grid_dims
    .group_segment_fixed_size: 0
    .kernarg_segment_align: 8
    .kernarg_segment_size: 304
    .language:       OpenCL C
    .language_version:
      - 2
      - 0
    .max_flat_workgroup_size: 1024
    .name:           _ZN12_GLOBAL__N_121softmax_warp_backwardIfffLi10ELb0ELb1ELi32EEEvPT0_PKT_S5_iiiPKb
    .private_segment_fixed_size: 0
    .sgpr_count:     50
    .sgpr_spill_count: 0
    .symbol:         _ZN12_GLOBAL__N_121softmax_warp_backwardIfffLi10ELb0ELb1ELi32EEEvPT0_PKT_S5_iiiPKb.kd
    .uniform_work_group_size: 1
    .uses_dynamic_stack: false
    .vgpr_count:     76
    .vgpr_spill_count: 0
    .wavefront_size: 32
    .workgroup_processor_mode: 1
  - .args:
      - .address_space:  global
        .offset:         0
        .size:           8
        .value_kind:     global_buffer
      - .address_space:  global
        .offset:         8
        .size:           8
        .value_kind:     global_buffer
      - .address_space:  global
        .offset:         16
        .size:           8
        .value_kind:     global_buffer
      - .offset:         24
        .size:           4
        .value_kind:     by_value
      - .offset:         28
        .size:           4
        .value_kind:     by_value
      - .offset:         32
        .size:           4
        .value_kind:     by_value
      - .address_space:  global
        .offset:         40
        .size:           8
        .value_kind:     global_buffer
      - .offset:         48
        .size:           4
        .value_kind:     hidden_block_count_x
      - .offset:         52
        .size:           4
        .value_kind:     hidden_block_count_y
      - .offset:         56
        .size:           4
        .value_kind:     hidden_block_count_z
      - .offset:         60
        .size:           2
        .value_kind:     hidden_group_size_x
      - .offset:         62
        .size:           2
        .value_kind:     hidden_group_size_y
      - .offset:         64
        .size:           2
        .value_kind:     hidden_group_size_z
      - .offset:         66
        .size:           2
        .value_kind:     hidden_remainder_x
      - .offset:         68
        .size:           2
        .value_kind:     hidden_remainder_y
      - .offset:         70
        .size:           2
        .value_kind:     hidden_remainder_z
      - .offset:         88
        .size:           8
        .value_kind:     hidden_global_offset_x
      - .offset:         96
        .size:           8
        .value_kind:     hidden_global_offset_y
      - .offset:         104
        .size:           8
        .value_kind:     hidden_global_offset_z
      - .offset:         112
        .size:           2
        .value_kind:     hidden_grid_dims
    .group_segment_fixed_size: 0
    .kernarg_segment_align: 8
    .kernarg_segment_size: 304
    .language:       OpenCL C
    .language_version:
      - 2
      - 0
    .max_flat_workgroup_size: 1024
    .name:           _ZN12_GLOBAL__N_121softmax_warp_backwardIN3c104HalfES2_fLi0ELb0ELb1ELi64EEEvPT0_PKT_S7_iiiPKb
    .private_segment_fixed_size: 0
    .sgpr_count:     14
    .sgpr_spill_count: 0
    .symbol:         _ZN12_GLOBAL__N_121softmax_warp_backwardIN3c104HalfES2_fLi0ELb0ELb1ELi64EEEvPT0_PKT_S7_iiiPKb.kd
    .uniform_work_group_size: 1
    .uses_dynamic_stack: false
    .vgpr_count:     13
    .vgpr_spill_count: 0
    .wavefront_size: 32
    .workgroup_processor_mode: 1
  - .args:
      - .address_space:  global
        .offset:         0
        .size:           8
        .value_kind:     global_buffer
      - .address_space:  global
        .offset:         8
        .size:           8
        .value_kind:     global_buffer
      - .address_space:  global
        .offset:         16
        .size:           8
        .value_kind:     global_buffer
      - .offset:         24
        .size:           4
        .value_kind:     by_value
      - .offset:         28
        .size:           4
        .value_kind:     by_value
      - .offset:         32
        .size:           4
        .value_kind:     by_value
      - .address_space:  global
        .offset:         40
        .size:           8
        .value_kind:     global_buffer
      - .offset:         48
        .size:           4
        .value_kind:     hidden_block_count_x
      - .offset:         52
        .size:           4
        .value_kind:     hidden_block_count_y
      - .offset:         56
        .size:           4
        .value_kind:     hidden_block_count_z
      - .offset:         60
        .size:           2
        .value_kind:     hidden_group_size_x
      - .offset:         62
        .size:           2
        .value_kind:     hidden_group_size_y
      - .offset:         64
        .size:           2
        .value_kind:     hidden_group_size_z
      - .offset:         66
        .size:           2
        .value_kind:     hidden_remainder_x
      - .offset:         68
        .size:           2
        .value_kind:     hidden_remainder_y
      - .offset:         70
        .size:           2
        .value_kind:     hidden_remainder_z
      - .offset:         88
        .size:           8
        .value_kind:     hidden_global_offset_x
      - .offset:         96
        .size:           8
        .value_kind:     hidden_global_offset_y
      - .offset:         104
        .size:           8
        .value_kind:     hidden_global_offset_z
      - .offset:         112
        .size:           2
        .value_kind:     hidden_grid_dims
    .group_segment_fixed_size: 0
    .kernarg_segment_align: 8
    .kernarg_segment_size: 304
    .language:       OpenCL C
    .language_version:
      - 2
      - 0
    .max_flat_workgroup_size: 1024
    .name:           _ZN12_GLOBAL__N_121softmax_warp_backwardIN3c104HalfES2_fLi0ELb0ELb1ELi32EEEvPT0_PKT_S7_iiiPKb
    .private_segment_fixed_size: 0
    .sgpr_count:     14
    .sgpr_spill_count: 0
    .symbol:         _ZN12_GLOBAL__N_121softmax_warp_backwardIN3c104HalfES2_fLi0ELb0ELb1ELi32EEEvPT0_PKT_S7_iiiPKb.kd
    .uniform_work_group_size: 1
    .uses_dynamic_stack: false
    .vgpr_count:     13
    .vgpr_spill_count: 0
    .wavefront_size: 32
    .workgroup_processor_mode: 1
  - .args:
      - .address_space:  global
        .offset:         0
        .size:           8
        .value_kind:     global_buffer
      - .address_space:  global
        .offset:         8
        .size:           8
        .value_kind:     global_buffer
      - .address_space:  global
        .offset:         16
        .size:           8
        .value_kind:     global_buffer
      - .offset:         24
        .size:           4
        .value_kind:     by_value
      - .offset:         28
        .size:           4
        .value_kind:     by_value
      - .offset:         32
        .size:           4
        .value_kind:     by_value
      - .address_space:  global
        .offset:         40
        .size:           8
        .value_kind:     global_buffer
      - .offset:         48
        .size:           4
        .value_kind:     hidden_block_count_x
      - .offset:         52
        .size:           4
        .value_kind:     hidden_block_count_y
      - .offset:         56
        .size:           4
        .value_kind:     hidden_block_count_z
      - .offset:         60
        .size:           2
        .value_kind:     hidden_group_size_x
      - .offset:         62
        .size:           2
        .value_kind:     hidden_group_size_y
      - .offset:         64
        .size:           2
        .value_kind:     hidden_group_size_z
      - .offset:         66
        .size:           2
        .value_kind:     hidden_remainder_x
      - .offset:         68
        .size:           2
        .value_kind:     hidden_remainder_y
      - .offset:         70
        .size:           2
        .value_kind:     hidden_remainder_z
      - .offset:         88
        .size:           8
        .value_kind:     hidden_global_offset_x
      - .offset:         96
        .size:           8
        .value_kind:     hidden_global_offset_y
      - .offset:         104
        .size:           8
        .value_kind:     hidden_global_offset_z
      - .offset:         112
        .size:           2
        .value_kind:     hidden_grid_dims
    .group_segment_fixed_size: 0
    .kernarg_segment_align: 8
    .kernarg_segment_size: 304
    .language:       OpenCL C
    .language_version:
      - 2
      - 0
    .max_flat_workgroup_size: 1024
    .name:           _ZN12_GLOBAL__N_121softmax_warp_backwardIN3c104HalfES2_fLi1ELb0ELb1ELi64EEEvPT0_PKT_S7_iiiPKb
    .private_segment_fixed_size: 0
    .sgpr_count:     18
    .sgpr_spill_count: 0
    .symbol:         _ZN12_GLOBAL__N_121softmax_warp_backwardIN3c104HalfES2_fLi1ELb0ELb1ELi64EEEvPT0_PKT_S7_iiiPKb.kd
    .uniform_work_group_size: 1
    .uses_dynamic_stack: false
    .vgpr_count:     15
    .vgpr_spill_count: 0
    .wavefront_size: 32
    .workgroup_processor_mode: 1
  - .args:
      - .address_space:  global
        .offset:         0
        .size:           8
        .value_kind:     global_buffer
      - .address_space:  global
        .offset:         8
        .size:           8
        .value_kind:     global_buffer
      - .address_space:  global
        .offset:         16
        .size:           8
        .value_kind:     global_buffer
      - .offset:         24
        .size:           4
        .value_kind:     by_value
      - .offset:         28
        .size:           4
        .value_kind:     by_value
      - .offset:         32
        .size:           4
        .value_kind:     by_value
      - .address_space:  global
        .offset:         40
        .size:           8
        .value_kind:     global_buffer
      - .offset:         48
        .size:           4
        .value_kind:     hidden_block_count_x
      - .offset:         52
        .size:           4
        .value_kind:     hidden_block_count_y
      - .offset:         56
        .size:           4
        .value_kind:     hidden_block_count_z
      - .offset:         60
        .size:           2
        .value_kind:     hidden_group_size_x
      - .offset:         62
        .size:           2
        .value_kind:     hidden_group_size_y
      - .offset:         64
        .size:           2
        .value_kind:     hidden_group_size_z
      - .offset:         66
        .size:           2
        .value_kind:     hidden_remainder_x
      - .offset:         68
        .size:           2
        .value_kind:     hidden_remainder_y
      - .offset:         70
        .size:           2
        .value_kind:     hidden_remainder_z
      - .offset:         88
        .size:           8
        .value_kind:     hidden_global_offset_x
      - .offset:         96
        .size:           8
        .value_kind:     hidden_global_offset_y
      - .offset:         104
        .size:           8
        .value_kind:     hidden_global_offset_z
      - .offset:         112
        .size:           2
        .value_kind:     hidden_grid_dims
    .group_segment_fixed_size: 0
    .kernarg_segment_align: 8
    .kernarg_segment_size: 304
    .language:       OpenCL C
    .language_version:
      - 2
      - 0
    .max_flat_workgroup_size: 1024
    .name:           _ZN12_GLOBAL__N_121softmax_warp_backwardIN3c104HalfES2_fLi1ELb0ELb1ELi32EEEvPT0_PKT_S7_iiiPKb
    .private_segment_fixed_size: 0
    .sgpr_count:     18
    .sgpr_spill_count: 0
    .symbol:         _ZN12_GLOBAL__N_121softmax_warp_backwardIN3c104HalfES2_fLi1ELb0ELb1ELi32EEEvPT0_PKT_S7_iiiPKb.kd
    .uniform_work_group_size: 1
    .uses_dynamic_stack: false
    .vgpr_count:     15
    .vgpr_spill_count: 0
    .wavefront_size: 32
    .workgroup_processor_mode: 1
  - .args:
      - .address_space:  global
        .offset:         0
        .size:           8
        .value_kind:     global_buffer
      - .address_space:  global
        .offset:         8
        .size:           8
        .value_kind:     global_buffer
      - .address_space:  global
        .offset:         16
        .size:           8
        .value_kind:     global_buffer
      - .offset:         24
        .size:           4
        .value_kind:     by_value
      - .offset:         28
        .size:           4
        .value_kind:     by_value
      - .offset:         32
        .size:           4
        .value_kind:     by_value
      - .address_space:  global
        .offset:         40
        .size:           8
        .value_kind:     global_buffer
      - .offset:         48
        .size:           4
        .value_kind:     hidden_block_count_x
      - .offset:         52
        .size:           4
        .value_kind:     hidden_block_count_y
      - .offset:         56
        .size:           4
        .value_kind:     hidden_block_count_z
      - .offset:         60
        .size:           2
        .value_kind:     hidden_group_size_x
      - .offset:         62
        .size:           2
        .value_kind:     hidden_group_size_y
      - .offset:         64
        .size:           2
        .value_kind:     hidden_group_size_z
      - .offset:         66
        .size:           2
        .value_kind:     hidden_remainder_x
      - .offset:         68
        .size:           2
        .value_kind:     hidden_remainder_y
      - .offset:         70
        .size:           2
        .value_kind:     hidden_remainder_z
      - .offset:         88
        .size:           8
        .value_kind:     hidden_global_offset_x
      - .offset:         96
        .size:           8
        .value_kind:     hidden_global_offset_y
      - .offset:         104
        .size:           8
        .value_kind:     hidden_global_offset_z
      - .offset:         112
        .size:           2
        .value_kind:     hidden_grid_dims
    .group_segment_fixed_size: 0
    .kernarg_segment_align: 8
    .kernarg_segment_size: 304
    .language:       OpenCL C
    .language_version:
      - 2
      - 0
    .max_flat_workgroup_size: 1024
    .name:           _ZN12_GLOBAL__N_121softmax_warp_backwardIN3c104HalfES2_fLi2ELb0ELb1ELi64EEEvPT0_PKT_S7_iiiPKb
    .private_segment_fixed_size: 0
    .sgpr_count:     18
    .sgpr_spill_count: 0
    .symbol:         _ZN12_GLOBAL__N_121softmax_warp_backwardIN3c104HalfES2_fLi2ELb0ELb1ELi64EEEvPT0_PKT_S7_iiiPKb.kd
    .uniform_work_group_size: 1
    .uses_dynamic_stack: false
    .vgpr_count:     15
    .vgpr_spill_count: 0
    .wavefront_size: 32
    .workgroup_processor_mode: 1
  - .args:
      - .address_space:  global
        .offset:         0
        .size:           8
        .value_kind:     global_buffer
      - .address_space:  global
        .offset:         8
        .size:           8
        .value_kind:     global_buffer
      - .address_space:  global
        .offset:         16
        .size:           8
        .value_kind:     global_buffer
      - .offset:         24
        .size:           4
        .value_kind:     by_value
      - .offset:         28
        .size:           4
        .value_kind:     by_value
      - .offset:         32
        .size:           4
        .value_kind:     by_value
      - .address_space:  global
        .offset:         40
        .size:           8
        .value_kind:     global_buffer
      - .offset:         48
        .size:           4
        .value_kind:     hidden_block_count_x
      - .offset:         52
        .size:           4
        .value_kind:     hidden_block_count_y
      - .offset:         56
        .size:           4
        .value_kind:     hidden_block_count_z
      - .offset:         60
        .size:           2
        .value_kind:     hidden_group_size_x
      - .offset:         62
        .size:           2
        .value_kind:     hidden_group_size_y
      - .offset:         64
        .size:           2
        .value_kind:     hidden_group_size_z
      - .offset:         66
        .size:           2
        .value_kind:     hidden_remainder_x
      - .offset:         68
        .size:           2
        .value_kind:     hidden_remainder_y
      - .offset:         70
        .size:           2
        .value_kind:     hidden_remainder_z
      - .offset:         88
        .size:           8
        .value_kind:     hidden_global_offset_x
      - .offset:         96
        .size:           8
        .value_kind:     hidden_global_offset_y
      - .offset:         104
        .size:           8
        .value_kind:     hidden_global_offset_z
      - .offset:         112
        .size:           2
        .value_kind:     hidden_grid_dims
    .group_segment_fixed_size: 0
    .kernarg_segment_align: 8
    .kernarg_segment_size: 304
    .language:       OpenCL C
    .language_version:
      - 2
      - 0
    .max_flat_workgroup_size: 1024
    .name:           _ZN12_GLOBAL__N_121softmax_warp_backwardIN3c104HalfES2_fLi2ELb0ELb1ELi32EEEvPT0_PKT_S7_iiiPKb
    .private_segment_fixed_size: 0
    .sgpr_count:     18
    .sgpr_spill_count: 0
    .symbol:         _ZN12_GLOBAL__N_121softmax_warp_backwardIN3c104HalfES2_fLi2ELb0ELb1ELi32EEEvPT0_PKT_S7_iiiPKb.kd
    .uniform_work_group_size: 1
    .uses_dynamic_stack: false
    .vgpr_count:     15
    .vgpr_spill_count: 0
    .wavefront_size: 32
    .workgroup_processor_mode: 1
  - .args:
      - .address_space:  global
        .offset:         0
        .size:           8
        .value_kind:     global_buffer
      - .address_space:  global
        .offset:         8
        .size:           8
        .value_kind:     global_buffer
      - .address_space:  global
        .offset:         16
        .size:           8
        .value_kind:     global_buffer
      - .offset:         24
        .size:           4
        .value_kind:     by_value
      - .offset:         28
        .size:           4
        .value_kind:     by_value
      - .offset:         32
        .size:           4
        .value_kind:     by_value
      - .address_space:  global
        .offset:         40
        .size:           8
        .value_kind:     global_buffer
      - .offset:         48
        .size:           4
        .value_kind:     hidden_block_count_x
      - .offset:         52
        .size:           4
        .value_kind:     hidden_block_count_y
      - .offset:         56
        .size:           4
        .value_kind:     hidden_block_count_z
      - .offset:         60
        .size:           2
        .value_kind:     hidden_group_size_x
      - .offset:         62
        .size:           2
        .value_kind:     hidden_group_size_y
      - .offset:         64
        .size:           2
        .value_kind:     hidden_group_size_z
      - .offset:         66
        .size:           2
        .value_kind:     hidden_remainder_x
      - .offset:         68
        .size:           2
        .value_kind:     hidden_remainder_y
      - .offset:         70
        .size:           2
        .value_kind:     hidden_remainder_z
      - .offset:         88
        .size:           8
        .value_kind:     hidden_global_offset_x
      - .offset:         96
        .size:           8
        .value_kind:     hidden_global_offset_y
      - .offset:         104
        .size:           8
        .value_kind:     hidden_global_offset_z
      - .offset:         112
        .size:           2
        .value_kind:     hidden_grid_dims
    .group_segment_fixed_size: 0
    .kernarg_segment_align: 8
    .kernarg_segment_size: 304
    .language:       OpenCL C
    .language_version:
      - 2
      - 0
    .max_flat_workgroup_size: 1024
    .name:           _ZN12_GLOBAL__N_121softmax_warp_backwardIN3c104HalfES2_fLi3ELb0ELb1ELi64EEEvPT0_PKT_S7_iiiPKb
    .private_segment_fixed_size: 0
    .sgpr_count:     18
    .sgpr_spill_count: 0
    .symbol:         _ZN12_GLOBAL__N_121softmax_warp_backwardIN3c104HalfES2_fLi3ELb0ELb1ELi64EEEvPT0_PKT_S7_iiiPKb.kd
    .uniform_work_group_size: 1
    .uses_dynamic_stack: false
    .vgpr_count:     15
    .vgpr_spill_count: 0
    .wavefront_size: 32
    .workgroup_processor_mode: 1
  - .args:
      - .address_space:  global
        .offset:         0
        .size:           8
        .value_kind:     global_buffer
      - .address_space:  global
        .offset:         8
        .size:           8
        .value_kind:     global_buffer
      - .address_space:  global
        .offset:         16
        .size:           8
        .value_kind:     global_buffer
      - .offset:         24
        .size:           4
        .value_kind:     by_value
      - .offset:         28
        .size:           4
        .value_kind:     by_value
      - .offset:         32
        .size:           4
        .value_kind:     by_value
      - .address_space:  global
        .offset:         40
        .size:           8
        .value_kind:     global_buffer
      - .offset:         48
        .size:           4
        .value_kind:     hidden_block_count_x
      - .offset:         52
        .size:           4
        .value_kind:     hidden_block_count_y
      - .offset:         56
        .size:           4
        .value_kind:     hidden_block_count_z
      - .offset:         60
        .size:           2
        .value_kind:     hidden_group_size_x
      - .offset:         62
        .size:           2
        .value_kind:     hidden_group_size_y
      - .offset:         64
        .size:           2
        .value_kind:     hidden_group_size_z
      - .offset:         66
        .size:           2
        .value_kind:     hidden_remainder_x
      - .offset:         68
        .size:           2
        .value_kind:     hidden_remainder_y
      - .offset:         70
        .size:           2
        .value_kind:     hidden_remainder_z
      - .offset:         88
        .size:           8
        .value_kind:     hidden_global_offset_x
      - .offset:         96
        .size:           8
        .value_kind:     hidden_global_offset_y
      - .offset:         104
        .size:           8
        .value_kind:     hidden_global_offset_z
      - .offset:         112
        .size:           2
        .value_kind:     hidden_grid_dims
    .group_segment_fixed_size: 0
    .kernarg_segment_align: 8
    .kernarg_segment_size: 304
    .language:       OpenCL C
    .language_version:
      - 2
      - 0
    .max_flat_workgroup_size: 1024
    .name:           _ZN12_GLOBAL__N_121softmax_warp_backwardIN3c104HalfES2_fLi3ELb0ELb1ELi32EEEvPT0_PKT_S7_iiiPKb
    .private_segment_fixed_size: 0
    .sgpr_count:     18
    .sgpr_spill_count: 0
    .symbol:         _ZN12_GLOBAL__N_121softmax_warp_backwardIN3c104HalfES2_fLi3ELb0ELb1ELi32EEEvPT0_PKT_S7_iiiPKb.kd
    .uniform_work_group_size: 1
    .uses_dynamic_stack: false
    .vgpr_count:     15
    .vgpr_spill_count: 0
    .wavefront_size: 32
    .workgroup_processor_mode: 1
  - .args:
      - .address_space:  global
        .offset:         0
        .size:           8
        .value_kind:     global_buffer
      - .address_space:  global
        .offset:         8
        .size:           8
        .value_kind:     global_buffer
      - .address_space:  global
        .offset:         16
        .size:           8
        .value_kind:     global_buffer
      - .offset:         24
        .size:           4
        .value_kind:     by_value
      - .offset:         28
        .size:           4
        .value_kind:     by_value
      - .offset:         32
        .size:           4
        .value_kind:     by_value
      - .address_space:  global
        .offset:         40
        .size:           8
        .value_kind:     global_buffer
      - .offset:         48
        .size:           4
        .value_kind:     hidden_block_count_x
      - .offset:         52
        .size:           4
        .value_kind:     hidden_block_count_y
      - .offset:         56
        .size:           4
        .value_kind:     hidden_block_count_z
      - .offset:         60
        .size:           2
        .value_kind:     hidden_group_size_x
      - .offset:         62
        .size:           2
        .value_kind:     hidden_group_size_y
      - .offset:         64
        .size:           2
        .value_kind:     hidden_group_size_z
      - .offset:         66
        .size:           2
        .value_kind:     hidden_remainder_x
      - .offset:         68
        .size:           2
        .value_kind:     hidden_remainder_y
      - .offset:         70
        .size:           2
        .value_kind:     hidden_remainder_z
      - .offset:         88
        .size:           8
        .value_kind:     hidden_global_offset_x
      - .offset:         96
        .size:           8
        .value_kind:     hidden_global_offset_y
      - .offset:         104
        .size:           8
        .value_kind:     hidden_global_offset_z
      - .offset:         112
        .size:           2
        .value_kind:     hidden_grid_dims
    .group_segment_fixed_size: 0
    .kernarg_segment_align: 8
    .kernarg_segment_size: 304
    .language:       OpenCL C
    .language_version:
      - 2
      - 0
    .max_flat_workgroup_size: 1024
    .name:           _ZN12_GLOBAL__N_121softmax_warp_backwardIN3c104HalfES2_fLi4ELb0ELb1ELi64EEEvPT0_PKT_S7_iiiPKb
    .private_segment_fixed_size: 0
    .sgpr_count:     18
    .sgpr_spill_count: 0
    .symbol:         _ZN12_GLOBAL__N_121softmax_warp_backwardIN3c104HalfES2_fLi4ELb0ELb1ELi64EEEvPT0_PKT_S7_iiiPKb.kd
    .uniform_work_group_size: 1
    .uses_dynamic_stack: false
    .vgpr_count:     15
    .vgpr_spill_count: 0
    .wavefront_size: 32
    .workgroup_processor_mode: 1
  - .args:
      - .address_space:  global
        .offset:         0
        .size:           8
        .value_kind:     global_buffer
      - .address_space:  global
        .offset:         8
        .size:           8
        .value_kind:     global_buffer
      - .address_space:  global
        .offset:         16
        .size:           8
        .value_kind:     global_buffer
      - .offset:         24
        .size:           4
        .value_kind:     by_value
      - .offset:         28
        .size:           4
        .value_kind:     by_value
      - .offset:         32
        .size:           4
        .value_kind:     by_value
      - .address_space:  global
        .offset:         40
        .size:           8
        .value_kind:     global_buffer
      - .offset:         48
        .size:           4
        .value_kind:     hidden_block_count_x
      - .offset:         52
        .size:           4
        .value_kind:     hidden_block_count_y
      - .offset:         56
        .size:           4
        .value_kind:     hidden_block_count_z
      - .offset:         60
        .size:           2
        .value_kind:     hidden_group_size_x
      - .offset:         62
        .size:           2
        .value_kind:     hidden_group_size_y
      - .offset:         64
        .size:           2
        .value_kind:     hidden_group_size_z
      - .offset:         66
        .size:           2
        .value_kind:     hidden_remainder_x
      - .offset:         68
        .size:           2
        .value_kind:     hidden_remainder_y
      - .offset:         70
        .size:           2
        .value_kind:     hidden_remainder_z
      - .offset:         88
        .size:           8
        .value_kind:     hidden_global_offset_x
      - .offset:         96
        .size:           8
        .value_kind:     hidden_global_offset_y
      - .offset:         104
        .size:           8
        .value_kind:     hidden_global_offset_z
      - .offset:         112
        .size:           2
        .value_kind:     hidden_grid_dims
    .group_segment_fixed_size: 0
    .kernarg_segment_align: 8
    .kernarg_segment_size: 304
    .language:       OpenCL C
    .language_version:
      - 2
      - 0
    .max_flat_workgroup_size: 1024
    .name:           _ZN12_GLOBAL__N_121softmax_warp_backwardIN3c104HalfES2_fLi4ELb0ELb1ELi32EEEvPT0_PKT_S7_iiiPKb
    .private_segment_fixed_size: 0
    .sgpr_count:     18
    .sgpr_spill_count: 0
    .symbol:         _ZN12_GLOBAL__N_121softmax_warp_backwardIN3c104HalfES2_fLi4ELb0ELb1ELi32EEEvPT0_PKT_S7_iiiPKb.kd
    .uniform_work_group_size: 1
    .uses_dynamic_stack: false
    .vgpr_count:     15
    .vgpr_spill_count: 0
    .wavefront_size: 32
    .workgroup_processor_mode: 1
  - .args:
      - .address_space:  global
        .offset:         0
        .size:           8
        .value_kind:     global_buffer
      - .address_space:  global
        .offset:         8
        .size:           8
        .value_kind:     global_buffer
      - .address_space:  global
        .offset:         16
        .size:           8
        .value_kind:     global_buffer
      - .offset:         24
        .size:           4
        .value_kind:     by_value
      - .offset:         28
        .size:           4
        .value_kind:     by_value
      - .offset:         32
        .size:           4
        .value_kind:     by_value
      - .address_space:  global
        .offset:         40
        .size:           8
        .value_kind:     global_buffer
      - .offset:         48
        .size:           4
        .value_kind:     hidden_block_count_x
      - .offset:         52
        .size:           4
        .value_kind:     hidden_block_count_y
      - .offset:         56
        .size:           4
        .value_kind:     hidden_block_count_z
      - .offset:         60
        .size:           2
        .value_kind:     hidden_group_size_x
      - .offset:         62
        .size:           2
        .value_kind:     hidden_group_size_y
      - .offset:         64
        .size:           2
        .value_kind:     hidden_group_size_z
      - .offset:         66
        .size:           2
        .value_kind:     hidden_remainder_x
      - .offset:         68
        .size:           2
        .value_kind:     hidden_remainder_y
      - .offset:         70
        .size:           2
        .value_kind:     hidden_remainder_z
      - .offset:         88
        .size:           8
        .value_kind:     hidden_global_offset_x
      - .offset:         96
        .size:           8
        .value_kind:     hidden_global_offset_y
      - .offset:         104
        .size:           8
        .value_kind:     hidden_global_offset_z
      - .offset:         112
        .size:           2
        .value_kind:     hidden_grid_dims
    .group_segment_fixed_size: 0
    .kernarg_segment_align: 8
    .kernarg_segment_size: 304
    .language:       OpenCL C
    .language_version:
      - 2
      - 0
    .max_flat_workgroup_size: 1024
    .name:           _ZN12_GLOBAL__N_121softmax_warp_backwardIN3c104HalfES2_fLi5ELb0ELb1ELi64EEEvPT0_PKT_S7_iiiPKb
    .private_segment_fixed_size: 0
    .sgpr_count:     18
    .sgpr_spill_count: 0
    .symbol:         _ZN12_GLOBAL__N_121softmax_warp_backwardIN3c104HalfES2_fLi5ELb0ELb1ELi64EEEvPT0_PKT_S7_iiiPKb.kd
    .uniform_work_group_size: 1
    .uses_dynamic_stack: false
    .vgpr_count:     15
    .vgpr_spill_count: 0
    .wavefront_size: 32
    .workgroup_processor_mode: 1
  - .args:
      - .address_space:  global
        .offset:         0
        .size:           8
        .value_kind:     global_buffer
      - .address_space:  global
        .offset:         8
        .size:           8
        .value_kind:     global_buffer
      - .address_space:  global
        .offset:         16
        .size:           8
        .value_kind:     global_buffer
      - .offset:         24
        .size:           4
        .value_kind:     by_value
      - .offset:         28
        .size:           4
        .value_kind:     by_value
      - .offset:         32
        .size:           4
        .value_kind:     by_value
      - .address_space:  global
        .offset:         40
        .size:           8
        .value_kind:     global_buffer
      - .offset:         48
        .size:           4
        .value_kind:     hidden_block_count_x
      - .offset:         52
        .size:           4
        .value_kind:     hidden_block_count_y
      - .offset:         56
        .size:           4
        .value_kind:     hidden_block_count_z
      - .offset:         60
        .size:           2
        .value_kind:     hidden_group_size_x
      - .offset:         62
        .size:           2
        .value_kind:     hidden_group_size_y
      - .offset:         64
        .size:           2
        .value_kind:     hidden_group_size_z
      - .offset:         66
        .size:           2
        .value_kind:     hidden_remainder_x
      - .offset:         68
        .size:           2
        .value_kind:     hidden_remainder_y
      - .offset:         70
        .size:           2
        .value_kind:     hidden_remainder_z
      - .offset:         88
        .size:           8
        .value_kind:     hidden_global_offset_x
      - .offset:         96
        .size:           8
        .value_kind:     hidden_global_offset_y
      - .offset:         104
        .size:           8
        .value_kind:     hidden_global_offset_z
      - .offset:         112
        .size:           2
        .value_kind:     hidden_grid_dims
    .group_segment_fixed_size: 0
    .kernarg_segment_align: 8
    .kernarg_segment_size: 304
    .language:       OpenCL C
    .language_version:
      - 2
      - 0
    .max_flat_workgroup_size: 1024
    .name:           _ZN12_GLOBAL__N_121softmax_warp_backwardIN3c104HalfES2_fLi5ELb0ELb1ELi32EEEvPT0_PKT_S7_iiiPKb
    .private_segment_fixed_size: 0
    .sgpr_count:     18
    .sgpr_spill_count: 0
    .symbol:         _ZN12_GLOBAL__N_121softmax_warp_backwardIN3c104HalfES2_fLi5ELb0ELb1ELi32EEEvPT0_PKT_S7_iiiPKb.kd
    .uniform_work_group_size: 1
    .uses_dynamic_stack: false
    .vgpr_count:     15
    .vgpr_spill_count: 0
    .wavefront_size: 32
    .workgroup_processor_mode: 1
  - .args:
      - .address_space:  global
        .offset:         0
        .size:           8
        .value_kind:     global_buffer
      - .address_space:  global
        .offset:         8
        .size:           8
        .value_kind:     global_buffer
      - .address_space:  global
        .offset:         16
        .size:           8
        .value_kind:     global_buffer
      - .offset:         24
        .size:           4
        .value_kind:     by_value
      - .offset:         28
        .size:           4
        .value_kind:     by_value
      - .offset:         32
        .size:           4
        .value_kind:     by_value
      - .address_space:  global
        .offset:         40
        .size:           8
        .value_kind:     global_buffer
      - .offset:         48
        .size:           4
        .value_kind:     hidden_block_count_x
      - .offset:         52
        .size:           4
        .value_kind:     hidden_block_count_y
      - .offset:         56
        .size:           4
        .value_kind:     hidden_block_count_z
      - .offset:         60
        .size:           2
        .value_kind:     hidden_group_size_x
      - .offset:         62
        .size:           2
        .value_kind:     hidden_group_size_y
      - .offset:         64
        .size:           2
        .value_kind:     hidden_group_size_z
      - .offset:         66
        .size:           2
        .value_kind:     hidden_remainder_x
      - .offset:         68
        .size:           2
        .value_kind:     hidden_remainder_y
      - .offset:         70
        .size:           2
        .value_kind:     hidden_remainder_z
      - .offset:         88
        .size:           8
        .value_kind:     hidden_global_offset_x
      - .offset:         96
        .size:           8
        .value_kind:     hidden_global_offset_y
      - .offset:         104
        .size:           8
        .value_kind:     hidden_global_offset_z
      - .offset:         112
        .size:           2
        .value_kind:     hidden_grid_dims
    .group_segment_fixed_size: 0
    .kernarg_segment_align: 8
    .kernarg_segment_size: 304
    .language:       OpenCL C
    .language_version:
      - 2
      - 0
    .max_flat_workgroup_size: 1024
    .name:           _ZN12_GLOBAL__N_121softmax_warp_backwardIN3c104HalfES2_fLi6ELb0ELb1ELi64EEEvPT0_PKT_S7_iiiPKb
    .private_segment_fixed_size: 0
    .sgpr_count:     18
    .sgpr_spill_count: 0
    .symbol:         _ZN12_GLOBAL__N_121softmax_warp_backwardIN3c104HalfES2_fLi6ELb0ELb1ELi64EEEvPT0_PKT_S7_iiiPKb.kd
    .uniform_work_group_size: 1
    .uses_dynamic_stack: false
    .vgpr_count:     15
    .vgpr_spill_count: 0
    .wavefront_size: 32
    .workgroup_processor_mode: 1
  - .args:
      - .address_space:  global
        .offset:         0
        .size:           8
        .value_kind:     global_buffer
      - .address_space:  global
        .offset:         8
        .size:           8
        .value_kind:     global_buffer
      - .address_space:  global
        .offset:         16
        .size:           8
        .value_kind:     global_buffer
      - .offset:         24
        .size:           4
        .value_kind:     by_value
      - .offset:         28
        .size:           4
        .value_kind:     by_value
      - .offset:         32
        .size:           4
        .value_kind:     by_value
      - .address_space:  global
        .offset:         40
        .size:           8
        .value_kind:     global_buffer
      - .offset:         48
        .size:           4
        .value_kind:     hidden_block_count_x
      - .offset:         52
        .size:           4
        .value_kind:     hidden_block_count_y
      - .offset:         56
        .size:           4
        .value_kind:     hidden_block_count_z
      - .offset:         60
        .size:           2
        .value_kind:     hidden_group_size_x
      - .offset:         62
        .size:           2
        .value_kind:     hidden_group_size_y
      - .offset:         64
        .size:           2
        .value_kind:     hidden_group_size_z
      - .offset:         66
        .size:           2
        .value_kind:     hidden_remainder_x
      - .offset:         68
        .size:           2
        .value_kind:     hidden_remainder_y
      - .offset:         70
        .size:           2
        .value_kind:     hidden_remainder_z
      - .offset:         88
        .size:           8
        .value_kind:     hidden_global_offset_x
      - .offset:         96
        .size:           8
        .value_kind:     hidden_global_offset_y
      - .offset:         104
        .size:           8
        .value_kind:     hidden_global_offset_z
      - .offset:         112
        .size:           2
        .value_kind:     hidden_grid_dims
    .group_segment_fixed_size: 0
    .kernarg_segment_align: 8
    .kernarg_segment_size: 304
    .language:       OpenCL C
    .language_version:
      - 2
      - 0
    .max_flat_workgroup_size: 1024
    .name:           _ZN12_GLOBAL__N_121softmax_warp_backwardIN3c104HalfES2_fLi6ELb0ELb1ELi32EEEvPT0_PKT_S7_iiiPKb
    .private_segment_fixed_size: 0
    .sgpr_count:     18
    .sgpr_spill_count: 0
    .symbol:         _ZN12_GLOBAL__N_121softmax_warp_backwardIN3c104HalfES2_fLi6ELb0ELb1ELi32EEEvPT0_PKT_S7_iiiPKb.kd
    .uniform_work_group_size: 1
    .uses_dynamic_stack: false
    .vgpr_count:     19
    .vgpr_spill_count: 0
    .wavefront_size: 32
    .workgroup_processor_mode: 1
  - .args:
      - .address_space:  global
        .offset:         0
        .size:           8
        .value_kind:     global_buffer
      - .address_space:  global
        .offset:         8
        .size:           8
        .value_kind:     global_buffer
      - .address_space:  global
        .offset:         16
        .size:           8
        .value_kind:     global_buffer
      - .offset:         24
        .size:           4
        .value_kind:     by_value
      - .offset:         28
        .size:           4
        .value_kind:     by_value
      - .offset:         32
        .size:           4
        .value_kind:     by_value
      - .address_space:  global
        .offset:         40
        .size:           8
        .value_kind:     global_buffer
      - .offset:         48
        .size:           4
        .value_kind:     hidden_block_count_x
      - .offset:         52
        .size:           4
        .value_kind:     hidden_block_count_y
      - .offset:         56
        .size:           4
        .value_kind:     hidden_block_count_z
      - .offset:         60
        .size:           2
        .value_kind:     hidden_group_size_x
      - .offset:         62
        .size:           2
        .value_kind:     hidden_group_size_y
      - .offset:         64
        .size:           2
        .value_kind:     hidden_group_size_z
      - .offset:         66
        .size:           2
        .value_kind:     hidden_remainder_x
      - .offset:         68
        .size:           2
        .value_kind:     hidden_remainder_y
      - .offset:         70
        .size:           2
        .value_kind:     hidden_remainder_z
      - .offset:         88
        .size:           8
        .value_kind:     hidden_global_offset_x
      - .offset:         96
        .size:           8
        .value_kind:     hidden_global_offset_y
      - .offset:         104
        .size:           8
        .value_kind:     hidden_global_offset_z
      - .offset:         112
        .size:           2
        .value_kind:     hidden_grid_dims
    .group_segment_fixed_size: 0
    .kernarg_segment_align: 8
    .kernarg_segment_size: 304
    .language:       OpenCL C
    .language_version:
      - 2
      - 0
    .max_flat_workgroup_size: 1024
    .name:           _ZN12_GLOBAL__N_121softmax_warp_backwardIN3c104HalfES2_fLi7ELb0ELb1ELi64EEEvPT0_PKT_S7_iiiPKb
    .private_segment_fixed_size: 0
    .sgpr_count:     18
    .sgpr_spill_count: 0
    .symbol:         _ZN12_GLOBAL__N_121softmax_warp_backwardIN3c104HalfES2_fLi7ELb0ELb1ELi64EEEvPT0_PKT_S7_iiiPKb.kd
    .uniform_work_group_size: 1
    .uses_dynamic_stack: false
    .vgpr_count:     19
    .vgpr_spill_count: 0
    .wavefront_size: 32
    .workgroup_processor_mode: 1
  - .args:
      - .address_space:  global
        .offset:         0
        .size:           8
        .value_kind:     global_buffer
      - .address_space:  global
        .offset:         8
        .size:           8
        .value_kind:     global_buffer
      - .address_space:  global
        .offset:         16
        .size:           8
        .value_kind:     global_buffer
      - .offset:         24
        .size:           4
        .value_kind:     by_value
      - .offset:         28
        .size:           4
        .value_kind:     by_value
      - .offset:         32
        .size:           4
        .value_kind:     by_value
      - .address_space:  global
        .offset:         40
        .size:           8
        .value_kind:     global_buffer
      - .offset:         48
        .size:           4
        .value_kind:     hidden_block_count_x
      - .offset:         52
        .size:           4
        .value_kind:     hidden_block_count_y
      - .offset:         56
        .size:           4
        .value_kind:     hidden_block_count_z
      - .offset:         60
        .size:           2
        .value_kind:     hidden_group_size_x
      - .offset:         62
        .size:           2
        .value_kind:     hidden_group_size_y
      - .offset:         64
        .size:           2
        .value_kind:     hidden_group_size_z
      - .offset:         66
        .size:           2
        .value_kind:     hidden_remainder_x
      - .offset:         68
        .size:           2
        .value_kind:     hidden_remainder_y
      - .offset:         70
        .size:           2
        .value_kind:     hidden_remainder_z
      - .offset:         88
        .size:           8
        .value_kind:     hidden_global_offset_x
      - .offset:         96
        .size:           8
        .value_kind:     hidden_global_offset_y
      - .offset:         104
        .size:           8
        .value_kind:     hidden_global_offset_z
      - .offset:         112
        .size:           2
        .value_kind:     hidden_grid_dims
    .group_segment_fixed_size: 0
    .kernarg_segment_align: 8
    .kernarg_segment_size: 304
    .language:       OpenCL C
    .language_version:
      - 2
      - 0
    .max_flat_workgroup_size: 1024
    .name:           _ZN12_GLOBAL__N_121softmax_warp_backwardIN3c104HalfES2_fLi7ELb0ELb1ELi32EEEvPT0_PKT_S7_iiiPKb
    .private_segment_fixed_size: 0
    .sgpr_count:     22
    .sgpr_spill_count: 0
    .symbol:         _ZN12_GLOBAL__N_121softmax_warp_backwardIN3c104HalfES2_fLi7ELb0ELb1ELi32EEEvPT0_PKT_S7_iiiPKb.kd
    .uniform_work_group_size: 1
    .uses_dynamic_stack: false
    .vgpr_count:     29
    .vgpr_spill_count: 0
    .wavefront_size: 32
    .workgroup_processor_mode: 1
  - .args:
      - .address_space:  global
        .offset:         0
        .size:           8
        .value_kind:     global_buffer
      - .address_space:  global
        .offset:         8
        .size:           8
        .value_kind:     global_buffer
      - .address_space:  global
        .offset:         16
        .size:           8
        .value_kind:     global_buffer
      - .offset:         24
        .size:           4
        .value_kind:     by_value
      - .offset:         28
        .size:           4
        .value_kind:     by_value
      - .offset:         32
        .size:           4
        .value_kind:     by_value
      - .address_space:  global
        .offset:         40
        .size:           8
        .value_kind:     global_buffer
      - .offset:         48
        .size:           4
        .value_kind:     hidden_block_count_x
      - .offset:         52
        .size:           4
        .value_kind:     hidden_block_count_y
      - .offset:         56
        .size:           4
        .value_kind:     hidden_block_count_z
      - .offset:         60
        .size:           2
        .value_kind:     hidden_group_size_x
      - .offset:         62
        .size:           2
        .value_kind:     hidden_group_size_y
      - .offset:         64
        .size:           2
        .value_kind:     hidden_group_size_z
      - .offset:         66
        .size:           2
        .value_kind:     hidden_remainder_x
      - .offset:         68
        .size:           2
        .value_kind:     hidden_remainder_y
      - .offset:         70
        .size:           2
        .value_kind:     hidden_remainder_z
      - .offset:         88
        .size:           8
        .value_kind:     hidden_global_offset_x
      - .offset:         96
        .size:           8
        .value_kind:     hidden_global_offset_y
      - .offset:         104
        .size:           8
        .value_kind:     hidden_global_offset_z
      - .offset:         112
        .size:           2
        .value_kind:     hidden_grid_dims
    .group_segment_fixed_size: 0
    .kernarg_segment_align: 8
    .kernarg_segment_size: 304
    .language:       OpenCL C
    .language_version:
      - 2
      - 0
    .max_flat_workgroup_size: 1024
    .name:           _ZN12_GLOBAL__N_121softmax_warp_backwardIN3c104HalfES2_fLi8ELb0ELb1ELi64EEEvPT0_PKT_S7_iiiPKb
    .private_segment_fixed_size: 0
    .sgpr_count:     14
    .sgpr_spill_count: 0
    .symbol:         _ZN12_GLOBAL__N_121softmax_warp_backwardIN3c104HalfES2_fLi8ELb0ELb1ELi64EEEvPT0_PKT_S7_iiiPKb.kd
    .uniform_work_group_size: 1
    .uses_dynamic_stack: false
    .vgpr_count:     17
    .vgpr_spill_count: 0
    .wavefront_size: 32
    .workgroup_processor_mode: 1
  - .args:
      - .address_space:  global
        .offset:         0
        .size:           8
        .value_kind:     global_buffer
      - .address_space:  global
        .offset:         8
        .size:           8
        .value_kind:     global_buffer
      - .address_space:  global
        .offset:         16
        .size:           8
        .value_kind:     global_buffer
      - .offset:         24
        .size:           4
        .value_kind:     by_value
      - .offset:         28
        .size:           4
        .value_kind:     by_value
      - .offset:         32
        .size:           4
        .value_kind:     by_value
      - .address_space:  global
        .offset:         40
        .size:           8
        .value_kind:     global_buffer
      - .offset:         48
        .size:           4
        .value_kind:     hidden_block_count_x
      - .offset:         52
        .size:           4
        .value_kind:     hidden_block_count_y
      - .offset:         56
        .size:           4
        .value_kind:     hidden_block_count_z
      - .offset:         60
        .size:           2
        .value_kind:     hidden_group_size_x
      - .offset:         62
        .size:           2
        .value_kind:     hidden_group_size_y
      - .offset:         64
        .size:           2
        .value_kind:     hidden_group_size_z
      - .offset:         66
        .size:           2
        .value_kind:     hidden_remainder_x
      - .offset:         68
        .size:           2
        .value_kind:     hidden_remainder_y
      - .offset:         70
        .size:           2
        .value_kind:     hidden_remainder_z
      - .offset:         88
        .size:           8
        .value_kind:     hidden_global_offset_x
      - .offset:         96
        .size:           8
        .value_kind:     hidden_global_offset_y
      - .offset:         104
        .size:           8
        .value_kind:     hidden_global_offset_z
      - .offset:         112
        .size:           2
        .value_kind:     hidden_grid_dims
    .group_segment_fixed_size: 0
    .kernarg_segment_align: 8
    .kernarg_segment_size: 304
    .language:       OpenCL C
    .language_version:
      - 2
      - 0
    .max_flat_workgroup_size: 1024
    .name:           _ZN12_GLOBAL__N_121softmax_warp_backwardIN3c104HalfES2_fLi8ELb0ELb1ELi32EEEvPT0_PKT_S7_iiiPKb
    .private_segment_fixed_size: 0
    .sgpr_count:     22
    .sgpr_spill_count: 0
    .symbol:         _ZN12_GLOBAL__N_121softmax_warp_backwardIN3c104HalfES2_fLi8ELb0ELb1ELi32EEEvPT0_PKT_S7_iiiPKb.kd
    .uniform_work_group_size: 1
    .uses_dynamic_stack: false
    .vgpr_count:     28
    .vgpr_spill_count: 0
    .wavefront_size: 32
    .workgroup_processor_mode: 1
  - .args:
      - .address_space:  global
        .offset:         0
        .size:           8
        .value_kind:     global_buffer
      - .address_space:  global
        .offset:         8
        .size:           8
        .value_kind:     global_buffer
      - .address_space:  global
        .offset:         16
        .size:           8
        .value_kind:     global_buffer
      - .offset:         24
        .size:           4
        .value_kind:     by_value
      - .offset:         28
        .size:           4
        .value_kind:     by_value
      - .offset:         32
        .size:           4
        .value_kind:     by_value
      - .address_space:  global
        .offset:         40
        .size:           8
        .value_kind:     global_buffer
      - .offset:         48
        .size:           4
        .value_kind:     hidden_block_count_x
      - .offset:         52
        .size:           4
        .value_kind:     hidden_block_count_y
      - .offset:         56
        .size:           4
        .value_kind:     hidden_block_count_z
      - .offset:         60
        .size:           2
        .value_kind:     hidden_group_size_x
      - .offset:         62
        .size:           2
        .value_kind:     hidden_group_size_y
      - .offset:         64
        .size:           2
        .value_kind:     hidden_group_size_z
      - .offset:         66
        .size:           2
        .value_kind:     hidden_remainder_x
      - .offset:         68
        .size:           2
        .value_kind:     hidden_remainder_y
      - .offset:         70
        .size:           2
        .value_kind:     hidden_remainder_z
      - .offset:         88
        .size:           8
        .value_kind:     hidden_global_offset_x
      - .offset:         96
        .size:           8
        .value_kind:     hidden_global_offset_y
      - .offset:         104
        .size:           8
        .value_kind:     hidden_global_offset_z
      - .offset:         112
        .size:           2
        .value_kind:     hidden_grid_dims
    .group_segment_fixed_size: 0
    .kernarg_segment_align: 8
    .kernarg_segment_size: 304
    .language:       OpenCL C
    .language_version:
      - 2
      - 0
    .max_flat_workgroup_size: 1024
    .name:           _ZN12_GLOBAL__N_121softmax_warp_backwardIN3c104HalfES2_fLi9ELb0ELb1ELi64EEEvPT0_PKT_S7_iiiPKb
    .private_segment_fixed_size: 0
    .sgpr_count:     22
    .sgpr_spill_count: 0
    .symbol:         _ZN12_GLOBAL__N_121softmax_warp_backwardIN3c104HalfES2_fLi9ELb0ELb1ELi64EEEvPT0_PKT_S7_iiiPKb.kd
    .uniform_work_group_size: 1
    .uses_dynamic_stack: false
    .vgpr_count:     28
    .vgpr_spill_count: 0
    .wavefront_size: 32
    .workgroup_processor_mode: 1
  - .args:
      - .address_space:  global
        .offset:         0
        .size:           8
        .value_kind:     global_buffer
      - .address_space:  global
        .offset:         8
        .size:           8
        .value_kind:     global_buffer
      - .address_space:  global
        .offset:         16
        .size:           8
        .value_kind:     global_buffer
      - .offset:         24
        .size:           4
        .value_kind:     by_value
      - .offset:         28
        .size:           4
        .value_kind:     by_value
      - .offset:         32
        .size:           4
        .value_kind:     by_value
      - .address_space:  global
        .offset:         40
        .size:           8
        .value_kind:     global_buffer
      - .offset:         48
        .size:           4
        .value_kind:     hidden_block_count_x
      - .offset:         52
        .size:           4
        .value_kind:     hidden_block_count_y
      - .offset:         56
        .size:           4
        .value_kind:     hidden_block_count_z
      - .offset:         60
        .size:           2
        .value_kind:     hidden_group_size_x
      - .offset:         62
        .size:           2
        .value_kind:     hidden_group_size_y
      - .offset:         64
        .size:           2
        .value_kind:     hidden_group_size_z
      - .offset:         66
        .size:           2
        .value_kind:     hidden_remainder_x
      - .offset:         68
        .size:           2
        .value_kind:     hidden_remainder_y
      - .offset:         70
        .size:           2
        .value_kind:     hidden_remainder_z
      - .offset:         88
        .size:           8
        .value_kind:     hidden_global_offset_x
      - .offset:         96
        .size:           8
        .value_kind:     hidden_global_offset_y
      - .offset:         104
        .size:           8
        .value_kind:     hidden_global_offset_z
      - .offset:         112
        .size:           2
        .value_kind:     hidden_grid_dims
    .group_segment_fixed_size: 0
    .kernarg_segment_align: 8
    .kernarg_segment_size: 304
    .language:       OpenCL C
    .language_version:
      - 2
      - 0
    .max_flat_workgroup_size: 1024
    .name:           _ZN12_GLOBAL__N_121softmax_warp_backwardIN3c104HalfES2_fLi9ELb0ELb1ELi32EEEvPT0_PKT_S7_iiiPKb
    .private_segment_fixed_size: 0
    .sgpr_count:     34
    .sgpr_spill_count: 0
    .symbol:         _ZN12_GLOBAL__N_121softmax_warp_backwardIN3c104HalfES2_fLi9ELb0ELb1ELi32EEEvPT0_PKT_S7_iiiPKb.kd
    .uniform_work_group_size: 1
    .uses_dynamic_stack: false
    .vgpr_count:     54
    .vgpr_spill_count: 0
    .wavefront_size: 32
    .workgroup_processor_mode: 1
  - .args:
      - .address_space:  global
        .offset:         0
        .size:           8
        .value_kind:     global_buffer
      - .address_space:  global
        .offset:         8
        .size:           8
        .value_kind:     global_buffer
      - .address_space:  global
        .offset:         16
        .size:           8
        .value_kind:     global_buffer
      - .offset:         24
        .size:           4
        .value_kind:     by_value
      - .offset:         28
        .size:           4
        .value_kind:     by_value
      - .offset:         32
        .size:           4
        .value_kind:     by_value
      - .address_space:  global
        .offset:         40
        .size:           8
        .value_kind:     global_buffer
      - .offset:         48
        .size:           4
        .value_kind:     hidden_block_count_x
      - .offset:         52
        .size:           4
        .value_kind:     hidden_block_count_y
      - .offset:         56
        .size:           4
        .value_kind:     hidden_block_count_z
      - .offset:         60
        .size:           2
        .value_kind:     hidden_group_size_x
      - .offset:         62
        .size:           2
        .value_kind:     hidden_group_size_y
      - .offset:         64
        .size:           2
        .value_kind:     hidden_group_size_z
      - .offset:         66
        .size:           2
        .value_kind:     hidden_remainder_x
      - .offset:         68
        .size:           2
        .value_kind:     hidden_remainder_y
      - .offset:         70
        .size:           2
        .value_kind:     hidden_remainder_z
      - .offset:         88
        .size:           8
        .value_kind:     hidden_global_offset_x
      - .offset:         96
        .size:           8
        .value_kind:     hidden_global_offset_y
      - .offset:         104
        .size:           8
        .value_kind:     hidden_global_offset_z
      - .offset:         112
        .size:           2
        .value_kind:     hidden_grid_dims
    .group_segment_fixed_size: 0
    .kernarg_segment_align: 8
    .kernarg_segment_size: 304
    .language:       OpenCL C
    .language_version:
      - 2
      - 0
    .max_flat_workgroup_size: 1024
    .name:           _ZN12_GLOBAL__N_121softmax_warp_backwardIN3c104HalfES2_fLi10ELb0ELb1ELi64EEEvPT0_PKT_S7_iiiPKb
    .private_segment_fixed_size: 0
    .sgpr_count:     30
    .sgpr_spill_count: 0
    .symbol:         _ZN12_GLOBAL__N_121softmax_warp_backwardIN3c104HalfES2_fLi10ELb0ELb1ELi64EEEvPT0_PKT_S7_iiiPKb.kd
    .uniform_work_group_size: 1
    .uses_dynamic_stack: false
    .vgpr_count:     54
    .vgpr_spill_count: 0
    .wavefront_size: 32
    .workgroup_processor_mode: 1
  - .args:
      - .address_space:  global
        .offset:         0
        .size:           8
        .value_kind:     global_buffer
      - .address_space:  global
        .offset:         8
        .size:           8
        .value_kind:     global_buffer
      - .address_space:  global
        .offset:         16
        .size:           8
        .value_kind:     global_buffer
      - .offset:         24
        .size:           4
        .value_kind:     by_value
      - .offset:         28
        .size:           4
        .value_kind:     by_value
      - .offset:         32
        .size:           4
        .value_kind:     by_value
      - .address_space:  global
        .offset:         40
        .size:           8
        .value_kind:     global_buffer
      - .offset:         48
        .size:           4
        .value_kind:     hidden_block_count_x
      - .offset:         52
        .size:           4
        .value_kind:     hidden_block_count_y
      - .offset:         56
        .size:           4
        .value_kind:     hidden_block_count_z
      - .offset:         60
        .size:           2
        .value_kind:     hidden_group_size_x
      - .offset:         62
        .size:           2
        .value_kind:     hidden_group_size_y
      - .offset:         64
        .size:           2
        .value_kind:     hidden_group_size_z
      - .offset:         66
        .size:           2
        .value_kind:     hidden_remainder_x
      - .offset:         68
        .size:           2
        .value_kind:     hidden_remainder_y
      - .offset:         70
        .size:           2
        .value_kind:     hidden_remainder_z
      - .offset:         88
        .size:           8
        .value_kind:     hidden_global_offset_x
      - .offset:         96
        .size:           8
        .value_kind:     hidden_global_offset_y
      - .offset:         104
        .size:           8
        .value_kind:     hidden_global_offset_z
      - .offset:         112
        .size:           2
        .value_kind:     hidden_grid_dims
    .group_segment_fixed_size: 0
    .kernarg_segment_align: 8
    .kernarg_segment_size: 304
    .language:       OpenCL C
    .language_version:
      - 2
      - 0
    .max_flat_workgroup_size: 1024
    .name:           _ZN12_GLOBAL__N_121softmax_warp_backwardIN3c104HalfES2_fLi10ELb0ELb1ELi32EEEvPT0_PKT_S7_iiiPKb
    .private_segment_fixed_size: 0
    .sgpr_count:     50
    .sgpr_spill_count: 0
    .symbol:         _ZN12_GLOBAL__N_121softmax_warp_backwardIN3c104HalfES2_fLi10ELb0ELb1ELi32EEEvPT0_PKT_S7_iiiPKb.kd
    .uniform_work_group_size: 1
    .uses_dynamic_stack: false
    .vgpr_count:     74
    .vgpr_spill_count: 0
    .wavefront_size: 32
    .workgroup_processor_mode: 1
  - .args:
      - .address_space:  global
        .offset:         0
        .size:           8
        .value_kind:     global_buffer
      - .address_space:  global
        .offset:         8
        .size:           8
        .value_kind:     global_buffer
      - .address_space:  global
        .offset:         16
        .size:           8
        .value_kind:     global_buffer
      - .offset:         24
        .size:           4
        .value_kind:     by_value
      - .offset:         28
        .size:           4
        .value_kind:     by_value
      - .offset:         32
        .size:           4
        .value_kind:     by_value
      - .address_space:  global
        .offset:         40
        .size:           8
        .value_kind:     global_buffer
      - .offset:         48
        .size:           4
        .value_kind:     hidden_block_count_x
      - .offset:         52
        .size:           4
        .value_kind:     hidden_block_count_y
      - .offset:         56
        .size:           4
        .value_kind:     hidden_block_count_z
      - .offset:         60
        .size:           2
        .value_kind:     hidden_group_size_x
      - .offset:         62
        .size:           2
        .value_kind:     hidden_group_size_y
      - .offset:         64
        .size:           2
        .value_kind:     hidden_group_size_z
      - .offset:         66
        .size:           2
        .value_kind:     hidden_remainder_x
      - .offset:         68
        .size:           2
        .value_kind:     hidden_remainder_y
      - .offset:         70
        .size:           2
        .value_kind:     hidden_remainder_z
      - .offset:         88
        .size:           8
        .value_kind:     hidden_global_offset_x
      - .offset:         96
        .size:           8
        .value_kind:     hidden_global_offset_y
      - .offset:         104
        .size:           8
        .value_kind:     hidden_global_offset_z
      - .offset:         112
        .size:           2
        .value_kind:     hidden_grid_dims
    .group_segment_fixed_size: 0
    .kernarg_segment_align: 8
    .kernarg_segment_size: 304
    .language:       OpenCL C
    .language_version:
      - 2
      - 0
    .max_flat_workgroup_size: 1024
    .name:           _ZN12_GLOBAL__N_121softmax_warp_backwardIN3c108BFloat16ES2_fLi0ELb0ELb1ELi64EEEvPT0_PKT_S7_iiiPKb
    .private_segment_fixed_size: 0
    .sgpr_count:     14
    .sgpr_spill_count: 0
    .symbol:         _ZN12_GLOBAL__N_121softmax_warp_backwardIN3c108BFloat16ES2_fLi0ELb0ELb1ELi64EEEvPT0_PKT_S7_iiiPKb.kd
    .uniform_work_group_size: 1
    .uses_dynamic_stack: false
    .vgpr_count:     13
    .vgpr_spill_count: 0
    .wavefront_size: 32
    .workgroup_processor_mode: 1
  - .args:
      - .address_space:  global
        .offset:         0
        .size:           8
        .value_kind:     global_buffer
      - .address_space:  global
        .offset:         8
        .size:           8
        .value_kind:     global_buffer
      - .address_space:  global
        .offset:         16
        .size:           8
        .value_kind:     global_buffer
      - .offset:         24
        .size:           4
        .value_kind:     by_value
      - .offset:         28
        .size:           4
        .value_kind:     by_value
      - .offset:         32
        .size:           4
        .value_kind:     by_value
      - .address_space:  global
        .offset:         40
        .size:           8
        .value_kind:     global_buffer
      - .offset:         48
        .size:           4
        .value_kind:     hidden_block_count_x
      - .offset:         52
        .size:           4
        .value_kind:     hidden_block_count_y
      - .offset:         56
        .size:           4
        .value_kind:     hidden_block_count_z
      - .offset:         60
        .size:           2
        .value_kind:     hidden_group_size_x
      - .offset:         62
        .size:           2
        .value_kind:     hidden_group_size_y
      - .offset:         64
        .size:           2
        .value_kind:     hidden_group_size_z
      - .offset:         66
        .size:           2
        .value_kind:     hidden_remainder_x
      - .offset:         68
        .size:           2
        .value_kind:     hidden_remainder_y
      - .offset:         70
        .size:           2
        .value_kind:     hidden_remainder_z
      - .offset:         88
        .size:           8
        .value_kind:     hidden_global_offset_x
      - .offset:         96
        .size:           8
        .value_kind:     hidden_global_offset_y
      - .offset:         104
        .size:           8
        .value_kind:     hidden_global_offset_z
      - .offset:         112
        .size:           2
        .value_kind:     hidden_grid_dims
    .group_segment_fixed_size: 0
    .kernarg_segment_align: 8
    .kernarg_segment_size: 304
    .language:       OpenCL C
    .language_version:
      - 2
      - 0
    .max_flat_workgroup_size: 1024
    .name:           _ZN12_GLOBAL__N_121softmax_warp_backwardIN3c108BFloat16ES2_fLi0ELb0ELb1ELi32EEEvPT0_PKT_S7_iiiPKb
    .private_segment_fixed_size: 0
    .sgpr_count:     14
    .sgpr_spill_count: 0
    .symbol:         _ZN12_GLOBAL__N_121softmax_warp_backwardIN3c108BFloat16ES2_fLi0ELb0ELb1ELi32EEEvPT0_PKT_S7_iiiPKb.kd
    .uniform_work_group_size: 1
    .uses_dynamic_stack: false
    .vgpr_count:     13
    .vgpr_spill_count: 0
    .wavefront_size: 32
    .workgroup_processor_mode: 1
  - .args:
      - .address_space:  global
        .offset:         0
        .size:           8
        .value_kind:     global_buffer
      - .address_space:  global
        .offset:         8
        .size:           8
        .value_kind:     global_buffer
      - .address_space:  global
        .offset:         16
        .size:           8
        .value_kind:     global_buffer
      - .offset:         24
        .size:           4
        .value_kind:     by_value
      - .offset:         28
        .size:           4
        .value_kind:     by_value
      - .offset:         32
        .size:           4
        .value_kind:     by_value
      - .address_space:  global
        .offset:         40
        .size:           8
        .value_kind:     global_buffer
      - .offset:         48
        .size:           4
        .value_kind:     hidden_block_count_x
      - .offset:         52
        .size:           4
        .value_kind:     hidden_block_count_y
      - .offset:         56
        .size:           4
        .value_kind:     hidden_block_count_z
      - .offset:         60
        .size:           2
        .value_kind:     hidden_group_size_x
      - .offset:         62
        .size:           2
        .value_kind:     hidden_group_size_y
      - .offset:         64
        .size:           2
        .value_kind:     hidden_group_size_z
      - .offset:         66
        .size:           2
        .value_kind:     hidden_remainder_x
      - .offset:         68
        .size:           2
        .value_kind:     hidden_remainder_y
      - .offset:         70
        .size:           2
        .value_kind:     hidden_remainder_z
      - .offset:         88
        .size:           8
        .value_kind:     hidden_global_offset_x
      - .offset:         96
        .size:           8
        .value_kind:     hidden_global_offset_y
      - .offset:         104
        .size:           8
        .value_kind:     hidden_global_offset_z
      - .offset:         112
        .size:           2
        .value_kind:     hidden_grid_dims
    .group_segment_fixed_size: 0
    .kernarg_segment_align: 8
    .kernarg_segment_size: 304
    .language:       OpenCL C
    .language_version:
      - 2
      - 0
    .max_flat_workgroup_size: 1024
    .name:           _ZN12_GLOBAL__N_121softmax_warp_backwardIN3c108BFloat16ES2_fLi1ELb0ELb1ELi64EEEvPT0_PKT_S7_iiiPKb
    .private_segment_fixed_size: 0
    .sgpr_count:     18
    .sgpr_spill_count: 0
    .symbol:         _ZN12_GLOBAL__N_121softmax_warp_backwardIN3c108BFloat16ES2_fLi1ELb0ELb1ELi64EEEvPT0_PKT_S7_iiiPKb.kd
    .uniform_work_group_size: 1
    .uses_dynamic_stack: false
    .vgpr_count:     15
    .vgpr_spill_count: 0
    .wavefront_size: 32
    .workgroup_processor_mode: 1
  - .args:
      - .address_space:  global
        .offset:         0
        .size:           8
        .value_kind:     global_buffer
      - .address_space:  global
        .offset:         8
        .size:           8
        .value_kind:     global_buffer
      - .address_space:  global
        .offset:         16
        .size:           8
        .value_kind:     global_buffer
      - .offset:         24
        .size:           4
        .value_kind:     by_value
      - .offset:         28
        .size:           4
        .value_kind:     by_value
      - .offset:         32
        .size:           4
        .value_kind:     by_value
      - .address_space:  global
        .offset:         40
        .size:           8
        .value_kind:     global_buffer
      - .offset:         48
        .size:           4
        .value_kind:     hidden_block_count_x
      - .offset:         52
        .size:           4
        .value_kind:     hidden_block_count_y
      - .offset:         56
        .size:           4
        .value_kind:     hidden_block_count_z
      - .offset:         60
        .size:           2
        .value_kind:     hidden_group_size_x
      - .offset:         62
        .size:           2
        .value_kind:     hidden_group_size_y
      - .offset:         64
        .size:           2
        .value_kind:     hidden_group_size_z
      - .offset:         66
        .size:           2
        .value_kind:     hidden_remainder_x
      - .offset:         68
        .size:           2
        .value_kind:     hidden_remainder_y
      - .offset:         70
        .size:           2
        .value_kind:     hidden_remainder_z
      - .offset:         88
        .size:           8
        .value_kind:     hidden_global_offset_x
      - .offset:         96
        .size:           8
        .value_kind:     hidden_global_offset_y
      - .offset:         104
        .size:           8
        .value_kind:     hidden_global_offset_z
      - .offset:         112
        .size:           2
        .value_kind:     hidden_grid_dims
    .group_segment_fixed_size: 0
    .kernarg_segment_align: 8
    .kernarg_segment_size: 304
    .language:       OpenCL C
    .language_version:
      - 2
      - 0
    .max_flat_workgroup_size: 1024
    .name:           _ZN12_GLOBAL__N_121softmax_warp_backwardIN3c108BFloat16ES2_fLi1ELb0ELb1ELi32EEEvPT0_PKT_S7_iiiPKb
    .private_segment_fixed_size: 0
    .sgpr_count:     18
    .sgpr_spill_count: 0
    .symbol:         _ZN12_GLOBAL__N_121softmax_warp_backwardIN3c108BFloat16ES2_fLi1ELb0ELb1ELi32EEEvPT0_PKT_S7_iiiPKb.kd
    .uniform_work_group_size: 1
    .uses_dynamic_stack: false
    .vgpr_count:     15
    .vgpr_spill_count: 0
    .wavefront_size: 32
    .workgroup_processor_mode: 1
  - .args:
      - .address_space:  global
        .offset:         0
        .size:           8
        .value_kind:     global_buffer
      - .address_space:  global
        .offset:         8
        .size:           8
        .value_kind:     global_buffer
      - .address_space:  global
        .offset:         16
        .size:           8
        .value_kind:     global_buffer
      - .offset:         24
        .size:           4
        .value_kind:     by_value
      - .offset:         28
        .size:           4
        .value_kind:     by_value
      - .offset:         32
        .size:           4
        .value_kind:     by_value
      - .address_space:  global
        .offset:         40
        .size:           8
        .value_kind:     global_buffer
      - .offset:         48
        .size:           4
        .value_kind:     hidden_block_count_x
      - .offset:         52
        .size:           4
        .value_kind:     hidden_block_count_y
      - .offset:         56
        .size:           4
        .value_kind:     hidden_block_count_z
      - .offset:         60
        .size:           2
        .value_kind:     hidden_group_size_x
      - .offset:         62
        .size:           2
        .value_kind:     hidden_group_size_y
      - .offset:         64
        .size:           2
        .value_kind:     hidden_group_size_z
      - .offset:         66
        .size:           2
        .value_kind:     hidden_remainder_x
      - .offset:         68
        .size:           2
        .value_kind:     hidden_remainder_y
      - .offset:         70
        .size:           2
        .value_kind:     hidden_remainder_z
      - .offset:         88
        .size:           8
        .value_kind:     hidden_global_offset_x
      - .offset:         96
        .size:           8
        .value_kind:     hidden_global_offset_y
      - .offset:         104
        .size:           8
        .value_kind:     hidden_global_offset_z
      - .offset:         112
        .size:           2
        .value_kind:     hidden_grid_dims
    .group_segment_fixed_size: 0
    .kernarg_segment_align: 8
    .kernarg_segment_size: 304
    .language:       OpenCL C
    .language_version:
      - 2
      - 0
    .max_flat_workgroup_size: 1024
    .name:           _ZN12_GLOBAL__N_121softmax_warp_backwardIN3c108BFloat16ES2_fLi2ELb0ELb1ELi64EEEvPT0_PKT_S7_iiiPKb
    .private_segment_fixed_size: 0
    .sgpr_count:     18
    .sgpr_spill_count: 0
    .symbol:         _ZN12_GLOBAL__N_121softmax_warp_backwardIN3c108BFloat16ES2_fLi2ELb0ELb1ELi64EEEvPT0_PKT_S7_iiiPKb.kd
    .uniform_work_group_size: 1
    .uses_dynamic_stack: false
    .vgpr_count:     15
    .vgpr_spill_count: 0
    .wavefront_size: 32
    .workgroup_processor_mode: 1
  - .args:
      - .address_space:  global
        .offset:         0
        .size:           8
        .value_kind:     global_buffer
      - .address_space:  global
        .offset:         8
        .size:           8
        .value_kind:     global_buffer
      - .address_space:  global
        .offset:         16
        .size:           8
        .value_kind:     global_buffer
      - .offset:         24
        .size:           4
        .value_kind:     by_value
      - .offset:         28
        .size:           4
        .value_kind:     by_value
      - .offset:         32
        .size:           4
        .value_kind:     by_value
      - .address_space:  global
        .offset:         40
        .size:           8
        .value_kind:     global_buffer
      - .offset:         48
        .size:           4
        .value_kind:     hidden_block_count_x
      - .offset:         52
        .size:           4
        .value_kind:     hidden_block_count_y
      - .offset:         56
        .size:           4
        .value_kind:     hidden_block_count_z
      - .offset:         60
        .size:           2
        .value_kind:     hidden_group_size_x
      - .offset:         62
        .size:           2
        .value_kind:     hidden_group_size_y
      - .offset:         64
        .size:           2
        .value_kind:     hidden_group_size_z
      - .offset:         66
        .size:           2
        .value_kind:     hidden_remainder_x
      - .offset:         68
        .size:           2
        .value_kind:     hidden_remainder_y
      - .offset:         70
        .size:           2
        .value_kind:     hidden_remainder_z
      - .offset:         88
        .size:           8
        .value_kind:     hidden_global_offset_x
      - .offset:         96
        .size:           8
        .value_kind:     hidden_global_offset_y
      - .offset:         104
        .size:           8
        .value_kind:     hidden_global_offset_z
      - .offset:         112
        .size:           2
        .value_kind:     hidden_grid_dims
    .group_segment_fixed_size: 0
    .kernarg_segment_align: 8
    .kernarg_segment_size: 304
    .language:       OpenCL C
    .language_version:
      - 2
      - 0
    .max_flat_workgroup_size: 1024
    .name:           _ZN12_GLOBAL__N_121softmax_warp_backwardIN3c108BFloat16ES2_fLi2ELb0ELb1ELi32EEEvPT0_PKT_S7_iiiPKb
    .private_segment_fixed_size: 0
    .sgpr_count:     18
    .sgpr_spill_count: 0
    .symbol:         _ZN12_GLOBAL__N_121softmax_warp_backwardIN3c108BFloat16ES2_fLi2ELb0ELb1ELi32EEEvPT0_PKT_S7_iiiPKb.kd
    .uniform_work_group_size: 1
    .uses_dynamic_stack: false
    .vgpr_count:     15
    .vgpr_spill_count: 0
    .wavefront_size: 32
    .workgroup_processor_mode: 1
  - .args:
      - .address_space:  global
        .offset:         0
        .size:           8
        .value_kind:     global_buffer
      - .address_space:  global
        .offset:         8
        .size:           8
        .value_kind:     global_buffer
      - .address_space:  global
        .offset:         16
        .size:           8
        .value_kind:     global_buffer
      - .offset:         24
        .size:           4
        .value_kind:     by_value
      - .offset:         28
        .size:           4
        .value_kind:     by_value
      - .offset:         32
        .size:           4
        .value_kind:     by_value
      - .address_space:  global
        .offset:         40
        .size:           8
        .value_kind:     global_buffer
      - .offset:         48
        .size:           4
        .value_kind:     hidden_block_count_x
      - .offset:         52
        .size:           4
        .value_kind:     hidden_block_count_y
      - .offset:         56
        .size:           4
        .value_kind:     hidden_block_count_z
      - .offset:         60
        .size:           2
        .value_kind:     hidden_group_size_x
      - .offset:         62
        .size:           2
        .value_kind:     hidden_group_size_y
      - .offset:         64
        .size:           2
        .value_kind:     hidden_group_size_z
      - .offset:         66
        .size:           2
        .value_kind:     hidden_remainder_x
      - .offset:         68
        .size:           2
        .value_kind:     hidden_remainder_y
      - .offset:         70
        .size:           2
        .value_kind:     hidden_remainder_z
      - .offset:         88
        .size:           8
        .value_kind:     hidden_global_offset_x
      - .offset:         96
        .size:           8
        .value_kind:     hidden_global_offset_y
      - .offset:         104
        .size:           8
        .value_kind:     hidden_global_offset_z
      - .offset:         112
        .size:           2
        .value_kind:     hidden_grid_dims
    .group_segment_fixed_size: 0
    .kernarg_segment_align: 8
    .kernarg_segment_size: 304
    .language:       OpenCL C
    .language_version:
      - 2
      - 0
    .max_flat_workgroup_size: 1024
    .name:           _ZN12_GLOBAL__N_121softmax_warp_backwardIN3c108BFloat16ES2_fLi3ELb0ELb1ELi64EEEvPT0_PKT_S7_iiiPKb
    .private_segment_fixed_size: 0
    .sgpr_count:     18
    .sgpr_spill_count: 0
    .symbol:         _ZN12_GLOBAL__N_121softmax_warp_backwardIN3c108BFloat16ES2_fLi3ELb0ELb1ELi64EEEvPT0_PKT_S7_iiiPKb.kd
    .uniform_work_group_size: 1
    .uses_dynamic_stack: false
    .vgpr_count:     15
    .vgpr_spill_count: 0
    .wavefront_size: 32
    .workgroup_processor_mode: 1
  - .args:
      - .address_space:  global
        .offset:         0
        .size:           8
        .value_kind:     global_buffer
      - .address_space:  global
        .offset:         8
        .size:           8
        .value_kind:     global_buffer
      - .address_space:  global
        .offset:         16
        .size:           8
        .value_kind:     global_buffer
      - .offset:         24
        .size:           4
        .value_kind:     by_value
      - .offset:         28
        .size:           4
        .value_kind:     by_value
      - .offset:         32
        .size:           4
        .value_kind:     by_value
      - .address_space:  global
        .offset:         40
        .size:           8
        .value_kind:     global_buffer
      - .offset:         48
        .size:           4
        .value_kind:     hidden_block_count_x
      - .offset:         52
        .size:           4
        .value_kind:     hidden_block_count_y
      - .offset:         56
        .size:           4
        .value_kind:     hidden_block_count_z
      - .offset:         60
        .size:           2
        .value_kind:     hidden_group_size_x
      - .offset:         62
        .size:           2
        .value_kind:     hidden_group_size_y
      - .offset:         64
        .size:           2
        .value_kind:     hidden_group_size_z
      - .offset:         66
        .size:           2
        .value_kind:     hidden_remainder_x
      - .offset:         68
        .size:           2
        .value_kind:     hidden_remainder_y
      - .offset:         70
        .size:           2
        .value_kind:     hidden_remainder_z
      - .offset:         88
        .size:           8
        .value_kind:     hidden_global_offset_x
      - .offset:         96
        .size:           8
        .value_kind:     hidden_global_offset_y
      - .offset:         104
        .size:           8
        .value_kind:     hidden_global_offset_z
      - .offset:         112
        .size:           2
        .value_kind:     hidden_grid_dims
    .group_segment_fixed_size: 0
    .kernarg_segment_align: 8
    .kernarg_segment_size: 304
    .language:       OpenCL C
    .language_version:
      - 2
      - 0
    .max_flat_workgroup_size: 1024
    .name:           _ZN12_GLOBAL__N_121softmax_warp_backwardIN3c108BFloat16ES2_fLi3ELb0ELb1ELi32EEEvPT0_PKT_S7_iiiPKb
    .private_segment_fixed_size: 0
    .sgpr_count:     18
    .sgpr_spill_count: 0
    .symbol:         _ZN12_GLOBAL__N_121softmax_warp_backwardIN3c108BFloat16ES2_fLi3ELb0ELb1ELi32EEEvPT0_PKT_S7_iiiPKb.kd
    .uniform_work_group_size: 1
    .uses_dynamic_stack: false
    .vgpr_count:     15
    .vgpr_spill_count: 0
    .wavefront_size: 32
    .workgroup_processor_mode: 1
  - .args:
      - .address_space:  global
        .offset:         0
        .size:           8
        .value_kind:     global_buffer
      - .address_space:  global
        .offset:         8
        .size:           8
        .value_kind:     global_buffer
      - .address_space:  global
        .offset:         16
        .size:           8
        .value_kind:     global_buffer
      - .offset:         24
        .size:           4
        .value_kind:     by_value
      - .offset:         28
        .size:           4
        .value_kind:     by_value
      - .offset:         32
        .size:           4
        .value_kind:     by_value
      - .address_space:  global
        .offset:         40
        .size:           8
        .value_kind:     global_buffer
      - .offset:         48
        .size:           4
        .value_kind:     hidden_block_count_x
      - .offset:         52
        .size:           4
        .value_kind:     hidden_block_count_y
      - .offset:         56
        .size:           4
        .value_kind:     hidden_block_count_z
      - .offset:         60
        .size:           2
        .value_kind:     hidden_group_size_x
      - .offset:         62
        .size:           2
        .value_kind:     hidden_group_size_y
      - .offset:         64
        .size:           2
        .value_kind:     hidden_group_size_z
      - .offset:         66
        .size:           2
        .value_kind:     hidden_remainder_x
      - .offset:         68
        .size:           2
        .value_kind:     hidden_remainder_y
      - .offset:         70
        .size:           2
        .value_kind:     hidden_remainder_z
      - .offset:         88
        .size:           8
        .value_kind:     hidden_global_offset_x
      - .offset:         96
        .size:           8
        .value_kind:     hidden_global_offset_y
      - .offset:         104
        .size:           8
        .value_kind:     hidden_global_offset_z
      - .offset:         112
        .size:           2
        .value_kind:     hidden_grid_dims
    .group_segment_fixed_size: 0
    .kernarg_segment_align: 8
    .kernarg_segment_size: 304
    .language:       OpenCL C
    .language_version:
      - 2
      - 0
    .max_flat_workgroup_size: 1024
    .name:           _ZN12_GLOBAL__N_121softmax_warp_backwardIN3c108BFloat16ES2_fLi4ELb0ELb1ELi64EEEvPT0_PKT_S7_iiiPKb
    .private_segment_fixed_size: 0
    .sgpr_count:     18
    .sgpr_spill_count: 0
    .symbol:         _ZN12_GLOBAL__N_121softmax_warp_backwardIN3c108BFloat16ES2_fLi4ELb0ELb1ELi64EEEvPT0_PKT_S7_iiiPKb.kd
    .uniform_work_group_size: 1
    .uses_dynamic_stack: false
    .vgpr_count:     15
    .vgpr_spill_count: 0
    .wavefront_size: 32
    .workgroup_processor_mode: 1
  - .args:
      - .address_space:  global
        .offset:         0
        .size:           8
        .value_kind:     global_buffer
      - .address_space:  global
        .offset:         8
        .size:           8
        .value_kind:     global_buffer
      - .address_space:  global
        .offset:         16
        .size:           8
        .value_kind:     global_buffer
      - .offset:         24
        .size:           4
        .value_kind:     by_value
      - .offset:         28
        .size:           4
        .value_kind:     by_value
      - .offset:         32
        .size:           4
        .value_kind:     by_value
      - .address_space:  global
        .offset:         40
        .size:           8
        .value_kind:     global_buffer
      - .offset:         48
        .size:           4
        .value_kind:     hidden_block_count_x
      - .offset:         52
        .size:           4
        .value_kind:     hidden_block_count_y
      - .offset:         56
        .size:           4
        .value_kind:     hidden_block_count_z
      - .offset:         60
        .size:           2
        .value_kind:     hidden_group_size_x
      - .offset:         62
        .size:           2
        .value_kind:     hidden_group_size_y
      - .offset:         64
        .size:           2
        .value_kind:     hidden_group_size_z
      - .offset:         66
        .size:           2
        .value_kind:     hidden_remainder_x
      - .offset:         68
        .size:           2
        .value_kind:     hidden_remainder_y
      - .offset:         70
        .size:           2
        .value_kind:     hidden_remainder_z
      - .offset:         88
        .size:           8
        .value_kind:     hidden_global_offset_x
      - .offset:         96
        .size:           8
        .value_kind:     hidden_global_offset_y
      - .offset:         104
        .size:           8
        .value_kind:     hidden_global_offset_z
      - .offset:         112
        .size:           2
        .value_kind:     hidden_grid_dims
    .group_segment_fixed_size: 0
    .kernarg_segment_align: 8
    .kernarg_segment_size: 304
    .language:       OpenCL C
    .language_version:
      - 2
      - 0
    .max_flat_workgroup_size: 1024
    .name:           _ZN12_GLOBAL__N_121softmax_warp_backwardIN3c108BFloat16ES2_fLi4ELb0ELb1ELi32EEEvPT0_PKT_S7_iiiPKb
    .private_segment_fixed_size: 0
    .sgpr_count:     18
    .sgpr_spill_count: 0
    .symbol:         _ZN12_GLOBAL__N_121softmax_warp_backwardIN3c108BFloat16ES2_fLi4ELb0ELb1ELi32EEEvPT0_PKT_S7_iiiPKb.kd
    .uniform_work_group_size: 1
    .uses_dynamic_stack: false
    .vgpr_count:     15
    .vgpr_spill_count: 0
    .wavefront_size: 32
    .workgroup_processor_mode: 1
  - .args:
      - .address_space:  global
        .offset:         0
        .size:           8
        .value_kind:     global_buffer
      - .address_space:  global
        .offset:         8
        .size:           8
        .value_kind:     global_buffer
      - .address_space:  global
        .offset:         16
        .size:           8
        .value_kind:     global_buffer
      - .offset:         24
        .size:           4
        .value_kind:     by_value
      - .offset:         28
        .size:           4
        .value_kind:     by_value
      - .offset:         32
        .size:           4
        .value_kind:     by_value
      - .address_space:  global
        .offset:         40
        .size:           8
        .value_kind:     global_buffer
      - .offset:         48
        .size:           4
        .value_kind:     hidden_block_count_x
      - .offset:         52
        .size:           4
        .value_kind:     hidden_block_count_y
      - .offset:         56
        .size:           4
        .value_kind:     hidden_block_count_z
      - .offset:         60
        .size:           2
        .value_kind:     hidden_group_size_x
      - .offset:         62
        .size:           2
        .value_kind:     hidden_group_size_y
      - .offset:         64
        .size:           2
        .value_kind:     hidden_group_size_z
      - .offset:         66
        .size:           2
        .value_kind:     hidden_remainder_x
      - .offset:         68
        .size:           2
        .value_kind:     hidden_remainder_y
      - .offset:         70
        .size:           2
        .value_kind:     hidden_remainder_z
      - .offset:         88
        .size:           8
        .value_kind:     hidden_global_offset_x
      - .offset:         96
        .size:           8
        .value_kind:     hidden_global_offset_y
      - .offset:         104
        .size:           8
        .value_kind:     hidden_global_offset_z
      - .offset:         112
        .size:           2
        .value_kind:     hidden_grid_dims
    .group_segment_fixed_size: 0
    .kernarg_segment_align: 8
    .kernarg_segment_size: 304
    .language:       OpenCL C
    .language_version:
      - 2
      - 0
    .max_flat_workgroup_size: 1024
    .name:           _ZN12_GLOBAL__N_121softmax_warp_backwardIN3c108BFloat16ES2_fLi5ELb0ELb1ELi64EEEvPT0_PKT_S7_iiiPKb
    .private_segment_fixed_size: 0
    .sgpr_count:     18
    .sgpr_spill_count: 0
    .symbol:         _ZN12_GLOBAL__N_121softmax_warp_backwardIN3c108BFloat16ES2_fLi5ELb0ELb1ELi64EEEvPT0_PKT_S7_iiiPKb.kd
    .uniform_work_group_size: 1
    .uses_dynamic_stack: false
    .vgpr_count:     15
    .vgpr_spill_count: 0
    .wavefront_size: 32
    .workgroup_processor_mode: 1
  - .args:
      - .address_space:  global
        .offset:         0
        .size:           8
        .value_kind:     global_buffer
      - .address_space:  global
        .offset:         8
        .size:           8
        .value_kind:     global_buffer
      - .address_space:  global
        .offset:         16
        .size:           8
        .value_kind:     global_buffer
      - .offset:         24
        .size:           4
        .value_kind:     by_value
      - .offset:         28
        .size:           4
        .value_kind:     by_value
      - .offset:         32
        .size:           4
        .value_kind:     by_value
      - .address_space:  global
        .offset:         40
        .size:           8
        .value_kind:     global_buffer
      - .offset:         48
        .size:           4
        .value_kind:     hidden_block_count_x
      - .offset:         52
        .size:           4
        .value_kind:     hidden_block_count_y
      - .offset:         56
        .size:           4
        .value_kind:     hidden_block_count_z
      - .offset:         60
        .size:           2
        .value_kind:     hidden_group_size_x
      - .offset:         62
        .size:           2
        .value_kind:     hidden_group_size_y
      - .offset:         64
        .size:           2
        .value_kind:     hidden_group_size_z
      - .offset:         66
        .size:           2
        .value_kind:     hidden_remainder_x
      - .offset:         68
        .size:           2
        .value_kind:     hidden_remainder_y
      - .offset:         70
        .size:           2
        .value_kind:     hidden_remainder_z
      - .offset:         88
        .size:           8
        .value_kind:     hidden_global_offset_x
      - .offset:         96
        .size:           8
        .value_kind:     hidden_global_offset_y
      - .offset:         104
        .size:           8
        .value_kind:     hidden_global_offset_z
      - .offset:         112
        .size:           2
        .value_kind:     hidden_grid_dims
    .group_segment_fixed_size: 0
    .kernarg_segment_align: 8
    .kernarg_segment_size: 304
    .language:       OpenCL C
    .language_version:
      - 2
      - 0
    .max_flat_workgroup_size: 1024
    .name:           _ZN12_GLOBAL__N_121softmax_warp_backwardIN3c108BFloat16ES2_fLi5ELb0ELb1ELi32EEEvPT0_PKT_S7_iiiPKb
    .private_segment_fixed_size: 0
    .sgpr_count:     18
    .sgpr_spill_count: 0
    .symbol:         _ZN12_GLOBAL__N_121softmax_warp_backwardIN3c108BFloat16ES2_fLi5ELb0ELb1ELi32EEEvPT0_PKT_S7_iiiPKb.kd
    .uniform_work_group_size: 1
    .uses_dynamic_stack: false
    .vgpr_count:     15
    .vgpr_spill_count: 0
    .wavefront_size: 32
    .workgroup_processor_mode: 1
  - .args:
      - .address_space:  global
        .offset:         0
        .size:           8
        .value_kind:     global_buffer
      - .address_space:  global
        .offset:         8
        .size:           8
        .value_kind:     global_buffer
      - .address_space:  global
        .offset:         16
        .size:           8
        .value_kind:     global_buffer
      - .offset:         24
        .size:           4
        .value_kind:     by_value
      - .offset:         28
        .size:           4
        .value_kind:     by_value
      - .offset:         32
        .size:           4
        .value_kind:     by_value
      - .address_space:  global
        .offset:         40
        .size:           8
        .value_kind:     global_buffer
      - .offset:         48
        .size:           4
        .value_kind:     hidden_block_count_x
      - .offset:         52
        .size:           4
        .value_kind:     hidden_block_count_y
      - .offset:         56
        .size:           4
        .value_kind:     hidden_block_count_z
      - .offset:         60
        .size:           2
        .value_kind:     hidden_group_size_x
      - .offset:         62
        .size:           2
        .value_kind:     hidden_group_size_y
      - .offset:         64
        .size:           2
        .value_kind:     hidden_group_size_z
      - .offset:         66
        .size:           2
        .value_kind:     hidden_remainder_x
      - .offset:         68
        .size:           2
        .value_kind:     hidden_remainder_y
      - .offset:         70
        .size:           2
        .value_kind:     hidden_remainder_z
      - .offset:         88
        .size:           8
        .value_kind:     hidden_global_offset_x
      - .offset:         96
        .size:           8
        .value_kind:     hidden_global_offset_y
      - .offset:         104
        .size:           8
        .value_kind:     hidden_global_offset_z
      - .offset:         112
        .size:           2
        .value_kind:     hidden_grid_dims
    .group_segment_fixed_size: 0
    .kernarg_segment_align: 8
    .kernarg_segment_size: 304
    .language:       OpenCL C
    .language_version:
      - 2
      - 0
    .max_flat_workgroup_size: 1024
    .name:           _ZN12_GLOBAL__N_121softmax_warp_backwardIN3c108BFloat16ES2_fLi6ELb0ELb1ELi64EEEvPT0_PKT_S7_iiiPKb
    .private_segment_fixed_size: 0
    .sgpr_count:     18
    .sgpr_spill_count: 0
    .symbol:         _ZN12_GLOBAL__N_121softmax_warp_backwardIN3c108BFloat16ES2_fLi6ELb0ELb1ELi64EEEvPT0_PKT_S7_iiiPKb.kd
    .uniform_work_group_size: 1
    .uses_dynamic_stack: false
    .vgpr_count:     15
    .vgpr_spill_count: 0
    .wavefront_size: 32
    .workgroup_processor_mode: 1
  - .args:
      - .address_space:  global
        .offset:         0
        .size:           8
        .value_kind:     global_buffer
      - .address_space:  global
        .offset:         8
        .size:           8
        .value_kind:     global_buffer
      - .address_space:  global
        .offset:         16
        .size:           8
        .value_kind:     global_buffer
      - .offset:         24
        .size:           4
        .value_kind:     by_value
      - .offset:         28
        .size:           4
        .value_kind:     by_value
      - .offset:         32
        .size:           4
        .value_kind:     by_value
      - .address_space:  global
        .offset:         40
        .size:           8
        .value_kind:     global_buffer
      - .offset:         48
        .size:           4
        .value_kind:     hidden_block_count_x
      - .offset:         52
        .size:           4
        .value_kind:     hidden_block_count_y
      - .offset:         56
        .size:           4
        .value_kind:     hidden_block_count_z
      - .offset:         60
        .size:           2
        .value_kind:     hidden_group_size_x
      - .offset:         62
        .size:           2
        .value_kind:     hidden_group_size_y
      - .offset:         64
        .size:           2
        .value_kind:     hidden_group_size_z
      - .offset:         66
        .size:           2
        .value_kind:     hidden_remainder_x
      - .offset:         68
        .size:           2
        .value_kind:     hidden_remainder_y
      - .offset:         70
        .size:           2
        .value_kind:     hidden_remainder_z
      - .offset:         88
        .size:           8
        .value_kind:     hidden_global_offset_x
      - .offset:         96
        .size:           8
        .value_kind:     hidden_global_offset_y
      - .offset:         104
        .size:           8
        .value_kind:     hidden_global_offset_z
      - .offset:         112
        .size:           2
        .value_kind:     hidden_grid_dims
    .group_segment_fixed_size: 0
    .kernarg_segment_align: 8
    .kernarg_segment_size: 304
    .language:       OpenCL C
    .language_version:
      - 2
      - 0
    .max_flat_workgroup_size: 1024
    .name:           _ZN12_GLOBAL__N_121softmax_warp_backwardIN3c108BFloat16ES2_fLi6ELb0ELb1ELi32EEEvPT0_PKT_S7_iiiPKb
    .private_segment_fixed_size: 0
    .sgpr_count:     18
    .sgpr_spill_count: 0
    .symbol:         _ZN12_GLOBAL__N_121softmax_warp_backwardIN3c108BFloat16ES2_fLi6ELb0ELb1ELi32EEEvPT0_PKT_S7_iiiPKb.kd
    .uniform_work_group_size: 1
    .uses_dynamic_stack: false
    .vgpr_count:     19
    .vgpr_spill_count: 0
    .wavefront_size: 32
    .workgroup_processor_mode: 1
  - .args:
      - .address_space:  global
        .offset:         0
        .size:           8
        .value_kind:     global_buffer
      - .address_space:  global
        .offset:         8
        .size:           8
        .value_kind:     global_buffer
      - .address_space:  global
        .offset:         16
        .size:           8
        .value_kind:     global_buffer
      - .offset:         24
        .size:           4
        .value_kind:     by_value
      - .offset:         28
        .size:           4
        .value_kind:     by_value
      - .offset:         32
        .size:           4
        .value_kind:     by_value
      - .address_space:  global
        .offset:         40
        .size:           8
        .value_kind:     global_buffer
      - .offset:         48
        .size:           4
        .value_kind:     hidden_block_count_x
      - .offset:         52
        .size:           4
        .value_kind:     hidden_block_count_y
      - .offset:         56
        .size:           4
        .value_kind:     hidden_block_count_z
      - .offset:         60
        .size:           2
        .value_kind:     hidden_group_size_x
      - .offset:         62
        .size:           2
        .value_kind:     hidden_group_size_y
      - .offset:         64
        .size:           2
        .value_kind:     hidden_group_size_z
      - .offset:         66
        .size:           2
        .value_kind:     hidden_remainder_x
      - .offset:         68
        .size:           2
        .value_kind:     hidden_remainder_y
      - .offset:         70
        .size:           2
        .value_kind:     hidden_remainder_z
      - .offset:         88
        .size:           8
        .value_kind:     hidden_global_offset_x
      - .offset:         96
        .size:           8
        .value_kind:     hidden_global_offset_y
      - .offset:         104
        .size:           8
        .value_kind:     hidden_global_offset_z
      - .offset:         112
        .size:           2
        .value_kind:     hidden_grid_dims
    .group_segment_fixed_size: 0
    .kernarg_segment_align: 8
    .kernarg_segment_size: 304
    .language:       OpenCL C
    .language_version:
      - 2
      - 0
    .max_flat_workgroup_size: 1024
    .name:           _ZN12_GLOBAL__N_121softmax_warp_backwardIN3c108BFloat16ES2_fLi7ELb0ELb1ELi64EEEvPT0_PKT_S7_iiiPKb
    .private_segment_fixed_size: 0
    .sgpr_count:     18
    .sgpr_spill_count: 0
    .symbol:         _ZN12_GLOBAL__N_121softmax_warp_backwardIN3c108BFloat16ES2_fLi7ELb0ELb1ELi64EEEvPT0_PKT_S7_iiiPKb.kd
    .uniform_work_group_size: 1
    .uses_dynamic_stack: false
    .vgpr_count:     19
    .vgpr_spill_count: 0
    .wavefront_size: 32
    .workgroup_processor_mode: 1
  - .args:
      - .address_space:  global
        .offset:         0
        .size:           8
        .value_kind:     global_buffer
      - .address_space:  global
        .offset:         8
        .size:           8
        .value_kind:     global_buffer
      - .address_space:  global
        .offset:         16
        .size:           8
        .value_kind:     global_buffer
      - .offset:         24
        .size:           4
        .value_kind:     by_value
      - .offset:         28
        .size:           4
        .value_kind:     by_value
      - .offset:         32
        .size:           4
        .value_kind:     by_value
      - .address_space:  global
        .offset:         40
        .size:           8
        .value_kind:     global_buffer
      - .offset:         48
        .size:           4
        .value_kind:     hidden_block_count_x
      - .offset:         52
        .size:           4
        .value_kind:     hidden_block_count_y
      - .offset:         56
        .size:           4
        .value_kind:     hidden_block_count_z
      - .offset:         60
        .size:           2
        .value_kind:     hidden_group_size_x
      - .offset:         62
        .size:           2
        .value_kind:     hidden_group_size_y
      - .offset:         64
        .size:           2
        .value_kind:     hidden_group_size_z
      - .offset:         66
        .size:           2
        .value_kind:     hidden_remainder_x
      - .offset:         68
        .size:           2
        .value_kind:     hidden_remainder_y
      - .offset:         70
        .size:           2
        .value_kind:     hidden_remainder_z
      - .offset:         88
        .size:           8
        .value_kind:     hidden_global_offset_x
      - .offset:         96
        .size:           8
        .value_kind:     hidden_global_offset_y
      - .offset:         104
        .size:           8
        .value_kind:     hidden_global_offset_z
      - .offset:         112
        .size:           2
        .value_kind:     hidden_grid_dims
    .group_segment_fixed_size: 0
    .kernarg_segment_align: 8
    .kernarg_segment_size: 304
    .language:       OpenCL C
    .language_version:
      - 2
      - 0
    .max_flat_workgroup_size: 1024
    .name:           _ZN12_GLOBAL__N_121softmax_warp_backwardIN3c108BFloat16ES2_fLi7ELb0ELb1ELi32EEEvPT0_PKT_S7_iiiPKb
    .private_segment_fixed_size: 0
    .sgpr_count:     22
    .sgpr_spill_count: 0
    .symbol:         _ZN12_GLOBAL__N_121softmax_warp_backwardIN3c108BFloat16ES2_fLi7ELb0ELb1ELi32EEEvPT0_PKT_S7_iiiPKb.kd
    .uniform_work_group_size: 1
    .uses_dynamic_stack: false
    .vgpr_count:     29
    .vgpr_spill_count: 0
    .wavefront_size: 32
    .workgroup_processor_mode: 1
  - .args:
      - .address_space:  global
        .offset:         0
        .size:           8
        .value_kind:     global_buffer
      - .address_space:  global
        .offset:         8
        .size:           8
        .value_kind:     global_buffer
      - .address_space:  global
        .offset:         16
        .size:           8
        .value_kind:     global_buffer
      - .offset:         24
        .size:           4
        .value_kind:     by_value
      - .offset:         28
        .size:           4
        .value_kind:     by_value
      - .offset:         32
        .size:           4
        .value_kind:     by_value
      - .address_space:  global
        .offset:         40
        .size:           8
        .value_kind:     global_buffer
      - .offset:         48
        .size:           4
        .value_kind:     hidden_block_count_x
      - .offset:         52
        .size:           4
        .value_kind:     hidden_block_count_y
      - .offset:         56
        .size:           4
        .value_kind:     hidden_block_count_z
      - .offset:         60
        .size:           2
        .value_kind:     hidden_group_size_x
      - .offset:         62
        .size:           2
        .value_kind:     hidden_group_size_y
      - .offset:         64
        .size:           2
        .value_kind:     hidden_group_size_z
      - .offset:         66
        .size:           2
        .value_kind:     hidden_remainder_x
      - .offset:         68
        .size:           2
        .value_kind:     hidden_remainder_y
      - .offset:         70
        .size:           2
        .value_kind:     hidden_remainder_z
      - .offset:         88
        .size:           8
        .value_kind:     hidden_global_offset_x
      - .offset:         96
        .size:           8
        .value_kind:     hidden_global_offset_y
      - .offset:         104
        .size:           8
        .value_kind:     hidden_global_offset_z
      - .offset:         112
        .size:           2
        .value_kind:     hidden_grid_dims
    .group_segment_fixed_size: 0
    .kernarg_segment_align: 8
    .kernarg_segment_size: 304
    .language:       OpenCL C
    .language_version:
      - 2
      - 0
    .max_flat_workgroup_size: 1024
    .name:           _ZN12_GLOBAL__N_121softmax_warp_backwardIN3c108BFloat16ES2_fLi8ELb0ELb1ELi64EEEvPT0_PKT_S7_iiiPKb
    .private_segment_fixed_size: 0
    .sgpr_count:     14
    .sgpr_spill_count: 0
    .symbol:         _ZN12_GLOBAL__N_121softmax_warp_backwardIN3c108BFloat16ES2_fLi8ELb0ELb1ELi64EEEvPT0_PKT_S7_iiiPKb.kd
    .uniform_work_group_size: 1
    .uses_dynamic_stack: false
    .vgpr_count:     17
    .vgpr_spill_count: 0
    .wavefront_size: 32
    .workgroup_processor_mode: 1
  - .args:
      - .address_space:  global
        .offset:         0
        .size:           8
        .value_kind:     global_buffer
      - .address_space:  global
        .offset:         8
        .size:           8
        .value_kind:     global_buffer
      - .address_space:  global
        .offset:         16
        .size:           8
        .value_kind:     global_buffer
      - .offset:         24
        .size:           4
        .value_kind:     by_value
      - .offset:         28
        .size:           4
        .value_kind:     by_value
      - .offset:         32
        .size:           4
        .value_kind:     by_value
      - .address_space:  global
        .offset:         40
        .size:           8
        .value_kind:     global_buffer
      - .offset:         48
        .size:           4
        .value_kind:     hidden_block_count_x
      - .offset:         52
        .size:           4
        .value_kind:     hidden_block_count_y
      - .offset:         56
        .size:           4
        .value_kind:     hidden_block_count_z
      - .offset:         60
        .size:           2
        .value_kind:     hidden_group_size_x
      - .offset:         62
        .size:           2
        .value_kind:     hidden_group_size_y
      - .offset:         64
        .size:           2
        .value_kind:     hidden_group_size_z
      - .offset:         66
        .size:           2
        .value_kind:     hidden_remainder_x
      - .offset:         68
        .size:           2
        .value_kind:     hidden_remainder_y
      - .offset:         70
        .size:           2
        .value_kind:     hidden_remainder_z
      - .offset:         88
        .size:           8
        .value_kind:     hidden_global_offset_x
      - .offset:         96
        .size:           8
        .value_kind:     hidden_global_offset_y
      - .offset:         104
        .size:           8
        .value_kind:     hidden_global_offset_z
      - .offset:         112
        .size:           2
        .value_kind:     hidden_grid_dims
    .group_segment_fixed_size: 0
    .kernarg_segment_align: 8
    .kernarg_segment_size: 304
    .language:       OpenCL C
    .language_version:
      - 2
      - 0
    .max_flat_workgroup_size: 1024
    .name:           _ZN12_GLOBAL__N_121softmax_warp_backwardIN3c108BFloat16ES2_fLi8ELb0ELb1ELi32EEEvPT0_PKT_S7_iiiPKb
    .private_segment_fixed_size: 0
    .sgpr_count:     22
    .sgpr_spill_count: 0
    .symbol:         _ZN12_GLOBAL__N_121softmax_warp_backwardIN3c108BFloat16ES2_fLi8ELb0ELb1ELi32EEEvPT0_PKT_S7_iiiPKb.kd
    .uniform_work_group_size: 1
    .uses_dynamic_stack: false
    .vgpr_count:     28
    .vgpr_spill_count: 0
    .wavefront_size: 32
    .workgroup_processor_mode: 1
  - .args:
      - .address_space:  global
        .offset:         0
        .size:           8
        .value_kind:     global_buffer
      - .address_space:  global
        .offset:         8
        .size:           8
        .value_kind:     global_buffer
      - .address_space:  global
        .offset:         16
        .size:           8
        .value_kind:     global_buffer
      - .offset:         24
        .size:           4
        .value_kind:     by_value
      - .offset:         28
        .size:           4
        .value_kind:     by_value
      - .offset:         32
        .size:           4
        .value_kind:     by_value
      - .address_space:  global
        .offset:         40
        .size:           8
        .value_kind:     global_buffer
      - .offset:         48
        .size:           4
        .value_kind:     hidden_block_count_x
      - .offset:         52
        .size:           4
        .value_kind:     hidden_block_count_y
      - .offset:         56
        .size:           4
        .value_kind:     hidden_block_count_z
      - .offset:         60
        .size:           2
        .value_kind:     hidden_group_size_x
      - .offset:         62
        .size:           2
        .value_kind:     hidden_group_size_y
      - .offset:         64
        .size:           2
        .value_kind:     hidden_group_size_z
      - .offset:         66
        .size:           2
        .value_kind:     hidden_remainder_x
      - .offset:         68
        .size:           2
        .value_kind:     hidden_remainder_y
      - .offset:         70
        .size:           2
        .value_kind:     hidden_remainder_z
      - .offset:         88
        .size:           8
        .value_kind:     hidden_global_offset_x
      - .offset:         96
        .size:           8
        .value_kind:     hidden_global_offset_y
      - .offset:         104
        .size:           8
        .value_kind:     hidden_global_offset_z
      - .offset:         112
        .size:           2
        .value_kind:     hidden_grid_dims
    .group_segment_fixed_size: 0
    .kernarg_segment_align: 8
    .kernarg_segment_size: 304
    .language:       OpenCL C
    .language_version:
      - 2
      - 0
    .max_flat_workgroup_size: 1024
    .name:           _ZN12_GLOBAL__N_121softmax_warp_backwardIN3c108BFloat16ES2_fLi9ELb0ELb1ELi64EEEvPT0_PKT_S7_iiiPKb
    .private_segment_fixed_size: 0
    .sgpr_count:     22
    .sgpr_spill_count: 0
    .symbol:         _ZN12_GLOBAL__N_121softmax_warp_backwardIN3c108BFloat16ES2_fLi9ELb0ELb1ELi64EEEvPT0_PKT_S7_iiiPKb.kd
    .uniform_work_group_size: 1
    .uses_dynamic_stack: false
    .vgpr_count:     28
    .vgpr_spill_count: 0
    .wavefront_size: 32
    .workgroup_processor_mode: 1
  - .args:
      - .address_space:  global
        .offset:         0
        .size:           8
        .value_kind:     global_buffer
      - .address_space:  global
        .offset:         8
        .size:           8
        .value_kind:     global_buffer
      - .address_space:  global
        .offset:         16
        .size:           8
        .value_kind:     global_buffer
      - .offset:         24
        .size:           4
        .value_kind:     by_value
      - .offset:         28
        .size:           4
        .value_kind:     by_value
      - .offset:         32
        .size:           4
        .value_kind:     by_value
      - .address_space:  global
        .offset:         40
        .size:           8
        .value_kind:     global_buffer
      - .offset:         48
        .size:           4
        .value_kind:     hidden_block_count_x
      - .offset:         52
        .size:           4
        .value_kind:     hidden_block_count_y
      - .offset:         56
        .size:           4
        .value_kind:     hidden_block_count_z
      - .offset:         60
        .size:           2
        .value_kind:     hidden_group_size_x
      - .offset:         62
        .size:           2
        .value_kind:     hidden_group_size_y
      - .offset:         64
        .size:           2
        .value_kind:     hidden_group_size_z
      - .offset:         66
        .size:           2
        .value_kind:     hidden_remainder_x
      - .offset:         68
        .size:           2
        .value_kind:     hidden_remainder_y
      - .offset:         70
        .size:           2
        .value_kind:     hidden_remainder_z
      - .offset:         88
        .size:           8
        .value_kind:     hidden_global_offset_x
      - .offset:         96
        .size:           8
        .value_kind:     hidden_global_offset_y
      - .offset:         104
        .size:           8
        .value_kind:     hidden_global_offset_z
      - .offset:         112
        .size:           2
        .value_kind:     hidden_grid_dims
    .group_segment_fixed_size: 0
    .kernarg_segment_align: 8
    .kernarg_segment_size: 304
    .language:       OpenCL C
    .language_version:
      - 2
      - 0
    .max_flat_workgroup_size: 1024
    .name:           _ZN12_GLOBAL__N_121softmax_warp_backwardIN3c108BFloat16ES2_fLi9ELb0ELb1ELi32EEEvPT0_PKT_S7_iiiPKb
    .private_segment_fixed_size: 0
    .sgpr_count:     34
    .sgpr_spill_count: 0
    .symbol:         _ZN12_GLOBAL__N_121softmax_warp_backwardIN3c108BFloat16ES2_fLi9ELb0ELb1ELi32EEEvPT0_PKT_S7_iiiPKb.kd
    .uniform_work_group_size: 1
    .uses_dynamic_stack: false
    .vgpr_count:     54
    .vgpr_spill_count: 0
    .wavefront_size: 32
    .workgroup_processor_mode: 1
  - .args:
      - .address_space:  global
        .offset:         0
        .size:           8
        .value_kind:     global_buffer
      - .address_space:  global
        .offset:         8
        .size:           8
        .value_kind:     global_buffer
      - .address_space:  global
        .offset:         16
        .size:           8
        .value_kind:     global_buffer
      - .offset:         24
        .size:           4
        .value_kind:     by_value
      - .offset:         28
        .size:           4
        .value_kind:     by_value
      - .offset:         32
        .size:           4
        .value_kind:     by_value
      - .address_space:  global
        .offset:         40
        .size:           8
        .value_kind:     global_buffer
      - .offset:         48
        .size:           4
        .value_kind:     hidden_block_count_x
      - .offset:         52
        .size:           4
        .value_kind:     hidden_block_count_y
      - .offset:         56
        .size:           4
        .value_kind:     hidden_block_count_z
      - .offset:         60
        .size:           2
        .value_kind:     hidden_group_size_x
      - .offset:         62
        .size:           2
        .value_kind:     hidden_group_size_y
      - .offset:         64
        .size:           2
        .value_kind:     hidden_group_size_z
      - .offset:         66
        .size:           2
        .value_kind:     hidden_remainder_x
      - .offset:         68
        .size:           2
        .value_kind:     hidden_remainder_y
      - .offset:         70
        .size:           2
        .value_kind:     hidden_remainder_z
      - .offset:         88
        .size:           8
        .value_kind:     hidden_global_offset_x
      - .offset:         96
        .size:           8
        .value_kind:     hidden_global_offset_y
      - .offset:         104
        .size:           8
        .value_kind:     hidden_global_offset_z
      - .offset:         112
        .size:           2
        .value_kind:     hidden_grid_dims
    .group_segment_fixed_size: 0
    .kernarg_segment_align: 8
    .kernarg_segment_size: 304
    .language:       OpenCL C
    .language_version:
      - 2
      - 0
    .max_flat_workgroup_size: 1024
    .name:           _ZN12_GLOBAL__N_121softmax_warp_backwardIN3c108BFloat16ES2_fLi10ELb0ELb1ELi64EEEvPT0_PKT_S7_iiiPKb
    .private_segment_fixed_size: 0
    .sgpr_count:     30
    .sgpr_spill_count: 0
    .symbol:         _ZN12_GLOBAL__N_121softmax_warp_backwardIN3c108BFloat16ES2_fLi10ELb0ELb1ELi64EEEvPT0_PKT_S7_iiiPKb.kd
    .uniform_work_group_size: 1
    .uses_dynamic_stack: false
    .vgpr_count:     54
    .vgpr_spill_count: 0
    .wavefront_size: 32
    .workgroup_processor_mode: 1
  - .args:
      - .address_space:  global
        .offset:         0
        .size:           8
        .value_kind:     global_buffer
      - .address_space:  global
        .offset:         8
        .size:           8
        .value_kind:     global_buffer
      - .address_space:  global
        .offset:         16
        .size:           8
        .value_kind:     global_buffer
      - .offset:         24
        .size:           4
        .value_kind:     by_value
      - .offset:         28
        .size:           4
        .value_kind:     by_value
      - .offset:         32
        .size:           4
        .value_kind:     by_value
      - .address_space:  global
        .offset:         40
        .size:           8
        .value_kind:     global_buffer
      - .offset:         48
        .size:           4
        .value_kind:     hidden_block_count_x
      - .offset:         52
        .size:           4
        .value_kind:     hidden_block_count_y
      - .offset:         56
        .size:           4
        .value_kind:     hidden_block_count_z
      - .offset:         60
        .size:           2
        .value_kind:     hidden_group_size_x
      - .offset:         62
        .size:           2
        .value_kind:     hidden_group_size_y
      - .offset:         64
        .size:           2
        .value_kind:     hidden_group_size_z
      - .offset:         66
        .size:           2
        .value_kind:     hidden_remainder_x
      - .offset:         68
        .size:           2
        .value_kind:     hidden_remainder_y
      - .offset:         70
        .size:           2
        .value_kind:     hidden_remainder_z
      - .offset:         88
        .size:           8
        .value_kind:     hidden_global_offset_x
      - .offset:         96
        .size:           8
        .value_kind:     hidden_global_offset_y
      - .offset:         104
        .size:           8
        .value_kind:     hidden_global_offset_z
      - .offset:         112
        .size:           2
        .value_kind:     hidden_grid_dims
    .group_segment_fixed_size: 0
    .kernarg_segment_align: 8
    .kernarg_segment_size: 304
    .language:       OpenCL C
    .language_version:
      - 2
      - 0
    .max_flat_workgroup_size: 1024
    .name:           _ZN12_GLOBAL__N_121softmax_warp_backwardIN3c108BFloat16ES2_fLi10ELb0ELb1ELi32EEEvPT0_PKT_S7_iiiPKb
    .private_segment_fixed_size: 0
    .sgpr_count:     50
    .sgpr_spill_count: 0
    .symbol:         _ZN12_GLOBAL__N_121softmax_warp_backwardIN3c108BFloat16ES2_fLi10ELb0ELb1ELi32EEEvPT0_PKT_S7_iiiPKb.kd
    .uniform_work_group_size: 1
    .uses_dynamic_stack: false
    .vgpr_count:     74
    .vgpr_spill_count: 0
    .wavefront_size: 32
    .workgroup_processor_mode: 1
amdhsa.target:   amdgcn-amd-amdhsa--gfx1030
amdhsa.version:
  - 1
  - 2
...

	.end_amdgpu_metadata
